;; amdgpu-corpus repo=ROCm/rocThrust kind=compiled arch=gfx906 opt=O3
	.amdgcn_target "amdgcn-amd-amdhsa--gfx906"
	.amdhsa_code_object_version 6
	.text
	.protected	_Z12UniqueKerneliPiS_   ; -- Begin function _Z12UniqueKerneliPiS_
	.globl	_Z12UniqueKerneliPiS_
	.p2align	8
	.type	_Z12UniqueKerneliPiS_,@function
_Z12UniqueKerneliPiS_:                  ; @_Z12UniqueKerneliPiS_
; %bb.0:
	v_cmp_eq_u32_e32 vcc, 0, v0
	s_and_saveexec_b64 s[0:1], vcc
	s_cbranch_execz .LBB0_13
; %bb.1:
	s_load_dword s6, s[4:5], 0x0
	s_load_dwordx4 s[0:3], s[4:5], 0x8
	s_waitcnt lgkmcnt(0)
	s_cmp_eq_u32 s6, 0
	s_cbranch_scc1 .LBB0_8
; %bb.2:
	s_load_dword s4, s[0:1], 0x0
	s_cmp_eq_u32 s6, 1
	s_cbranch_scc1 .LBB0_9
; %bb.3:
	s_ashr_i32 s7, s6, 31
	s_lshl_b64 s[8:9], s[6:7], 2
	s_add_u32 s6, s0, 4
	s_addc_u32 s7, s1, 0
	s_add_u32 s8, s8, -4
	s_addc_u32 s9, s9, -1
	s_waitcnt lgkmcnt(0)
	v_mov_b32_e32 v2, s4
	v_mov_b32_e32 v1, 0
	s_mov_b64 s[4:5], s[0:1]
	global_load_dword v0, v1, s[6:7]
	s_waitcnt vmcnt(0)
	v_cmp_eq_u32_e32 vcc, v2, v0
	s_cbranch_vccnz .LBB0_5
.LBB0_4:
	s_add_u32 s10, s4, 4
	s_addc_u32 s11, s5, 0
	global_store_dword v1, v2, s[4:5]
	s_mov_b64 s[4:5], s[10:11]
	s_branch .LBB0_6
.LBB0_5:
	v_mov_b32_e32 v0, v2
.LBB0_6:
	s_add_u32 s6, s6, 4
	s_addc_u32 s7, s7, 0
	s_add_u32 s8, s8, -4
	s_addc_u32 s9, s9, -1
	s_cmp_lg_u64 s[8:9], 0
	s_cbranch_scc0 .LBB0_10
; %bb.7:
	v_mov_b32_e32 v2, v0
	global_load_dword v0, v1, s[6:7]
	s_waitcnt vmcnt(0)
	v_cmp_eq_u32_e32 vcc, v2, v0
	s_cbranch_vccnz .LBB0_5
	s_branch .LBB0_4
.LBB0_8:
	s_mov_b64 s[4:5], s[0:1]
	s_branch .LBB0_12
.LBB0_9:
	s_waitcnt lgkmcnt(0)
	v_mov_b32_e32 v0, s4
	s_mov_b64 s[4:5], s[0:1]
	s_mov_b64 s[6:7], s[0:1]
	s_branch .LBB0_11
.LBB0_10:
	s_mov_b64 s[6:7], s[4:5]
.LBB0_11:
	v_mov_b32_e32 v1, 0
	global_store_dword v1, v0, s[4:5]
	s_add_u32 s4, s6, 4
	s_addc_u32 s5, s7, 0
.LBB0_12:
	s_sub_u32 s0, s4, s0
	s_subb_u32 s1, s5, s1
	s_lshr_b64 s[0:1], s[0:1], 2
	v_mov_b32_e32 v0, 0
	v_mov_b32_e32 v1, s0
	global_store_dword v0, v1, s[2:3]
.LBB0_13:
	s_endpgm
	.section	.rodata,"a",@progbits
	.p2align	6, 0x0
	.amdhsa_kernel _Z12UniqueKerneliPiS_
		.amdhsa_group_segment_fixed_size 0
		.amdhsa_private_segment_fixed_size 0
		.amdhsa_kernarg_size 24
		.amdhsa_user_sgpr_count 6
		.amdhsa_user_sgpr_private_segment_buffer 1
		.amdhsa_user_sgpr_dispatch_ptr 0
		.amdhsa_user_sgpr_queue_ptr 0
		.amdhsa_user_sgpr_kernarg_segment_ptr 1
		.amdhsa_user_sgpr_dispatch_id 0
		.amdhsa_user_sgpr_flat_scratch_init 0
		.amdhsa_user_sgpr_private_segment_size 0
		.amdhsa_uses_dynamic_stack 0
		.amdhsa_system_sgpr_private_segment_wavefront_offset 0
		.amdhsa_system_sgpr_workgroup_id_x 1
		.amdhsa_system_sgpr_workgroup_id_y 0
		.amdhsa_system_sgpr_workgroup_id_z 0
		.amdhsa_system_sgpr_workgroup_info 0
		.amdhsa_system_vgpr_workitem_id 0
		.amdhsa_next_free_vgpr 3
		.amdhsa_next_free_sgpr 12
		.amdhsa_reserve_vcc 1
		.amdhsa_reserve_flat_scratch 0
		.amdhsa_float_round_mode_32 0
		.amdhsa_float_round_mode_16_64 0
		.amdhsa_float_denorm_mode_32 3
		.amdhsa_float_denorm_mode_16_64 3
		.amdhsa_dx10_clamp 1
		.amdhsa_ieee_mode 1
		.amdhsa_fp16_overflow 0
		.amdhsa_exception_fp_ieee_invalid_op 0
		.amdhsa_exception_fp_denorm_src 0
		.amdhsa_exception_fp_ieee_div_zero 0
		.amdhsa_exception_fp_ieee_overflow 0
		.amdhsa_exception_fp_ieee_underflow 0
		.amdhsa_exception_fp_ieee_inexact 0
		.amdhsa_exception_int_div_zero 0
	.end_amdhsa_kernel
	.text
.Lfunc_end0:
	.size	_Z12UniqueKerneliPiS_, .Lfunc_end0-_Z12UniqueKerneliPiS_
                                        ; -- End function
	.set _Z12UniqueKerneliPiS_.num_vgpr, 3
	.set _Z12UniqueKerneliPiS_.num_agpr, 0
	.set _Z12UniqueKerneliPiS_.numbered_sgpr, 12
	.set _Z12UniqueKerneliPiS_.num_named_barrier, 0
	.set _Z12UniqueKerneliPiS_.private_seg_size, 0
	.set _Z12UniqueKerneliPiS_.uses_vcc, 1
	.set _Z12UniqueKerneliPiS_.uses_flat_scratch, 0
	.set _Z12UniqueKerneliPiS_.has_dyn_sized_stack, 0
	.set _Z12UniqueKerneliPiS_.has_recursion, 0
	.set _Z12UniqueKerneliPiS_.has_indirect_call, 0
	.section	.AMDGPU.csdata,"",@progbits
; Kernel info:
; codeLenInByte = 280
; TotalNumSgprs: 16
; NumVgprs: 3
; ScratchSize: 0
; MemoryBound: 0
; FloatMode: 240
; IeeeMode: 1
; LDSByteSize: 0 bytes/workgroup (compile time only)
; SGPRBlocks: 1
; VGPRBlocks: 0
; NumSGPRsForWavesPerEU: 16
; NumVGPRsForWavesPerEU: 3
; Occupancy: 10
; WaveLimiterHint : 0
; COMPUTE_PGM_RSRC2:SCRATCH_EN: 0
; COMPUTE_PGM_RSRC2:USER_SGPR: 6
; COMPUTE_PGM_RSRC2:TRAP_HANDLER: 0
; COMPUTE_PGM_RSRC2:TGID_X_EN: 1
; COMPUTE_PGM_RSRC2:TGID_Y_EN: 0
; COMPUTE_PGM_RSRC2:TGID_Z_EN: 0
; COMPUTE_PGM_RSRC2:TIDIG_COMP_CNT: 0
	.section	.text._ZN6thrust23THRUST_200600_302600_NS11hip_rocprim14__parallel_for6kernelILj256ENS1_20__uninitialized_fill7functorINS0_10device_ptrIiEEiEEmLj1EEEvT0_T1_SA_,"axG",@progbits,_ZN6thrust23THRUST_200600_302600_NS11hip_rocprim14__parallel_for6kernelILj256ENS1_20__uninitialized_fill7functorINS0_10device_ptrIiEEiEEmLj1EEEvT0_T1_SA_,comdat
	.protected	_ZN6thrust23THRUST_200600_302600_NS11hip_rocprim14__parallel_for6kernelILj256ENS1_20__uninitialized_fill7functorINS0_10device_ptrIiEEiEEmLj1EEEvT0_T1_SA_ ; -- Begin function _ZN6thrust23THRUST_200600_302600_NS11hip_rocprim14__parallel_for6kernelILj256ENS1_20__uninitialized_fill7functorINS0_10device_ptrIiEEiEEmLj1EEEvT0_T1_SA_
	.globl	_ZN6thrust23THRUST_200600_302600_NS11hip_rocprim14__parallel_for6kernelILj256ENS1_20__uninitialized_fill7functorINS0_10device_ptrIiEEiEEmLj1EEEvT0_T1_SA_
	.p2align	8
	.type	_ZN6thrust23THRUST_200600_302600_NS11hip_rocprim14__parallel_for6kernelILj256ENS1_20__uninitialized_fill7functorINS0_10device_ptrIiEEiEEmLj1EEEvT0_T1_SA_,@function
_ZN6thrust23THRUST_200600_302600_NS11hip_rocprim14__parallel_for6kernelILj256ENS1_20__uninitialized_fill7functorINS0_10device_ptrIiEEiEEmLj1EEEvT0_T1_SA_: ; @_ZN6thrust23THRUST_200600_302600_NS11hip_rocprim14__parallel_for6kernelILj256ENS1_20__uninitialized_fill7functorINS0_10device_ptrIiEEiEEmLj1EEEvT0_T1_SA_
; %bb.0:
	s_load_dwordx4 s[12:15], s[4:5], 0x10
	s_load_dwordx2 s[0:1], s[4:5], 0x0
	s_load_dword s8, s[4:5], 0x8
	s_lshl_b32 s2, s6, 8
	v_mov_b32_e32 v1, 0xff
	s_waitcnt lgkmcnt(0)
	s_add_u32 s2, s14, s2
	s_addc_u32 s3, s15, 0
	s_sub_u32 s4, s12, s2
	v_mov_b32_e32 v2, 0
	s_subb_u32 s5, s13, s3
	v_cmp_gt_u64_e32 vcc, s[4:5], v[1:2]
	s_mov_b64 s[6:7], -1
	s_cbranch_vccz .LBB1_3
; %bb.1:
	s_andn2_b64 vcc, exec, s[6:7]
	s_cbranch_vccz .LBB1_6
.LBB1_2:
	s_endpgm
.LBB1_3:
	v_cmp_gt_u32_e32 vcc, s4, v0
	s_and_saveexec_b64 s[4:5], vcc
	s_cbranch_execz .LBB1_5
; %bb.4:
	s_lshl_b64 s[6:7], s[2:3], 2
	s_add_u32 s6, s0, s6
	s_addc_u32 s7, s1, s7
	v_lshlrev_b32_e32 v1, 2, v0
	v_mov_b32_e32 v2, s7
	v_add_co_u32_e32 v1, vcc, s6, v1
	v_addc_co_u32_e32 v2, vcc, 0, v2, vcc
	v_mov_b32_e32 v3, s8
	flat_store_dword v[1:2], v3
.LBB1_5:
	s_or_b64 exec, exec, s[4:5]
	s_cbranch_execnz .LBB1_2
.LBB1_6:
	s_lshl_b64 s[2:3], s[2:3], 2
	s_add_u32 s0, s0, s2
	s_addc_u32 s1, s1, s3
	v_lshlrev_b32_e32 v0, 2, v0
	v_mov_b32_e32 v1, s1
	v_add_co_u32_e32 v0, vcc, s0, v0
	v_addc_co_u32_e32 v1, vcc, 0, v1, vcc
	v_mov_b32_e32 v2, s8
	flat_store_dword v[0:1], v2
	s_endpgm
	.section	.rodata,"a",@progbits
	.p2align	6, 0x0
	.amdhsa_kernel _ZN6thrust23THRUST_200600_302600_NS11hip_rocprim14__parallel_for6kernelILj256ENS1_20__uninitialized_fill7functorINS0_10device_ptrIiEEiEEmLj1EEEvT0_T1_SA_
		.amdhsa_group_segment_fixed_size 0
		.amdhsa_private_segment_fixed_size 0
		.amdhsa_kernarg_size 32
		.amdhsa_user_sgpr_count 6
		.amdhsa_user_sgpr_private_segment_buffer 1
		.amdhsa_user_sgpr_dispatch_ptr 0
		.amdhsa_user_sgpr_queue_ptr 0
		.amdhsa_user_sgpr_kernarg_segment_ptr 1
		.amdhsa_user_sgpr_dispatch_id 0
		.amdhsa_user_sgpr_flat_scratch_init 0
		.amdhsa_user_sgpr_private_segment_size 0
		.amdhsa_uses_dynamic_stack 0
		.amdhsa_system_sgpr_private_segment_wavefront_offset 0
		.amdhsa_system_sgpr_workgroup_id_x 1
		.amdhsa_system_sgpr_workgroup_id_y 0
		.amdhsa_system_sgpr_workgroup_id_z 0
		.amdhsa_system_sgpr_workgroup_info 0
		.amdhsa_system_vgpr_workitem_id 0
		.amdhsa_next_free_vgpr 4
		.amdhsa_next_free_sgpr 16
		.amdhsa_reserve_vcc 1
		.amdhsa_reserve_flat_scratch 0
		.amdhsa_float_round_mode_32 0
		.amdhsa_float_round_mode_16_64 0
		.amdhsa_float_denorm_mode_32 3
		.amdhsa_float_denorm_mode_16_64 3
		.amdhsa_dx10_clamp 1
		.amdhsa_ieee_mode 1
		.amdhsa_fp16_overflow 0
		.amdhsa_exception_fp_ieee_invalid_op 0
		.amdhsa_exception_fp_denorm_src 0
		.amdhsa_exception_fp_ieee_div_zero 0
		.amdhsa_exception_fp_ieee_overflow 0
		.amdhsa_exception_fp_ieee_underflow 0
		.amdhsa_exception_fp_ieee_inexact 0
		.amdhsa_exception_int_div_zero 0
	.end_amdhsa_kernel
	.section	.text._ZN6thrust23THRUST_200600_302600_NS11hip_rocprim14__parallel_for6kernelILj256ENS1_20__uninitialized_fill7functorINS0_10device_ptrIiEEiEEmLj1EEEvT0_T1_SA_,"axG",@progbits,_ZN6thrust23THRUST_200600_302600_NS11hip_rocprim14__parallel_for6kernelILj256ENS1_20__uninitialized_fill7functorINS0_10device_ptrIiEEiEEmLj1EEEvT0_T1_SA_,comdat
.Lfunc_end1:
	.size	_ZN6thrust23THRUST_200600_302600_NS11hip_rocprim14__parallel_for6kernelILj256ENS1_20__uninitialized_fill7functorINS0_10device_ptrIiEEiEEmLj1EEEvT0_T1_SA_, .Lfunc_end1-_ZN6thrust23THRUST_200600_302600_NS11hip_rocprim14__parallel_for6kernelILj256ENS1_20__uninitialized_fill7functorINS0_10device_ptrIiEEiEEmLj1EEEvT0_T1_SA_
                                        ; -- End function
	.set _ZN6thrust23THRUST_200600_302600_NS11hip_rocprim14__parallel_for6kernelILj256ENS1_20__uninitialized_fill7functorINS0_10device_ptrIiEEiEEmLj1EEEvT0_T1_SA_.num_vgpr, 4
	.set _ZN6thrust23THRUST_200600_302600_NS11hip_rocprim14__parallel_for6kernelILj256ENS1_20__uninitialized_fill7functorINS0_10device_ptrIiEEiEEmLj1EEEvT0_T1_SA_.num_agpr, 0
	.set _ZN6thrust23THRUST_200600_302600_NS11hip_rocprim14__parallel_for6kernelILj256ENS1_20__uninitialized_fill7functorINS0_10device_ptrIiEEiEEmLj1EEEvT0_T1_SA_.numbered_sgpr, 16
	.set _ZN6thrust23THRUST_200600_302600_NS11hip_rocprim14__parallel_for6kernelILj256ENS1_20__uninitialized_fill7functorINS0_10device_ptrIiEEiEEmLj1EEEvT0_T1_SA_.num_named_barrier, 0
	.set _ZN6thrust23THRUST_200600_302600_NS11hip_rocprim14__parallel_for6kernelILj256ENS1_20__uninitialized_fill7functorINS0_10device_ptrIiEEiEEmLj1EEEvT0_T1_SA_.private_seg_size, 0
	.set _ZN6thrust23THRUST_200600_302600_NS11hip_rocprim14__parallel_for6kernelILj256ENS1_20__uninitialized_fill7functorINS0_10device_ptrIiEEiEEmLj1EEEvT0_T1_SA_.uses_vcc, 1
	.set _ZN6thrust23THRUST_200600_302600_NS11hip_rocprim14__parallel_for6kernelILj256ENS1_20__uninitialized_fill7functorINS0_10device_ptrIiEEiEEmLj1EEEvT0_T1_SA_.uses_flat_scratch, 0
	.set _ZN6thrust23THRUST_200600_302600_NS11hip_rocprim14__parallel_for6kernelILj256ENS1_20__uninitialized_fill7functorINS0_10device_ptrIiEEiEEmLj1EEEvT0_T1_SA_.has_dyn_sized_stack, 0
	.set _ZN6thrust23THRUST_200600_302600_NS11hip_rocprim14__parallel_for6kernelILj256ENS1_20__uninitialized_fill7functorINS0_10device_ptrIiEEiEEmLj1EEEvT0_T1_SA_.has_recursion, 0
	.set _ZN6thrust23THRUST_200600_302600_NS11hip_rocprim14__parallel_for6kernelILj256ENS1_20__uninitialized_fill7functorINS0_10device_ptrIiEEiEEmLj1EEEvT0_T1_SA_.has_indirect_call, 0
	.section	.AMDGPU.csdata,"",@progbits
; Kernel info:
; codeLenInByte = 188
; TotalNumSgprs: 20
; NumVgprs: 4
; ScratchSize: 0
; MemoryBound: 0
; FloatMode: 240
; IeeeMode: 1
; LDSByteSize: 0 bytes/workgroup (compile time only)
; SGPRBlocks: 2
; VGPRBlocks: 0
; NumSGPRsForWavesPerEU: 20
; NumVGPRsForWavesPerEU: 4
; Occupancy: 10
; WaveLimiterHint : 0
; COMPUTE_PGM_RSRC2:SCRATCH_EN: 0
; COMPUTE_PGM_RSRC2:USER_SGPR: 6
; COMPUTE_PGM_RSRC2:TRAP_HANDLER: 0
; COMPUTE_PGM_RSRC2:TGID_X_EN: 1
; COMPUTE_PGM_RSRC2:TGID_Y_EN: 0
; COMPUTE_PGM_RSRC2:TGID_Z_EN: 0
; COMPUTE_PGM_RSRC2:TIDIG_COMP_CNT: 0
	.section	.text._ZN6thrust23THRUST_200600_302600_NS11hip_rocprim14__parallel_for6kernelILj256ENS1_20__uninitialized_fill7functorINS0_10device_ptrIdEEdEEmLj1EEEvT0_T1_SA_,"axG",@progbits,_ZN6thrust23THRUST_200600_302600_NS11hip_rocprim14__parallel_for6kernelILj256ENS1_20__uninitialized_fill7functorINS0_10device_ptrIdEEdEEmLj1EEEvT0_T1_SA_,comdat
	.protected	_ZN6thrust23THRUST_200600_302600_NS11hip_rocprim14__parallel_for6kernelILj256ENS1_20__uninitialized_fill7functorINS0_10device_ptrIdEEdEEmLj1EEEvT0_T1_SA_ ; -- Begin function _ZN6thrust23THRUST_200600_302600_NS11hip_rocprim14__parallel_for6kernelILj256ENS1_20__uninitialized_fill7functorINS0_10device_ptrIdEEdEEmLj1EEEvT0_T1_SA_
	.globl	_ZN6thrust23THRUST_200600_302600_NS11hip_rocprim14__parallel_for6kernelILj256ENS1_20__uninitialized_fill7functorINS0_10device_ptrIdEEdEEmLj1EEEvT0_T1_SA_
	.p2align	8
	.type	_ZN6thrust23THRUST_200600_302600_NS11hip_rocprim14__parallel_for6kernelILj256ENS1_20__uninitialized_fill7functorINS0_10device_ptrIdEEdEEmLj1EEEvT0_T1_SA_,@function
_ZN6thrust23THRUST_200600_302600_NS11hip_rocprim14__parallel_for6kernelILj256ENS1_20__uninitialized_fill7functorINS0_10device_ptrIdEEdEEmLj1EEEvT0_T1_SA_: ; @_ZN6thrust23THRUST_200600_302600_NS11hip_rocprim14__parallel_for6kernelILj256ENS1_20__uninitialized_fill7functorINS0_10device_ptrIdEEdEEmLj1EEEvT0_T1_SA_
; %bb.0:
	s_load_dwordx8 s[8:15], s[4:5], 0x0
	s_lshl_b32 s0, s6, 8
	v_mov_b32_e32 v1, 0xff
	v_mov_b32_e32 v2, 0
	s_mov_b64 s[4:5], -1
	s_waitcnt lgkmcnt(0)
	s_add_u32 s0, s14, s0
	s_addc_u32 s1, s15, 0
	s_sub_u32 s2, s12, s0
	s_subb_u32 s3, s13, s1
	v_cmp_gt_u64_e32 vcc, s[2:3], v[1:2]
	s_cbranch_vccz .LBB2_3
; %bb.1:
	s_andn2_b64 vcc, exec, s[4:5]
	s_cbranch_vccz .LBB2_6
.LBB2_2:
	s_endpgm
.LBB2_3:
	v_cmp_gt_u32_e32 vcc, s2, v0
	s_and_saveexec_b64 s[2:3], vcc
	s_cbranch_execz .LBB2_5
; %bb.4:
	s_lshl_b64 s[4:5], s[0:1], 3
	s_add_u32 s4, s8, s4
	s_addc_u32 s5, s9, s5
	v_lshlrev_b32_e32 v1, 3, v0
	v_mov_b32_e32 v2, s5
	v_add_co_u32_e32 v1, vcc, s4, v1
	v_mov_b32_e32 v3, s10
	v_addc_co_u32_e32 v2, vcc, 0, v2, vcc
	v_mov_b32_e32 v4, s11
	flat_store_dwordx2 v[1:2], v[3:4]
.LBB2_5:
	s_or_b64 exec, exec, s[2:3]
	s_cbranch_execnz .LBB2_2
.LBB2_6:
	s_lshl_b64 s[0:1], s[0:1], 3
	s_add_u32 s0, s8, s0
	s_addc_u32 s1, s9, s1
	v_lshlrev_b32_e32 v0, 3, v0
	v_mov_b32_e32 v1, s1
	v_add_co_u32_e32 v0, vcc, s0, v0
	v_mov_b32_e32 v2, s10
	v_addc_co_u32_e32 v1, vcc, 0, v1, vcc
	v_mov_b32_e32 v3, s11
	flat_store_dwordx2 v[0:1], v[2:3]
	s_endpgm
	.section	.rodata,"a",@progbits
	.p2align	6, 0x0
	.amdhsa_kernel _ZN6thrust23THRUST_200600_302600_NS11hip_rocprim14__parallel_for6kernelILj256ENS1_20__uninitialized_fill7functorINS0_10device_ptrIdEEdEEmLj1EEEvT0_T1_SA_
		.amdhsa_group_segment_fixed_size 0
		.amdhsa_private_segment_fixed_size 0
		.amdhsa_kernarg_size 32
		.amdhsa_user_sgpr_count 6
		.amdhsa_user_sgpr_private_segment_buffer 1
		.amdhsa_user_sgpr_dispatch_ptr 0
		.amdhsa_user_sgpr_queue_ptr 0
		.amdhsa_user_sgpr_kernarg_segment_ptr 1
		.amdhsa_user_sgpr_dispatch_id 0
		.amdhsa_user_sgpr_flat_scratch_init 0
		.amdhsa_user_sgpr_private_segment_size 0
		.amdhsa_uses_dynamic_stack 0
		.amdhsa_system_sgpr_private_segment_wavefront_offset 0
		.amdhsa_system_sgpr_workgroup_id_x 1
		.amdhsa_system_sgpr_workgroup_id_y 0
		.amdhsa_system_sgpr_workgroup_id_z 0
		.amdhsa_system_sgpr_workgroup_info 0
		.amdhsa_system_vgpr_workitem_id 0
		.amdhsa_next_free_vgpr 5
		.amdhsa_next_free_sgpr 16
		.amdhsa_reserve_vcc 1
		.amdhsa_reserve_flat_scratch 0
		.amdhsa_float_round_mode_32 0
		.amdhsa_float_round_mode_16_64 0
		.amdhsa_float_denorm_mode_32 3
		.amdhsa_float_denorm_mode_16_64 3
		.amdhsa_dx10_clamp 1
		.amdhsa_ieee_mode 1
		.amdhsa_fp16_overflow 0
		.amdhsa_exception_fp_ieee_invalid_op 0
		.amdhsa_exception_fp_denorm_src 0
		.amdhsa_exception_fp_ieee_div_zero 0
		.amdhsa_exception_fp_ieee_overflow 0
		.amdhsa_exception_fp_ieee_underflow 0
		.amdhsa_exception_fp_ieee_inexact 0
		.amdhsa_exception_int_div_zero 0
	.end_amdhsa_kernel
	.section	.text._ZN6thrust23THRUST_200600_302600_NS11hip_rocprim14__parallel_for6kernelILj256ENS1_20__uninitialized_fill7functorINS0_10device_ptrIdEEdEEmLj1EEEvT0_T1_SA_,"axG",@progbits,_ZN6thrust23THRUST_200600_302600_NS11hip_rocprim14__parallel_for6kernelILj256ENS1_20__uninitialized_fill7functorINS0_10device_ptrIdEEdEEmLj1EEEvT0_T1_SA_,comdat
.Lfunc_end2:
	.size	_ZN6thrust23THRUST_200600_302600_NS11hip_rocprim14__parallel_for6kernelILj256ENS1_20__uninitialized_fill7functorINS0_10device_ptrIdEEdEEmLj1EEEvT0_T1_SA_, .Lfunc_end2-_ZN6thrust23THRUST_200600_302600_NS11hip_rocprim14__parallel_for6kernelILj256ENS1_20__uninitialized_fill7functorINS0_10device_ptrIdEEdEEmLj1EEEvT0_T1_SA_
                                        ; -- End function
	.set _ZN6thrust23THRUST_200600_302600_NS11hip_rocprim14__parallel_for6kernelILj256ENS1_20__uninitialized_fill7functorINS0_10device_ptrIdEEdEEmLj1EEEvT0_T1_SA_.num_vgpr, 5
	.set _ZN6thrust23THRUST_200600_302600_NS11hip_rocprim14__parallel_for6kernelILj256ENS1_20__uninitialized_fill7functorINS0_10device_ptrIdEEdEEmLj1EEEvT0_T1_SA_.num_agpr, 0
	.set _ZN6thrust23THRUST_200600_302600_NS11hip_rocprim14__parallel_for6kernelILj256ENS1_20__uninitialized_fill7functorINS0_10device_ptrIdEEdEEmLj1EEEvT0_T1_SA_.numbered_sgpr, 16
	.set _ZN6thrust23THRUST_200600_302600_NS11hip_rocprim14__parallel_for6kernelILj256ENS1_20__uninitialized_fill7functorINS0_10device_ptrIdEEdEEmLj1EEEvT0_T1_SA_.num_named_barrier, 0
	.set _ZN6thrust23THRUST_200600_302600_NS11hip_rocprim14__parallel_for6kernelILj256ENS1_20__uninitialized_fill7functorINS0_10device_ptrIdEEdEEmLj1EEEvT0_T1_SA_.private_seg_size, 0
	.set _ZN6thrust23THRUST_200600_302600_NS11hip_rocprim14__parallel_for6kernelILj256ENS1_20__uninitialized_fill7functorINS0_10device_ptrIdEEdEEmLj1EEEvT0_T1_SA_.uses_vcc, 1
	.set _ZN6thrust23THRUST_200600_302600_NS11hip_rocprim14__parallel_for6kernelILj256ENS1_20__uninitialized_fill7functorINS0_10device_ptrIdEEdEEmLj1EEEvT0_T1_SA_.uses_flat_scratch, 0
	.set _ZN6thrust23THRUST_200600_302600_NS11hip_rocprim14__parallel_for6kernelILj256ENS1_20__uninitialized_fill7functorINS0_10device_ptrIdEEdEEmLj1EEEvT0_T1_SA_.has_dyn_sized_stack, 0
	.set _ZN6thrust23THRUST_200600_302600_NS11hip_rocprim14__parallel_for6kernelILj256ENS1_20__uninitialized_fill7functorINS0_10device_ptrIdEEdEEmLj1EEEvT0_T1_SA_.has_recursion, 0
	.set _ZN6thrust23THRUST_200600_302600_NS11hip_rocprim14__parallel_for6kernelILj256ENS1_20__uninitialized_fill7functorINS0_10device_ptrIdEEdEEmLj1EEEvT0_T1_SA_.has_indirect_call, 0
	.section	.AMDGPU.csdata,"",@progbits
; Kernel info:
; codeLenInByte = 180
; TotalNumSgprs: 20
; NumVgprs: 5
; ScratchSize: 0
; MemoryBound: 0
; FloatMode: 240
; IeeeMode: 1
; LDSByteSize: 0 bytes/workgroup (compile time only)
; SGPRBlocks: 2
; VGPRBlocks: 1
; NumSGPRsForWavesPerEU: 20
; NumVGPRsForWavesPerEU: 5
; Occupancy: 10
; WaveLimiterHint : 0
; COMPUTE_PGM_RSRC2:SCRATCH_EN: 0
; COMPUTE_PGM_RSRC2:USER_SGPR: 6
; COMPUTE_PGM_RSRC2:TRAP_HANDLER: 0
; COMPUTE_PGM_RSRC2:TGID_X_EN: 1
; COMPUTE_PGM_RSRC2:TGID_Y_EN: 0
; COMPUTE_PGM_RSRC2:TGID_Z_EN: 0
; COMPUTE_PGM_RSRC2:TIDIG_COMP_CNT: 0
	.section	.text._ZN7rocprim17ROCPRIM_400000_NS6detail31init_lookback_scan_state_kernelINS1_19lookback_scan_stateIjLb0ELb1EEENS1_16block_id_wrapperIjLb0EEEEEvT_jT0_jPNS7_10value_typeE,"axG",@progbits,_ZN7rocprim17ROCPRIM_400000_NS6detail31init_lookback_scan_state_kernelINS1_19lookback_scan_stateIjLb0ELb1EEENS1_16block_id_wrapperIjLb0EEEEEvT_jT0_jPNS7_10value_typeE,comdat
	.protected	_ZN7rocprim17ROCPRIM_400000_NS6detail31init_lookback_scan_state_kernelINS1_19lookback_scan_stateIjLb0ELb1EEENS1_16block_id_wrapperIjLb0EEEEEvT_jT0_jPNS7_10value_typeE ; -- Begin function _ZN7rocprim17ROCPRIM_400000_NS6detail31init_lookback_scan_state_kernelINS1_19lookback_scan_stateIjLb0ELb1EEENS1_16block_id_wrapperIjLb0EEEEEvT_jT0_jPNS7_10value_typeE
	.globl	_ZN7rocprim17ROCPRIM_400000_NS6detail31init_lookback_scan_state_kernelINS1_19lookback_scan_stateIjLb0ELb1EEENS1_16block_id_wrapperIjLb0EEEEEvT_jT0_jPNS7_10value_typeE
	.p2align	8
	.type	_ZN7rocprim17ROCPRIM_400000_NS6detail31init_lookback_scan_state_kernelINS1_19lookback_scan_stateIjLb0ELb1EEENS1_16block_id_wrapperIjLb0EEEEEvT_jT0_jPNS7_10value_typeE,@function
_ZN7rocprim17ROCPRIM_400000_NS6detail31init_lookback_scan_state_kernelINS1_19lookback_scan_stateIjLb0ELb1EEENS1_16block_id_wrapperIjLb0EEEEEvT_jT0_jPNS7_10value_typeE: ; @_ZN7rocprim17ROCPRIM_400000_NS6detail31init_lookback_scan_state_kernelINS1_19lookback_scan_stateIjLb0ELb1EEENS1_16block_id_wrapperIjLb0EEEEEvT_jT0_jPNS7_10value_typeE
; %bb.0:
	s_load_dword s7, s[4:5], 0x2c
	s_load_dwordx2 s[2:3], s[4:5], 0x18
	s_load_dwordx2 s[0:1], s[4:5], 0x0
	s_load_dword s8, s[4:5], 0x8
	s_waitcnt lgkmcnt(0)
	s_and_b32 s7, s7, 0xffff
	s_mul_i32 s6, s6, s7
	s_cmp_eq_u64 s[2:3], 0
	v_add_u32_e32 v0, s6, v0
	s_cbranch_scc1 .LBB3_6
; %bb.1:
	s_load_dword s6, s[4:5], 0x10
	s_mov_b32 s7, 0
	s_waitcnt lgkmcnt(0)
	s_cmp_lt_u32 s6, s8
	s_cselect_b32 s4, s6, 0
	v_cmp_eq_u32_e32 vcc, s4, v0
	s_and_saveexec_b64 s[4:5], vcc
	s_cbranch_execz .LBB3_5
; %bb.2:
	s_add_i32 s6, s6, 64
	s_lshl_b64 s[6:7], s[6:7], 3
	s_add_u32 s6, s0, s6
	s_addc_u32 s7, s1, s7
	v_mov_b32_e32 v3, 0
	global_load_dwordx2 v[1:2], v3, s[6:7] glc
	s_waitcnt vmcnt(0)
	v_and_b32_e32 v4, 0xff, v2
	v_cmp_ne_u64_e32 vcc, 0, v[3:4]
	s_cbranch_vccnz .LBB3_4
.LBB3_3:                                ; =>This Inner Loop Header: Depth=1
	global_load_dwordx2 v[1:2], v3, s[6:7] glc
	s_waitcnt vmcnt(0)
	v_and_b32_e32 v4, 0xff, v2
	v_cmp_eq_u64_e32 vcc, 0, v[3:4]
	s_cbranch_vccnz .LBB3_3
.LBB3_4:
	v_mov_b32_e32 v2, 0
	global_store_dword v2, v1, s[2:3]
.LBB3_5:
	s_or_b64 exec, exec, s[4:5]
.LBB3_6:
	v_cmp_gt_u32_e32 vcc, s8, v0
	s_and_saveexec_b64 s[2:3], vcc
	s_cbranch_execnz .LBB3_9
; %bb.7:
	s_or_b64 exec, exec, s[2:3]
	v_cmp_gt_u32_e32 vcc, 64, v0
	s_and_saveexec_b64 s[2:3], vcc
	s_cbranch_execnz .LBB3_10
.LBB3_8:
	s_endpgm
.LBB3_9:
	v_add_u32_e32 v1, 64, v0
	v_mov_b32_e32 v2, 0
	v_lshlrev_b64 v[3:4], 3, v[1:2]
	v_mov_b32_e32 v1, s1
	v_add_co_u32_e32 v3, vcc, s0, v3
	v_addc_co_u32_e32 v4, vcc, v1, v4, vcc
	v_mov_b32_e32 v1, v2
	global_store_dwordx2 v[3:4], v[1:2], off
	s_or_b64 exec, exec, s[2:3]
	v_cmp_gt_u32_e32 vcc, 64, v0
	s_and_saveexec_b64 s[2:3], vcc
	s_cbranch_execz .LBB3_8
.LBB3_10:
	v_mov_b32_e32 v1, 0
	v_lshlrev_b64 v[2:3], 3, v[0:1]
	v_mov_b32_e32 v0, s1
	v_add_co_u32_e32 v2, vcc, s0, v2
	v_addc_co_u32_e32 v3, vcc, v0, v3, vcc
	v_mov_b32_e32 v5, 0xff
	v_mov_b32_e32 v4, v1
	global_store_dwordx2 v[2:3], v[4:5], off
	s_endpgm
	.section	.rodata,"a",@progbits
	.p2align	6, 0x0
	.amdhsa_kernel _ZN7rocprim17ROCPRIM_400000_NS6detail31init_lookback_scan_state_kernelINS1_19lookback_scan_stateIjLb0ELb1EEENS1_16block_id_wrapperIjLb0EEEEEvT_jT0_jPNS7_10value_typeE
		.amdhsa_group_segment_fixed_size 0
		.amdhsa_private_segment_fixed_size 0
		.amdhsa_kernarg_size 288
		.amdhsa_user_sgpr_count 6
		.amdhsa_user_sgpr_private_segment_buffer 1
		.amdhsa_user_sgpr_dispatch_ptr 0
		.amdhsa_user_sgpr_queue_ptr 0
		.amdhsa_user_sgpr_kernarg_segment_ptr 1
		.amdhsa_user_sgpr_dispatch_id 0
		.amdhsa_user_sgpr_flat_scratch_init 0
		.amdhsa_user_sgpr_private_segment_size 0
		.amdhsa_uses_dynamic_stack 0
		.amdhsa_system_sgpr_private_segment_wavefront_offset 0
		.amdhsa_system_sgpr_workgroup_id_x 1
		.amdhsa_system_sgpr_workgroup_id_y 0
		.amdhsa_system_sgpr_workgroup_id_z 0
		.amdhsa_system_sgpr_workgroup_info 0
		.amdhsa_system_vgpr_workitem_id 0
		.amdhsa_next_free_vgpr 6
		.amdhsa_next_free_sgpr 9
		.amdhsa_reserve_vcc 1
		.amdhsa_reserve_flat_scratch 0
		.amdhsa_float_round_mode_32 0
		.amdhsa_float_round_mode_16_64 0
		.amdhsa_float_denorm_mode_32 3
		.amdhsa_float_denorm_mode_16_64 3
		.amdhsa_dx10_clamp 1
		.amdhsa_ieee_mode 1
		.amdhsa_fp16_overflow 0
		.amdhsa_exception_fp_ieee_invalid_op 0
		.amdhsa_exception_fp_denorm_src 0
		.amdhsa_exception_fp_ieee_div_zero 0
		.amdhsa_exception_fp_ieee_overflow 0
		.amdhsa_exception_fp_ieee_underflow 0
		.amdhsa_exception_fp_ieee_inexact 0
		.amdhsa_exception_int_div_zero 0
	.end_amdhsa_kernel
	.section	.text._ZN7rocprim17ROCPRIM_400000_NS6detail31init_lookback_scan_state_kernelINS1_19lookback_scan_stateIjLb0ELb1EEENS1_16block_id_wrapperIjLb0EEEEEvT_jT0_jPNS7_10value_typeE,"axG",@progbits,_ZN7rocprim17ROCPRIM_400000_NS6detail31init_lookback_scan_state_kernelINS1_19lookback_scan_stateIjLb0ELb1EEENS1_16block_id_wrapperIjLb0EEEEEvT_jT0_jPNS7_10value_typeE,comdat
.Lfunc_end3:
	.size	_ZN7rocprim17ROCPRIM_400000_NS6detail31init_lookback_scan_state_kernelINS1_19lookback_scan_stateIjLb0ELb1EEENS1_16block_id_wrapperIjLb0EEEEEvT_jT0_jPNS7_10value_typeE, .Lfunc_end3-_ZN7rocprim17ROCPRIM_400000_NS6detail31init_lookback_scan_state_kernelINS1_19lookback_scan_stateIjLb0ELb1EEENS1_16block_id_wrapperIjLb0EEEEEvT_jT0_jPNS7_10value_typeE
                                        ; -- End function
	.set _ZN7rocprim17ROCPRIM_400000_NS6detail31init_lookback_scan_state_kernelINS1_19lookback_scan_stateIjLb0ELb1EEENS1_16block_id_wrapperIjLb0EEEEEvT_jT0_jPNS7_10value_typeE.num_vgpr, 6
	.set _ZN7rocprim17ROCPRIM_400000_NS6detail31init_lookback_scan_state_kernelINS1_19lookback_scan_stateIjLb0ELb1EEENS1_16block_id_wrapperIjLb0EEEEEvT_jT0_jPNS7_10value_typeE.num_agpr, 0
	.set _ZN7rocprim17ROCPRIM_400000_NS6detail31init_lookback_scan_state_kernelINS1_19lookback_scan_stateIjLb0ELb1EEENS1_16block_id_wrapperIjLb0EEEEEvT_jT0_jPNS7_10value_typeE.numbered_sgpr, 9
	.set _ZN7rocprim17ROCPRIM_400000_NS6detail31init_lookback_scan_state_kernelINS1_19lookback_scan_stateIjLb0ELb1EEENS1_16block_id_wrapperIjLb0EEEEEvT_jT0_jPNS7_10value_typeE.num_named_barrier, 0
	.set _ZN7rocprim17ROCPRIM_400000_NS6detail31init_lookback_scan_state_kernelINS1_19lookback_scan_stateIjLb0ELb1EEENS1_16block_id_wrapperIjLb0EEEEEvT_jT0_jPNS7_10value_typeE.private_seg_size, 0
	.set _ZN7rocprim17ROCPRIM_400000_NS6detail31init_lookback_scan_state_kernelINS1_19lookback_scan_stateIjLb0ELb1EEENS1_16block_id_wrapperIjLb0EEEEEvT_jT0_jPNS7_10value_typeE.uses_vcc, 1
	.set _ZN7rocprim17ROCPRIM_400000_NS6detail31init_lookback_scan_state_kernelINS1_19lookback_scan_stateIjLb0ELb1EEENS1_16block_id_wrapperIjLb0EEEEEvT_jT0_jPNS7_10value_typeE.uses_flat_scratch, 0
	.set _ZN7rocprim17ROCPRIM_400000_NS6detail31init_lookback_scan_state_kernelINS1_19lookback_scan_stateIjLb0ELb1EEENS1_16block_id_wrapperIjLb0EEEEEvT_jT0_jPNS7_10value_typeE.has_dyn_sized_stack, 0
	.set _ZN7rocprim17ROCPRIM_400000_NS6detail31init_lookback_scan_state_kernelINS1_19lookback_scan_stateIjLb0ELb1EEENS1_16block_id_wrapperIjLb0EEEEEvT_jT0_jPNS7_10value_typeE.has_recursion, 0
	.set _ZN7rocprim17ROCPRIM_400000_NS6detail31init_lookback_scan_state_kernelINS1_19lookback_scan_stateIjLb0ELb1EEENS1_16block_id_wrapperIjLb0EEEEEvT_jT0_jPNS7_10value_typeE.has_indirect_call, 0
	.section	.AMDGPU.csdata,"",@progbits
; Kernel info:
; codeLenInByte = 324
; TotalNumSgprs: 13
; NumVgprs: 6
; ScratchSize: 0
; MemoryBound: 0
; FloatMode: 240
; IeeeMode: 1
; LDSByteSize: 0 bytes/workgroup (compile time only)
; SGPRBlocks: 1
; VGPRBlocks: 1
; NumSGPRsForWavesPerEU: 13
; NumVGPRsForWavesPerEU: 6
; Occupancy: 10
; WaveLimiterHint : 0
; COMPUTE_PGM_RSRC2:SCRATCH_EN: 0
; COMPUTE_PGM_RSRC2:USER_SGPR: 6
; COMPUTE_PGM_RSRC2:TRAP_HANDLER: 0
; COMPUTE_PGM_RSRC2:TGID_X_EN: 1
; COMPUTE_PGM_RSRC2:TGID_Y_EN: 0
; COMPUTE_PGM_RSRC2:TGID_Z_EN: 0
; COMPUTE_PGM_RSRC2:TIDIG_COMP_CNT: 0
	.section	.text._ZN7rocprim17ROCPRIM_400000_NS6detail17trampoline_kernelINS0_14default_configENS1_25partition_config_selectorILNS1_17partition_subalgoE8EdNS0_10empty_typeEbEEZZNS1_14partition_implILS5_8ELb0ES3_jN6thrust23THRUST_200600_302600_NS6detail15normal_iteratorINSA_10device_ptrIdEEEEPS6_PKS6_NS0_5tupleIJSF_S6_EEENSJ_IJSG_SG_EEENS0_18inequality_wrapperINSA_8equal_toIdEEEEPmJS6_EEE10hipError_tPvRmT3_T4_T5_T6_T7_T9_mT8_P12ihipStream_tbDpT10_ENKUlT_T0_E_clISt17integral_constantIbLb0EES1A_EEDaS15_S16_EUlS15_E_NS1_11comp_targetILNS1_3genE0ELNS1_11target_archE4294967295ELNS1_3gpuE0ELNS1_3repE0EEENS1_30default_config_static_selectorELNS0_4arch9wavefront6targetE1EEEvT1_,"axG",@progbits,_ZN7rocprim17ROCPRIM_400000_NS6detail17trampoline_kernelINS0_14default_configENS1_25partition_config_selectorILNS1_17partition_subalgoE8EdNS0_10empty_typeEbEEZZNS1_14partition_implILS5_8ELb0ES3_jN6thrust23THRUST_200600_302600_NS6detail15normal_iteratorINSA_10device_ptrIdEEEEPS6_PKS6_NS0_5tupleIJSF_S6_EEENSJ_IJSG_SG_EEENS0_18inequality_wrapperINSA_8equal_toIdEEEEPmJS6_EEE10hipError_tPvRmT3_T4_T5_T6_T7_T9_mT8_P12ihipStream_tbDpT10_ENKUlT_T0_E_clISt17integral_constantIbLb0EES1A_EEDaS15_S16_EUlS15_E_NS1_11comp_targetILNS1_3genE0ELNS1_11target_archE4294967295ELNS1_3gpuE0ELNS1_3repE0EEENS1_30default_config_static_selectorELNS0_4arch9wavefront6targetE1EEEvT1_,comdat
	.protected	_ZN7rocprim17ROCPRIM_400000_NS6detail17trampoline_kernelINS0_14default_configENS1_25partition_config_selectorILNS1_17partition_subalgoE8EdNS0_10empty_typeEbEEZZNS1_14partition_implILS5_8ELb0ES3_jN6thrust23THRUST_200600_302600_NS6detail15normal_iteratorINSA_10device_ptrIdEEEEPS6_PKS6_NS0_5tupleIJSF_S6_EEENSJ_IJSG_SG_EEENS0_18inequality_wrapperINSA_8equal_toIdEEEEPmJS6_EEE10hipError_tPvRmT3_T4_T5_T6_T7_T9_mT8_P12ihipStream_tbDpT10_ENKUlT_T0_E_clISt17integral_constantIbLb0EES1A_EEDaS15_S16_EUlS15_E_NS1_11comp_targetILNS1_3genE0ELNS1_11target_archE4294967295ELNS1_3gpuE0ELNS1_3repE0EEENS1_30default_config_static_selectorELNS0_4arch9wavefront6targetE1EEEvT1_ ; -- Begin function _ZN7rocprim17ROCPRIM_400000_NS6detail17trampoline_kernelINS0_14default_configENS1_25partition_config_selectorILNS1_17partition_subalgoE8EdNS0_10empty_typeEbEEZZNS1_14partition_implILS5_8ELb0ES3_jN6thrust23THRUST_200600_302600_NS6detail15normal_iteratorINSA_10device_ptrIdEEEEPS6_PKS6_NS0_5tupleIJSF_S6_EEENSJ_IJSG_SG_EEENS0_18inequality_wrapperINSA_8equal_toIdEEEEPmJS6_EEE10hipError_tPvRmT3_T4_T5_T6_T7_T9_mT8_P12ihipStream_tbDpT10_ENKUlT_T0_E_clISt17integral_constantIbLb0EES1A_EEDaS15_S16_EUlS15_E_NS1_11comp_targetILNS1_3genE0ELNS1_11target_archE4294967295ELNS1_3gpuE0ELNS1_3repE0EEENS1_30default_config_static_selectorELNS0_4arch9wavefront6targetE1EEEvT1_
	.globl	_ZN7rocprim17ROCPRIM_400000_NS6detail17trampoline_kernelINS0_14default_configENS1_25partition_config_selectorILNS1_17partition_subalgoE8EdNS0_10empty_typeEbEEZZNS1_14partition_implILS5_8ELb0ES3_jN6thrust23THRUST_200600_302600_NS6detail15normal_iteratorINSA_10device_ptrIdEEEEPS6_PKS6_NS0_5tupleIJSF_S6_EEENSJ_IJSG_SG_EEENS0_18inequality_wrapperINSA_8equal_toIdEEEEPmJS6_EEE10hipError_tPvRmT3_T4_T5_T6_T7_T9_mT8_P12ihipStream_tbDpT10_ENKUlT_T0_E_clISt17integral_constantIbLb0EES1A_EEDaS15_S16_EUlS15_E_NS1_11comp_targetILNS1_3genE0ELNS1_11target_archE4294967295ELNS1_3gpuE0ELNS1_3repE0EEENS1_30default_config_static_selectorELNS0_4arch9wavefront6targetE1EEEvT1_
	.p2align	8
	.type	_ZN7rocprim17ROCPRIM_400000_NS6detail17trampoline_kernelINS0_14default_configENS1_25partition_config_selectorILNS1_17partition_subalgoE8EdNS0_10empty_typeEbEEZZNS1_14partition_implILS5_8ELb0ES3_jN6thrust23THRUST_200600_302600_NS6detail15normal_iteratorINSA_10device_ptrIdEEEEPS6_PKS6_NS0_5tupleIJSF_S6_EEENSJ_IJSG_SG_EEENS0_18inequality_wrapperINSA_8equal_toIdEEEEPmJS6_EEE10hipError_tPvRmT3_T4_T5_T6_T7_T9_mT8_P12ihipStream_tbDpT10_ENKUlT_T0_E_clISt17integral_constantIbLb0EES1A_EEDaS15_S16_EUlS15_E_NS1_11comp_targetILNS1_3genE0ELNS1_11target_archE4294967295ELNS1_3gpuE0ELNS1_3repE0EEENS1_30default_config_static_selectorELNS0_4arch9wavefront6targetE1EEEvT1_,@function
_ZN7rocprim17ROCPRIM_400000_NS6detail17trampoline_kernelINS0_14default_configENS1_25partition_config_selectorILNS1_17partition_subalgoE8EdNS0_10empty_typeEbEEZZNS1_14partition_implILS5_8ELb0ES3_jN6thrust23THRUST_200600_302600_NS6detail15normal_iteratorINSA_10device_ptrIdEEEEPS6_PKS6_NS0_5tupleIJSF_S6_EEENSJ_IJSG_SG_EEENS0_18inequality_wrapperINSA_8equal_toIdEEEEPmJS6_EEE10hipError_tPvRmT3_T4_T5_T6_T7_T9_mT8_P12ihipStream_tbDpT10_ENKUlT_T0_E_clISt17integral_constantIbLb0EES1A_EEDaS15_S16_EUlS15_E_NS1_11comp_targetILNS1_3genE0ELNS1_11target_archE4294967295ELNS1_3gpuE0ELNS1_3repE0EEENS1_30default_config_static_selectorELNS0_4arch9wavefront6targetE1EEEvT1_: ; @_ZN7rocprim17ROCPRIM_400000_NS6detail17trampoline_kernelINS0_14default_configENS1_25partition_config_selectorILNS1_17partition_subalgoE8EdNS0_10empty_typeEbEEZZNS1_14partition_implILS5_8ELb0ES3_jN6thrust23THRUST_200600_302600_NS6detail15normal_iteratorINSA_10device_ptrIdEEEEPS6_PKS6_NS0_5tupleIJSF_S6_EEENSJ_IJSG_SG_EEENS0_18inequality_wrapperINSA_8equal_toIdEEEEPmJS6_EEE10hipError_tPvRmT3_T4_T5_T6_T7_T9_mT8_P12ihipStream_tbDpT10_ENKUlT_T0_E_clISt17integral_constantIbLb0EES1A_EEDaS15_S16_EUlS15_E_NS1_11comp_targetILNS1_3genE0ELNS1_11target_archE4294967295ELNS1_3gpuE0ELNS1_3repE0EEENS1_30default_config_static_selectorELNS0_4arch9wavefront6targetE1EEEvT1_
; %bb.0:
	.section	.rodata,"a",@progbits
	.p2align	6, 0x0
	.amdhsa_kernel _ZN7rocprim17ROCPRIM_400000_NS6detail17trampoline_kernelINS0_14default_configENS1_25partition_config_selectorILNS1_17partition_subalgoE8EdNS0_10empty_typeEbEEZZNS1_14partition_implILS5_8ELb0ES3_jN6thrust23THRUST_200600_302600_NS6detail15normal_iteratorINSA_10device_ptrIdEEEEPS6_PKS6_NS0_5tupleIJSF_S6_EEENSJ_IJSG_SG_EEENS0_18inequality_wrapperINSA_8equal_toIdEEEEPmJS6_EEE10hipError_tPvRmT3_T4_T5_T6_T7_T9_mT8_P12ihipStream_tbDpT10_ENKUlT_T0_E_clISt17integral_constantIbLb0EES1A_EEDaS15_S16_EUlS15_E_NS1_11comp_targetILNS1_3genE0ELNS1_11target_archE4294967295ELNS1_3gpuE0ELNS1_3repE0EEENS1_30default_config_static_selectorELNS0_4arch9wavefront6targetE1EEEvT1_
		.amdhsa_group_segment_fixed_size 0
		.amdhsa_private_segment_fixed_size 0
		.amdhsa_kernarg_size 112
		.amdhsa_user_sgpr_count 6
		.amdhsa_user_sgpr_private_segment_buffer 1
		.amdhsa_user_sgpr_dispatch_ptr 0
		.amdhsa_user_sgpr_queue_ptr 0
		.amdhsa_user_sgpr_kernarg_segment_ptr 1
		.amdhsa_user_sgpr_dispatch_id 0
		.amdhsa_user_sgpr_flat_scratch_init 0
		.amdhsa_user_sgpr_private_segment_size 0
		.amdhsa_uses_dynamic_stack 0
		.amdhsa_system_sgpr_private_segment_wavefront_offset 0
		.amdhsa_system_sgpr_workgroup_id_x 1
		.amdhsa_system_sgpr_workgroup_id_y 0
		.amdhsa_system_sgpr_workgroup_id_z 0
		.amdhsa_system_sgpr_workgroup_info 0
		.amdhsa_system_vgpr_workitem_id 0
		.amdhsa_next_free_vgpr 1
		.amdhsa_next_free_sgpr 0
		.amdhsa_reserve_vcc 0
		.amdhsa_reserve_flat_scratch 0
		.amdhsa_float_round_mode_32 0
		.amdhsa_float_round_mode_16_64 0
		.amdhsa_float_denorm_mode_32 3
		.amdhsa_float_denorm_mode_16_64 3
		.amdhsa_dx10_clamp 1
		.amdhsa_ieee_mode 1
		.amdhsa_fp16_overflow 0
		.amdhsa_exception_fp_ieee_invalid_op 0
		.amdhsa_exception_fp_denorm_src 0
		.amdhsa_exception_fp_ieee_div_zero 0
		.amdhsa_exception_fp_ieee_overflow 0
		.amdhsa_exception_fp_ieee_underflow 0
		.amdhsa_exception_fp_ieee_inexact 0
		.amdhsa_exception_int_div_zero 0
	.end_amdhsa_kernel
	.section	.text._ZN7rocprim17ROCPRIM_400000_NS6detail17trampoline_kernelINS0_14default_configENS1_25partition_config_selectorILNS1_17partition_subalgoE8EdNS0_10empty_typeEbEEZZNS1_14partition_implILS5_8ELb0ES3_jN6thrust23THRUST_200600_302600_NS6detail15normal_iteratorINSA_10device_ptrIdEEEEPS6_PKS6_NS0_5tupleIJSF_S6_EEENSJ_IJSG_SG_EEENS0_18inequality_wrapperINSA_8equal_toIdEEEEPmJS6_EEE10hipError_tPvRmT3_T4_T5_T6_T7_T9_mT8_P12ihipStream_tbDpT10_ENKUlT_T0_E_clISt17integral_constantIbLb0EES1A_EEDaS15_S16_EUlS15_E_NS1_11comp_targetILNS1_3genE0ELNS1_11target_archE4294967295ELNS1_3gpuE0ELNS1_3repE0EEENS1_30default_config_static_selectorELNS0_4arch9wavefront6targetE1EEEvT1_,"axG",@progbits,_ZN7rocprim17ROCPRIM_400000_NS6detail17trampoline_kernelINS0_14default_configENS1_25partition_config_selectorILNS1_17partition_subalgoE8EdNS0_10empty_typeEbEEZZNS1_14partition_implILS5_8ELb0ES3_jN6thrust23THRUST_200600_302600_NS6detail15normal_iteratorINSA_10device_ptrIdEEEEPS6_PKS6_NS0_5tupleIJSF_S6_EEENSJ_IJSG_SG_EEENS0_18inequality_wrapperINSA_8equal_toIdEEEEPmJS6_EEE10hipError_tPvRmT3_T4_T5_T6_T7_T9_mT8_P12ihipStream_tbDpT10_ENKUlT_T0_E_clISt17integral_constantIbLb0EES1A_EEDaS15_S16_EUlS15_E_NS1_11comp_targetILNS1_3genE0ELNS1_11target_archE4294967295ELNS1_3gpuE0ELNS1_3repE0EEENS1_30default_config_static_selectorELNS0_4arch9wavefront6targetE1EEEvT1_,comdat
.Lfunc_end4:
	.size	_ZN7rocprim17ROCPRIM_400000_NS6detail17trampoline_kernelINS0_14default_configENS1_25partition_config_selectorILNS1_17partition_subalgoE8EdNS0_10empty_typeEbEEZZNS1_14partition_implILS5_8ELb0ES3_jN6thrust23THRUST_200600_302600_NS6detail15normal_iteratorINSA_10device_ptrIdEEEEPS6_PKS6_NS0_5tupleIJSF_S6_EEENSJ_IJSG_SG_EEENS0_18inequality_wrapperINSA_8equal_toIdEEEEPmJS6_EEE10hipError_tPvRmT3_T4_T5_T6_T7_T9_mT8_P12ihipStream_tbDpT10_ENKUlT_T0_E_clISt17integral_constantIbLb0EES1A_EEDaS15_S16_EUlS15_E_NS1_11comp_targetILNS1_3genE0ELNS1_11target_archE4294967295ELNS1_3gpuE0ELNS1_3repE0EEENS1_30default_config_static_selectorELNS0_4arch9wavefront6targetE1EEEvT1_, .Lfunc_end4-_ZN7rocprim17ROCPRIM_400000_NS6detail17trampoline_kernelINS0_14default_configENS1_25partition_config_selectorILNS1_17partition_subalgoE8EdNS0_10empty_typeEbEEZZNS1_14partition_implILS5_8ELb0ES3_jN6thrust23THRUST_200600_302600_NS6detail15normal_iteratorINSA_10device_ptrIdEEEEPS6_PKS6_NS0_5tupleIJSF_S6_EEENSJ_IJSG_SG_EEENS0_18inequality_wrapperINSA_8equal_toIdEEEEPmJS6_EEE10hipError_tPvRmT3_T4_T5_T6_T7_T9_mT8_P12ihipStream_tbDpT10_ENKUlT_T0_E_clISt17integral_constantIbLb0EES1A_EEDaS15_S16_EUlS15_E_NS1_11comp_targetILNS1_3genE0ELNS1_11target_archE4294967295ELNS1_3gpuE0ELNS1_3repE0EEENS1_30default_config_static_selectorELNS0_4arch9wavefront6targetE1EEEvT1_
                                        ; -- End function
	.set _ZN7rocprim17ROCPRIM_400000_NS6detail17trampoline_kernelINS0_14default_configENS1_25partition_config_selectorILNS1_17partition_subalgoE8EdNS0_10empty_typeEbEEZZNS1_14partition_implILS5_8ELb0ES3_jN6thrust23THRUST_200600_302600_NS6detail15normal_iteratorINSA_10device_ptrIdEEEEPS6_PKS6_NS0_5tupleIJSF_S6_EEENSJ_IJSG_SG_EEENS0_18inequality_wrapperINSA_8equal_toIdEEEEPmJS6_EEE10hipError_tPvRmT3_T4_T5_T6_T7_T9_mT8_P12ihipStream_tbDpT10_ENKUlT_T0_E_clISt17integral_constantIbLb0EES1A_EEDaS15_S16_EUlS15_E_NS1_11comp_targetILNS1_3genE0ELNS1_11target_archE4294967295ELNS1_3gpuE0ELNS1_3repE0EEENS1_30default_config_static_selectorELNS0_4arch9wavefront6targetE1EEEvT1_.num_vgpr, 0
	.set _ZN7rocprim17ROCPRIM_400000_NS6detail17trampoline_kernelINS0_14default_configENS1_25partition_config_selectorILNS1_17partition_subalgoE8EdNS0_10empty_typeEbEEZZNS1_14partition_implILS5_8ELb0ES3_jN6thrust23THRUST_200600_302600_NS6detail15normal_iteratorINSA_10device_ptrIdEEEEPS6_PKS6_NS0_5tupleIJSF_S6_EEENSJ_IJSG_SG_EEENS0_18inequality_wrapperINSA_8equal_toIdEEEEPmJS6_EEE10hipError_tPvRmT3_T4_T5_T6_T7_T9_mT8_P12ihipStream_tbDpT10_ENKUlT_T0_E_clISt17integral_constantIbLb0EES1A_EEDaS15_S16_EUlS15_E_NS1_11comp_targetILNS1_3genE0ELNS1_11target_archE4294967295ELNS1_3gpuE0ELNS1_3repE0EEENS1_30default_config_static_selectorELNS0_4arch9wavefront6targetE1EEEvT1_.num_agpr, 0
	.set _ZN7rocprim17ROCPRIM_400000_NS6detail17trampoline_kernelINS0_14default_configENS1_25partition_config_selectorILNS1_17partition_subalgoE8EdNS0_10empty_typeEbEEZZNS1_14partition_implILS5_8ELb0ES3_jN6thrust23THRUST_200600_302600_NS6detail15normal_iteratorINSA_10device_ptrIdEEEEPS6_PKS6_NS0_5tupleIJSF_S6_EEENSJ_IJSG_SG_EEENS0_18inequality_wrapperINSA_8equal_toIdEEEEPmJS6_EEE10hipError_tPvRmT3_T4_T5_T6_T7_T9_mT8_P12ihipStream_tbDpT10_ENKUlT_T0_E_clISt17integral_constantIbLb0EES1A_EEDaS15_S16_EUlS15_E_NS1_11comp_targetILNS1_3genE0ELNS1_11target_archE4294967295ELNS1_3gpuE0ELNS1_3repE0EEENS1_30default_config_static_selectorELNS0_4arch9wavefront6targetE1EEEvT1_.numbered_sgpr, 0
	.set _ZN7rocprim17ROCPRIM_400000_NS6detail17trampoline_kernelINS0_14default_configENS1_25partition_config_selectorILNS1_17partition_subalgoE8EdNS0_10empty_typeEbEEZZNS1_14partition_implILS5_8ELb0ES3_jN6thrust23THRUST_200600_302600_NS6detail15normal_iteratorINSA_10device_ptrIdEEEEPS6_PKS6_NS0_5tupleIJSF_S6_EEENSJ_IJSG_SG_EEENS0_18inequality_wrapperINSA_8equal_toIdEEEEPmJS6_EEE10hipError_tPvRmT3_T4_T5_T6_T7_T9_mT8_P12ihipStream_tbDpT10_ENKUlT_T0_E_clISt17integral_constantIbLb0EES1A_EEDaS15_S16_EUlS15_E_NS1_11comp_targetILNS1_3genE0ELNS1_11target_archE4294967295ELNS1_3gpuE0ELNS1_3repE0EEENS1_30default_config_static_selectorELNS0_4arch9wavefront6targetE1EEEvT1_.num_named_barrier, 0
	.set _ZN7rocprim17ROCPRIM_400000_NS6detail17trampoline_kernelINS0_14default_configENS1_25partition_config_selectorILNS1_17partition_subalgoE8EdNS0_10empty_typeEbEEZZNS1_14partition_implILS5_8ELb0ES3_jN6thrust23THRUST_200600_302600_NS6detail15normal_iteratorINSA_10device_ptrIdEEEEPS6_PKS6_NS0_5tupleIJSF_S6_EEENSJ_IJSG_SG_EEENS0_18inequality_wrapperINSA_8equal_toIdEEEEPmJS6_EEE10hipError_tPvRmT3_T4_T5_T6_T7_T9_mT8_P12ihipStream_tbDpT10_ENKUlT_T0_E_clISt17integral_constantIbLb0EES1A_EEDaS15_S16_EUlS15_E_NS1_11comp_targetILNS1_3genE0ELNS1_11target_archE4294967295ELNS1_3gpuE0ELNS1_3repE0EEENS1_30default_config_static_selectorELNS0_4arch9wavefront6targetE1EEEvT1_.private_seg_size, 0
	.set _ZN7rocprim17ROCPRIM_400000_NS6detail17trampoline_kernelINS0_14default_configENS1_25partition_config_selectorILNS1_17partition_subalgoE8EdNS0_10empty_typeEbEEZZNS1_14partition_implILS5_8ELb0ES3_jN6thrust23THRUST_200600_302600_NS6detail15normal_iteratorINSA_10device_ptrIdEEEEPS6_PKS6_NS0_5tupleIJSF_S6_EEENSJ_IJSG_SG_EEENS0_18inequality_wrapperINSA_8equal_toIdEEEEPmJS6_EEE10hipError_tPvRmT3_T4_T5_T6_T7_T9_mT8_P12ihipStream_tbDpT10_ENKUlT_T0_E_clISt17integral_constantIbLb0EES1A_EEDaS15_S16_EUlS15_E_NS1_11comp_targetILNS1_3genE0ELNS1_11target_archE4294967295ELNS1_3gpuE0ELNS1_3repE0EEENS1_30default_config_static_selectorELNS0_4arch9wavefront6targetE1EEEvT1_.uses_vcc, 0
	.set _ZN7rocprim17ROCPRIM_400000_NS6detail17trampoline_kernelINS0_14default_configENS1_25partition_config_selectorILNS1_17partition_subalgoE8EdNS0_10empty_typeEbEEZZNS1_14partition_implILS5_8ELb0ES3_jN6thrust23THRUST_200600_302600_NS6detail15normal_iteratorINSA_10device_ptrIdEEEEPS6_PKS6_NS0_5tupleIJSF_S6_EEENSJ_IJSG_SG_EEENS0_18inequality_wrapperINSA_8equal_toIdEEEEPmJS6_EEE10hipError_tPvRmT3_T4_T5_T6_T7_T9_mT8_P12ihipStream_tbDpT10_ENKUlT_T0_E_clISt17integral_constantIbLb0EES1A_EEDaS15_S16_EUlS15_E_NS1_11comp_targetILNS1_3genE0ELNS1_11target_archE4294967295ELNS1_3gpuE0ELNS1_3repE0EEENS1_30default_config_static_selectorELNS0_4arch9wavefront6targetE1EEEvT1_.uses_flat_scratch, 0
	.set _ZN7rocprim17ROCPRIM_400000_NS6detail17trampoline_kernelINS0_14default_configENS1_25partition_config_selectorILNS1_17partition_subalgoE8EdNS0_10empty_typeEbEEZZNS1_14partition_implILS5_8ELb0ES3_jN6thrust23THRUST_200600_302600_NS6detail15normal_iteratorINSA_10device_ptrIdEEEEPS6_PKS6_NS0_5tupleIJSF_S6_EEENSJ_IJSG_SG_EEENS0_18inequality_wrapperINSA_8equal_toIdEEEEPmJS6_EEE10hipError_tPvRmT3_T4_T5_T6_T7_T9_mT8_P12ihipStream_tbDpT10_ENKUlT_T0_E_clISt17integral_constantIbLb0EES1A_EEDaS15_S16_EUlS15_E_NS1_11comp_targetILNS1_3genE0ELNS1_11target_archE4294967295ELNS1_3gpuE0ELNS1_3repE0EEENS1_30default_config_static_selectorELNS0_4arch9wavefront6targetE1EEEvT1_.has_dyn_sized_stack, 0
	.set _ZN7rocprim17ROCPRIM_400000_NS6detail17trampoline_kernelINS0_14default_configENS1_25partition_config_selectorILNS1_17partition_subalgoE8EdNS0_10empty_typeEbEEZZNS1_14partition_implILS5_8ELb0ES3_jN6thrust23THRUST_200600_302600_NS6detail15normal_iteratorINSA_10device_ptrIdEEEEPS6_PKS6_NS0_5tupleIJSF_S6_EEENSJ_IJSG_SG_EEENS0_18inequality_wrapperINSA_8equal_toIdEEEEPmJS6_EEE10hipError_tPvRmT3_T4_T5_T6_T7_T9_mT8_P12ihipStream_tbDpT10_ENKUlT_T0_E_clISt17integral_constantIbLb0EES1A_EEDaS15_S16_EUlS15_E_NS1_11comp_targetILNS1_3genE0ELNS1_11target_archE4294967295ELNS1_3gpuE0ELNS1_3repE0EEENS1_30default_config_static_selectorELNS0_4arch9wavefront6targetE1EEEvT1_.has_recursion, 0
	.set _ZN7rocprim17ROCPRIM_400000_NS6detail17trampoline_kernelINS0_14default_configENS1_25partition_config_selectorILNS1_17partition_subalgoE8EdNS0_10empty_typeEbEEZZNS1_14partition_implILS5_8ELb0ES3_jN6thrust23THRUST_200600_302600_NS6detail15normal_iteratorINSA_10device_ptrIdEEEEPS6_PKS6_NS0_5tupleIJSF_S6_EEENSJ_IJSG_SG_EEENS0_18inequality_wrapperINSA_8equal_toIdEEEEPmJS6_EEE10hipError_tPvRmT3_T4_T5_T6_T7_T9_mT8_P12ihipStream_tbDpT10_ENKUlT_T0_E_clISt17integral_constantIbLb0EES1A_EEDaS15_S16_EUlS15_E_NS1_11comp_targetILNS1_3genE0ELNS1_11target_archE4294967295ELNS1_3gpuE0ELNS1_3repE0EEENS1_30default_config_static_selectorELNS0_4arch9wavefront6targetE1EEEvT1_.has_indirect_call, 0
	.section	.AMDGPU.csdata,"",@progbits
; Kernel info:
; codeLenInByte = 0
; TotalNumSgprs: 4
; NumVgprs: 0
; ScratchSize: 0
; MemoryBound: 0
; FloatMode: 240
; IeeeMode: 1
; LDSByteSize: 0 bytes/workgroup (compile time only)
; SGPRBlocks: 0
; VGPRBlocks: 0
; NumSGPRsForWavesPerEU: 4
; NumVGPRsForWavesPerEU: 1
; Occupancy: 10
; WaveLimiterHint : 0
; COMPUTE_PGM_RSRC2:SCRATCH_EN: 0
; COMPUTE_PGM_RSRC2:USER_SGPR: 6
; COMPUTE_PGM_RSRC2:TRAP_HANDLER: 0
; COMPUTE_PGM_RSRC2:TGID_X_EN: 1
; COMPUTE_PGM_RSRC2:TGID_Y_EN: 0
; COMPUTE_PGM_RSRC2:TGID_Z_EN: 0
; COMPUTE_PGM_RSRC2:TIDIG_COMP_CNT: 0
	.section	.text._ZN7rocprim17ROCPRIM_400000_NS6detail17trampoline_kernelINS0_14default_configENS1_25partition_config_selectorILNS1_17partition_subalgoE8EdNS0_10empty_typeEbEEZZNS1_14partition_implILS5_8ELb0ES3_jN6thrust23THRUST_200600_302600_NS6detail15normal_iteratorINSA_10device_ptrIdEEEEPS6_PKS6_NS0_5tupleIJSF_S6_EEENSJ_IJSG_SG_EEENS0_18inequality_wrapperINSA_8equal_toIdEEEEPmJS6_EEE10hipError_tPvRmT3_T4_T5_T6_T7_T9_mT8_P12ihipStream_tbDpT10_ENKUlT_T0_E_clISt17integral_constantIbLb0EES1A_EEDaS15_S16_EUlS15_E_NS1_11comp_targetILNS1_3genE5ELNS1_11target_archE942ELNS1_3gpuE9ELNS1_3repE0EEENS1_30default_config_static_selectorELNS0_4arch9wavefront6targetE1EEEvT1_,"axG",@progbits,_ZN7rocprim17ROCPRIM_400000_NS6detail17trampoline_kernelINS0_14default_configENS1_25partition_config_selectorILNS1_17partition_subalgoE8EdNS0_10empty_typeEbEEZZNS1_14partition_implILS5_8ELb0ES3_jN6thrust23THRUST_200600_302600_NS6detail15normal_iteratorINSA_10device_ptrIdEEEEPS6_PKS6_NS0_5tupleIJSF_S6_EEENSJ_IJSG_SG_EEENS0_18inequality_wrapperINSA_8equal_toIdEEEEPmJS6_EEE10hipError_tPvRmT3_T4_T5_T6_T7_T9_mT8_P12ihipStream_tbDpT10_ENKUlT_T0_E_clISt17integral_constantIbLb0EES1A_EEDaS15_S16_EUlS15_E_NS1_11comp_targetILNS1_3genE5ELNS1_11target_archE942ELNS1_3gpuE9ELNS1_3repE0EEENS1_30default_config_static_selectorELNS0_4arch9wavefront6targetE1EEEvT1_,comdat
	.protected	_ZN7rocprim17ROCPRIM_400000_NS6detail17trampoline_kernelINS0_14default_configENS1_25partition_config_selectorILNS1_17partition_subalgoE8EdNS0_10empty_typeEbEEZZNS1_14partition_implILS5_8ELb0ES3_jN6thrust23THRUST_200600_302600_NS6detail15normal_iteratorINSA_10device_ptrIdEEEEPS6_PKS6_NS0_5tupleIJSF_S6_EEENSJ_IJSG_SG_EEENS0_18inequality_wrapperINSA_8equal_toIdEEEEPmJS6_EEE10hipError_tPvRmT3_T4_T5_T6_T7_T9_mT8_P12ihipStream_tbDpT10_ENKUlT_T0_E_clISt17integral_constantIbLb0EES1A_EEDaS15_S16_EUlS15_E_NS1_11comp_targetILNS1_3genE5ELNS1_11target_archE942ELNS1_3gpuE9ELNS1_3repE0EEENS1_30default_config_static_selectorELNS0_4arch9wavefront6targetE1EEEvT1_ ; -- Begin function _ZN7rocprim17ROCPRIM_400000_NS6detail17trampoline_kernelINS0_14default_configENS1_25partition_config_selectorILNS1_17partition_subalgoE8EdNS0_10empty_typeEbEEZZNS1_14partition_implILS5_8ELb0ES3_jN6thrust23THRUST_200600_302600_NS6detail15normal_iteratorINSA_10device_ptrIdEEEEPS6_PKS6_NS0_5tupleIJSF_S6_EEENSJ_IJSG_SG_EEENS0_18inequality_wrapperINSA_8equal_toIdEEEEPmJS6_EEE10hipError_tPvRmT3_T4_T5_T6_T7_T9_mT8_P12ihipStream_tbDpT10_ENKUlT_T0_E_clISt17integral_constantIbLb0EES1A_EEDaS15_S16_EUlS15_E_NS1_11comp_targetILNS1_3genE5ELNS1_11target_archE942ELNS1_3gpuE9ELNS1_3repE0EEENS1_30default_config_static_selectorELNS0_4arch9wavefront6targetE1EEEvT1_
	.globl	_ZN7rocprim17ROCPRIM_400000_NS6detail17trampoline_kernelINS0_14default_configENS1_25partition_config_selectorILNS1_17partition_subalgoE8EdNS0_10empty_typeEbEEZZNS1_14partition_implILS5_8ELb0ES3_jN6thrust23THRUST_200600_302600_NS6detail15normal_iteratorINSA_10device_ptrIdEEEEPS6_PKS6_NS0_5tupleIJSF_S6_EEENSJ_IJSG_SG_EEENS0_18inequality_wrapperINSA_8equal_toIdEEEEPmJS6_EEE10hipError_tPvRmT3_T4_T5_T6_T7_T9_mT8_P12ihipStream_tbDpT10_ENKUlT_T0_E_clISt17integral_constantIbLb0EES1A_EEDaS15_S16_EUlS15_E_NS1_11comp_targetILNS1_3genE5ELNS1_11target_archE942ELNS1_3gpuE9ELNS1_3repE0EEENS1_30default_config_static_selectorELNS0_4arch9wavefront6targetE1EEEvT1_
	.p2align	8
	.type	_ZN7rocprim17ROCPRIM_400000_NS6detail17trampoline_kernelINS0_14default_configENS1_25partition_config_selectorILNS1_17partition_subalgoE8EdNS0_10empty_typeEbEEZZNS1_14partition_implILS5_8ELb0ES3_jN6thrust23THRUST_200600_302600_NS6detail15normal_iteratorINSA_10device_ptrIdEEEEPS6_PKS6_NS0_5tupleIJSF_S6_EEENSJ_IJSG_SG_EEENS0_18inequality_wrapperINSA_8equal_toIdEEEEPmJS6_EEE10hipError_tPvRmT3_T4_T5_T6_T7_T9_mT8_P12ihipStream_tbDpT10_ENKUlT_T0_E_clISt17integral_constantIbLb0EES1A_EEDaS15_S16_EUlS15_E_NS1_11comp_targetILNS1_3genE5ELNS1_11target_archE942ELNS1_3gpuE9ELNS1_3repE0EEENS1_30default_config_static_selectorELNS0_4arch9wavefront6targetE1EEEvT1_,@function
_ZN7rocprim17ROCPRIM_400000_NS6detail17trampoline_kernelINS0_14default_configENS1_25partition_config_selectorILNS1_17partition_subalgoE8EdNS0_10empty_typeEbEEZZNS1_14partition_implILS5_8ELb0ES3_jN6thrust23THRUST_200600_302600_NS6detail15normal_iteratorINSA_10device_ptrIdEEEEPS6_PKS6_NS0_5tupleIJSF_S6_EEENSJ_IJSG_SG_EEENS0_18inequality_wrapperINSA_8equal_toIdEEEEPmJS6_EEE10hipError_tPvRmT3_T4_T5_T6_T7_T9_mT8_P12ihipStream_tbDpT10_ENKUlT_T0_E_clISt17integral_constantIbLb0EES1A_EEDaS15_S16_EUlS15_E_NS1_11comp_targetILNS1_3genE5ELNS1_11target_archE942ELNS1_3gpuE9ELNS1_3repE0EEENS1_30default_config_static_selectorELNS0_4arch9wavefront6targetE1EEEvT1_: ; @_ZN7rocprim17ROCPRIM_400000_NS6detail17trampoline_kernelINS0_14default_configENS1_25partition_config_selectorILNS1_17partition_subalgoE8EdNS0_10empty_typeEbEEZZNS1_14partition_implILS5_8ELb0ES3_jN6thrust23THRUST_200600_302600_NS6detail15normal_iteratorINSA_10device_ptrIdEEEEPS6_PKS6_NS0_5tupleIJSF_S6_EEENSJ_IJSG_SG_EEENS0_18inequality_wrapperINSA_8equal_toIdEEEEPmJS6_EEE10hipError_tPvRmT3_T4_T5_T6_T7_T9_mT8_P12ihipStream_tbDpT10_ENKUlT_T0_E_clISt17integral_constantIbLb0EES1A_EEDaS15_S16_EUlS15_E_NS1_11comp_targetILNS1_3genE5ELNS1_11target_archE942ELNS1_3gpuE9ELNS1_3repE0EEENS1_30default_config_static_selectorELNS0_4arch9wavefront6targetE1EEEvT1_
; %bb.0:
	.section	.rodata,"a",@progbits
	.p2align	6, 0x0
	.amdhsa_kernel _ZN7rocprim17ROCPRIM_400000_NS6detail17trampoline_kernelINS0_14default_configENS1_25partition_config_selectorILNS1_17partition_subalgoE8EdNS0_10empty_typeEbEEZZNS1_14partition_implILS5_8ELb0ES3_jN6thrust23THRUST_200600_302600_NS6detail15normal_iteratorINSA_10device_ptrIdEEEEPS6_PKS6_NS0_5tupleIJSF_S6_EEENSJ_IJSG_SG_EEENS0_18inequality_wrapperINSA_8equal_toIdEEEEPmJS6_EEE10hipError_tPvRmT3_T4_T5_T6_T7_T9_mT8_P12ihipStream_tbDpT10_ENKUlT_T0_E_clISt17integral_constantIbLb0EES1A_EEDaS15_S16_EUlS15_E_NS1_11comp_targetILNS1_3genE5ELNS1_11target_archE942ELNS1_3gpuE9ELNS1_3repE0EEENS1_30default_config_static_selectorELNS0_4arch9wavefront6targetE1EEEvT1_
		.amdhsa_group_segment_fixed_size 0
		.amdhsa_private_segment_fixed_size 0
		.amdhsa_kernarg_size 112
		.amdhsa_user_sgpr_count 6
		.amdhsa_user_sgpr_private_segment_buffer 1
		.amdhsa_user_sgpr_dispatch_ptr 0
		.amdhsa_user_sgpr_queue_ptr 0
		.amdhsa_user_sgpr_kernarg_segment_ptr 1
		.amdhsa_user_sgpr_dispatch_id 0
		.amdhsa_user_sgpr_flat_scratch_init 0
		.amdhsa_user_sgpr_private_segment_size 0
		.amdhsa_uses_dynamic_stack 0
		.amdhsa_system_sgpr_private_segment_wavefront_offset 0
		.amdhsa_system_sgpr_workgroup_id_x 1
		.amdhsa_system_sgpr_workgroup_id_y 0
		.amdhsa_system_sgpr_workgroup_id_z 0
		.amdhsa_system_sgpr_workgroup_info 0
		.amdhsa_system_vgpr_workitem_id 0
		.amdhsa_next_free_vgpr 1
		.amdhsa_next_free_sgpr 0
		.amdhsa_reserve_vcc 0
		.amdhsa_reserve_flat_scratch 0
		.amdhsa_float_round_mode_32 0
		.amdhsa_float_round_mode_16_64 0
		.amdhsa_float_denorm_mode_32 3
		.amdhsa_float_denorm_mode_16_64 3
		.amdhsa_dx10_clamp 1
		.amdhsa_ieee_mode 1
		.amdhsa_fp16_overflow 0
		.amdhsa_exception_fp_ieee_invalid_op 0
		.amdhsa_exception_fp_denorm_src 0
		.amdhsa_exception_fp_ieee_div_zero 0
		.amdhsa_exception_fp_ieee_overflow 0
		.amdhsa_exception_fp_ieee_underflow 0
		.amdhsa_exception_fp_ieee_inexact 0
		.amdhsa_exception_int_div_zero 0
	.end_amdhsa_kernel
	.section	.text._ZN7rocprim17ROCPRIM_400000_NS6detail17trampoline_kernelINS0_14default_configENS1_25partition_config_selectorILNS1_17partition_subalgoE8EdNS0_10empty_typeEbEEZZNS1_14partition_implILS5_8ELb0ES3_jN6thrust23THRUST_200600_302600_NS6detail15normal_iteratorINSA_10device_ptrIdEEEEPS6_PKS6_NS0_5tupleIJSF_S6_EEENSJ_IJSG_SG_EEENS0_18inequality_wrapperINSA_8equal_toIdEEEEPmJS6_EEE10hipError_tPvRmT3_T4_T5_T6_T7_T9_mT8_P12ihipStream_tbDpT10_ENKUlT_T0_E_clISt17integral_constantIbLb0EES1A_EEDaS15_S16_EUlS15_E_NS1_11comp_targetILNS1_3genE5ELNS1_11target_archE942ELNS1_3gpuE9ELNS1_3repE0EEENS1_30default_config_static_selectorELNS0_4arch9wavefront6targetE1EEEvT1_,"axG",@progbits,_ZN7rocprim17ROCPRIM_400000_NS6detail17trampoline_kernelINS0_14default_configENS1_25partition_config_selectorILNS1_17partition_subalgoE8EdNS0_10empty_typeEbEEZZNS1_14partition_implILS5_8ELb0ES3_jN6thrust23THRUST_200600_302600_NS6detail15normal_iteratorINSA_10device_ptrIdEEEEPS6_PKS6_NS0_5tupleIJSF_S6_EEENSJ_IJSG_SG_EEENS0_18inequality_wrapperINSA_8equal_toIdEEEEPmJS6_EEE10hipError_tPvRmT3_T4_T5_T6_T7_T9_mT8_P12ihipStream_tbDpT10_ENKUlT_T0_E_clISt17integral_constantIbLb0EES1A_EEDaS15_S16_EUlS15_E_NS1_11comp_targetILNS1_3genE5ELNS1_11target_archE942ELNS1_3gpuE9ELNS1_3repE0EEENS1_30default_config_static_selectorELNS0_4arch9wavefront6targetE1EEEvT1_,comdat
.Lfunc_end5:
	.size	_ZN7rocprim17ROCPRIM_400000_NS6detail17trampoline_kernelINS0_14default_configENS1_25partition_config_selectorILNS1_17partition_subalgoE8EdNS0_10empty_typeEbEEZZNS1_14partition_implILS5_8ELb0ES3_jN6thrust23THRUST_200600_302600_NS6detail15normal_iteratorINSA_10device_ptrIdEEEEPS6_PKS6_NS0_5tupleIJSF_S6_EEENSJ_IJSG_SG_EEENS0_18inequality_wrapperINSA_8equal_toIdEEEEPmJS6_EEE10hipError_tPvRmT3_T4_T5_T6_T7_T9_mT8_P12ihipStream_tbDpT10_ENKUlT_T0_E_clISt17integral_constantIbLb0EES1A_EEDaS15_S16_EUlS15_E_NS1_11comp_targetILNS1_3genE5ELNS1_11target_archE942ELNS1_3gpuE9ELNS1_3repE0EEENS1_30default_config_static_selectorELNS0_4arch9wavefront6targetE1EEEvT1_, .Lfunc_end5-_ZN7rocprim17ROCPRIM_400000_NS6detail17trampoline_kernelINS0_14default_configENS1_25partition_config_selectorILNS1_17partition_subalgoE8EdNS0_10empty_typeEbEEZZNS1_14partition_implILS5_8ELb0ES3_jN6thrust23THRUST_200600_302600_NS6detail15normal_iteratorINSA_10device_ptrIdEEEEPS6_PKS6_NS0_5tupleIJSF_S6_EEENSJ_IJSG_SG_EEENS0_18inequality_wrapperINSA_8equal_toIdEEEEPmJS6_EEE10hipError_tPvRmT3_T4_T5_T6_T7_T9_mT8_P12ihipStream_tbDpT10_ENKUlT_T0_E_clISt17integral_constantIbLb0EES1A_EEDaS15_S16_EUlS15_E_NS1_11comp_targetILNS1_3genE5ELNS1_11target_archE942ELNS1_3gpuE9ELNS1_3repE0EEENS1_30default_config_static_selectorELNS0_4arch9wavefront6targetE1EEEvT1_
                                        ; -- End function
	.set _ZN7rocprim17ROCPRIM_400000_NS6detail17trampoline_kernelINS0_14default_configENS1_25partition_config_selectorILNS1_17partition_subalgoE8EdNS0_10empty_typeEbEEZZNS1_14partition_implILS5_8ELb0ES3_jN6thrust23THRUST_200600_302600_NS6detail15normal_iteratorINSA_10device_ptrIdEEEEPS6_PKS6_NS0_5tupleIJSF_S6_EEENSJ_IJSG_SG_EEENS0_18inequality_wrapperINSA_8equal_toIdEEEEPmJS6_EEE10hipError_tPvRmT3_T4_T5_T6_T7_T9_mT8_P12ihipStream_tbDpT10_ENKUlT_T0_E_clISt17integral_constantIbLb0EES1A_EEDaS15_S16_EUlS15_E_NS1_11comp_targetILNS1_3genE5ELNS1_11target_archE942ELNS1_3gpuE9ELNS1_3repE0EEENS1_30default_config_static_selectorELNS0_4arch9wavefront6targetE1EEEvT1_.num_vgpr, 0
	.set _ZN7rocprim17ROCPRIM_400000_NS6detail17trampoline_kernelINS0_14default_configENS1_25partition_config_selectorILNS1_17partition_subalgoE8EdNS0_10empty_typeEbEEZZNS1_14partition_implILS5_8ELb0ES3_jN6thrust23THRUST_200600_302600_NS6detail15normal_iteratorINSA_10device_ptrIdEEEEPS6_PKS6_NS0_5tupleIJSF_S6_EEENSJ_IJSG_SG_EEENS0_18inequality_wrapperINSA_8equal_toIdEEEEPmJS6_EEE10hipError_tPvRmT3_T4_T5_T6_T7_T9_mT8_P12ihipStream_tbDpT10_ENKUlT_T0_E_clISt17integral_constantIbLb0EES1A_EEDaS15_S16_EUlS15_E_NS1_11comp_targetILNS1_3genE5ELNS1_11target_archE942ELNS1_3gpuE9ELNS1_3repE0EEENS1_30default_config_static_selectorELNS0_4arch9wavefront6targetE1EEEvT1_.num_agpr, 0
	.set _ZN7rocprim17ROCPRIM_400000_NS6detail17trampoline_kernelINS0_14default_configENS1_25partition_config_selectorILNS1_17partition_subalgoE8EdNS0_10empty_typeEbEEZZNS1_14partition_implILS5_8ELb0ES3_jN6thrust23THRUST_200600_302600_NS6detail15normal_iteratorINSA_10device_ptrIdEEEEPS6_PKS6_NS0_5tupleIJSF_S6_EEENSJ_IJSG_SG_EEENS0_18inequality_wrapperINSA_8equal_toIdEEEEPmJS6_EEE10hipError_tPvRmT3_T4_T5_T6_T7_T9_mT8_P12ihipStream_tbDpT10_ENKUlT_T0_E_clISt17integral_constantIbLb0EES1A_EEDaS15_S16_EUlS15_E_NS1_11comp_targetILNS1_3genE5ELNS1_11target_archE942ELNS1_3gpuE9ELNS1_3repE0EEENS1_30default_config_static_selectorELNS0_4arch9wavefront6targetE1EEEvT1_.numbered_sgpr, 0
	.set _ZN7rocprim17ROCPRIM_400000_NS6detail17trampoline_kernelINS0_14default_configENS1_25partition_config_selectorILNS1_17partition_subalgoE8EdNS0_10empty_typeEbEEZZNS1_14partition_implILS5_8ELb0ES3_jN6thrust23THRUST_200600_302600_NS6detail15normal_iteratorINSA_10device_ptrIdEEEEPS6_PKS6_NS0_5tupleIJSF_S6_EEENSJ_IJSG_SG_EEENS0_18inequality_wrapperINSA_8equal_toIdEEEEPmJS6_EEE10hipError_tPvRmT3_T4_T5_T6_T7_T9_mT8_P12ihipStream_tbDpT10_ENKUlT_T0_E_clISt17integral_constantIbLb0EES1A_EEDaS15_S16_EUlS15_E_NS1_11comp_targetILNS1_3genE5ELNS1_11target_archE942ELNS1_3gpuE9ELNS1_3repE0EEENS1_30default_config_static_selectorELNS0_4arch9wavefront6targetE1EEEvT1_.num_named_barrier, 0
	.set _ZN7rocprim17ROCPRIM_400000_NS6detail17trampoline_kernelINS0_14default_configENS1_25partition_config_selectorILNS1_17partition_subalgoE8EdNS0_10empty_typeEbEEZZNS1_14partition_implILS5_8ELb0ES3_jN6thrust23THRUST_200600_302600_NS6detail15normal_iteratorINSA_10device_ptrIdEEEEPS6_PKS6_NS0_5tupleIJSF_S6_EEENSJ_IJSG_SG_EEENS0_18inequality_wrapperINSA_8equal_toIdEEEEPmJS6_EEE10hipError_tPvRmT3_T4_T5_T6_T7_T9_mT8_P12ihipStream_tbDpT10_ENKUlT_T0_E_clISt17integral_constantIbLb0EES1A_EEDaS15_S16_EUlS15_E_NS1_11comp_targetILNS1_3genE5ELNS1_11target_archE942ELNS1_3gpuE9ELNS1_3repE0EEENS1_30default_config_static_selectorELNS0_4arch9wavefront6targetE1EEEvT1_.private_seg_size, 0
	.set _ZN7rocprim17ROCPRIM_400000_NS6detail17trampoline_kernelINS0_14default_configENS1_25partition_config_selectorILNS1_17partition_subalgoE8EdNS0_10empty_typeEbEEZZNS1_14partition_implILS5_8ELb0ES3_jN6thrust23THRUST_200600_302600_NS6detail15normal_iteratorINSA_10device_ptrIdEEEEPS6_PKS6_NS0_5tupleIJSF_S6_EEENSJ_IJSG_SG_EEENS0_18inequality_wrapperINSA_8equal_toIdEEEEPmJS6_EEE10hipError_tPvRmT3_T4_T5_T6_T7_T9_mT8_P12ihipStream_tbDpT10_ENKUlT_T0_E_clISt17integral_constantIbLb0EES1A_EEDaS15_S16_EUlS15_E_NS1_11comp_targetILNS1_3genE5ELNS1_11target_archE942ELNS1_3gpuE9ELNS1_3repE0EEENS1_30default_config_static_selectorELNS0_4arch9wavefront6targetE1EEEvT1_.uses_vcc, 0
	.set _ZN7rocprim17ROCPRIM_400000_NS6detail17trampoline_kernelINS0_14default_configENS1_25partition_config_selectorILNS1_17partition_subalgoE8EdNS0_10empty_typeEbEEZZNS1_14partition_implILS5_8ELb0ES3_jN6thrust23THRUST_200600_302600_NS6detail15normal_iteratorINSA_10device_ptrIdEEEEPS6_PKS6_NS0_5tupleIJSF_S6_EEENSJ_IJSG_SG_EEENS0_18inequality_wrapperINSA_8equal_toIdEEEEPmJS6_EEE10hipError_tPvRmT3_T4_T5_T6_T7_T9_mT8_P12ihipStream_tbDpT10_ENKUlT_T0_E_clISt17integral_constantIbLb0EES1A_EEDaS15_S16_EUlS15_E_NS1_11comp_targetILNS1_3genE5ELNS1_11target_archE942ELNS1_3gpuE9ELNS1_3repE0EEENS1_30default_config_static_selectorELNS0_4arch9wavefront6targetE1EEEvT1_.uses_flat_scratch, 0
	.set _ZN7rocprim17ROCPRIM_400000_NS6detail17trampoline_kernelINS0_14default_configENS1_25partition_config_selectorILNS1_17partition_subalgoE8EdNS0_10empty_typeEbEEZZNS1_14partition_implILS5_8ELb0ES3_jN6thrust23THRUST_200600_302600_NS6detail15normal_iteratorINSA_10device_ptrIdEEEEPS6_PKS6_NS0_5tupleIJSF_S6_EEENSJ_IJSG_SG_EEENS0_18inequality_wrapperINSA_8equal_toIdEEEEPmJS6_EEE10hipError_tPvRmT3_T4_T5_T6_T7_T9_mT8_P12ihipStream_tbDpT10_ENKUlT_T0_E_clISt17integral_constantIbLb0EES1A_EEDaS15_S16_EUlS15_E_NS1_11comp_targetILNS1_3genE5ELNS1_11target_archE942ELNS1_3gpuE9ELNS1_3repE0EEENS1_30default_config_static_selectorELNS0_4arch9wavefront6targetE1EEEvT1_.has_dyn_sized_stack, 0
	.set _ZN7rocprim17ROCPRIM_400000_NS6detail17trampoline_kernelINS0_14default_configENS1_25partition_config_selectorILNS1_17partition_subalgoE8EdNS0_10empty_typeEbEEZZNS1_14partition_implILS5_8ELb0ES3_jN6thrust23THRUST_200600_302600_NS6detail15normal_iteratorINSA_10device_ptrIdEEEEPS6_PKS6_NS0_5tupleIJSF_S6_EEENSJ_IJSG_SG_EEENS0_18inequality_wrapperINSA_8equal_toIdEEEEPmJS6_EEE10hipError_tPvRmT3_T4_T5_T6_T7_T9_mT8_P12ihipStream_tbDpT10_ENKUlT_T0_E_clISt17integral_constantIbLb0EES1A_EEDaS15_S16_EUlS15_E_NS1_11comp_targetILNS1_3genE5ELNS1_11target_archE942ELNS1_3gpuE9ELNS1_3repE0EEENS1_30default_config_static_selectorELNS0_4arch9wavefront6targetE1EEEvT1_.has_recursion, 0
	.set _ZN7rocprim17ROCPRIM_400000_NS6detail17trampoline_kernelINS0_14default_configENS1_25partition_config_selectorILNS1_17partition_subalgoE8EdNS0_10empty_typeEbEEZZNS1_14partition_implILS5_8ELb0ES3_jN6thrust23THRUST_200600_302600_NS6detail15normal_iteratorINSA_10device_ptrIdEEEEPS6_PKS6_NS0_5tupleIJSF_S6_EEENSJ_IJSG_SG_EEENS0_18inequality_wrapperINSA_8equal_toIdEEEEPmJS6_EEE10hipError_tPvRmT3_T4_T5_T6_T7_T9_mT8_P12ihipStream_tbDpT10_ENKUlT_T0_E_clISt17integral_constantIbLb0EES1A_EEDaS15_S16_EUlS15_E_NS1_11comp_targetILNS1_3genE5ELNS1_11target_archE942ELNS1_3gpuE9ELNS1_3repE0EEENS1_30default_config_static_selectorELNS0_4arch9wavefront6targetE1EEEvT1_.has_indirect_call, 0
	.section	.AMDGPU.csdata,"",@progbits
; Kernel info:
; codeLenInByte = 0
; TotalNumSgprs: 4
; NumVgprs: 0
; ScratchSize: 0
; MemoryBound: 0
; FloatMode: 240
; IeeeMode: 1
; LDSByteSize: 0 bytes/workgroup (compile time only)
; SGPRBlocks: 0
; VGPRBlocks: 0
; NumSGPRsForWavesPerEU: 4
; NumVGPRsForWavesPerEU: 1
; Occupancy: 10
; WaveLimiterHint : 0
; COMPUTE_PGM_RSRC2:SCRATCH_EN: 0
; COMPUTE_PGM_RSRC2:USER_SGPR: 6
; COMPUTE_PGM_RSRC2:TRAP_HANDLER: 0
; COMPUTE_PGM_RSRC2:TGID_X_EN: 1
; COMPUTE_PGM_RSRC2:TGID_Y_EN: 0
; COMPUTE_PGM_RSRC2:TGID_Z_EN: 0
; COMPUTE_PGM_RSRC2:TIDIG_COMP_CNT: 0
	.section	.text._ZN7rocprim17ROCPRIM_400000_NS6detail17trampoline_kernelINS0_14default_configENS1_25partition_config_selectorILNS1_17partition_subalgoE8EdNS0_10empty_typeEbEEZZNS1_14partition_implILS5_8ELb0ES3_jN6thrust23THRUST_200600_302600_NS6detail15normal_iteratorINSA_10device_ptrIdEEEEPS6_PKS6_NS0_5tupleIJSF_S6_EEENSJ_IJSG_SG_EEENS0_18inequality_wrapperINSA_8equal_toIdEEEEPmJS6_EEE10hipError_tPvRmT3_T4_T5_T6_T7_T9_mT8_P12ihipStream_tbDpT10_ENKUlT_T0_E_clISt17integral_constantIbLb0EES1A_EEDaS15_S16_EUlS15_E_NS1_11comp_targetILNS1_3genE4ELNS1_11target_archE910ELNS1_3gpuE8ELNS1_3repE0EEENS1_30default_config_static_selectorELNS0_4arch9wavefront6targetE1EEEvT1_,"axG",@progbits,_ZN7rocprim17ROCPRIM_400000_NS6detail17trampoline_kernelINS0_14default_configENS1_25partition_config_selectorILNS1_17partition_subalgoE8EdNS0_10empty_typeEbEEZZNS1_14partition_implILS5_8ELb0ES3_jN6thrust23THRUST_200600_302600_NS6detail15normal_iteratorINSA_10device_ptrIdEEEEPS6_PKS6_NS0_5tupleIJSF_S6_EEENSJ_IJSG_SG_EEENS0_18inequality_wrapperINSA_8equal_toIdEEEEPmJS6_EEE10hipError_tPvRmT3_T4_T5_T6_T7_T9_mT8_P12ihipStream_tbDpT10_ENKUlT_T0_E_clISt17integral_constantIbLb0EES1A_EEDaS15_S16_EUlS15_E_NS1_11comp_targetILNS1_3genE4ELNS1_11target_archE910ELNS1_3gpuE8ELNS1_3repE0EEENS1_30default_config_static_selectorELNS0_4arch9wavefront6targetE1EEEvT1_,comdat
	.protected	_ZN7rocprim17ROCPRIM_400000_NS6detail17trampoline_kernelINS0_14default_configENS1_25partition_config_selectorILNS1_17partition_subalgoE8EdNS0_10empty_typeEbEEZZNS1_14partition_implILS5_8ELb0ES3_jN6thrust23THRUST_200600_302600_NS6detail15normal_iteratorINSA_10device_ptrIdEEEEPS6_PKS6_NS0_5tupleIJSF_S6_EEENSJ_IJSG_SG_EEENS0_18inequality_wrapperINSA_8equal_toIdEEEEPmJS6_EEE10hipError_tPvRmT3_T4_T5_T6_T7_T9_mT8_P12ihipStream_tbDpT10_ENKUlT_T0_E_clISt17integral_constantIbLb0EES1A_EEDaS15_S16_EUlS15_E_NS1_11comp_targetILNS1_3genE4ELNS1_11target_archE910ELNS1_3gpuE8ELNS1_3repE0EEENS1_30default_config_static_selectorELNS0_4arch9wavefront6targetE1EEEvT1_ ; -- Begin function _ZN7rocprim17ROCPRIM_400000_NS6detail17trampoline_kernelINS0_14default_configENS1_25partition_config_selectorILNS1_17partition_subalgoE8EdNS0_10empty_typeEbEEZZNS1_14partition_implILS5_8ELb0ES3_jN6thrust23THRUST_200600_302600_NS6detail15normal_iteratorINSA_10device_ptrIdEEEEPS6_PKS6_NS0_5tupleIJSF_S6_EEENSJ_IJSG_SG_EEENS0_18inequality_wrapperINSA_8equal_toIdEEEEPmJS6_EEE10hipError_tPvRmT3_T4_T5_T6_T7_T9_mT8_P12ihipStream_tbDpT10_ENKUlT_T0_E_clISt17integral_constantIbLb0EES1A_EEDaS15_S16_EUlS15_E_NS1_11comp_targetILNS1_3genE4ELNS1_11target_archE910ELNS1_3gpuE8ELNS1_3repE0EEENS1_30default_config_static_selectorELNS0_4arch9wavefront6targetE1EEEvT1_
	.globl	_ZN7rocprim17ROCPRIM_400000_NS6detail17trampoline_kernelINS0_14default_configENS1_25partition_config_selectorILNS1_17partition_subalgoE8EdNS0_10empty_typeEbEEZZNS1_14partition_implILS5_8ELb0ES3_jN6thrust23THRUST_200600_302600_NS6detail15normal_iteratorINSA_10device_ptrIdEEEEPS6_PKS6_NS0_5tupleIJSF_S6_EEENSJ_IJSG_SG_EEENS0_18inequality_wrapperINSA_8equal_toIdEEEEPmJS6_EEE10hipError_tPvRmT3_T4_T5_T6_T7_T9_mT8_P12ihipStream_tbDpT10_ENKUlT_T0_E_clISt17integral_constantIbLb0EES1A_EEDaS15_S16_EUlS15_E_NS1_11comp_targetILNS1_3genE4ELNS1_11target_archE910ELNS1_3gpuE8ELNS1_3repE0EEENS1_30default_config_static_selectorELNS0_4arch9wavefront6targetE1EEEvT1_
	.p2align	8
	.type	_ZN7rocprim17ROCPRIM_400000_NS6detail17trampoline_kernelINS0_14default_configENS1_25partition_config_selectorILNS1_17partition_subalgoE8EdNS0_10empty_typeEbEEZZNS1_14partition_implILS5_8ELb0ES3_jN6thrust23THRUST_200600_302600_NS6detail15normal_iteratorINSA_10device_ptrIdEEEEPS6_PKS6_NS0_5tupleIJSF_S6_EEENSJ_IJSG_SG_EEENS0_18inequality_wrapperINSA_8equal_toIdEEEEPmJS6_EEE10hipError_tPvRmT3_T4_T5_T6_T7_T9_mT8_P12ihipStream_tbDpT10_ENKUlT_T0_E_clISt17integral_constantIbLb0EES1A_EEDaS15_S16_EUlS15_E_NS1_11comp_targetILNS1_3genE4ELNS1_11target_archE910ELNS1_3gpuE8ELNS1_3repE0EEENS1_30default_config_static_selectorELNS0_4arch9wavefront6targetE1EEEvT1_,@function
_ZN7rocprim17ROCPRIM_400000_NS6detail17trampoline_kernelINS0_14default_configENS1_25partition_config_selectorILNS1_17partition_subalgoE8EdNS0_10empty_typeEbEEZZNS1_14partition_implILS5_8ELb0ES3_jN6thrust23THRUST_200600_302600_NS6detail15normal_iteratorINSA_10device_ptrIdEEEEPS6_PKS6_NS0_5tupleIJSF_S6_EEENSJ_IJSG_SG_EEENS0_18inequality_wrapperINSA_8equal_toIdEEEEPmJS6_EEE10hipError_tPvRmT3_T4_T5_T6_T7_T9_mT8_P12ihipStream_tbDpT10_ENKUlT_T0_E_clISt17integral_constantIbLb0EES1A_EEDaS15_S16_EUlS15_E_NS1_11comp_targetILNS1_3genE4ELNS1_11target_archE910ELNS1_3gpuE8ELNS1_3repE0EEENS1_30default_config_static_selectorELNS0_4arch9wavefront6targetE1EEEvT1_: ; @_ZN7rocprim17ROCPRIM_400000_NS6detail17trampoline_kernelINS0_14default_configENS1_25partition_config_selectorILNS1_17partition_subalgoE8EdNS0_10empty_typeEbEEZZNS1_14partition_implILS5_8ELb0ES3_jN6thrust23THRUST_200600_302600_NS6detail15normal_iteratorINSA_10device_ptrIdEEEEPS6_PKS6_NS0_5tupleIJSF_S6_EEENSJ_IJSG_SG_EEENS0_18inequality_wrapperINSA_8equal_toIdEEEEPmJS6_EEE10hipError_tPvRmT3_T4_T5_T6_T7_T9_mT8_P12ihipStream_tbDpT10_ENKUlT_T0_E_clISt17integral_constantIbLb0EES1A_EEDaS15_S16_EUlS15_E_NS1_11comp_targetILNS1_3genE4ELNS1_11target_archE910ELNS1_3gpuE8ELNS1_3repE0EEENS1_30default_config_static_selectorELNS0_4arch9wavefront6targetE1EEEvT1_
; %bb.0:
	.section	.rodata,"a",@progbits
	.p2align	6, 0x0
	.amdhsa_kernel _ZN7rocprim17ROCPRIM_400000_NS6detail17trampoline_kernelINS0_14default_configENS1_25partition_config_selectorILNS1_17partition_subalgoE8EdNS0_10empty_typeEbEEZZNS1_14partition_implILS5_8ELb0ES3_jN6thrust23THRUST_200600_302600_NS6detail15normal_iteratorINSA_10device_ptrIdEEEEPS6_PKS6_NS0_5tupleIJSF_S6_EEENSJ_IJSG_SG_EEENS0_18inequality_wrapperINSA_8equal_toIdEEEEPmJS6_EEE10hipError_tPvRmT3_T4_T5_T6_T7_T9_mT8_P12ihipStream_tbDpT10_ENKUlT_T0_E_clISt17integral_constantIbLb0EES1A_EEDaS15_S16_EUlS15_E_NS1_11comp_targetILNS1_3genE4ELNS1_11target_archE910ELNS1_3gpuE8ELNS1_3repE0EEENS1_30default_config_static_selectorELNS0_4arch9wavefront6targetE1EEEvT1_
		.amdhsa_group_segment_fixed_size 0
		.amdhsa_private_segment_fixed_size 0
		.amdhsa_kernarg_size 112
		.amdhsa_user_sgpr_count 6
		.amdhsa_user_sgpr_private_segment_buffer 1
		.amdhsa_user_sgpr_dispatch_ptr 0
		.amdhsa_user_sgpr_queue_ptr 0
		.amdhsa_user_sgpr_kernarg_segment_ptr 1
		.amdhsa_user_sgpr_dispatch_id 0
		.amdhsa_user_sgpr_flat_scratch_init 0
		.amdhsa_user_sgpr_private_segment_size 0
		.amdhsa_uses_dynamic_stack 0
		.amdhsa_system_sgpr_private_segment_wavefront_offset 0
		.amdhsa_system_sgpr_workgroup_id_x 1
		.amdhsa_system_sgpr_workgroup_id_y 0
		.amdhsa_system_sgpr_workgroup_id_z 0
		.amdhsa_system_sgpr_workgroup_info 0
		.amdhsa_system_vgpr_workitem_id 0
		.amdhsa_next_free_vgpr 1
		.amdhsa_next_free_sgpr 0
		.amdhsa_reserve_vcc 0
		.amdhsa_reserve_flat_scratch 0
		.amdhsa_float_round_mode_32 0
		.amdhsa_float_round_mode_16_64 0
		.amdhsa_float_denorm_mode_32 3
		.amdhsa_float_denorm_mode_16_64 3
		.amdhsa_dx10_clamp 1
		.amdhsa_ieee_mode 1
		.amdhsa_fp16_overflow 0
		.amdhsa_exception_fp_ieee_invalid_op 0
		.amdhsa_exception_fp_denorm_src 0
		.amdhsa_exception_fp_ieee_div_zero 0
		.amdhsa_exception_fp_ieee_overflow 0
		.amdhsa_exception_fp_ieee_underflow 0
		.amdhsa_exception_fp_ieee_inexact 0
		.amdhsa_exception_int_div_zero 0
	.end_amdhsa_kernel
	.section	.text._ZN7rocprim17ROCPRIM_400000_NS6detail17trampoline_kernelINS0_14default_configENS1_25partition_config_selectorILNS1_17partition_subalgoE8EdNS0_10empty_typeEbEEZZNS1_14partition_implILS5_8ELb0ES3_jN6thrust23THRUST_200600_302600_NS6detail15normal_iteratorINSA_10device_ptrIdEEEEPS6_PKS6_NS0_5tupleIJSF_S6_EEENSJ_IJSG_SG_EEENS0_18inequality_wrapperINSA_8equal_toIdEEEEPmJS6_EEE10hipError_tPvRmT3_T4_T5_T6_T7_T9_mT8_P12ihipStream_tbDpT10_ENKUlT_T0_E_clISt17integral_constantIbLb0EES1A_EEDaS15_S16_EUlS15_E_NS1_11comp_targetILNS1_3genE4ELNS1_11target_archE910ELNS1_3gpuE8ELNS1_3repE0EEENS1_30default_config_static_selectorELNS0_4arch9wavefront6targetE1EEEvT1_,"axG",@progbits,_ZN7rocprim17ROCPRIM_400000_NS6detail17trampoline_kernelINS0_14default_configENS1_25partition_config_selectorILNS1_17partition_subalgoE8EdNS0_10empty_typeEbEEZZNS1_14partition_implILS5_8ELb0ES3_jN6thrust23THRUST_200600_302600_NS6detail15normal_iteratorINSA_10device_ptrIdEEEEPS6_PKS6_NS0_5tupleIJSF_S6_EEENSJ_IJSG_SG_EEENS0_18inequality_wrapperINSA_8equal_toIdEEEEPmJS6_EEE10hipError_tPvRmT3_T4_T5_T6_T7_T9_mT8_P12ihipStream_tbDpT10_ENKUlT_T0_E_clISt17integral_constantIbLb0EES1A_EEDaS15_S16_EUlS15_E_NS1_11comp_targetILNS1_3genE4ELNS1_11target_archE910ELNS1_3gpuE8ELNS1_3repE0EEENS1_30default_config_static_selectorELNS0_4arch9wavefront6targetE1EEEvT1_,comdat
.Lfunc_end6:
	.size	_ZN7rocprim17ROCPRIM_400000_NS6detail17trampoline_kernelINS0_14default_configENS1_25partition_config_selectorILNS1_17partition_subalgoE8EdNS0_10empty_typeEbEEZZNS1_14partition_implILS5_8ELb0ES3_jN6thrust23THRUST_200600_302600_NS6detail15normal_iteratorINSA_10device_ptrIdEEEEPS6_PKS6_NS0_5tupleIJSF_S6_EEENSJ_IJSG_SG_EEENS0_18inequality_wrapperINSA_8equal_toIdEEEEPmJS6_EEE10hipError_tPvRmT3_T4_T5_T6_T7_T9_mT8_P12ihipStream_tbDpT10_ENKUlT_T0_E_clISt17integral_constantIbLb0EES1A_EEDaS15_S16_EUlS15_E_NS1_11comp_targetILNS1_3genE4ELNS1_11target_archE910ELNS1_3gpuE8ELNS1_3repE0EEENS1_30default_config_static_selectorELNS0_4arch9wavefront6targetE1EEEvT1_, .Lfunc_end6-_ZN7rocprim17ROCPRIM_400000_NS6detail17trampoline_kernelINS0_14default_configENS1_25partition_config_selectorILNS1_17partition_subalgoE8EdNS0_10empty_typeEbEEZZNS1_14partition_implILS5_8ELb0ES3_jN6thrust23THRUST_200600_302600_NS6detail15normal_iteratorINSA_10device_ptrIdEEEEPS6_PKS6_NS0_5tupleIJSF_S6_EEENSJ_IJSG_SG_EEENS0_18inequality_wrapperINSA_8equal_toIdEEEEPmJS6_EEE10hipError_tPvRmT3_T4_T5_T6_T7_T9_mT8_P12ihipStream_tbDpT10_ENKUlT_T0_E_clISt17integral_constantIbLb0EES1A_EEDaS15_S16_EUlS15_E_NS1_11comp_targetILNS1_3genE4ELNS1_11target_archE910ELNS1_3gpuE8ELNS1_3repE0EEENS1_30default_config_static_selectorELNS0_4arch9wavefront6targetE1EEEvT1_
                                        ; -- End function
	.set _ZN7rocprim17ROCPRIM_400000_NS6detail17trampoline_kernelINS0_14default_configENS1_25partition_config_selectorILNS1_17partition_subalgoE8EdNS0_10empty_typeEbEEZZNS1_14partition_implILS5_8ELb0ES3_jN6thrust23THRUST_200600_302600_NS6detail15normal_iteratorINSA_10device_ptrIdEEEEPS6_PKS6_NS0_5tupleIJSF_S6_EEENSJ_IJSG_SG_EEENS0_18inequality_wrapperINSA_8equal_toIdEEEEPmJS6_EEE10hipError_tPvRmT3_T4_T5_T6_T7_T9_mT8_P12ihipStream_tbDpT10_ENKUlT_T0_E_clISt17integral_constantIbLb0EES1A_EEDaS15_S16_EUlS15_E_NS1_11comp_targetILNS1_3genE4ELNS1_11target_archE910ELNS1_3gpuE8ELNS1_3repE0EEENS1_30default_config_static_selectorELNS0_4arch9wavefront6targetE1EEEvT1_.num_vgpr, 0
	.set _ZN7rocprim17ROCPRIM_400000_NS6detail17trampoline_kernelINS0_14default_configENS1_25partition_config_selectorILNS1_17partition_subalgoE8EdNS0_10empty_typeEbEEZZNS1_14partition_implILS5_8ELb0ES3_jN6thrust23THRUST_200600_302600_NS6detail15normal_iteratorINSA_10device_ptrIdEEEEPS6_PKS6_NS0_5tupleIJSF_S6_EEENSJ_IJSG_SG_EEENS0_18inequality_wrapperINSA_8equal_toIdEEEEPmJS6_EEE10hipError_tPvRmT3_T4_T5_T6_T7_T9_mT8_P12ihipStream_tbDpT10_ENKUlT_T0_E_clISt17integral_constantIbLb0EES1A_EEDaS15_S16_EUlS15_E_NS1_11comp_targetILNS1_3genE4ELNS1_11target_archE910ELNS1_3gpuE8ELNS1_3repE0EEENS1_30default_config_static_selectorELNS0_4arch9wavefront6targetE1EEEvT1_.num_agpr, 0
	.set _ZN7rocprim17ROCPRIM_400000_NS6detail17trampoline_kernelINS0_14default_configENS1_25partition_config_selectorILNS1_17partition_subalgoE8EdNS0_10empty_typeEbEEZZNS1_14partition_implILS5_8ELb0ES3_jN6thrust23THRUST_200600_302600_NS6detail15normal_iteratorINSA_10device_ptrIdEEEEPS6_PKS6_NS0_5tupleIJSF_S6_EEENSJ_IJSG_SG_EEENS0_18inequality_wrapperINSA_8equal_toIdEEEEPmJS6_EEE10hipError_tPvRmT3_T4_T5_T6_T7_T9_mT8_P12ihipStream_tbDpT10_ENKUlT_T0_E_clISt17integral_constantIbLb0EES1A_EEDaS15_S16_EUlS15_E_NS1_11comp_targetILNS1_3genE4ELNS1_11target_archE910ELNS1_3gpuE8ELNS1_3repE0EEENS1_30default_config_static_selectorELNS0_4arch9wavefront6targetE1EEEvT1_.numbered_sgpr, 0
	.set _ZN7rocprim17ROCPRIM_400000_NS6detail17trampoline_kernelINS0_14default_configENS1_25partition_config_selectorILNS1_17partition_subalgoE8EdNS0_10empty_typeEbEEZZNS1_14partition_implILS5_8ELb0ES3_jN6thrust23THRUST_200600_302600_NS6detail15normal_iteratorINSA_10device_ptrIdEEEEPS6_PKS6_NS0_5tupleIJSF_S6_EEENSJ_IJSG_SG_EEENS0_18inequality_wrapperINSA_8equal_toIdEEEEPmJS6_EEE10hipError_tPvRmT3_T4_T5_T6_T7_T9_mT8_P12ihipStream_tbDpT10_ENKUlT_T0_E_clISt17integral_constantIbLb0EES1A_EEDaS15_S16_EUlS15_E_NS1_11comp_targetILNS1_3genE4ELNS1_11target_archE910ELNS1_3gpuE8ELNS1_3repE0EEENS1_30default_config_static_selectorELNS0_4arch9wavefront6targetE1EEEvT1_.num_named_barrier, 0
	.set _ZN7rocprim17ROCPRIM_400000_NS6detail17trampoline_kernelINS0_14default_configENS1_25partition_config_selectorILNS1_17partition_subalgoE8EdNS0_10empty_typeEbEEZZNS1_14partition_implILS5_8ELb0ES3_jN6thrust23THRUST_200600_302600_NS6detail15normal_iteratorINSA_10device_ptrIdEEEEPS6_PKS6_NS0_5tupleIJSF_S6_EEENSJ_IJSG_SG_EEENS0_18inequality_wrapperINSA_8equal_toIdEEEEPmJS6_EEE10hipError_tPvRmT3_T4_T5_T6_T7_T9_mT8_P12ihipStream_tbDpT10_ENKUlT_T0_E_clISt17integral_constantIbLb0EES1A_EEDaS15_S16_EUlS15_E_NS1_11comp_targetILNS1_3genE4ELNS1_11target_archE910ELNS1_3gpuE8ELNS1_3repE0EEENS1_30default_config_static_selectorELNS0_4arch9wavefront6targetE1EEEvT1_.private_seg_size, 0
	.set _ZN7rocprim17ROCPRIM_400000_NS6detail17trampoline_kernelINS0_14default_configENS1_25partition_config_selectorILNS1_17partition_subalgoE8EdNS0_10empty_typeEbEEZZNS1_14partition_implILS5_8ELb0ES3_jN6thrust23THRUST_200600_302600_NS6detail15normal_iteratorINSA_10device_ptrIdEEEEPS6_PKS6_NS0_5tupleIJSF_S6_EEENSJ_IJSG_SG_EEENS0_18inequality_wrapperINSA_8equal_toIdEEEEPmJS6_EEE10hipError_tPvRmT3_T4_T5_T6_T7_T9_mT8_P12ihipStream_tbDpT10_ENKUlT_T0_E_clISt17integral_constantIbLb0EES1A_EEDaS15_S16_EUlS15_E_NS1_11comp_targetILNS1_3genE4ELNS1_11target_archE910ELNS1_3gpuE8ELNS1_3repE0EEENS1_30default_config_static_selectorELNS0_4arch9wavefront6targetE1EEEvT1_.uses_vcc, 0
	.set _ZN7rocprim17ROCPRIM_400000_NS6detail17trampoline_kernelINS0_14default_configENS1_25partition_config_selectorILNS1_17partition_subalgoE8EdNS0_10empty_typeEbEEZZNS1_14partition_implILS5_8ELb0ES3_jN6thrust23THRUST_200600_302600_NS6detail15normal_iteratorINSA_10device_ptrIdEEEEPS6_PKS6_NS0_5tupleIJSF_S6_EEENSJ_IJSG_SG_EEENS0_18inequality_wrapperINSA_8equal_toIdEEEEPmJS6_EEE10hipError_tPvRmT3_T4_T5_T6_T7_T9_mT8_P12ihipStream_tbDpT10_ENKUlT_T0_E_clISt17integral_constantIbLb0EES1A_EEDaS15_S16_EUlS15_E_NS1_11comp_targetILNS1_3genE4ELNS1_11target_archE910ELNS1_3gpuE8ELNS1_3repE0EEENS1_30default_config_static_selectorELNS0_4arch9wavefront6targetE1EEEvT1_.uses_flat_scratch, 0
	.set _ZN7rocprim17ROCPRIM_400000_NS6detail17trampoline_kernelINS0_14default_configENS1_25partition_config_selectorILNS1_17partition_subalgoE8EdNS0_10empty_typeEbEEZZNS1_14partition_implILS5_8ELb0ES3_jN6thrust23THRUST_200600_302600_NS6detail15normal_iteratorINSA_10device_ptrIdEEEEPS6_PKS6_NS0_5tupleIJSF_S6_EEENSJ_IJSG_SG_EEENS0_18inequality_wrapperINSA_8equal_toIdEEEEPmJS6_EEE10hipError_tPvRmT3_T4_T5_T6_T7_T9_mT8_P12ihipStream_tbDpT10_ENKUlT_T0_E_clISt17integral_constantIbLb0EES1A_EEDaS15_S16_EUlS15_E_NS1_11comp_targetILNS1_3genE4ELNS1_11target_archE910ELNS1_3gpuE8ELNS1_3repE0EEENS1_30default_config_static_selectorELNS0_4arch9wavefront6targetE1EEEvT1_.has_dyn_sized_stack, 0
	.set _ZN7rocprim17ROCPRIM_400000_NS6detail17trampoline_kernelINS0_14default_configENS1_25partition_config_selectorILNS1_17partition_subalgoE8EdNS0_10empty_typeEbEEZZNS1_14partition_implILS5_8ELb0ES3_jN6thrust23THRUST_200600_302600_NS6detail15normal_iteratorINSA_10device_ptrIdEEEEPS6_PKS6_NS0_5tupleIJSF_S6_EEENSJ_IJSG_SG_EEENS0_18inequality_wrapperINSA_8equal_toIdEEEEPmJS6_EEE10hipError_tPvRmT3_T4_T5_T6_T7_T9_mT8_P12ihipStream_tbDpT10_ENKUlT_T0_E_clISt17integral_constantIbLb0EES1A_EEDaS15_S16_EUlS15_E_NS1_11comp_targetILNS1_3genE4ELNS1_11target_archE910ELNS1_3gpuE8ELNS1_3repE0EEENS1_30default_config_static_selectorELNS0_4arch9wavefront6targetE1EEEvT1_.has_recursion, 0
	.set _ZN7rocprim17ROCPRIM_400000_NS6detail17trampoline_kernelINS0_14default_configENS1_25partition_config_selectorILNS1_17partition_subalgoE8EdNS0_10empty_typeEbEEZZNS1_14partition_implILS5_8ELb0ES3_jN6thrust23THRUST_200600_302600_NS6detail15normal_iteratorINSA_10device_ptrIdEEEEPS6_PKS6_NS0_5tupleIJSF_S6_EEENSJ_IJSG_SG_EEENS0_18inequality_wrapperINSA_8equal_toIdEEEEPmJS6_EEE10hipError_tPvRmT3_T4_T5_T6_T7_T9_mT8_P12ihipStream_tbDpT10_ENKUlT_T0_E_clISt17integral_constantIbLb0EES1A_EEDaS15_S16_EUlS15_E_NS1_11comp_targetILNS1_3genE4ELNS1_11target_archE910ELNS1_3gpuE8ELNS1_3repE0EEENS1_30default_config_static_selectorELNS0_4arch9wavefront6targetE1EEEvT1_.has_indirect_call, 0
	.section	.AMDGPU.csdata,"",@progbits
; Kernel info:
; codeLenInByte = 0
; TotalNumSgprs: 4
; NumVgprs: 0
; ScratchSize: 0
; MemoryBound: 0
; FloatMode: 240
; IeeeMode: 1
; LDSByteSize: 0 bytes/workgroup (compile time only)
; SGPRBlocks: 0
; VGPRBlocks: 0
; NumSGPRsForWavesPerEU: 4
; NumVGPRsForWavesPerEU: 1
; Occupancy: 10
; WaveLimiterHint : 0
; COMPUTE_PGM_RSRC2:SCRATCH_EN: 0
; COMPUTE_PGM_RSRC2:USER_SGPR: 6
; COMPUTE_PGM_RSRC2:TRAP_HANDLER: 0
; COMPUTE_PGM_RSRC2:TGID_X_EN: 1
; COMPUTE_PGM_RSRC2:TGID_Y_EN: 0
; COMPUTE_PGM_RSRC2:TGID_Z_EN: 0
; COMPUTE_PGM_RSRC2:TIDIG_COMP_CNT: 0
	.section	.text._ZN7rocprim17ROCPRIM_400000_NS6detail17trampoline_kernelINS0_14default_configENS1_25partition_config_selectorILNS1_17partition_subalgoE8EdNS0_10empty_typeEbEEZZNS1_14partition_implILS5_8ELb0ES3_jN6thrust23THRUST_200600_302600_NS6detail15normal_iteratorINSA_10device_ptrIdEEEEPS6_PKS6_NS0_5tupleIJSF_S6_EEENSJ_IJSG_SG_EEENS0_18inequality_wrapperINSA_8equal_toIdEEEEPmJS6_EEE10hipError_tPvRmT3_T4_T5_T6_T7_T9_mT8_P12ihipStream_tbDpT10_ENKUlT_T0_E_clISt17integral_constantIbLb0EES1A_EEDaS15_S16_EUlS15_E_NS1_11comp_targetILNS1_3genE3ELNS1_11target_archE908ELNS1_3gpuE7ELNS1_3repE0EEENS1_30default_config_static_selectorELNS0_4arch9wavefront6targetE1EEEvT1_,"axG",@progbits,_ZN7rocprim17ROCPRIM_400000_NS6detail17trampoline_kernelINS0_14default_configENS1_25partition_config_selectorILNS1_17partition_subalgoE8EdNS0_10empty_typeEbEEZZNS1_14partition_implILS5_8ELb0ES3_jN6thrust23THRUST_200600_302600_NS6detail15normal_iteratorINSA_10device_ptrIdEEEEPS6_PKS6_NS0_5tupleIJSF_S6_EEENSJ_IJSG_SG_EEENS0_18inequality_wrapperINSA_8equal_toIdEEEEPmJS6_EEE10hipError_tPvRmT3_T4_T5_T6_T7_T9_mT8_P12ihipStream_tbDpT10_ENKUlT_T0_E_clISt17integral_constantIbLb0EES1A_EEDaS15_S16_EUlS15_E_NS1_11comp_targetILNS1_3genE3ELNS1_11target_archE908ELNS1_3gpuE7ELNS1_3repE0EEENS1_30default_config_static_selectorELNS0_4arch9wavefront6targetE1EEEvT1_,comdat
	.protected	_ZN7rocprim17ROCPRIM_400000_NS6detail17trampoline_kernelINS0_14default_configENS1_25partition_config_selectorILNS1_17partition_subalgoE8EdNS0_10empty_typeEbEEZZNS1_14partition_implILS5_8ELb0ES3_jN6thrust23THRUST_200600_302600_NS6detail15normal_iteratorINSA_10device_ptrIdEEEEPS6_PKS6_NS0_5tupleIJSF_S6_EEENSJ_IJSG_SG_EEENS0_18inequality_wrapperINSA_8equal_toIdEEEEPmJS6_EEE10hipError_tPvRmT3_T4_T5_T6_T7_T9_mT8_P12ihipStream_tbDpT10_ENKUlT_T0_E_clISt17integral_constantIbLb0EES1A_EEDaS15_S16_EUlS15_E_NS1_11comp_targetILNS1_3genE3ELNS1_11target_archE908ELNS1_3gpuE7ELNS1_3repE0EEENS1_30default_config_static_selectorELNS0_4arch9wavefront6targetE1EEEvT1_ ; -- Begin function _ZN7rocprim17ROCPRIM_400000_NS6detail17trampoline_kernelINS0_14default_configENS1_25partition_config_selectorILNS1_17partition_subalgoE8EdNS0_10empty_typeEbEEZZNS1_14partition_implILS5_8ELb0ES3_jN6thrust23THRUST_200600_302600_NS6detail15normal_iteratorINSA_10device_ptrIdEEEEPS6_PKS6_NS0_5tupleIJSF_S6_EEENSJ_IJSG_SG_EEENS0_18inequality_wrapperINSA_8equal_toIdEEEEPmJS6_EEE10hipError_tPvRmT3_T4_T5_T6_T7_T9_mT8_P12ihipStream_tbDpT10_ENKUlT_T0_E_clISt17integral_constantIbLb0EES1A_EEDaS15_S16_EUlS15_E_NS1_11comp_targetILNS1_3genE3ELNS1_11target_archE908ELNS1_3gpuE7ELNS1_3repE0EEENS1_30default_config_static_selectorELNS0_4arch9wavefront6targetE1EEEvT1_
	.globl	_ZN7rocprim17ROCPRIM_400000_NS6detail17trampoline_kernelINS0_14default_configENS1_25partition_config_selectorILNS1_17partition_subalgoE8EdNS0_10empty_typeEbEEZZNS1_14partition_implILS5_8ELb0ES3_jN6thrust23THRUST_200600_302600_NS6detail15normal_iteratorINSA_10device_ptrIdEEEEPS6_PKS6_NS0_5tupleIJSF_S6_EEENSJ_IJSG_SG_EEENS0_18inequality_wrapperINSA_8equal_toIdEEEEPmJS6_EEE10hipError_tPvRmT3_T4_T5_T6_T7_T9_mT8_P12ihipStream_tbDpT10_ENKUlT_T0_E_clISt17integral_constantIbLb0EES1A_EEDaS15_S16_EUlS15_E_NS1_11comp_targetILNS1_3genE3ELNS1_11target_archE908ELNS1_3gpuE7ELNS1_3repE0EEENS1_30default_config_static_selectorELNS0_4arch9wavefront6targetE1EEEvT1_
	.p2align	8
	.type	_ZN7rocprim17ROCPRIM_400000_NS6detail17trampoline_kernelINS0_14default_configENS1_25partition_config_selectorILNS1_17partition_subalgoE8EdNS0_10empty_typeEbEEZZNS1_14partition_implILS5_8ELb0ES3_jN6thrust23THRUST_200600_302600_NS6detail15normal_iteratorINSA_10device_ptrIdEEEEPS6_PKS6_NS0_5tupleIJSF_S6_EEENSJ_IJSG_SG_EEENS0_18inequality_wrapperINSA_8equal_toIdEEEEPmJS6_EEE10hipError_tPvRmT3_T4_T5_T6_T7_T9_mT8_P12ihipStream_tbDpT10_ENKUlT_T0_E_clISt17integral_constantIbLb0EES1A_EEDaS15_S16_EUlS15_E_NS1_11comp_targetILNS1_3genE3ELNS1_11target_archE908ELNS1_3gpuE7ELNS1_3repE0EEENS1_30default_config_static_selectorELNS0_4arch9wavefront6targetE1EEEvT1_,@function
_ZN7rocprim17ROCPRIM_400000_NS6detail17trampoline_kernelINS0_14default_configENS1_25partition_config_selectorILNS1_17partition_subalgoE8EdNS0_10empty_typeEbEEZZNS1_14partition_implILS5_8ELb0ES3_jN6thrust23THRUST_200600_302600_NS6detail15normal_iteratorINSA_10device_ptrIdEEEEPS6_PKS6_NS0_5tupleIJSF_S6_EEENSJ_IJSG_SG_EEENS0_18inequality_wrapperINSA_8equal_toIdEEEEPmJS6_EEE10hipError_tPvRmT3_T4_T5_T6_T7_T9_mT8_P12ihipStream_tbDpT10_ENKUlT_T0_E_clISt17integral_constantIbLb0EES1A_EEDaS15_S16_EUlS15_E_NS1_11comp_targetILNS1_3genE3ELNS1_11target_archE908ELNS1_3gpuE7ELNS1_3repE0EEENS1_30default_config_static_selectorELNS0_4arch9wavefront6targetE1EEEvT1_: ; @_ZN7rocprim17ROCPRIM_400000_NS6detail17trampoline_kernelINS0_14default_configENS1_25partition_config_selectorILNS1_17partition_subalgoE8EdNS0_10empty_typeEbEEZZNS1_14partition_implILS5_8ELb0ES3_jN6thrust23THRUST_200600_302600_NS6detail15normal_iteratorINSA_10device_ptrIdEEEEPS6_PKS6_NS0_5tupleIJSF_S6_EEENSJ_IJSG_SG_EEENS0_18inequality_wrapperINSA_8equal_toIdEEEEPmJS6_EEE10hipError_tPvRmT3_T4_T5_T6_T7_T9_mT8_P12ihipStream_tbDpT10_ENKUlT_T0_E_clISt17integral_constantIbLb0EES1A_EEDaS15_S16_EUlS15_E_NS1_11comp_targetILNS1_3genE3ELNS1_11target_archE908ELNS1_3gpuE7ELNS1_3repE0EEENS1_30default_config_static_selectorELNS0_4arch9wavefront6targetE1EEEvT1_
; %bb.0:
	.section	.rodata,"a",@progbits
	.p2align	6, 0x0
	.amdhsa_kernel _ZN7rocprim17ROCPRIM_400000_NS6detail17trampoline_kernelINS0_14default_configENS1_25partition_config_selectorILNS1_17partition_subalgoE8EdNS0_10empty_typeEbEEZZNS1_14partition_implILS5_8ELb0ES3_jN6thrust23THRUST_200600_302600_NS6detail15normal_iteratorINSA_10device_ptrIdEEEEPS6_PKS6_NS0_5tupleIJSF_S6_EEENSJ_IJSG_SG_EEENS0_18inequality_wrapperINSA_8equal_toIdEEEEPmJS6_EEE10hipError_tPvRmT3_T4_T5_T6_T7_T9_mT8_P12ihipStream_tbDpT10_ENKUlT_T0_E_clISt17integral_constantIbLb0EES1A_EEDaS15_S16_EUlS15_E_NS1_11comp_targetILNS1_3genE3ELNS1_11target_archE908ELNS1_3gpuE7ELNS1_3repE0EEENS1_30default_config_static_selectorELNS0_4arch9wavefront6targetE1EEEvT1_
		.amdhsa_group_segment_fixed_size 0
		.amdhsa_private_segment_fixed_size 0
		.amdhsa_kernarg_size 112
		.amdhsa_user_sgpr_count 6
		.amdhsa_user_sgpr_private_segment_buffer 1
		.amdhsa_user_sgpr_dispatch_ptr 0
		.amdhsa_user_sgpr_queue_ptr 0
		.amdhsa_user_sgpr_kernarg_segment_ptr 1
		.amdhsa_user_sgpr_dispatch_id 0
		.amdhsa_user_sgpr_flat_scratch_init 0
		.amdhsa_user_sgpr_private_segment_size 0
		.amdhsa_uses_dynamic_stack 0
		.amdhsa_system_sgpr_private_segment_wavefront_offset 0
		.amdhsa_system_sgpr_workgroup_id_x 1
		.amdhsa_system_sgpr_workgroup_id_y 0
		.amdhsa_system_sgpr_workgroup_id_z 0
		.amdhsa_system_sgpr_workgroup_info 0
		.amdhsa_system_vgpr_workitem_id 0
		.amdhsa_next_free_vgpr 1
		.amdhsa_next_free_sgpr 0
		.amdhsa_reserve_vcc 0
		.amdhsa_reserve_flat_scratch 0
		.amdhsa_float_round_mode_32 0
		.amdhsa_float_round_mode_16_64 0
		.amdhsa_float_denorm_mode_32 3
		.amdhsa_float_denorm_mode_16_64 3
		.amdhsa_dx10_clamp 1
		.amdhsa_ieee_mode 1
		.amdhsa_fp16_overflow 0
		.amdhsa_exception_fp_ieee_invalid_op 0
		.amdhsa_exception_fp_denorm_src 0
		.amdhsa_exception_fp_ieee_div_zero 0
		.amdhsa_exception_fp_ieee_overflow 0
		.amdhsa_exception_fp_ieee_underflow 0
		.amdhsa_exception_fp_ieee_inexact 0
		.amdhsa_exception_int_div_zero 0
	.end_amdhsa_kernel
	.section	.text._ZN7rocprim17ROCPRIM_400000_NS6detail17trampoline_kernelINS0_14default_configENS1_25partition_config_selectorILNS1_17partition_subalgoE8EdNS0_10empty_typeEbEEZZNS1_14partition_implILS5_8ELb0ES3_jN6thrust23THRUST_200600_302600_NS6detail15normal_iteratorINSA_10device_ptrIdEEEEPS6_PKS6_NS0_5tupleIJSF_S6_EEENSJ_IJSG_SG_EEENS0_18inequality_wrapperINSA_8equal_toIdEEEEPmJS6_EEE10hipError_tPvRmT3_T4_T5_T6_T7_T9_mT8_P12ihipStream_tbDpT10_ENKUlT_T0_E_clISt17integral_constantIbLb0EES1A_EEDaS15_S16_EUlS15_E_NS1_11comp_targetILNS1_3genE3ELNS1_11target_archE908ELNS1_3gpuE7ELNS1_3repE0EEENS1_30default_config_static_selectorELNS0_4arch9wavefront6targetE1EEEvT1_,"axG",@progbits,_ZN7rocprim17ROCPRIM_400000_NS6detail17trampoline_kernelINS0_14default_configENS1_25partition_config_selectorILNS1_17partition_subalgoE8EdNS0_10empty_typeEbEEZZNS1_14partition_implILS5_8ELb0ES3_jN6thrust23THRUST_200600_302600_NS6detail15normal_iteratorINSA_10device_ptrIdEEEEPS6_PKS6_NS0_5tupleIJSF_S6_EEENSJ_IJSG_SG_EEENS0_18inequality_wrapperINSA_8equal_toIdEEEEPmJS6_EEE10hipError_tPvRmT3_T4_T5_T6_T7_T9_mT8_P12ihipStream_tbDpT10_ENKUlT_T0_E_clISt17integral_constantIbLb0EES1A_EEDaS15_S16_EUlS15_E_NS1_11comp_targetILNS1_3genE3ELNS1_11target_archE908ELNS1_3gpuE7ELNS1_3repE0EEENS1_30default_config_static_selectorELNS0_4arch9wavefront6targetE1EEEvT1_,comdat
.Lfunc_end7:
	.size	_ZN7rocprim17ROCPRIM_400000_NS6detail17trampoline_kernelINS0_14default_configENS1_25partition_config_selectorILNS1_17partition_subalgoE8EdNS0_10empty_typeEbEEZZNS1_14partition_implILS5_8ELb0ES3_jN6thrust23THRUST_200600_302600_NS6detail15normal_iteratorINSA_10device_ptrIdEEEEPS6_PKS6_NS0_5tupleIJSF_S6_EEENSJ_IJSG_SG_EEENS0_18inequality_wrapperINSA_8equal_toIdEEEEPmJS6_EEE10hipError_tPvRmT3_T4_T5_T6_T7_T9_mT8_P12ihipStream_tbDpT10_ENKUlT_T0_E_clISt17integral_constantIbLb0EES1A_EEDaS15_S16_EUlS15_E_NS1_11comp_targetILNS1_3genE3ELNS1_11target_archE908ELNS1_3gpuE7ELNS1_3repE0EEENS1_30default_config_static_selectorELNS0_4arch9wavefront6targetE1EEEvT1_, .Lfunc_end7-_ZN7rocprim17ROCPRIM_400000_NS6detail17trampoline_kernelINS0_14default_configENS1_25partition_config_selectorILNS1_17partition_subalgoE8EdNS0_10empty_typeEbEEZZNS1_14partition_implILS5_8ELb0ES3_jN6thrust23THRUST_200600_302600_NS6detail15normal_iteratorINSA_10device_ptrIdEEEEPS6_PKS6_NS0_5tupleIJSF_S6_EEENSJ_IJSG_SG_EEENS0_18inequality_wrapperINSA_8equal_toIdEEEEPmJS6_EEE10hipError_tPvRmT3_T4_T5_T6_T7_T9_mT8_P12ihipStream_tbDpT10_ENKUlT_T0_E_clISt17integral_constantIbLb0EES1A_EEDaS15_S16_EUlS15_E_NS1_11comp_targetILNS1_3genE3ELNS1_11target_archE908ELNS1_3gpuE7ELNS1_3repE0EEENS1_30default_config_static_selectorELNS0_4arch9wavefront6targetE1EEEvT1_
                                        ; -- End function
	.set _ZN7rocprim17ROCPRIM_400000_NS6detail17trampoline_kernelINS0_14default_configENS1_25partition_config_selectorILNS1_17partition_subalgoE8EdNS0_10empty_typeEbEEZZNS1_14partition_implILS5_8ELb0ES3_jN6thrust23THRUST_200600_302600_NS6detail15normal_iteratorINSA_10device_ptrIdEEEEPS6_PKS6_NS0_5tupleIJSF_S6_EEENSJ_IJSG_SG_EEENS0_18inequality_wrapperINSA_8equal_toIdEEEEPmJS6_EEE10hipError_tPvRmT3_T4_T5_T6_T7_T9_mT8_P12ihipStream_tbDpT10_ENKUlT_T0_E_clISt17integral_constantIbLb0EES1A_EEDaS15_S16_EUlS15_E_NS1_11comp_targetILNS1_3genE3ELNS1_11target_archE908ELNS1_3gpuE7ELNS1_3repE0EEENS1_30default_config_static_selectorELNS0_4arch9wavefront6targetE1EEEvT1_.num_vgpr, 0
	.set _ZN7rocprim17ROCPRIM_400000_NS6detail17trampoline_kernelINS0_14default_configENS1_25partition_config_selectorILNS1_17partition_subalgoE8EdNS0_10empty_typeEbEEZZNS1_14partition_implILS5_8ELb0ES3_jN6thrust23THRUST_200600_302600_NS6detail15normal_iteratorINSA_10device_ptrIdEEEEPS6_PKS6_NS0_5tupleIJSF_S6_EEENSJ_IJSG_SG_EEENS0_18inequality_wrapperINSA_8equal_toIdEEEEPmJS6_EEE10hipError_tPvRmT3_T4_T5_T6_T7_T9_mT8_P12ihipStream_tbDpT10_ENKUlT_T0_E_clISt17integral_constantIbLb0EES1A_EEDaS15_S16_EUlS15_E_NS1_11comp_targetILNS1_3genE3ELNS1_11target_archE908ELNS1_3gpuE7ELNS1_3repE0EEENS1_30default_config_static_selectorELNS0_4arch9wavefront6targetE1EEEvT1_.num_agpr, 0
	.set _ZN7rocprim17ROCPRIM_400000_NS6detail17trampoline_kernelINS0_14default_configENS1_25partition_config_selectorILNS1_17partition_subalgoE8EdNS0_10empty_typeEbEEZZNS1_14partition_implILS5_8ELb0ES3_jN6thrust23THRUST_200600_302600_NS6detail15normal_iteratorINSA_10device_ptrIdEEEEPS6_PKS6_NS0_5tupleIJSF_S6_EEENSJ_IJSG_SG_EEENS0_18inequality_wrapperINSA_8equal_toIdEEEEPmJS6_EEE10hipError_tPvRmT3_T4_T5_T6_T7_T9_mT8_P12ihipStream_tbDpT10_ENKUlT_T0_E_clISt17integral_constantIbLb0EES1A_EEDaS15_S16_EUlS15_E_NS1_11comp_targetILNS1_3genE3ELNS1_11target_archE908ELNS1_3gpuE7ELNS1_3repE0EEENS1_30default_config_static_selectorELNS0_4arch9wavefront6targetE1EEEvT1_.numbered_sgpr, 0
	.set _ZN7rocprim17ROCPRIM_400000_NS6detail17trampoline_kernelINS0_14default_configENS1_25partition_config_selectorILNS1_17partition_subalgoE8EdNS0_10empty_typeEbEEZZNS1_14partition_implILS5_8ELb0ES3_jN6thrust23THRUST_200600_302600_NS6detail15normal_iteratorINSA_10device_ptrIdEEEEPS6_PKS6_NS0_5tupleIJSF_S6_EEENSJ_IJSG_SG_EEENS0_18inequality_wrapperINSA_8equal_toIdEEEEPmJS6_EEE10hipError_tPvRmT3_T4_T5_T6_T7_T9_mT8_P12ihipStream_tbDpT10_ENKUlT_T0_E_clISt17integral_constantIbLb0EES1A_EEDaS15_S16_EUlS15_E_NS1_11comp_targetILNS1_3genE3ELNS1_11target_archE908ELNS1_3gpuE7ELNS1_3repE0EEENS1_30default_config_static_selectorELNS0_4arch9wavefront6targetE1EEEvT1_.num_named_barrier, 0
	.set _ZN7rocprim17ROCPRIM_400000_NS6detail17trampoline_kernelINS0_14default_configENS1_25partition_config_selectorILNS1_17partition_subalgoE8EdNS0_10empty_typeEbEEZZNS1_14partition_implILS5_8ELb0ES3_jN6thrust23THRUST_200600_302600_NS6detail15normal_iteratorINSA_10device_ptrIdEEEEPS6_PKS6_NS0_5tupleIJSF_S6_EEENSJ_IJSG_SG_EEENS0_18inequality_wrapperINSA_8equal_toIdEEEEPmJS6_EEE10hipError_tPvRmT3_T4_T5_T6_T7_T9_mT8_P12ihipStream_tbDpT10_ENKUlT_T0_E_clISt17integral_constantIbLb0EES1A_EEDaS15_S16_EUlS15_E_NS1_11comp_targetILNS1_3genE3ELNS1_11target_archE908ELNS1_3gpuE7ELNS1_3repE0EEENS1_30default_config_static_selectorELNS0_4arch9wavefront6targetE1EEEvT1_.private_seg_size, 0
	.set _ZN7rocprim17ROCPRIM_400000_NS6detail17trampoline_kernelINS0_14default_configENS1_25partition_config_selectorILNS1_17partition_subalgoE8EdNS0_10empty_typeEbEEZZNS1_14partition_implILS5_8ELb0ES3_jN6thrust23THRUST_200600_302600_NS6detail15normal_iteratorINSA_10device_ptrIdEEEEPS6_PKS6_NS0_5tupleIJSF_S6_EEENSJ_IJSG_SG_EEENS0_18inequality_wrapperINSA_8equal_toIdEEEEPmJS6_EEE10hipError_tPvRmT3_T4_T5_T6_T7_T9_mT8_P12ihipStream_tbDpT10_ENKUlT_T0_E_clISt17integral_constantIbLb0EES1A_EEDaS15_S16_EUlS15_E_NS1_11comp_targetILNS1_3genE3ELNS1_11target_archE908ELNS1_3gpuE7ELNS1_3repE0EEENS1_30default_config_static_selectorELNS0_4arch9wavefront6targetE1EEEvT1_.uses_vcc, 0
	.set _ZN7rocprim17ROCPRIM_400000_NS6detail17trampoline_kernelINS0_14default_configENS1_25partition_config_selectorILNS1_17partition_subalgoE8EdNS0_10empty_typeEbEEZZNS1_14partition_implILS5_8ELb0ES3_jN6thrust23THRUST_200600_302600_NS6detail15normal_iteratorINSA_10device_ptrIdEEEEPS6_PKS6_NS0_5tupleIJSF_S6_EEENSJ_IJSG_SG_EEENS0_18inequality_wrapperINSA_8equal_toIdEEEEPmJS6_EEE10hipError_tPvRmT3_T4_T5_T6_T7_T9_mT8_P12ihipStream_tbDpT10_ENKUlT_T0_E_clISt17integral_constantIbLb0EES1A_EEDaS15_S16_EUlS15_E_NS1_11comp_targetILNS1_3genE3ELNS1_11target_archE908ELNS1_3gpuE7ELNS1_3repE0EEENS1_30default_config_static_selectorELNS0_4arch9wavefront6targetE1EEEvT1_.uses_flat_scratch, 0
	.set _ZN7rocprim17ROCPRIM_400000_NS6detail17trampoline_kernelINS0_14default_configENS1_25partition_config_selectorILNS1_17partition_subalgoE8EdNS0_10empty_typeEbEEZZNS1_14partition_implILS5_8ELb0ES3_jN6thrust23THRUST_200600_302600_NS6detail15normal_iteratorINSA_10device_ptrIdEEEEPS6_PKS6_NS0_5tupleIJSF_S6_EEENSJ_IJSG_SG_EEENS0_18inequality_wrapperINSA_8equal_toIdEEEEPmJS6_EEE10hipError_tPvRmT3_T4_T5_T6_T7_T9_mT8_P12ihipStream_tbDpT10_ENKUlT_T0_E_clISt17integral_constantIbLb0EES1A_EEDaS15_S16_EUlS15_E_NS1_11comp_targetILNS1_3genE3ELNS1_11target_archE908ELNS1_3gpuE7ELNS1_3repE0EEENS1_30default_config_static_selectorELNS0_4arch9wavefront6targetE1EEEvT1_.has_dyn_sized_stack, 0
	.set _ZN7rocprim17ROCPRIM_400000_NS6detail17trampoline_kernelINS0_14default_configENS1_25partition_config_selectorILNS1_17partition_subalgoE8EdNS0_10empty_typeEbEEZZNS1_14partition_implILS5_8ELb0ES3_jN6thrust23THRUST_200600_302600_NS6detail15normal_iteratorINSA_10device_ptrIdEEEEPS6_PKS6_NS0_5tupleIJSF_S6_EEENSJ_IJSG_SG_EEENS0_18inequality_wrapperINSA_8equal_toIdEEEEPmJS6_EEE10hipError_tPvRmT3_T4_T5_T6_T7_T9_mT8_P12ihipStream_tbDpT10_ENKUlT_T0_E_clISt17integral_constantIbLb0EES1A_EEDaS15_S16_EUlS15_E_NS1_11comp_targetILNS1_3genE3ELNS1_11target_archE908ELNS1_3gpuE7ELNS1_3repE0EEENS1_30default_config_static_selectorELNS0_4arch9wavefront6targetE1EEEvT1_.has_recursion, 0
	.set _ZN7rocprim17ROCPRIM_400000_NS6detail17trampoline_kernelINS0_14default_configENS1_25partition_config_selectorILNS1_17partition_subalgoE8EdNS0_10empty_typeEbEEZZNS1_14partition_implILS5_8ELb0ES3_jN6thrust23THRUST_200600_302600_NS6detail15normal_iteratorINSA_10device_ptrIdEEEEPS6_PKS6_NS0_5tupleIJSF_S6_EEENSJ_IJSG_SG_EEENS0_18inequality_wrapperINSA_8equal_toIdEEEEPmJS6_EEE10hipError_tPvRmT3_T4_T5_T6_T7_T9_mT8_P12ihipStream_tbDpT10_ENKUlT_T0_E_clISt17integral_constantIbLb0EES1A_EEDaS15_S16_EUlS15_E_NS1_11comp_targetILNS1_3genE3ELNS1_11target_archE908ELNS1_3gpuE7ELNS1_3repE0EEENS1_30default_config_static_selectorELNS0_4arch9wavefront6targetE1EEEvT1_.has_indirect_call, 0
	.section	.AMDGPU.csdata,"",@progbits
; Kernel info:
; codeLenInByte = 0
; TotalNumSgprs: 4
; NumVgprs: 0
; ScratchSize: 0
; MemoryBound: 0
; FloatMode: 240
; IeeeMode: 1
; LDSByteSize: 0 bytes/workgroup (compile time only)
; SGPRBlocks: 0
; VGPRBlocks: 0
; NumSGPRsForWavesPerEU: 4
; NumVGPRsForWavesPerEU: 1
; Occupancy: 10
; WaveLimiterHint : 0
; COMPUTE_PGM_RSRC2:SCRATCH_EN: 0
; COMPUTE_PGM_RSRC2:USER_SGPR: 6
; COMPUTE_PGM_RSRC2:TRAP_HANDLER: 0
; COMPUTE_PGM_RSRC2:TGID_X_EN: 1
; COMPUTE_PGM_RSRC2:TGID_Y_EN: 0
; COMPUTE_PGM_RSRC2:TGID_Z_EN: 0
; COMPUTE_PGM_RSRC2:TIDIG_COMP_CNT: 0
	.section	.text._ZN7rocprim17ROCPRIM_400000_NS6detail17trampoline_kernelINS0_14default_configENS1_25partition_config_selectorILNS1_17partition_subalgoE8EdNS0_10empty_typeEbEEZZNS1_14partition_implILS5_8ELb0ES3_jN6thrust23THRUST_200600_302600_NS6detail15normal_iteratorINSA_10device_ptrIdEEEEPS6_PKS6_NS0_5tupleIJSF_S6_EEENSJ_IJSG_SG_EEENS0_18inequality_wrapperINSA_8equal_toIdEEEEPmJS6_EEE10hipError_tPvRmT3_T4_T5_T6_T7_T9_mT8_P12ihipStream_tbDpT10_ENKUlT_T0_E_clISt17integral_constantIbLb0EES1A_EEDaS15_S16_EUlS15_E_NS1_11comp_targetILNS1_3genE2ELNS1_11target_archE906ELNS1_3gpuE6ELNS1_3repE0EEENS1_30default_config_static_selectorELNS0_4arch9wavefront6targetE1EEEvT1_,"axG",@progbits,_ZN7rocprim17ROCPRIM_400000_NS6detail17trampoline_kernelINS0_14default_configENS1_25partition_config_selectorILNS1_17partition_subalgoE8EdNS0_10empty_typeEbEEZZNS1_14partition_implILS5_8ELb0ES3_jN6thrust23THRUST_200600_302600_NS6detail15normal_iteratorINSA_10device_ptrIdEEEEPS6_PKS6_NS0_5tupleIJSF_S6_EEENSJ_IJSG_SG_EEENS0_18inequality_wrapperINSA_8equal_toIdEEEEPmJS6_EEE10hipError_tPvRmT3_T4_T5_T6_T7_T9_mT8_P12ihipStream_tbDpT10_ENKUlT_T0_E_clISt17integral_constantIbLb0EES1A_EEDaS15_S16_EUlS15_E_NS1_11comp_targetILNS1_3genE2ELNS1_11target_archE906ELNS1_3gpuE6ELNS1_3repE0EEENS1_30default_config_static_selectorELNS0_4arch9wavefront6targetE1EEEvT1_,comdat
	.protected	_ZN7rocprim17ROCPRIM_400000_NS6detail17trampoline_kernelINS0_14default_configENS1_25partition_config_selectorILNS1_17partition_subalgoE8EdNS0_10empty_typeEbEEZZNS1_14partition_implILS5_8ELb0ES3_jN6thrust23THRUST_200600_302600_NS6detail15normal_iteratorINSA_10device_ptrIdEEEEPS6_PKS6_NS0_5tupleIJSF_S6_EEENSJ_IJSG_SG_EEENS0_18inequality_wrapperINSA_8equal_toIdEEEEPmJS6_EEE10hipError_tPvRmT3_T4_T5_T6_T7_T9_mT8_P12ihipStream_tbDpT10_ENKUlT_T0_E_clISt17integral_constantIbLb0EES1A_EEDaS15_S16_EUlS15_E_NS1_11comp_targetILNS1_3genE2ELNS1_11target_archE906ELNS1_3gpuE6ELNS1_3repE0EEENS1_30default_config_static_selectorELNS0_4arch9wavefront6targetE1EEEvT1_ ; -- Begin function _ZN7rocprim17ROCPRIM_400000_NS6detail17trampoline_kernelINS0_14default_configENS1_25partition_config_selectorILNS1_17partition_subalgoE8EdNS0_10empty_typeEbEEZZNS1_14partition_implILS5_8ELb0ES3_jN6thrust23THRUST_200600_302600_NS6detail15normal_iteratorINSA_10device_ptrIdEEEEPS6_PKS6_NS0_5tupleIJSF_S6_EEENSJ_IJSG_SG_EEENS0_18inequality_wrapperINSA_8equal_toIdEEEEPmJS6_EEE10hipError_tPvRmT3_T4_T5_T6_T7_T9_mT8_P12ihipStream_tbDpT10_ENKUlT_T0_E_clISt17integral_constantIbLb0EES1A_EEDaS15_S16_EUlS15_E_NS1_11comp_targetILNS1_3genE2ELNS1_11target_archE906ELNS1_3gpuE6ELNS1_3repE0EEENS1_30default_config_static_selectorELNS0_4arch9wavefront6targetE1EEEvT1_
	.globl	_ZN7rocprim17ROCPRIM_400000_NS6detail17trampoline_kernelINS0_14default_configENS1_25partition_config_selectorILNS1_17partition_subalgoE8EdNS0_10empty_typeEbEEZZNS1_14partition_implILS5_8ELb0ES3_jN6thrust23THRUST_200600_302600_NS6detail15normal_iteratorINSA_10device_ptrIdEEEEPS6_PKS6_NS0_5tupleIJSF_S6_EEENSJ_IJSG_SG_EEENS0_18inequality_wrapperINSA_8equal_toIdEEEEPmJS6_EEE10hipError_tPvRmT3_T4_T5_T6_T7_T9_mT8_P12ihipStream_tbDpT10_ENKUlT_T0_E_clISt17integral_constantIbLb0EES1A_EEDaS15_S16_EUlS15_E_NS1_11comp_targetILNS1_3genE2ELNS1_11target_archE906ELNS1_3gpuE6ELNS1_3repE0EEENS1_30default_config_static_selectorELNS0_4arch9wavefront6targetE1EEEvT1_
	.p2align	8
	.type	_ZN7rocprim17ROCPRIM_400000_NS6detail17trampoline_kernelINS0_14default_configENS1_25partition_config_selectorILNS1_17partition_subalgoE8EdNS0_10empty_typeEbEEZZNS1_14partition_implILS5_8ELb0ES3_jN6thrust23THRUST_200600_302600_NS6detail15normal_iteratorINSA_10device_ptrIdEEEEPS6_PKS6_NS0_5tupleIJSF_S6_EEENSJ_IJSG_SG_EEENS0_18inequality_wrapperINSA_8equal_toIdEEEEPmJS6_EEE10hipError_tPvRmT3_T4_T5_T6_T7_T9_mT8_P12ihipStream_tbDpT10_ENKUlT_T0_E_clISt17integral_constantIbLb0EES1A_EEDaS15_S16_EUlS15_E_NS1_11comp_targetILNS1_3genE2ELNS1_11target_archE906ELNS1_3gpuE6ELNS1_3repE0EEENS1_30default_config_static_selectorELNS0_4arch9wavefront6targetE1EEEvT1_,@function
_ZN7rocprim17ROCPRIM_400000_NS6detail17trampoline_kernelINS0_14default_configENS1_25partition_config_selectorILNS1_17partition_subalgoE8EdNS0_10empty_typeEbEEZZNS1_14partition_implILS5_8ELb0ES3_jN6thrust23THRUST_200600_302600_NS6detail15normal_iteratorINSA_10device_ptrIdEEEEPS6_PKS6_NS0_5tupleIJSF_S6_EEENSJ_IJSG_SG_EEENS0_18inequality_wrapperINSA_8equal_toIdEEEEPmJS6_EEE10hipError_tPvRmT3_T4_T5_T6_T7_T9_mT8_P12ihipStream_tbDpT10_ENKUlT_T0_E_clISt17integral_constantIbLb0EES1A_EEDaS15_S16_EUlS15_E_NS1_11comp_targetILNS1_3genE2ELNS1_11target_archE906ELNS1_3gpuE6ELNS1_3repE0EEENS1_30default_config_static_selectorELNS0_4arch9wavefront6targetE1EEEvT1_: ; @_ZN7rocprim17ROCPRIM_400000_NS6detail17trampoline_kernelINS0_14default_configENS1_25partition_config_selectorILNS1_17partition_subalgoE8EdNS0_10empty_typeEbEEZZNS1_14partition_implILS5_8ELb0ES3_jN6thrust23THRUST_200600_302600_NS6detail15normal_iteratorINSA_10device_ptrIdEEEEPS6_PKS6_NS0_5tupleIJSF_S6_EEENSJ_IJSG_SG_EEENS0_18inequality_wrapperINSA_8equal_toIdEEEEPmJS6_EEE10hipError_tPvRmT3_T4_T5_T6_T7_T9_mT8_P12ihipStream_tbDpT10_ENKUlT_T0_E_clISt17integral_constantIbLb0EES1A_EEDaS15_S16_EUlS15_E_NS1_11comp_targetILNS1_3genE2ELNS1_11target_archE906ELNS1_3gpuE6ELNS1_3repE0EEENS1_30default_config_static_selectorELNS0_4arch9wavefront6targetE1EEEvT1_
; %bb.0:
	s_load_dwordx4 s[0:3], s[4:5], 0x8
	s_load_dwordx4 s[24:27], s[4:5], 0x40
	s_load_dwordx2 s[8:9], s[4:5], 0x50
	s_load_dword s7, s[4:5], 0x68
	v_lshlrev_b32_e32 v31, 3, v0
	s_waitcnt lgkmcnt(0)
	s_lshl_b64 s[10:11], s[2:3], 3
	s_add_u32 s12, s0, s10
	s_addc_u32 s13, s1, s11
	s_mul_i32 s0, s7, 0x700
	s_add_i32 s1, s0, s2
	s_add_i32 s14, s7, -1
	s_sub_i32 s7, s8, s1
	s_add_u32 s0, s2, s0
	s_addc_u32 s1, s3, 0
	v_mov_b32_e32 v2, s1
	v_mov_b32_e32 v1, s0
	v_cmp_le_u64_e32 vcc, s[8:9], v[1:2]
	s_cmp_eq_u32 s6, s14
	s_load_dwordx2 s[22:23], s[26:27], 0x0
	s_cselect_b64 s[26:27], -1, 0
	s_mul_i32 s10, s6, 0x700
	s_mov_b32 s11, 0
	s_and_b64 s[16:17], s[26:27], vcc
	s_xor_b64 s[28:29], s[16:17], -1
	s_lshl_b64 s[8:9], s[10:11], 3
	s_add_u32 s8, s12, s8
	s_mov_b64 s[0:1], -1
	s_addc_u32 s9, s13, s9
	s_and_b64 vcc, exec, s[28:29]
	s_cbranch_vccz .LBB8_2
; %bb.1:
	v_lshlrev_b32_e32 v19, 3, v0
	v_mov_b32_e32 v2, s9
	v_add_co_u32_e32 v1, vcc, s8, v19
	v_addc_co_u32_e32 v2, vcc, 0, v2, vcc
	v_add_co_u32_e32 v3, vcc, 0x1000, v1
	v_addc_co_u32_e32 v4, vcc, 0, v2, vcc
	flat_load_dwordx2 v[5:6], v[1:2]
	flat_load_dwordx2 v[7:8], v[1:2] offset:2048
	flat_load_dwordx2 v[9:10], v[3:4]
	flat_load_dwordx2 v[11:12], v[3:4] offset:2048
	v_add_co_u32_e32 v3, vcc, 0x2000, v1
	v_addc_co_u32_e32 v4, vcc, 0, v2, vcc
	v_add_co_u32_e32 v1, vcc, 0x3000, v1
	v_addc_co_u32_e32 v2, vcc, 0, v2, vcc
	flat_load_dwordx2 v[13:14], v[3:4]
	flat_load_dwordx2 v[15:16], v[3:4] offset:2048
	flat_load_dwordx2 v[17:18], v[1:2]
	s_mov_b64 s[0:1], 0
	s_waitcnt vmcnt(0) lgkmcnt(0)
	ds_write2st64_b64 v19, v[5:6], v[7:8] offset1:4
	ds_write2st64_b64 v19, v[9:10], v[11:12] offset0:8 offset1:12
	ds_write2st64_b64 v19, v[13:14], v[15:16] offset0:16 offset1:20
	ds_write_b64 v19, v[17:18] offset:12288
	s_waitcnt lgkmcnt(0)
	s_barrier
.LBB8_2:
	s_andn2_b64 vcc, exec, s[0:1]
	s_addk_i32 s7, 0x700
	s_cbranch_vccnz .LBB8_18
; %bb.3:
	v_mov_b32_e32 v1, 0
	v_cmp_gt_u32_e32 vcc, s7, v0
	v_mov_b32_e32 v2, v1
	v_mov_b32_e32 v3, v1
	;; [unrolled: 1-line block ×13, first 2 shown]
	s_and_saveexec_b64 s[0:1], vcc
	s_cbranch_execz .LBB8_5
; %bb.4:
	v_lshlrev_b32_e32 v2, 3, v0
	v_mov_b32_e32 v3, s9
	v_add_co_u32_e32 v2, vcc, s8, v2
	v_addc_co_u32_e32 v3, vcc, 0, v3, vcc
	flat_load_dwordx2 v[2:3], v[2:3]
	v_mov_b32_e32 v4, v1
	v_mov_b32_e32 v5, v1
	;; [unrolled: 1-line block ×12, first 2 shown]
	s_waitcnt vmcnt(0) lgkmcnt(0)
	v_mov_b32_e32 v1, v2
	v_mov_b32_e32 v2, v3
	;; [unrolled: 1-line block ×16, first 2 shown]
.LBB8_5:
	s_or_b64 exec, exec, s[0:1]
	v_or_b32_e32 v15, 0x100, v0
	v_cmp_gt_u32_e32 vcc, s7, v15
	s_and_saveexec_b64 s[0:1], vcc
	s_cbranch_execz .LBB8_7
; %bb.6:
	v_lshlrev_b32_e32 v3, 3, v0
	v_mov_b32_e32 v4, s9
	v_add_co_u32_e32 v3, vcc, s8, v3
	v_addc_co_u32_e32 v4, vcc, 0, v4, vcc
	flat_load_dwordx2 v[3:4], v[3:4] offset:2048
.LBB8_7:
	s_or_b64 exec, exec, s[0:1]
	v_or_b32_e32 v15, 0x200, v0
	v_cmp_gt_u32_e32 vcc, s7, v15
	s_and_saveexec_b64 s[0:1], vcc
	s_cbranch_execz .LBB8_9
; %bb.8:
	v_lshlrev_b32_e32 v5, 3, v15
	v_mov_b32_e32 v6, s9
	v_add_co_u32_e32 v5, vcc, s8, v5
	v_addc_co_u32_e32 v6, vcc, 0, v6, vcc
	flat_load_dwordx2 v[5:6], v[5:6]
.LBB8_9:
	s_or_b64 exec, exec, s[0:1]
	v_or_b32_e32 v15, 0x300, v0
	v_cmp_gt_u32_e32 vcc, s7, v15
	s_and_saveexec_b64 s[0:1], vcc
	s_cbranch_execz .LBB8_11
; %bb.10:
	v_lshlrev_b32_e32 v7, 3, v15
	v_mov_b32_e32 v8, s9
	v_add_co_u32_e32 v7, vcc, s8, v7
	v_addc_co_u32_e32 v8, vcc, 0, v8, vcc
	flat_load_dwordx2 v[7:8], v[7:8]
.LBB8_11:
	;; [unrolled: 12-line block ×5, first 2 shown]
	s_or_b64 exec, exec, s[0:1]
	v_lshlrev_b32_e32 v15, 3, v0
	s_waitcnt vmcnt(0) lgkmcnt(0)
	ds_write2st64_b64 v15, v[1:2], v[3:4] offset1:4
	ds_write2st64_b64 v15, v[5:6], v[7:8] offset0:8 offset1:12
	ds_write2st64_b64 v15, v[9:10], v[11:12] offset0:16 offset1:20
	ds_write_b64 v15, v[13:14] offset:12288
	s_waitcnt lgkmcnt(0)
	s_barrier
.LBB8_18:
	v_mul_u32_u24_e32 v19, 7, v0
	v_lshlrev_b32_e32 v20, 3, v19
	s_waitcnt lgkmcnt(0)
	ds_read2_b64 v[9:12], v20 offset1:1
	ds_read2_b64 v[5:8], v20 offset0:2 offset1:3
	ds_read2_b64 v[1:4], v20 offset0:4 offset1:5
	ds_read_b64 v[13:14], v20 offset:48
	s_cmp_lg_u32 s6, 0
	s_cselect_b64 s[20:21], -1, 0
	s_cmp_lg_u64 s[2:3], 0
	s_cselect_b64 s[0:1], -1, 0
	s_or_b64 s[0:1], s[20:21], s[0:1]
	s_mov_b64 s[18:19], 0
	s_and_b64 vcc, exec, s[0:1]
	s_waitcnt lgkmcnt(0)
	s_barrier
	s_cbranch_vccz .LBB8_23
; %bb.19:
	v_mov_b32_e32 v16, s9
	v_add_co_u32_e64 v15, vcc, -8, s8
	v_addc_co_u32_e32 v16, vcc, -1, v16, vcc
	flat_load_dwordx2 v[15:16], v[15:16]
	v_lshlrev_b32_e32 v21, 3, v0
	s_and_b64 vcc, exec, s[28:29]
	ds_write_b64 v21, v[13:14]
	s_cbranch_vccz .LBB8_24
; %bb.20:
	s_waitcnt vmcnt(0) lgkmcnt(0)
	v_mov_b32_e32 v18, v16
	v_cmp_ne_u32_e32 vcc, 0, v0
	v_mov_b32_e32 v17, v15
	s_barrier
	s_and_saveexec_b64 s[0:1], vcc
; %bb.21:
	v_add_u32_e32 v17, -8, v21
	ds_read_b64 v[17:18], v17
; %bb.22:
	s_or_b64 exec, exec, s[0:1]
	v_cmp_neq_f64_e32 vcc, v[3:4], v[13:14]
	s_waitcnt lgkmcnt(0)
	v_cmp_neq_f64_e64 s[30:31], v[17:18], v[9:10]
	v_cndmask_b32_e64 v32, 0, 1, vcc
	v_cmp_neq_f64_e32 vcc, v[1:2], v[3:4]
	v_cndmask_b32_e64 v33, 0, 1, vcc
	v_cmp_neq_f64_e32 vcc, v[7:8], v[1:2]
	;; [unrolled: 2-line block ×5, first 2 shown]
	v_cndmask_b32_e64 v37, 0, 1, vcc
	s_branch .LBB8_28
.LBB8_23:
                                        ; implicit-def: $sgpr30_sgpr31
                                        ; implicit-def: $vgpr32
                                        ; implicit-def: $vgpr33
                                        ; implicit-def: $vgpr34
                                        ; implicit-def: $vgpr35
                                        ; implicit-def: $vgpr36
                                        ; implicit-def: $vgpr37
	s_branch .LBB8_29
.LBB8_24:
                                        ; implicit-def: $sgpr30_sgpr31
                                        ; implicit-def: $vgpr32
                                        ; implicit-def: $vgpr33
                                        ; implicit-def: $vgpr34
                                        ; implicit-def: $vgpr35
                                        ; implicit-def: $vgpr36
                                        ; implicit-def: $vgpr37
	s_cbranch_execz .LBB8_28
; %bb.25:
	v_cmp_ne_u32_e32 vcc, 0, v0
	s_waitcnt vmcnt(0) lgkmcnt(0)
	s_barrier
	s_and_saveexec_b64 s[0:1], vcc
; %bb.26:
	v_add_u32_e32 v15, -8, v21
	ds_read_b64 v[15:16], v15
; %bb.27:
	s_or_b64 exec, exec, s[0:1]
	v_cmp_neq_f64_e32 vcc, v[3:4], v[13:14]
	v_cmp_neq_f64_e64 s[0:1], v[1:2], v[3:4]
	v_cmp_neq_f64_e64 s[2:3], v[7:8], v[1:2]
	v_add_u32_e32 v17, 6, v19
	v_cmp_gt_u32_e64 s[8:9], s7, v17
	v_add_u32_e32 v18, 5, v19
	v_cmp_gt_u32_e64 s[10:11], s7, v18
	v_add_u32_e32 v17, 4, v19
	s_and_b64 s[8:9], s[8:9], vcc
	v_cmp_neq_f64_e32 vcc, v[5:6], v[7:8]
	s_and_b64 s[0:1], s[10:11], s[0:1]
	v_cndmask_b32_e64 v33, 0, 1, s[0:1]
	v_cmp_gt_u32_e64 s[0:1], s7, v17
	s_and_b64 s[0:1], s[0:1], s[2:3]
	v_cndmask_b32_e64 v34, 0, 1, s[0:1]
	v_add_u32_e32 v17, 3, v19
	v_cmp_neq_f64_e64 s[0:1], v[11:12], v[5:6]
	v_cmp_gt_u32_e64 s[2:3], s7, v17
	s_and_b64 s[2:3], s[2:3], vcc
	v_cmp_neq_f64_e32 vcc, v[9:10], v[11:12]
	v_cndmask_b32_e64 v32, 0, 1, s[8:9]
	s_waitcnt lgkmcnt(0)
	v_cmp_neq_f64_e64 s[8:9], v[15:16], v[9:10]
	v_add_u32_e32 v17, 2, v19
	v_cndmask_b32_e64 v35, 0, 1, s[2:3]
	v_cmp_gt_u32_e64 s[2:3], s7, v17
	s_and_b64 s[0:1], s[2:3], s[0:1]
	v_add_u32_e32 v15, 1, v19
	v_cndmask_b32_e64 v36, 0, 1, s[0:1]
	v_cmp_gt_u32_e64 s[0:1], s7, v15
	s_and_b64 s[0:1], s[0:1], vcc
	v_cmp_gt_u32_e32 vcc, s7, v19
	v_cndmask_b32_e64 v37, 0, 1, s[0:1]
	s_and_b64 s[30:31], vcc, s[8:9]
.LBB8_28:
	s_mov_b64 s[18:19], -1
	s_cbranch_execnz .LBB8_37
.LBB8_29:
	v_cmp_neq_f64_e64 s[0:1], v[3:4], v[13:14]
	v_cmp_neq_f64_e64 s[2:3], v[1:2], v[3:4]
	v_cmp_neq_f64_e64 s[14:15], v[7:8], v[1:2]
	v_cmp_neq_f64_e64 s[8:9], v[5:6], v[7:8]
	v_cmp_neq_f64_e64 s[10:11], v[11:12], v[5:6]
	v_cmp_neq_f64_e64 s[12:13], v[9:10], v[11:12]
	s_movk_i32 s30, 0xffd0
	s_waitcnt vmcnt(0) lgkmcnt(0)
	v_mad_i32_i24 v15, v0, s30, v20
	s_and_b64 vcc, exec, s[28:29]
	ds_write_b64 v15, v[13:14]
	s_cbranch_vccz .LBB8_33
; %bb.30:
	v_cmp_ne_u32_e32 vcc, 0, v0
	s_waitcnt lgkmcnt(0)
	s_barrier
                                        ; implicit-def: $sgpr30_sgpr31
	s_and_saveexec_b64 s[34:35], vcc
	s_xor_b64 s[34:35], exec, s[34:35]
	s_cbranch_execz .LBB8_32
; %bb.31:
	v_add_u32_e32 v16, -8, v15
	ds_read_b64 v[16:17], v16
	s_or_b64 s[18:19], s[18:19], exec
	s_waitcnt lgkmcnt(0)
	v_cmp_neq_f64_e64 s[30:31], v[16:17], v[9:10]
.LBB8_32:
	s_or_b64 exec, exec, s[34:35]
	v_cndmask_b32_e64 v32, 0, 1, s[0:1]
	v_cndmask_b32_e64 v33, 0, 1, s[2:3]
	;; [unrolled: 1-line block ×6, first 2 shown]
	s_branch .LBB8_37
.LBB8_33:
                                        ; implicit-def: $sgpr30_sgpr31
                                        ; implicit-def: $vgpr32
                                        ; implicit-def: $vgpr33
                                        ; implicit-def: $vgpr34
                                        ; implicit-def: $vgpr35
                                        ; implicit-def: $vgpr36
                                        ; implicit-def: $vgpr37
	s_cbranch_execz .LBB8_37
; %bb.34:
	v_cmp_neq_f64_e32 vcc, v[3:4], v[13:14]
	v_cmp_neq_f64_e64 s[0:1], v[1:2], v[3:4]
	v_cmp_neq_f64_e64 s[2:3], v[7:8], v[1:2]
	v_add_u32_e32 v16, 6, v19
	v_add_u32_e32 v17, 5, v19
	v_cmp_gt_u32_e64 s[8:9], s7, v16
	v_cmp_gt_u32_e64 s[10:11], s7, v17
	v_add_u32_e32 v16, 4, v19
	s_and_b64 s[12:13], s[8:9], vcc
	v_cmp_neq_f64_e32 vcc, v[5:6], v[7:8]
	s_and_b64 s[10:11], s[10:11], s[0:1]
	v_cmp_gt_u32_e64 s[0:1], s7, v16
	v_cmp_neq_f64_e64 s[8:9], v[11:12], v[5:6]
	s_and_b64 s[14:15], s[0:1], s[2:3]
	v_cmp_neq_f64_e64 s[0:1], v[9:10], v[11:12]
	v_add_u32_e32 v16, 3, v19
	v_cmp_gt_u32_e64 s[2:3], s7, v16
	v_add_u32_e32 v16, 2, v19
	s_and_b64 s[2:3], s[2:3], vcc
	v_cmp_gt_u32_e32 vcc, s7, v16
	v_add_u32_e32 v16, 1, v19
	s_and_b64 s[8:9], vcc, s[8:9]
	v_cmp_gt_u32_e32 vcc, s7, v16
	s_and_b64 s[34:35], vcc, s[0:1]
	v_cmp_ne_u32_e32 vcc, 0, v0
	s_waitcnt lgkmcnt(0)
	s_barrier
                                        ; implicit-def: $sgpr30_sgpr31
	s_and_saveexec_b64 s[36:37], vcc
	s_cbranch_execz .LBB8_36
; %bb.35:
	v_add_u32_e32 v15, -8, v15
	ds_read_b64 v[15:16], v15
	v_cmp_gt_u32_e64 s[0:1], s7, v19
	s_or_b64 s[18:19], s[18:19], exec
	s_waitcnt lgkmcnt(0)
	v_cmp_neq_f64_e32 vcc, v[15:16], v[9:10]
	s_and_b64 s[30:31], s[0:1], vcc
.LBB8_36:
	s_or_b64 exec, exec, s[36:37]
	v_cndmask_b32_e64 v32, 0, 1, s[12:13]
	v_cndmask_b32_e64 v33, 0, 1, s[10:11]
	;; [unrolled: 1-line block ×6, first 2 shown]
.LBB8_37:
	v_mov_b32_e32 v26, 1
	s_and_saveexec_b64 s[0:1], s[18:19]
; %bb.38:
	v_cndmask_b32_e64 v26, 0, 1, s[30:31]
; %bb.39:
	s_or_b64 exec, exec, s[0:1]
	s_load_dwordx2 s[30:31], s[4:5], 0x60
	s_andn2_b64 vcc, exec, s[16:17]
	s_cbranch_vccnz .LBB8_41
; %bb.40:
	v_cmp_gt_u32_e32 vcc, s7, v19
	s_waitcnt vmcnt(0) lgkmcnt(0)
	v_add_u32_e32 v15, 1, v19
	v_cndmask_b32_e32 v26, 0, v26, vcc
	v_cmp_gt_u32_e32 vcc, s7, v15
	v_add_u32_e32 v15, 2, v19
	v_cndmask_b32_e32 v37, 0, v37, vcc
	v_cmp_gt_u32_e32 vcc, s7, v15
	;; [unrolled: 3-line block ×6, first 2 shown]
	v_cndmask_b32_e32 v32, 0, v32, vcc
.LBB8_41:
	v_and_b32_e32 v25, 0xffff, v26
	v_and_b32_e32 v27, 0xff, v37
	;; [unrolled: 1-line block ×5, first 2 shown]
	s_waitcnt vmcnt(0) lgkmcnt(0)
	v_add3_u32 v16, v27, v25, v28
	v_and_b32_e32 v39, 0xff, v33
	v_and_b32_e32 v15, 0xff, v32
	v_add3_u32 v16, v16, v30, v38
	v_add3_u32 v41, v16, v39, v15
	v_mbcnt_lo_u32_b32 v15, -1, 0
	v_mbcnt_hi_u32_b32 v29, -1, v15
	v_and_b32_e32 v15, 15, v29
	v_cmp_eq_u32_e64 s[14:15], 0, v15
	v_cmp_lt_u32_e64 s[12:13], 1, v15
	v_cmp_lt_u32_e64 s[10:11], 3, v15
	;; [unrolled: 1-line block ×3, first 2 shown]
	v_and_b32_e32 v15, 16, v29
	v_cmp_eq_u32_e64 s[18:19], 0, v15
	v_or_b32_e32 v15, 63, v0
	v_cmp_lt_u32_e64 s[0:1], 31, v29
	v_lshrrev_b32_e32 v40, 6, v0
	v_cmp_eq_u32_e64 s[2:3], v0, v15
	s_and_b64 vcc, exec, s[20:21]
	s_barrier
	s_cbranch_vccz .LBB8_63
; %bb.42:
	v_mov_b32_dpp v15, v41 row_shr:1 row_mask:0xf bank_mask:0xf
	v_cndmask_b32_e64 v15, v15, 0, s[14:15]
	v_add_u32_e32 v15, v15, v41
	s_nop 1
	v_mov_b32_dpp v16, v15 row_shr:2 row_mask:0xf bank_mask:0xf
	v_cndmask_b32_e64 v16, 0, v16, s[12:13]
	v_add_u32_e32 v15, v15, v16
	s_nop 1
	;; [unrolled: 4-line block ×4, first 2 shown]
	v_mov_b32_dpp v16, v15 row_bcast:15 row_mask:0xf bank_mask:0xf
	v_cndmask_b32_e64 v16, v16, 0, s[18:19]
	v_add_u32_e32 v15, v15, v16
	s_nop 1
	v_mov_b32_dpp v16, v15 row_bcast:31 row_mask:0xf bank_mask:0xf
	v_cndmask_b32_e64 v16, 0, v16, s[0:1]
	v_add_u32_e32 v15, v15, v16
	s_and_saveexec_b64 s[16:17], s[2:3]
; %bb.43:
	v_lshlrev_b32_e32 v16, 2, v40
	ds_write_b32 v16, v15
; %bb.44:
	s_or_b64 exec, exec, s[16:17]
	v_cmp_gt_u32_e32 vcc, 4, v0
	s_waitcnt lgkmcnt(0)
	s_barrier
	s_and_saveexec_b64 s[16:17], vcc
	s_cbranch_execz .LBB8_46
; %bb.45:
	v_lshlrev_b32_e32 v16, 2, v0
	ds_read_b32 v17, v16
	v_and_b32_e32 v18, 3, v29
	v_cmp_ne_u32_e32 vcc, 0, v18
	s_waitcnt lgkmcnt(0)
	v_mov_b32_dpp v19, v17 row_shr:1 row_mask:0xf bank_mask:0xf
	v_cndmask_b32_e32 v19, 0, v19, vcc
	v_add_u32_e32 v17, v19, v17
	v_cmp_lt_u32_e32 vcc, 1, v18
	s_nop 0
	v_mov_b32_dpp v19, v17 row_shr:2 row_mask:0xf bank_mask:0xf
	v_cndmask_b32_e32 v18, 0, v19, vcc
	v_add_u32_e32 v17, v17, v18
	ds_write_b32 v16, v17
.LBB8_46:
	s_or_b64 exec, exec, s[16:17]
	v_cmp_gt_u32_e32 vcc, 64, v0
	v_cmp_lt_u32_e64 s[16:17], 63, v0
	s_waitcnt lgkmcnt(0)
	s_barrier
                                        ; implicit-def: $vgpr42
	s_and_saveexec_b64 s[20:21], s[16:17]
	s_cbranch_execz .LBB8_48
; %bb.47:
	v_lshl_add_u32 v16, v40, 2, -4
	ds_read_b32 v42, v16
	s_waitcnt lgkmcnt(0)
	v_add_u32_e32 v15, v42, v15
.LBB8_48:
	s_or_b64 exec, exec, s[20:21]
	v_subrev_co_u32_e64 v16, s[16:17], 1, v29
	v_and_b32_e32 v17, 64, v29
	v_cmp_lt_i32_e64 s[20:21], v16, v17
	v_cndmask_b32_e64 v16, v16, v29, s[20:21]
	v_lshlrev_b32_e32 v16, 2, v16
	ds_bpermute_b32 v43, v16, v15
	s_and_saveexec_b64 s[20:21], vcc
	s_cbranch_execz .LBB8_68
; %bb.49:
	v_mov_b32_e32 v21, 0
	ds_read_b32 v15, v21 offset:12
	s_and_saveexec_b64 s[34:35], s[16:17]
	s_cbranch_execz .LBB8_51
; %bb.50:
	s_add_i32 s36, s6, 64
	s_mov_b32 s37, 0
	s_lshl_b64 s[36:37], s[36:37], 3
	s_add_u32 s36, s30, s36
	v_mov_b32_e32 v16, 1
	s_addc_u32 s37, s31, s37
	s_waitcnt lgkmcnt(0)
	global_store_dwordx2 v21, v[15:16], s[36:37]
.LBB8_51:
	s_or_b64 exec, exec, s[34:35]
	v_xad_u32 v17, v29, -1, s6
	v_add_u32_e32 v20, 64, v17
	v_lshlrev_b64 v[18:19], 3, v[20:21]
	v_mov_b32_e32 v16, s31
	v_add_co_u32_e32 v22, vcc, s30, v18
	v_addc_co_u32_e32 v23, vcc, v16, v19, vcc
	global_load_dwordx2 v[19:20], v[22:23], off glc
	s_waitcnt vmcnt(0)
	v_cmp_eq_u16_sdwa s[36:37], v20, v21 src0_sel:BYTE_0 src1_sel:DWORD
	s_and_saveexec_b64 s[34:35], s[36:37]
	s_cbranch_execz .LBB8_55
; %bb.52:
	s_mov_b64 s[36:37], 0
	v_mov_b32_e32 v16, 0
.LBB8_53:                               ; =>This Inner Loop Header: Depth=1
	global_load_dwordx2 v[19:20], v[22:23], off glc
	s_waitcnt vmcnt(0)
	v_cmp_ne_u16_sdwa s[38:39], v20, v16 src0_sel:BYTE_0 src1_sel:DWORD
	s_or_b64 s[36:37], s[38:39], s[36:37]
	s_andn2_b64 exec, exec, s[36:37]
	s_cbranch_execnz .LBB8_53
; %bb.54:
	s_or_b64 exec, exec, s[36:37]
.LBB8_55:
	s_or_b64 exec, exec, s[34:35]
	v_and_b32_e32 v45, 63, v29
	v_mov_b32_e32 v44, 2
	v_lshlrev_b64 v[21:22], v29, -1
	v_cmp_ne_u32_e32 vcc, 63, v45
	v_cmp_eq_u16_sdwa s[34:35], v20, v44 src0_sel:BYTE_0 src1_sel:DWORD
	v_addc_co_u32_e32 v23, vcc, 0, v29, vcc
	v_and_b32_e32 v16, s35, v22
	v_lshlrev_b32_e32 v46, 2, v23
	v_or_b32_e32 v16, 0x80000000, v16
	ds_bpermute_b32 v23, v46, v19
	v_and_b32_e32 v18, s34, v21
	v_ffbl_b32_e32 v16, v16
	v_add_u32_e32 v16, 32, v16
	v_ffbl_b32_e32 v18, v18
	v_min_u32_e32 v16, v18, v16
	v_cmp_lt_u32_e32 vcc, v45, v16
	s_waitcnt lgkmcnt(0)
	v_cndmask_b32_e32 v18, 0, v23, vcc
	v_cmp_gt_u32_e32 vcc, 62, v45
	v_add_u32_e32 v18, v18, v19
	v_cndmask_b32_e64 v19, 0, 2, vcc
	v_add_lshl_u32 v47, v19, v29, 2
	ds_bpermute_b32 v19, v47, v18
	v_add_u32_e32 v48, 2, v45
	v_cmp_le_u32_e32 vcc, v48, v16
	v_add_u32_e32 v50, 4, v45
	v_add_u32_e32 v52, 8, v45
	s_waitcnt lgkmcnt(0)
	v_cndmask_b32_e32 v19, 0, v19, vcc
	v_cmp_gt_u32_e32 vcc, 60, v45
	v_add_u32_e32 v18, v18, v19
	v_cndmask_b32_e64 v19, 0, 4, vcc
	v_add_lshl_u32 v49, v19, v29, 2
	ds_bpermute_b32 v19, v49, v18
	v_cmp_le_u32_e32 vcc, v50, v16
	v_add_u32_e32 v54, 16, v45
	v_add_u32_e32 v56, 32, v45
	s_waitcnt lgkmcnt(0)
	v_cndmask_b32_e32 v19, 0, v19, vcc
	v_cmp_gt_u32_e32 vcc, 56, v45
	v_add_u32_e32 v18, v18, v19
	v_cndmask_b32_e64 v19, 0, 8, vcc
	v_add_lshl_u32 v51, v19, v29, 2
	ds_bpermute_b32 v19, v51, v18
	v_cmp_le_u32_e32 vcc, v52, v16
	s_waitcnt lgkmcnt(0)
	v_cndmask_b32_e32 v19, 0, v19, vcc
	v_cmp_gt_u32_e32 vcc, 48, v45
	v_add_u32_e32 v18, v18, v19
	v_cndmask_b32_e64 v19, 0, 16, vcc
	v_add_lshl_u32 v53, v19, v29, 2
	ds_bpermute_b32 v19, v53, v18
	v_cmp_le_u32_e32 vcc, v54, v16
	s_waitcnt lgkmcnt(0)
	v_cndmask_b32_e32 v19, 0, v19, vcc
	v_add_u32_e32 v18, v18, v19
	v_mov_b32_e32 v19, 0x80
	v_lshl_or_b32 v55, v29, 2, v19
	ds_bpermute_b32 v19, v55, v18
	v_cmp_le_u32_e32 vcc, v56, v16
	s_waitcnt lgkmcnt(0)
	v_cndmask_b32_e32 v16, 0, v19, vcc
	v_add_u32_e32 v19, v18, v16
	v_mov_b32_e32 v18, 0
	s_branch .LBB8_58
.LBB8_56:                               ;   in Loop: Header=BB8_58 Depth=1
	s_or_b64 exec, exec, s[34:35]
	v_cmp_eq_u16_sdwa s[34:35], v20, v44 src0_sel:BYTE_0 src1_sel:DWORD
	v_and_b32_e32 v23, s35, v22
	v_or_b32_e32 v23, 0x80000000, v23
	ds_bpermute_b32 v57, v46, v19
	v_and_b32_e32 v24, s34, v21
	v_ffbl_b32_e32 v23, v23
	v_add_u32_e32 v23, 32, v23
	v_ffbl_b32_e32 v24, v24
	v_min_u32_e32 v23, v24, v23
	v_cmp_lt_u32_e32 vcc, v45, v23
	s_waitcnt lgkmcnt(0)
	v_cndmask_b32_e32 v24, 0, v57, vcc
	v_add_u32_e32 v19, v24, v19
	ds_bpermute_b32 v24, v47, v19
	v_cmp_le_u32_e32 vcc, v48, v23
	v_subrev_u32_e32 v17, 64, v17
	s_mov_b64 s[34:35], 0
	s_waitcnt lgkmcnt(0)
	v_cndmask_b32_e32 v24, 0, v24, vcc
	v_add_u32_e32 v19, v19, v24
	ds_bpermute_b32 v24, v49, v19
	v_cmp_le_u32_e32 vcc, v50, v23
	s_waitcnt lgkmcnt(0)
	v_cndmask_b32_e32 v24, 0, v24, vcc
	v_add_u32_e32 v19, v19, v24
	ds_bpermute_b32 v24, v51, v19
	v_cmp_le_u32_e32 vcc, v52, v23
	;; [unrolled: 5-line block ×4, first 2 shown]
	s_waitcnt lgkmcnt(0)
	v_cndmask_b32_e32 v23, 0, v24, vcc
	v_add3_u32 v19, v23, v16, v19
.LBB8_57:                               ;   in Loop: Header=BB8_58 Depth=1
	s_and_b64 vcc, exec, s[34:35]
	s_cbranch_vccnz .LBB8_64
.LBB8_58:                               ; =>This Loop Header: Depth=1
                                        ;     Child Loop BB8_61 Depth 2
	v_cmp_ne_u16_sdwa s[34:35], v20, v44 src0_sel:BYTE_0 src1_sel:DWORD
	v_mov_b32_e32 v16, v19
	s_cmp_lg_u64 s[34:35], exec
	s_mov_b64 s[34:35], -1
                                        ; implicit-def: $vgpr19
                                        ; implicit-def: $vgpr20
	s_cbranch_scc1 .LBB8_57
; %bb.59:                               ;   in Loop: Header=BB8_58 Depth=1
	v_lshlrev_b64 v[19:20], 3, v[17:18]
	v_mov_b32_e32 v24, s31
	v_add_co_u32_e32 v23, vcc, s30, v19
	v_addc_co_u32_e32 v24, vcc, v24, v20, vcc
	global_load_dwordx2 v[19:20], v[23:24], off glc
	s_waitcnt vmcnt(0)
	v_cmp_eq_u16_sdwa s[36:37], v20, v18 src0_sel:BYTE_0 src1_sel:DWORD
	s_and_saveexec_b64 s[34:35], s[36:37]
	s_cbranch_execz .LBB8_56
; %bb.60:                               ;   in Loop: Header=BB8_58 Depth=1
	s_mov_b64 s[36:37], 0
.LBB8_61:                               ;   Parent Loop BB8_58 Depth=1
                                        ; =>  This Inner Loop Header: Depth=2
	global_load_dwordx2 v[19:20], v[23:24], off glc
	s_waitcnt vmcnt(0)
	v_cmp_ne_u16_sdwa s[38:39], v20, v18 src0_sel:BYTE_0 src1_sel:DWORD
	s_or_b64 s[36:37], s[38:39], s[36:37]
	s_andn2_b64 exec, exec, s[36:37]
	s_cbranch_execnz .LBB8_61
; %bb.62:                               ;   in Loop: Header=BB8_58 Depth=1
	s_or_b64 exec, exec, s[36:37]
	s_branch .LBB8_56
.LBB8_63:
                                        ; implicit-def: $vgpr16
                                        ; implicit-def: $vgpr15
                                        ; implicit-def: $vgpr23
	s_load_dwordx2 s[4:5], s[4:5], 0x28
	s_cbranch_execnz .LBB8_69
	s_branch .LBB8_78
.LBB8_64:
	s_and_saveexec_b64 s[34:35], s[16:17]
	s_cbranch_execz .LBB8_66
; %bb.65:
	s_add_i32 s6, s6, 64
	s_mov_b32 s7, 0
	s_lshl_b64 s[6:7], s[6:7], 3
	s_add_u32 s6, s30, s6
	v_add_u32_e32 v17, v16, v15
	v_mov_b32_e32 v18, 2
	s_addc_u32 s7, s31, s7
	v_mov_b32_e32 v19, 0
	global_store_dwordx2 v19, v[17:18], s[6:7]
	ds_write_b64 v19, v[15:16] offset:14336
.LBB8_66:
	s_or_b64 exec, exec, s[34:35]
	v_cmp_eq_u32_e32 vcc, 0, v0
	s_and_b64 exec, exec, vcc
; %bb.67:
	v_mov_b32_e32 v15, 0
	ds_write_b32 v15, v16 offset:12
.LBB8_68:
	s_or_b64 exec, exec, s[20:21]
	v_mov_b32_e32 v15, 0
	s_waitcnt vmcnt(0) lgkmcnt(0)
	s_barrier
	ds_read_b32 v18, v15 offset:12
	s_waitcnt lgkmcnt(0)
	s_barrier
	ds_read_b64 v[15:16], v15 offset:14336
	v_cndmask_b32_e64 v17, v43, v42, s[16:17]
	v_cmp_ne_u32_e32 vcc, 0, v0
	v_cndmask_b32_e32 v17, 0, v17, vcc
	v_add_u32_e32 v23, v18, v17
	s_load_dwordx2 s[4:5], s[4:5], 0x28
	s_branch .LBB8_78
.LBB8_69:
	s_waitcnt lgkmcnt(0)
	v_mov_b32_dpp v15, v41 row_shr:1 row_mask:0xf bank_mask:0xf
	v_cndmask_b32_e64 v15, v15, 0, s[14:15]
	v_add_u32_e32 v15, v15, v41
	s_nop 1
	v_mov_b32_dpp v16, v15 row_shr:2 row_mask:0xf bank_mask:0xf
	v_cndmask_b32_e64 v16, 0, v16, s[12:13]
	v_add_u32_e32 v15, v15, v16
	s_nop 1
	;; [unrolled: 4-line block ×4, first 2 shown]
	v_mov_b32_dpp v16, v15 row_bcast:15 row_mask:0xf bank_mask:0xf
	v_cndmask_b32_e64 v16, v16, 0, s[18:19]
	v_add_u32_e32 v15, v15, v16
	s_nop 1
	v_mov_b32_dpp v16, v15 row_bcast:31 row_mask:0xf bank_mask:0xf
	v_cndmask_b32_e64 v16, 0, v16, s[0:1]
	v_add_u32_e32 v15, v15, v16
	s_and_saveexec_b64 s[0:1], s[2:3]
; %bb.70:
	v_lshlrev_b32_e32 v16, 2, v40
	ds_write_b32 v16, v15
; %bb.71:
	s_or_b64 exec, exec, s[0:1]
	v_cmp_gt_u32_e32 vcc, 4, v0
	s_waitcnt lgkmcnt(0)
	s_barrier
	s_and_saveexec_b64 s[0:1], vcc
	s_cbranch_execz .LBB8_73
; %bb.72:
	v_lshlrev_b32_e32 v16, 2, v0
	ds_read_b32 v17, v16
	v_and_b32_e32 v18, 3, v29
	v_cmp_ne_u32_e32 vcc, 0, v18
	s_waitcnt lgkmcnt(0)
	v_mov_b32_dpp v19, v17 row_shr:1 row_mask:0xf bank_mask:0xf
	v_cndmask_b32_e32 v19, 0, v19, vcc
	v_add_u32_e32 v17, v19, v17
	v_cmp_lt_u32_e32 vcc, 1, v18
	s_nop 0
	v_mov_b32_dpp v19, v17 row_shr:2 row_mask:0xf bank_mask:0xf
	v_cndmask_b32_e32 v18, 0, v19, vcc
	v_add_u32_e32 v17, v17, v18
	ds_write_b32 v16, v17
.LBB8_73:
	s_or_b64 exec, exec, s[0:1]
	v_cmp_lt_u32_e32 vcc, 63, v0
	v_mov_b32_e32 v16, 0
	v_mov_b32_e32 v17, 0
	s_waitcnt lgkmcnt(0)
	s_barrier
	s_and_saveexec_b64 s[0:1], vcc
; %bb.74:
	v_lshl_add_u32 v17, v40, 2, -4
	ds_read_b32 v17, v17
; %bb.75:
	s_or_b64 exec, exec, s[0:1]
	v_subrev_co_u32_e32 v18, vcc, 1, v29
	v_and_b32_e32 v19, 64, v29
	v_cmp_lt_i32_e64 s[0:1], v18, v19
	v_cndmask_b32_e64 v18, v18, v29, s[0:1]
	s_waitcnt lgkmcnt(0)
	v_add_u32_e32 v15, v17, v15
	v_lshlrev_b32_e32 v18, 2, v18
	ds_bpermute_b32 v18, v18, v15
	ds_read_b32 v15, v16 offset:12
	v_cmp_eq_u32_e64 s[0:1], 0, v0
	s_and_saveexec_b64 s[2:3], s[0:1]
	s_cbranch_execz .LBB8_77
; %bb.76:
	v_mov_b32_e32 v19, 0
	v_mov_b32_e32 v16, 2
	s_waitcnt lgkmcnt(0)
	global_store_dwordx2 v19, v[15:16], s[30:31] offset:512
.LBB8_77:
	s_or_b64 exec, exec, s[2:3]
	s_waitcnt lgkmcnt(1)
	v_cndmask_b32_e32 v16, v18, v17, vcc
	v_cndmask_b32_e64 v23, v16, 0, s[0:1]
	s_waitcnt vmcnt(0) lgkmcnt(0)
	s_barrier
	v_mov_b32_e32 v16, 0
.LBB8_78:
	v_add_u32_e32 v29, v23, v25
	v_add_u32_e32 v27, v29, v27
	;; [unrolled: 1-line block ×4, first 2 shown]
	s_movk_i32 s2, 0x101
	v_add_u32_e32 v19, v21, v38
	s_waitcnt lgkmcnt(0)
	v_cmp_gt_u32_e32 vcc, s2, v15
	v_add_u32_e32 v17, v19, v39
	s_mov_b64 s[0:1], -1
	v_and_b32_e32 v38, 1, v26
	s_cbranch_vccnz .LBB8_82
; %bb.79:
	s_and_b64 vcc, exec, s[0:1]
	s_cbranch_vccnz .LBB8_97
.LBB8_80:
	v_cmp_eq_u32_e32 vcc, 0, v0
	s_and_b64 s[0:1], vcc, s[26:27]
	s_and_saveexec_b64 s[2:3], s[0:1]
	s_cbranch_execnz .LBB8_114
.LBB8_81:
	s_endpgm
.LBB8_82:
	v_add_u32_e32 v18, v16, v15
	s_lshl_b64 s[0:1], s[22:23], 3
	s_add_u32 s2, s4, s0
	v_cmp_lt_u32_e32 vcc, v23, v18
	s_addc_u32 s3, s5, s1
	s_or_b64 s[0:1], s[28:29], vcc
	v_cmp_eq_u32_e32 vcc, 1, v38
	s_and_b64 s[6:7], s[0:1], vcc
	s_and_saveexec_b64 s[0:1], s[6:7]
	s_cbranch_execz .LBB8_84
; %bb.83:
	v_mov_b32_e32 v24, 0
	v_lshlrev_b64 v[39:40], 3, v[23:24]
	v_mov_b32_e32 v20, s3
	v_add_co_u32_e32 v39, vcc, s2, v39
	v_addc_co_u32_e32 v40, vcc, v20, v40, vcc
	global_store_dwordx2 v[39:40], v[9:10], off
.LBB8_84:
	s_or_b64 exec, exec, s[0:1]
	v_cmp_lt_u32_e32 vcc, v29, v18
	v_and_b32_e32 v20, 1, v37
	s_or_b64 s[0:1], s[28:29], vcc
	v_cmp_eq_u32_e32 vcc, 1, v20
	s_and_b64 s[6:7], s[0:1], vcc
	s_and_saveexec_b64 s[0:1], s[6:7]
	s_cbranch_execz .LBB8_86
; %bb.85:
	v_mov_b32_e32 v30, 0
	v_lshlrev_b64 v[39:40], 3, v[29:30]
	v_mov_b32_e32 v20, s3
	v_add_co_u32_e32 v39, vcc, s2, v39
	v_addc_co_u32_e32 v40, vcc, v20, v40, vcc
	global_store_dwordx2 v[39:40], v[11:12], off
.LBB8_86:
	s_or_b64 exec, exec, s[0:1]
	v_cmp_lt_u32_e32 vcc, v27, v18
	v_and_b32_e32 v20, 1, v36
	;; [unrolled: 16-line block ×6, first 2 shown]
	s_or_b64 s[0:1], s[28:29], vcc
	v_cmp_eq_u32_e32 vcc, 1, v18
	s_and_b64 s[6:7], s[0:1], vcc
	s_and_saveexec_b64 s[0:1], s[6:7]
	s_cbranch_execz .LBB8_96
; %bb.95:
	v_mov_b32_e32 v18, 0
	v_lshlrev_b64 v[39:40], 3, v[17:18]
	v_mov_b32_e32 v18, s3
	v_add_co_u32_e32 v39, vcc, s2, v39
	v_addc_co_u32_e32 v40, vcc, v18, v40, vcc
	global_store_dwordx2 v[39:40], v[13:14], off
.LBB8_96:
	s_or_b64 exec, exec, s[0:1]
	s_branch .LBB8_80
.LBB8_97:
	v_cmp_eq_u32_e32 vcc, 1, v38
	s_and_saveexec_b64 s[0:1], vcc
; %bb.98:
	v_sub_u32_e32 v18, v23, v16
	v_lshlrev_b32_e32 v18, 3, v18
	ds_write_b64 v18, v[9:10]
; %bb.99:
	s_or_b64 exec, exec, s[0:1]
	v_and_b32_e32 v9, 1, v37
	v_cmp_eq_u32_e32 vcc, 1, v9
	s_and_saveexec_b64 s[0:1], vcc
; %bb.100:
	v_sub_u32_e32 v9, v29, v16
	v_lshlrev_b32_e32 v9, 3, v9
	ds_write_b64 v9, v[11:12]
; %bb.101:
	s_or_b64 exec, exec, s[0:1]
	v_and_b32_e32 v9, 1, v36
	;; [unrolled: 9-line block ×6, first 2 shown]
	v_cmp_eq_u32_e32 vcc, 1, v1
	s_and_saveexec_b64 s[0:1], vcc
; %bb.110:
	v_sub_u32_e32 v1, v17, v16
	v_lshlrev_b32_e32 v1, 3, v1
	ds_write_b64 v1, v[13:14]
; %bb.111:
	s_or_b64 exec, exec, s[0:1]
	v_mov_b32_e32 v2, 0
	v_mov_b32_e32 v17, v2
	s_lshl_b64 s[0:1], s[22:23], 3
	s_add_u32 s0, s4, s0
	v_lshlrev_b64 v[3:4], 3, v[16:17]
	s_addc_u32 s1, s5, s1
	v_mov_b32_e32 v1, s1
	v_add_co_u32_e32 v3, vcc, s0, v3
	v_addc_co_u32_e32 v4, vcc, v1, v4, vcc
	s_mov_b64 s[2:3], 0
	v_mov_b32_e32 v1, v0
	s_waitcnt vmcnt(0) lgkmcnt(0)
	s_barrier
.LBB8_112:                              ; =>This Inner Loop Header: Depth=1
	ds_read_b64 v[7:8], v31
	v_lshlrev_b64 v[5:6], 3, v[1:2]
	v_add_u32_e32 v1, 0x100, v1
	v_cmp_ge_u32_e32 vcc, v1, v15
	v_add_co_u32_e64 v5, s[0:1], v3, v5
	v_add_u32_e32 v31, 0x800, v31
	v_addc_co_u32_e64 v6, s[0:1], v4, v6, s[0:1]
	s_or_b64 s[2:3], vcc, s[2:3]
	s_waitcnt lgkmcnt(0)
	global_store_dwordx2 v[5:6], v[7:8], off
	s_andn2_b64 exec, exec, s[2:3]
	s_cbranch_execnz .LBB8_112
; %bb.113:
	s_or_b64 exec, exec, s[2:3]
	v_cmp_eq_u32_e32 vcc, 0, v0
	s_and_b64 s[0:1], vcc, s[26:27]
	s_and_saveexec_b64 s[2:3], s[0:1]
	s_cbranch_execz .LBB8_81
.LBB8_114:
	v_mov_b32_e32 v0, s23
	v_add_co_u32_e32 v1, vcc, s22, v15
	v_addc_co_u32_e32 v3, vcc, 0, v0, vcc
	v_add_co_u32_e32 v0, vcc, v1, v16
	v_mov_b32_e32 v2, 0
	v_addc_co_u32_e32 v1, vcc, 0, v3, vcc
	global_store_dwordx2 v2, v[0:1], s[24:25]
	s_endpgm
	.section	.rodata,"a",@progbits
	.p2align	6, 0x0
	.amdhsa_kernel _ZN7rocprim17ROCPRIM_400000_NS6detail17trampoline_kernelINS0_14default_configENS1_25partition_config_selectorILNS1_17partition_subalgoE8EdNS0_10empty_typeEbEEZZNS1_14partition_implILS5_8ELb0ES3_jN6thrust23THRUST_200600_302600_NS6detail15normal_iteratorINSA_10device_ptrIdEEEEPS6_PKS6_NS0_5tupleIJSF_S6_EEENSJ_IJSG_SG_EEENS0_18inequality_wrapperINSA_8equal_toIdEEEEPmJS6_EEE10hipError_tPvRmT3_T4_T5_T6_T7_T9_mT8_P12ihipStream_tbDpT10_ENKUlT_T0_E_clISt17integral_constantIbLb0EES1A_EEDaS15_S16_EUlS15_E_NS1_11comp_targetILNS1_3genE2ELNS1_11target_archE906ELNS1_3gpuE6ELNS1_3repE0EEENS1_30default_config_static_selectorELNS0_4arch9wavefront6targetE1EEEvT1_
		.amdhsa_group_segment_fixed_size 14344
		.amdhsa_private_segment_fixed_size 0
		.amdhsa_kernarg_size 112
		.amdhsa_user_sgpr_count 6
		.amdhsa_user_sgpr_private_segment_buffer 1
		.amdhsa_user_sgpr_dispatch_ptr 0
		.amdhsa_user_sgpr_queue_ptr 0
		.amdhsa_user_sgpr_kernarg_segment_ptr 1
		.amdhsa_user_sgpr_dispatch_id 0
		.amdhsa_user_sgpr_flat_scratch_init 0
		.amdhsa_user_sgpr_private_segment_size 0
		.amdhsa_uses_dynamic_stack 0
		.amdhsa_system_sgpr_private_segment_wavefront_offset 0
		.amdhsa_system_sgpr_workgroup_id_x 1
		.amdhsa_system_sgpr_workgroup_id_y 0
		.amdhsa_system_sgpr_workgroup_id_z 0
		.amdhsa_system_sgpr_workgroup_info 0
		.amdhsa_system_vgpr_workitem_id 0
		.amdhsa_next_free_vgpr 58
		.amdhsa_next_free_sgpr 98
		.amdhsa_reserve_vcc 1
		.amdhsa_reserve_flat_scratch 0
		.amdhsa_float_round_mode_32 0
		.amdhsa_float_round_mode_16_64 0
		.amdhsa_float_denorm_mode_32 3
		.amdhsa_float_denorm_mode_16_64 3
		.amdhsa_dx10_clamp 1
		.amdhsa_ieee_mode 1
		.amdhsa_fp16_overflow 0
		.amdhsa_exception_fp_ieee_invalid_op 0
		.amdhsa_exception_fp_denorm_src 0
		.amdhsa_exception_fp_ieee_div_zero 0
		.amdhsa_exception_fp_ieee_overflow 0
		.amdhsa_exception_fp_ieee_underflow 0
		.amdhsa_exception_fp_ieee_inexact 0
		.amdhsa_exception_int_div_zero 0
	.end_amdhsa_kernel
	.section	.text._ZN7rocprim17ROCPRIM_400000_NS6detail17trampoline_kernelINS0_14default_configENS1_25partition_config_selectorILNS1_17partition_subalgoE8EdNS0_10empty_typeEbEEZZNS1_14partition_implILS5_8ELb0ES3_jN6thrust23THRUST_200600_302600_NS6detail15normal_iteratorINSA_10device_ptrIdEEEEPS6_PKS6_NS0_5tupleIJSF_S6_EEENSJ_IJSG_SG_EEENS0_18inequality_wrapperINSA_8equal_toIdEEEEPmJS6_EEE10hipError_tPvRmT3_T4_T5_T6_T7_T9_mT8_P12ihipStream_tbDpT10_ENKUlT_T0_E_clISt17integral_constantIbLb0EES1A_EEDaS15_S16_EUlS15_E_NS1_11comp_targetILNS1_3genE2ELNS1_11target_archE906ELNS1_3gpuE6ELNS1_3repE0EEENS1_30default_config_static_selectorELNS0_4arch9wavefront6targetE1EEEvT1_,"axG",@progbits,_ZN7rocprim17ROCPRIM_400000_NS6detail17trampoline_kernelINS0_14default_configENS1_25partition_config_selectorILNS1_17partition_subalgoE8EdNS0_10empty_typeEbEEZZNS1_14partition_implILS5_8ELb0ES3_jN6thrust23THRUST_200600_302600_NS6detail15normal_iteratorINSA_10device_ptrIdEEEEPS6_PKS6_NS0_5tupleIJSF_S6_EEENSJ_IJSG_SG_EEENS0_18inequality_wrapperINSA_8equal_toIdEEEEPmJS6_EEE10hipError_tPvRmT3_T4_T5_T6_T7_T9_mT8_P12ihipStream_tbDpT10_ENKUlT_T0_E_clISt17integral_constantIbLb0EES1A_EEDaS15_S16_EUlS15_E_NS1_11comp_targetILNS1_3genE2ELNS1_11target_archE906ELNS1_3gpuE6ELNS1_3repE0EEENS1_30default_config_static_selectorELNS0_4arch9wavefront6targetE1EEEvT1_,comdat
.Lfunc_end8:
	.size	_ZN7rocprim17ROCPRIM_400000_NS6detail17trampoline_kernelINS0_14default_configENS1_25partition_config_selectorILNS1_17partition_subalgoE8EdNS0_10empty_typeEbEEZZNS1_14partition_implILS5_8ELb0ES3_jN6thrust23THRUST_200600_302600_NS6detail15normal_iteratorINSA_10device_ptrIdEEEEPS6_PKS6_NS0_5tupleIJSF_S6_EEENSJ_IJSG_SG_EEENS0_18inequality_wrapperINSA_8equal_toIdEEEEPmJS6_EEE10hipError_tPvRmT3_T4_T5_T6_T7_T9_mT8_P12ihipStream_tbDpT10_ENKUlT_T0_E_clISt17integral_constantIbLb0EES1A_EEDaS15_S16_EUlS15_E_NS1_11comp_targetILNS1_3genE2ELNS1_11target_archE906ELNS1_3gpuE6ELNS1_3repE0EEENS1_30default_config_static_selectorELNS0_4arch9wavefront6targetE1EEEvT1_, .Lfunc_end8-_ZN7rocprim17ROCPRIM_400000_NS6detail17trampoline_kernelINS0_14default_configENS1_25partition_config_selectorILNS1_17partition_subalgoE8EdNS0_10empty_typeEbEEZZNS1_14partition_implILS5_8ELb0ES3_jN6thrust23THRUST_200600_302600_NS6detail15normal_iteratorINSA_10device_ptrIdEEEEPS6_PKS6_NS0_5tupleIJSF_S6_EEENSJ_IJSG_SG_EEENS0_18inequality_wrapperINSA_8equal_toIdEEEEPmJS6_EEE10hipError_tPvRmT3_T4_T5_T6_T7_T9_mT8_P12ihipStream_tbDpT10_ENKUlT_T0_E_clISt17integral_constantIbLb0EES1A_EEDaS15_S16_EUlS15_E_NS1_11comp_targetILNS1_3genE2ELNS1_11target_archE906ELNS1_3gpuE6ELNS1_3repE0EEENS1_30default_config_static_selectorELNS0_4arch9wavefront6targetE1EEEvT1_
                                        ; -- End function
	.set _ZN7rocprim17ROCPRIM_400000_NS6detail17trampoline_kernelINS0_14default_configENS1_25partition_config_selectorILNS1_17partition_subalgoE8EdNS0_10empty_typeEbEEZZNS1_14partition_implILS5_8ELb0ES3_jN6thrust23THRUST_200600_302600_NS6detail15normal_iteratorINSA_10device_ptrIdEEEEPS6_PKS6_NS0_5tupleIJSF_S6_EEENSJ_IJSG_SG_EEENS0_18inequality_wrapperINSA_8equal_toIdEEEEPmJS6_EEE10hipError_tPvRmT3_T4_T5_T6_T7_T9_mT8_P12ihipStream_tbDpT10_ENKUlT_T0_E_clISt17integral_constantIbLb0EES1A_EEDaS15_S16_EUlS15_E_NS1_11comp_targetILNS1_3genE2ELNS1_11target_archE906ELNS1_3gpuE6ELNS1_3repE0EEENS1_30default_config_static_selectorELNS0_4arch9wavefront6targetE1EEEvT1_.num_vgpr, 58
	.set _ZN7rocprim17ROCPRIM_400000_NS6detail17trampoline_kernelINS0_14default_configENS1_25partition_config_selectorILNS1_17partition_subalgoE8EdNS0_10empty_typeEbEEZZNS1_14partition_implILS5_8ELb0ES3_jN6thrust23THRUST_200600_302600_NS6detail15normal_iteratorINSA_10device_ptrIdEEEEPS6_PKS6_NS0_5tupleIJSF_S6_EEENSJ_IJSG_SG_EEENS0_18inequality_wrapperINSA_8equal_toIdEEEEPmJS6_EEE10hipError_tPvRmT3_T4_T5_T6_T7_T9_mT8_P12ihipStream_tbDpT10_ENKUlT_T0_E_clISt17integral_constantIbLb0EES1A_EEDaS15_S16_EUlS15_E_NS1_11comp_targetILNS1_3genE2ELNS1_11target_archE906ELNS1_3gpuE6ELNS1_3repE0EEENS1_30default_config_static_selectorELNS0_4arch9wavefront6targetE1EEEvT1_.num_agpr, 0
	.set _ZN7rocprim17ROCPRIM_400000_NS6detail17trampoline_kernelINS0_14default_configENS1_25partition_config_selectorILNS1_17partition_subalgoE8EdNS0_10empty_typeEbEEZZNS1_14partition_implILS5_8ELb0ES3_jN6thrust23THRUST_200600_302600_NS6detail15normal_iteratorINSA_10device_ptrIdEEEEPS6_PKS6_NS0_5tupleIJSF_S6_EEENSJ_IJSG_SG_EEENS0_18inequality_wrapperINSA_8equal_toIdEEEEPmJS6_EEE10hipError_tPvRmT3_T4_T5_T6_T7_T9_mT8_P12ihipStream_tbDpT10_ENKUlT_T0_E_clISt17integral_constantIbLb0EES1A_EEDaS15_S16_EUlS15_E_NS1_11comp_targetILNS1_3genE2ELNS1_11target_archE906ELNS1_3gpuE6ELNS1_3repE0EEENS1_30default_config_static_selectorELNS0_4arch9wavefront6targetE1EEEvT1_.numbered_sgpr, 40
	.set _ZN7rocprim17ROCPRIM_400000_NS6detail17trampoline_kernelINS0_14default_configENS1_25partition_config_selectorILNS1_17partition_subalgoE8EdNS0_10empty_typeEbEEZZNS1_14partition_implILS5_8ELb0ES3_jN6thrust23THRUST_200600_302600_NS6detail15normal_iteratorINSA_10device_ptrIdEEEEPS6_PKS6_NS0_5tupleIJSF_S6_EEENSJ_IJSG_SG_EEENS0_18inequality_wrapperINSA_8equal_toIdEEEEPmJS6_EEE10hipError_tPvRmT3_T4_T5_T6_T7_T9_mT8_P12ihipStream_tbDpT10_ENKUlT_T0_E_clISt17integral_constantIbLb0EES1A_EEDaS15_S16_EUlS15_E_NS1_11comp_targetILNS1_3genE2ELNS1_11target_archE906ELNS1_3gpuE6ELNS1_3repE0EEENS1_30default_config_static_selectorELNS0_4arch9wavefront6targetE1EEEvT1_.num_named_barrier, 0
	.set _ZN7rocprim17ROCPRIM_400000_NS6detail17trampoline_kernelINS0_14default_configENS1_25partition_config_selectorILNS1_17partition_subalgoE8EdNS0_10empty_typeEbEEZZNS1_14partition_implILS5_8ELb0ES3_jN6thrust23THRUST_200600_302600_NS6detail15normal_iteratorINSA_10device_ptrIdEEEEPS6_PKS6_NS0_5tupleIJSF_S6_EEENSJ_IJSG_SG_EEENS0_18inequality_wrapperINSA_8equal_toIdEEEEPmJS6_EEE10hipError_tPvRmT3_T4_T5_T6_T7_T9_mT8_P12ihipStream_tbDpT10_ENKUlT_T0_E_clISt17integral_constantIbLb0EES1A_EEDaS15_S16_EUlS15_E_NS1_11comp_targetILNS1_3genE2ELNS1_11target_archE906ELNS1_3gpuE6ELNS1_3repE0EEENS1_30default_config_static_selectorELNS0_4arch9wavefront6targetE1EEEvT1_.private_seg_size, 0
	.set _ZN7rocprim17ROCPRIM_400000_NS6detail17trampoline_kernelINS0_14default_configENS1_25partition_config_selectorILNS1_17partition_subalgoE8EdNS0_10empty_typeEbEEZZNS1_14partition_implILS5_8ELb0ES3_jN6thrust23THRUST_200600_302600_NS6detail15normal_iteratorINSA_10device_ptrIdEEEEPS6_PKS6_NS0_5tupleIJSF_S6_EEENSJ_IJSG_SG_EEENS0_18inequality_wrapperINSA_8equal_toIdEEEEPmJS6_EEE10hipError_tPvRmT3_T4_T5_T6_T7_T9_mT8_P12ihipStream_tbDpT10_ENKUlT_T0_E_clISt17integral_constantIbLb0EES1A_EEDaS15_S16_EUlS15_E_NS1_11comp_targetILNS1_3genE2ELNS1_11target_archE906ELNS1_3gpuE6ELNS1_3repE0EEENS1_30default_config_static_selectorELNS0_4arch9wavefront6targetE1EEEvT1_.uses_vcc, 1
	.set _ZN7rocprim17ROCPRIM_400000_NS6detail17trampoline_kernelINS0_14default_configENS1_25partition_config_selectorILNS1_17partition_subalgoE8EdNS0_10empty_typeEbEEZZNS1_14partition_implILS5_8ELb0ES3_jN6thrust23THRUST_200600_302600_NS6detail15normal_iteratorINSA_10device_ptrIdEEEEPS6_PKS6_NS0_5tupleIJSF_S6_EEENSJ_IJSG_SG_EEENS0_18inequality_wrapperINSA_8equal_toIdEEEEPmJS6_EEE10hipError_tPvRmT3_T4_T5_T6_T7_T9_mT8_P12ihipStream_tbDpT10_ENKUlT_T0_E_clISt17integral_constantIbLb0EES1A_EEDaS15_S16_EUlS15_E_NS1_11comp_targetILNS1_3genE2ELNS1_11target_archE906ELNS1_3gpuE6ELNS1_3repE0EEENS1_30default_config_static_selectorELNS0_4arch9wavefront6targetE1EEEvT1_.uses_flat_scratch, 0
	.set _ZN7rocprim17ROCPRIM_400000_NS6detail17trampoline_kernelINS0_14default_configENS1_25partition_config_selectorILNS1_17partition_subalgoE8EdNS0_10empty_typeEbEEZZNS1_14partition_implILS5_8ELb0ES3_jN6thrust23THRUST_200600_302600_NS6detail15normal_iteratorINSA_10device_ptrIdEEEEPS6_PKS6_NS0_5tupleIJSF_S6_EEENSJ_IJSG_SG_EEENS0_18inequality_wrapperINSA_8equal_toIdEEEEPmJS6_EEE10hipError_tPvRmT3_T4_T5_T6_T7_T9_mT8_P12ihipStream_tbDpT10_ENKUlT_T0_E_clISt17integral_constantIbLb0EES1A_EEDaS15_S16_EUlS15_E_NS1_11comp_targetILNS1_3genE2ELNS1_11target_archE906ELNS1_3gpuE6ELNS1_3repE0EEENS1_30default_config_static_selectorELNS0_4arch9wavefront6targetE1EEEvT1_.has_dyn_sized_stack, 0
	.set _ZN7rocprim17ROCPRIM_400000_NS6detail17trampoline_kernelINS0_14default_configENS1_25partition_config_selectorILNS1_17partition_subalgoE8EdNS0_10empty_typeEbEEZZNS1_14partition_implILS5_8ELb0ES3_jN6thrust23THRUST_200600_302600_NS6detail15normal_iteratorINSA_10device_ptrIdEEEEPS6_PKS6_NS0_5tupleIJSF_S6_EEENSJ_IJSG_SG_EEENS0_18inequality_wrapperINSA_8equal_toIdEEEEPmJS6_EEE10hipError_tPvRmT3_T4_T5_T6_T7_T9_mT8_P12ihipStream_tbDpT10_ENKUlT_T0_E_clISt17integral_constantIbLb0EES1A_EEDaS15_S16_EUlS15_E_NS1_11comp_targetILNS1_3genE2ELNS1_11target_archE906ELNS1_3gpuE6ELNS1_3repE0EEENS1_30default_config_static_selectorELNS0_4arch9wavefront6targetE1EEEvT1_.has_recursion, 0
	.set _ZN7rocprim17ROCPRIM_400000_NS6detail17trampoline_kernelINS0_14default_configENS1_25partition_config_selectorILNS1_17partition_subalgoE8EdNS0_10empty_typeEbEEZZNS1_14partition_implILS5_8ELb0ES3_jN6thrust23THRUST_200600_302600_NS6detail15normal_iteratorINSA_10device_ptrIdEEEEPS6_PKS6_NS0_5tupleIJSF_S6_EEENSJ_IJSG_SG_EEENS0_18inequality_wrapperINSA_8equal_toIdEEEEPmJS6_EEE10hipError_tPvRmT3_T4_T5_T6_T7_T9_mT8_P12ihipStream_tbDpT10_ENKUlT_T0_E_clISt17integral_constantIbLb0EES1A_EEDaS15_S16_EUlS15_E_NS1_11comp_targetILNS1_3genE2ELNS1_11target_archE906ELNS1_3gpuE6ELNS1_3repE0EEENS1_30default_config_static_selectorELNS0_4arch9wavefront6targetE1EEEvT1_.has_indirect_call, 0
	.section	.AMDGPU.csdata,"",@progbits
; Kernel info:
; codeLenInByte = 4832
; TotalNumSgprs: 44
; NumVgprs: 58
; ScratchSize: 0
; MemoryBound: 0
; FloatMode: 240
; IeeeMode: 1
; LDSByteSize: 14344 bytes/workgroup (compile time only)
; SGPRBlocks: 12
; VGPRBlocks: 14
; NumSGPRsForWavesPerEU: 102
; NumVGPRsForWavesPerEU: 58
; Occupancy: 4
; WaveLimiterHint : 1
; COMPUTE_PGM_RSRC2:SCRATCH_EN: 0
; COMPUTE_PGM_RSRC2:USER_SGPR: 6
; COMPUTE_PGM_RSRC2:TRAP_HANDLER: 0
; COMPUTE_PGM_RSRC2:TGID_X_EN: 1
; COMPUTE_PGM_RSRC2:TGID_Y_EN: 0
; COMPUTE_PGM_RSRC2:TGID_Z_EN: 0
; COMPUTE_PGM_RSRC2:TIDIG_COMP_CNT: 0
	.section	.text._ZN7rocprim17ROCPRIM_400000_NS6detail17trampoline_kernelINS0_14default_configENS1_25partition_config_selectorILNS1_17partition_subalgoE8EdNS0_10empty_typeEbEEZZNS1_14partition_implILS5_8ELb0ES3_jN6thrust23THRUST_200600_302600_NS6detail15normal_iteratorINSA_10device_ptrIdEEEEPS6_PKS6_NS0_5tupleIJSF_S6_EEENSJ_IJSG_SG_EEENS0_18inequality_wrapperINSA_8equal_toIdEEEEPmJS6_EEE10hipError_tPvRmT3_T4_T5_T6_T7_T9_mT8_P12ihipStream_tbDpT10_ENKUlT_T0_E_clISt17integral_constantIbLb0EES1A_EEDaS15_S16_EUlS15_E_NS1_11comp_targetILNS1_3genE10ELNS1_11target_archE1200ELNS1_3gpuE4ELNS1_3repE0EEENS1_30default_config_static_selectorELNS0_4arch9wavefront6targetE1EEEvT1_,"axG",@progbits,_ZN7rocprim17ROCPRIM_400000_NS6detail17trampoline_kernelINS0_14default_configENS1_25partition_config_selectorILNS1_17partition_subalgoE8EdNS0_10empty_typeEbEEZZNS1_14partition_implILS5_8ELb0ES3_jN6thrust23THRUST_200600_302600_NS6detail15normal_iteratorINSA_10device_ptrIdEEEEPS6_PKS6_NS0_5tupleIJSF_S6_EEENSJ_IJSG_SG_EEENS0_18inequality_wrapperINSA_8equal_toIdEEEEPmJS6_EEE10hipError_tPvRmT3_T4_T5_T6_T7_T9_mT8_P12ihipStream_tbDpT10_ENKUlT_T0_E_clISt17integral_constantIbLb0EES1A_EEDaS15_S16_EUlS15_E_NS1_11comp_targetILNS1_3genE10ELNS1_11target_archE1200ELNS1_3gpuE4ELNS1_3repE0EEENS1_30default_config_static_selectorELNS0_4arch9wavefront6targetE1EEEvT1_,comdat
	.protected	_ZN7rocprim17ROCPRIM_400000_NS6detail17trampoline_kernelINS0_14default_configENS1_25partition_config_selectorILNS1_17partition_subalgoE8EdNS0_10empty_typeEbEEZZNS1_14partition_implILS5_8ELb0ES3_jN6thrust23THRUST_200600_302600_NS6detail15normal_iteratorINSA_10device_ptrIdEEEEPS6_PKS6_NS0_5tupleIJSF_S6_EEENSJ_IJSG_SG_EEENS0_18inequality_wrapperINSA_8equal_toIdEEEEPmJS6_EEE10hipError_tPvRmT3_T4_T5_T6_T7_T9_mT8_P12ihipStream_tbDpT10_ENKUlT_T0_E_clISt17integral_constantIbLb0EES1A_EEDaS15_S16_EUlS15_E_NS1_11comp_targetILNS1_3genE10ELNS1_11target_archE1200ELNS1_3gpuE4ELNS1_3repE0EEENS1_30default_config_static_selectorELNS0_4arch9wavefront6targetE1EEEvT1_ ; -- Begin function _ZN7rocprim17ROCPRIM_400000_NS6detail17trampoline_kernelINS0_14default_configENS1_25partition_config_selectorILNS1_17partition_subalgoE8EdNS0_10empty_typeEbEEZZNS1_14partition_implILS5_8ELb0ES3_jN6thrust23THRUST_200600_302600_NS6detail15normal_iteratorINSA_10device_ptrIdEEEEPS6_PKS6_NS0_5tupleIJSF_S6_EEENSJ_IJSG_SG_EEENS0_18inequality_wrapperINSA_8equal_toIdEEEEPmJS6_EEE10hipError_tPvRmT3_T4_T5_T6_T7_T9_mT8_P12ihipStream_tbDpT10_ENKUlT_T0_E_clISt17integral_constantIbLb0EES1A_EEDaS15_S16_EUlS15_E_NS1_11comp_targetILNS1_3genE10ELNS1_11target_archE1200ELNS1_3gpuE4ELNS1_3repE0EEENS1_30default_config_static_selectorELNS0_4arch9wavefront6targetE1EEEvT1_
	.globl	_ZN7rocprim17ROCPRIM_400000_NS6detail17trampoline_kernelINS0_14default_configENS1_25partition_config_selectorILNS1_17partition_subalgoE8EdNS0_10empty_typeEbEEZZNS1_14partition_implILS5_8ELb0ES3_jN6thrust23THRUST_200600_302600_NS6detail15normal_iteratorINSA_10device_ptrIdEEEEPS6_PKS6_NS0_5tupleIJSF_S6_EEENSJ_IJSG_SG_EEENS0_18inequality_wrapperINSA_8equal_toIdEEEEPmJS6_EEE10hipError_tPvRmT3_T4_T5_T6_T7_T9_mT8_P12ihipStream_tbDpT10_ENKUlT_T0_E_clISt17integral_constantIbLb0EES1A_EEDaS15_S16_EUlS15_E_NS1_11comp_targetILNS1_3genE10ELNS1_11target_archE1200ELNS1_3gpuE4ELNS1_3repE0EEENS1_30default_config_static_selectorELNS0_4arch9wavefront6targetE1EEEvT1_
	.p2align	8
	.type	_ZN7rocprim17ROCPRIM_400000_NS6detail17trampoline_kernelINS0_14default_configENS1_25partition_config_selectorILNS1_17partition_subalgoE8EdNS0_10empty_typeEbEEZZNS1_14partition_implILS5_8ELb0ES3_jN6thrust23THRUST_200600_302600_NS6detail15normal_iteratorINSA_10device_ptrIdEEEEPS6_PKS6_NS0_5tupleIJSF_S6_EEENSJ_IJSG_SG_EEENS0_18inequality_wrapperINSA_8equal_toIdEEEEPmJS6_EEE10hipError_tPvRmT3_T4_T5_T6_T7_T9_mT8_P12ihipStream_tbDpT10_ENKUlT_T0_E_clISt17integral_constantIbLb0EES1A_EEDaS15_S16_EUlS15_E_NS1_11comp_targetILNS1_3genE10ELNS1_11target_archE1200ELNS1_3gpuE4ELNS1_3repE0EEENS1_30default_config_static_selectorELNS0_4arch9wavefront6targetE1EEEvT1_,@function
_ZN7rocprim17ROCPRIM_400000_NS6detail17trampoline_kernelINS0_14default_configENS1_25partition_config_selectorILNS1_17partition_subalgoE8EdNS0_10empty_typeEbEEZZNS1_14partition_implILS5_8ELb0ES3_jN6thrust23THRUST_200600_302600_NS6detail15normal_iteratorINSA_10device_ptrIdEEEEPS6_PKS6_NS0_5tupleIJSF_S6_EEENSJ_IJSG_SG_EEENS0_18inequality_wrapperINSA_8equal_toIdEEEEPmJS6_EEE10hipError_tPvRmT3_T4_T5_T6_T7_T9_mT8_P12ihipStream_tbDpT10_ENKUlT_T0_E_clISt17integral_constantIbLb0EES1A_EEDaS15_S16_EUlS15_E_NS1_11comp_targetILNS1_3genE10ELNS1_11target_archE1200ELNS1_3gpuE4ELNS1_3repE0EEENS1_30default_config_static_selectorELNS0_4arch9wavefront6targetE1EEEvT1_: ; @_ZN7rocprim17ROCPRIM_400000_NS6detail17trampoline_kernelINS0_14default_configENS1_25partition_config_selectorILNS1_17partition_subalgoE8EdNS0_10empty_typeEbEEZZNS1_14partition_implILS5_8ELb0ES3_jN6thrust23THRUST_200600_302600_NS6detail15normal_iteratorINSA_10device_ptrIdEEEEPS6_PKS6_NS0_5tupleIJSF_S6_EEENSJ_IJSG_SG_EEENS0_18inequality_wrapperINSA_8equal_toIdEEEEPmJS6_EEE10hipError_tPvRmT3_T4_T5_T6_T7_T9_mT8_P12ihipStream_tbDpT10_ENKUlT_T0_E_clISt17integral_constantIbLb0EES1A_EEDaS15_S16_EUlS15_E_NS1_11comp_targetILNS1_3genE10ELNS1_11target_archE1200ELNS1_3gpuE4ELNS1_3repE0EEENS1_30default_config_static_selectorELNS0_4arch9wavefront6targetE1EEEvT1_
; %bb.0:
	.section	.rodata,"a",@progbits
	.p2align	6, 0x0
	.amdhsa_kernel _ZN7rocprim17ROCPRIM_400000_NS6detail17trampoline_kernelINS0_14default_configENS1_25partition_config_selectorILNS1_17partition_subalgoE8EdNS0_10empty_typeEbEEZZNS1_14partition_implILS5_8ELb0ES3_jN6thrust23THRUST_200600_302600_NS6detail15normal_iteratorINSA_10device_ptrIdEEEEPS6_PKS6_NS0_5tupleIJSF_S6_EEENSJ_IJSG_SG_EEENS0_18inequality_wrapperINSA_8equal_toIdEEEEPmJS6_EEE10hipError_tPvRmT3_T4_T5_T6_T7_T9_mT8_P12ihipStream_tbDpT10_ENKUlT_T0_E_clISt17integral_constantIbLb0EES1A_EEDaS15_S16_EUlS15_E_NS1_11comp_targetILNS1_3genE10ELNS1_11target_archE1200ELNS1_3gpuE4ELNS1_3repE0EEENS1_30default_config_static_selectorELNS0_4arch9wavefront6targetE1EEEvT1_
		.amdhsa_group_segment_fixed_size 0
		.amdhsa_private_segment_fixed_size 0
		.amdhsa_kernarg_size 112
		.amdhsa_user_sgpr_count 6
		.amdhsa_user_sgpr_private_segment_buffer 1
		.amdhsa_user_sgpr_dispatch_ptr 0
		.amdhsa_user_sgpr_queue_ptr 0
		.amdhsa_user_sgpr_kernarg_segment_ptr 1
		.amdhsa_user_sgpr_dispatch_id 0
		.amdhsa_user_sgpr_flat_scratch_init 0
		.amdhsa_user_sgpr_private_segment_size 0
		.amdhsa_uses_dynamic_stack 0
		.amdhsa_system_sgpr_private_segment_wavefront_offset 0
		.amdhsa_system_sgpr_workgroup_id_x 1
		.amdhsa_system_sgpr_workgroup_id_y 0
		.amdhsa_system_sgpr_workgroup_id_z 0
		.amdhsa_system_sgpr_workgroup_info 0
		.amdhsa_system_vgpr_workitem_id 0
		.amdhsa_next_free_vgpr 1
		.amdhsa_next_free_sgpr 0
		.amdhsa_reserve_vcc 0
		.amdhsa_reserve_flat_scratch 0
		.amdhsa_float_round_mode_32 0
		.amdhsa_float_round_mode_16_64 0
		.amdhsa_float_denorm_mode_32 3
		.amdhsa_float_denorm_mode_16_64 3
		.amdhsa_dx10_clamp 1
		.amdhsa_ieee_mode 1
		.amdhsa_fp16_overflow 0
		.amdhsa_exception_fp_ieee_invalid_op 0
		.amdhsa_exception_fp_denorm_src 0
		.amdhsa_exception_fp_ieee_div_zero 0
		.amdhsa_exception_fp_ieee_overflow 0
		.amdhsa_exception_fp_ieee_underflow 0
		.amdhsa_exception_fp_ieee_inexact 0
		.amdhsa_exception_int_div_zero 0
	.end_amdhsa_kernel
	.section	.text._ZN7rocprim17ROCPRIM_400000_NS6detail17trampoline_kernelINS0_14default_configENS1_25partition_config_selectorILNS1_17partition_subalgoE8EdNS0_10empty_typeEbEEZZNS1_14partition_implILS5_8ELb0ES3_jN6thrust23THRUST_200600_302600_NS6detail15normal_iteratorINSA_10device_ptrIdEEEEPS6_PKS6_NS0_5tupleIJSF_S6_EEENSJ_IJSG_SG_EEENS0_18inequality_wrapperINSA_8equal_toIdEEEEPmJS6_EEE10hipError_tPvRmT3_T4_T5_T6_T7_T9_mT8_P12ihipStream_tbDpT10_ENKUlT_T0_E_clISt17integral_constantIbLb0EES1A_EEDaS15_S16_EUlS15_E_NS1_11comp_targetILNS1_3genE10ELNS1_11target_archE1200ELNS1_3gpuE4ELNS1_3repE0EEENS1_30default_config_static_selectorELNS0_4arch9wavefront6targetE1EEEvT1_,"axG",@progbits,_ZN7rocprim17ROCPRIM_400000_NS6detail17trampoline_kernelINS0_14default_configENS1_25partition_config_selectorILNS1_17partition_subalgoE8EdNS0_10empty_typeEbEEZZNS1_14partition_implILS5_8ELb0ES3_jN6thrust23THRUST_200600_302600_NS6detail15normal_iteratorINSA_10device_ptrIdEEEEPS6_PKS6_NS0_5tupleIJSF_S6_EEENSJ_IJSG_SG_EEENS0_18inequality_wrapperINSA_8equal_toIdEEEEPmJS6_EEE10hipError_tPvRmT3_T4_T5_T6_T7_T9_mT8_P12ihipStream_tbDpT10_ENKUlT_T0_E_clISt17integral_constantIbLb0EES1A_EEDaS15_S16_EUlS15_E_NS1_11comp_targetILNS1_3genE10ELNS1_11target_archE1200ELNS1_3gpuE4ELNS1_3repE0EEENS1_30default_config_static_selectorELNS0_4arch9wavefront6targetE1EEEvT1_,comdat
.Lfunc_end9:
	.size	_ZN7rocprim17ROCPRIM_400000_NS6detail17trampoline_kernelINS0_14default_configENS1_25partition_config_selectorILNS1_17partition_subalgoE8EdNS0_10empty_typeEbEEZZNS1_14partition_implILS5_8ELb0ES3_jN6thrust23THRUST_200600_302600_NS6detail15normal_iteratorINSA_10device_ptrIdEEEEPS6_PKS6_NS0_5tupleIJSF_S6_EEENSJ_IJSG_SG_EEENS0_18inequality_wrapperINSA_8equal_toIdEEEEPmJS6_EEE10hipError_tPvRmT3_T4_T5_T6_T7_T9_mT8_P12ihipStream_tbDpT10_ENKUlT_T0_E_clISt17integral_constantIbLb0EES1A_EEDaS15_S16_EUlS15_E_NS1_11comp_targetILNS1_3genE10ELNS1_11target_archE1200ELNS1_3gpuE4ELNS1_3repE0EEENS1_30default_config_static_selectorELNS0_4arch9wavefront6targetE1EEEvT1_, .Lfunc_end9-_ZN7rocprim17ROCPRIM_400000_NS6detail17trampoline_kernelINS0_14default_configENS1_25partition_config_selectorILNS1_17partition_subalgoE8EdNS0_10empty_typeEbEEZZNS1_14partition_implILS5_8ELb0ES3_jN6thrust23THRUST_200600_302600_NS6detail15normal_iteratorINSA_10device_ptrIdEEEEPS6_PKS6_NS0_5tupleIJSF_S6_EEENSJ_IJSG_SG_EEENS0_18inequality_wrapperINSA_8equal_toIdEEEEPmJS6_EEE10hipError_tPvRmT3_T4_T5_T6_T7_T9_mT8_P12ihipStream_tbDpT10_ENKUlT_T0_E_clISt17integral_constantIbLb0EES1A_EEDaS15_S16_EUlS15_E_NS1_11comp_targetILNS1_3genE10ELNS1_11target_archE1200ELNS1_3gpuE4ELNS1_3repE0EEENS1_30default_config_static_selectorELNS0_4arch9wavefront6targetE1EEEvT1_
                                        ; -- End function
	.set _ZN7rocprim17ROCPRIM_400000_NS6detail17trampoline_kernelINS0_14default_configENS1_25partition_config_selectorILNS1_17partition_subalgoE8EdNS0_10empty_typeEbEEZZNS1_14partition_implILS5_8ELb0ES3_jN6thrust23THRUST_200600_302600_NS6detail15normal_iteratorINSA_10device_ptrIdEEEEPS6_PKS6_NS0_5tupleIJSF_S6_EEENSJ_IJSG_SG_EEENS0_18inequality_wrapperINSA_8equal_toIdEEEEPmJS6_EEE10hipError_tPvRmT3_T4_T5_T6_T7_T9_mT8_P12ihipStream_tbDpT10_ENKUlT_T0_E_clISt17integral_constantIbLb0EES1A_EEDaS15_S16_EUlS15_E_NS1_11comp_targetILNS1_3genE10ELNS1_11target_archE1200ELNS1_3gpuE4ELNS1_3repE0EEENS1_30default_config_static_selectorELNS0_4arch9wavefront6targetE1EEEvT1_.num_vgpr, 0
	.set _ZN7rocprim17ROCPRIM_400000_NS6detail17trampoline_kernelINS0_14default_configENS1_25partition_config_selectorILNS1_17partition_subalgoE8EdNS0_10empty_typeEbEEZZNS1_14partition_implILS5_8ELb0ES3_jN6thrust23THRUST_200600_302600_NS6detail15normal_iteratorINSA_10device_ptrIdEEEEPS6_PKS6_NS0_5tupleIJSF_S6_EEENSJ_IJSG_SG_EEENS0_18inequality_wrapperINSA_8equal_toIdEEEEPmJS6_EEE10hipError_tPvRmT3_T4_T5_T6_T7_T9_mT8_P12ihipStream_tbDpT10_ENKUlT_T0_E_clISt17integral_constantIbLb0EES1A_EEDaS15_S16_EUlS15_E_NS1_11comp_targetILNS1_3genE10ELNS1_11target_archE1200ELNS1_3gpuE4ELNS1_3repE0EEENS1_30default_config_static_selectorELNS0_4arch9wavefront6targetE1EEEvT1_.num_agpr, 0
	.set _ZN7rocprim17ROCPRIM_400000_NS6detail17trampoline_kernelINS0_14default_configENS1_25partition_config_selectorILNS1_17partition_subalgoE8EdNS0_10empty_typeEbEEZZNS1_14partition_implILS5_8ELb0ES3_jN6thrust23THRUST_200600_302600_NS6detail15normal_iteratorINSA_10device_ptrIdEEEEPS6_PKS6_NS0_5tupleIJSF_S6_EEENSJ_IJSG_SG_EEENS0_18inequality_wrapperINSA_8equal_toIdEEEEPmJS6_EEE10hipError_tPvRmT3_T4_T5_T6_T7_T9_mT8_P12ihipStream_tbDpT10_ENKUlT_T0_E_clISt17integral_constantIbLb0EES1A_EEDaS15_S16_EUlS15_E_NS1_11comp_targetILNS1_3genE10ELNS1_11target_archE1200ELNS1_3gpuE4ELNS1_3repE0EEENS1_30default_config_static_selectorELNS0_4arch9wavefront6targetE1EEEvT1_.numbered_sgpr, 0
	.set _ZN7rocprim17ROCPRIM_400000_NS6detail17trampoline_kernelINS0_14default_configENS1_25partition_config_selectorILNS1_17partition_subalgoE8EdNS0_10empty_typeEbEEZZNS1_14partition_implILS5_8ELb0ES3_jN6thrust23THRUST_200600_302600_NS6detail15normal_iteratorINSA_10device_ptrIdEEEEPS6_PKS6_NS0_5tupleIJSF_S6_EEENSJ_IJSG_SG_EEENS0_18inequality_wrapperINSA_8equal_toIdEEEEPmJS6_EEE10hipError_tPvRmT3_T4_T5_T6_T7_T9_mT8_P12ihipStream_tbDpT10_ENKUlT_T0_E_clISt17integral_constantIbLb0EES1A_EEDaS15_S16_EUlS15_E_NS1_11comp_targetILNS1_3genE10ELNS1_11target_archE1200ELNS1_3gpuE4ELNS1_3repE0EEENS1_30default_config_static_selectorELNS0_4arch9wavefront6targetE1EEEvT1_.num_named_barrier, 0
	.set _ZN7rocprim17ROCPRIM_400000_NS6detail17trampoline_kernelINS0_14default_configENS1_25partition_config_selectorILNS1_17partition_subalgoE8EdNS0_10empty_typeEbEEZZNS1_14partition_implILS5_8ELb0ES3_jN6thrust23THRUST_200600_302600_NS6detail15normal_iteratorINSA_10device_ptrIdEEEEPS6_PKS6_NS0_5tupleIJSF_S6_EEENSJ_IJSG_SG_EEENS0_18inequality_wrapperINSA_8equal_toIdEEEEPmJS6_EEE10hipError_tPvRmT3_T4_T5_T6_T7_T9_mT8_P12ihipStream_tbDpT10_ENKUlT_T0_E_clISt17integral_constantIbLb0EES1A_EEDaS15_S16_EUlS15_E_NS1_11comp_targetILNS1_3genE10ELNS1_11target_archE1200ELNS1_3gpuE4ELNS1_3repE0EEENS1_30default_config_static_selectorELNS0_4arch9wavefront6targetE1EEEvT1_.private_seg_size, 0
	.set _ZN7rocprim17ROCPRIM_400000_NS6detail17trampoline_kernelINS0_14default_configENS1_25partition_config_selectorILNS1_17partition_subalgoE8EdNS0_10empty_typeEbEEZZNS1_14partition_implILS5_8ELb0ES3_jN6thrust23THRUST_200600_302600_NS6detail15normal_iteratorINSA_10device_ptrIdEEEEPS6_PKS6_NS0_5tupleIJSF_S6_EEENSJ_IJSG_SG_EEENS0_18inequality_wrapperINSA_8equal_toIdEEEEPmJS6_EEE10hipError_tPvRmT3_T4_T5_T6_T7_T9_mT8_P12ihipStream_tbDpT10_ENKUlT_T0_E_clISt17integral_constantIbLb0EES1A_EEDaS15_S16_EUlS15_E_NS1_11comp_targetILNS1_3genE10ELNS1_11target_archE1200ELNS1_3gpuE4ELNS1_3repE0EEENS1_30default_config_static_selectorELNS0_4arch9wavefront6targetE1EEEvT1_.uses_vcc, 0
	.set _ZN7rocprim17ROCPRIM_400000_NS6detail17trampoline_kernelINS0_14default_configENS1_25partition_config_selectorILNS1_17partition_subalgoE8EdNS0_10empty_typeEbEEZZNS1_14partition_implILS5_8ELb0ES3_jN6thrust23THRUST_200600_302600_NS6detail15normal_iteratorINSA_10device_ptrIdEEEEPS6_PKS6_NS0_5tupleIJSF_S6_EEENSJ_IJSG_SG_EEENS0_18inequality_wrapperINSA_8equal_toIdEEEEPmJS6_EEE10hipError_tPvRmT3_T4_T5_T6_T7_T9_mT8_P12ihipStream_tbDpT10_ENKUlT_T0_E_clISt17integral_constantIbLb0EES1A_EEDaS15_S16_EUlS15_E_NS1_11comp_targetILNS1_3genE10ELNS1_11target_archE1200ELNS1_3gpuE4ELNS1_3repE0EEENS1_30default_config_static_selectorELNS0_4arch9wavefront6targetE1EEEvT1_.uses_flat_scratch, 0
	.set _ZN7rocprim17ROCPRIM_400000_NS6detail17trampoline_kernelINS0_14default_configENS1_25partition_config_selectorILNS1_17partition_subalgoE8EdNS0_10empty_typeEbEEZZNS1_14partition_implILS5_8ELb0ES3_jN6thrust23THRUST_200600_302600_NS6detail15normal_iteratorINSA_10device_ptrIdEEEEPS6_PKS6_NS0_5tupleIJSF_S6_EEENSJ_IJSG_SG_EEENS0_18inequality_wrapperINSA_8equal_toIdEEEEPmJS6_EEE10hipError_tPvRmT3_T4_T5_T6_T7_T9_mT8_P12ihipStream_tbDpT10_ENKUlT_T0_E_clISt17integral_constantIbLb0EES1A_EEDaS15_S16_EUlS15_E_NS1_11comp_targetILNS1_3genE10ELNS1_11target_archE1200ELNS1_3gpuE4ELNS1_3repE0EEENS1_30default_config_static_selectorELNS0_4arch9wavefront6targetE1EEEvT1_.has_dyn_sized_stack, 0
	.set _ZN7rocprim17ROCPRIM_400000_NS6detail17trampoline_kernelINS0_14default_configENS1_25partition_config_selectorILNS1_17partition_subalgoE8EdNS0_10empty_typeEbEEZZNS1_14partition_implILS5_8ELb0ES3_jN6thrust23THRUST_200600_302600_NS6detail15normal_iteratorINSA_10device_ptrIdEEEEPS6_PKS6_NS0_5tupleIJSF_S6_EEENSJ_IJSG_SG_EEENS0_18inequality_wrapperINSA_8equal_toIdEEEEPmJS6_EEE10hipError_tPvRmT3_T4_T5_T6_T7_T9_mT8_P12ihipStream_tbDpT10_ENKUlT_T0_E_clISt17integral_constantIbLb0EES1A_EEDaS15_S16_EUlS15_E_NS1_11comp_targetILNS1_3genE10ELNS1_11target_archE1200ELNS1_3gpuE4ELNS1_3repE0EEENS1_30default_config_static_selectorELNS0_4arch9wavefront6targetE1EEEvT1_.has_recursion, 0
	.set _ZN7rocprim17ROCPRIM_400000_NS6detail17trampoline_kernelINS0_14default_configENS1_25partition_config_selectorILNS1_17partition_subalgoE8EdNS0_10empty_typeEbEEZZNS1_14partition_implILS5_8ELb0ES3_jN6thrust23THRUST_200600_302600_NS6detail15normal_iteratorINSA_10device_ptrIdEEEEPS6_PKS6_NS0_5tupleIJSF_S6_EEENSJ_IJSG_SG_EEENS0_18inequality_wrapperINSA_8equal_toIdEEEEPmJS6_EEE10hipError_tPvRmT3_T4_T5_T6_T7_T9_mT8_P12ihipStream_tbDpT10_ENKUlT_T0_E_clISt17integral_constantIbLb0EES1A_EEDaS15_S16_EUlS15_E_NS1_11comp_targetILNS1_3genE10ELNS1_11target_archE1200ELNS1_3gpuE4ELNS1_3repE0EEENS1_30default_config_static_selectorELNS0_4arch9wavefront6targetE1EEEvT1_.has_indirect_call, 0
	.section	.AMDGPU.csdata,"",@progbits
; Kernel info:
; codeLenInByte = 0
; TotalNumSgprs: 4
; NumVgprs: 0
; ScratchSize: 0
; MemoryBound: 0
; FloatMode: 240
; IeeeMode: 1
; LDSByteSize: 0 bytes/workgroup (compile time only)
; SGPRBlocks: 0
; VGPRBlocks: 0
; NumSGPRsForWavesPerEU: 4
; NumVGPRsForWavesPerEU: 1
; Occupancy: 10
; WaveLimiterHint : 0
; COMPUTE_PGM_RSRC2:SCRATCH_EN: 0
; COMPUTE_PGM_RSRC2:USER_SGPR: 6
; COMPUTE_PGM_RSRC2:TRAP_HANDLER: 0
; COMPUTE_PGM_RSRC2:TGID_X_EN: 1
; COMPUTE_PGM_RSRC2:TGID_Y_EN: 0
; COMPUTE_PGM_RSRC2:TGID_Z_EN: 0
; COMPUTE_PGM_RSRC2:TIDIG_COMP_CNT: 0
	.section	.text._ZN7rocprim17ROCPRIM_400000_NS6detail17trampoline_kernelINS0_14default_configENS1_25partition_config_selectorILNS1_17partition_subalgoE8EdNS0_10empty_typeEbEEZZNS1_14partition_implILS5_8ELb0ES3_jN6thrust23THRUST_200600_302600_NS6detail15normal_iteratorINSA_10device_ptrIdEEEEPS6_PKS6_NS0_5tupleIJSF_S6_EEENSJ_IJSG_SG_EEENS0_18inequality_wrapperINSA_8equal_toIdEEEEPmJS6_EEE10hipError_tPvRmT3_T4_T5_T6_T7_T9_mT8_P12ihipStream_tbDpT10_ENKUlT_T0_E_clISt17integral_constantIbLb0EES1A_EEDaS15_S16_EUlS15_E_NS1_11comp_targetILNS1_3genE9ELNS1_11target_archE1100ELNS1_3gpuE3ELNS1_3repE0EEENS1_30default_config_static_selectorELNS0_4arch9wavefront6targetE1EEEvT1_,"axG",@progbits,_ZN7rocprim17ROCPRIM_400000_NS6detail17trampoline_kernelINS0_14default_configENS1_25partition_config_selectorILNS1_17partition_subalgoE8EdNS0_10empty_typeEbEEZZNS1_14partition_implILS5_8ELb0ES3_jN6thrust23THRUST_200600_302600_NS6detail15normal_iteratorINSA_10device_ptrIdEEEEPS6_PKS6_NS0_5tupleIJSF_S6_EEENSJ_IJSG_SG_EEENS0_18inequality_wrapperINSA_8equal_toIdEEEEPmJS6_EEE10hipError_tPvRmT3_T4_T5_T6_T7_T9_mT8_P12ihipStream_tbDpT10_ENKUlT_T0_E_clISt17integral_constantIbLb0EES1A_EEDaS15_S16_EUlS15_E_NS1_11comp_targetILNS1_3genE9ELNS1_11target_archE1100ELNS1_3gpuE3ELNS1_3repE0EEENS1_30default_config_static_selectorELNS0_4arch9wavefront6targetE1EEEvT1_,comdat
	.protected	_ZN7rocprim17ROCPRIM_400000_NS6detail17trampoline_kernelINS0_14default_configENS1_25partition_config_selectorILNS1_17partition_subalgoE8EdNS0_10empty_typeEbEEZZNS1_14partition_implILS5_8ELb0ES3_jN6thrust23THRUST_200600_302600_NS6detail15normal_iteratorINSA_10device_ptrIdEEEEPS6_PKS6_NS0_5tupleIJSF_S6_EEENSJ_IJSG_SG_EEENS0_18inequality_wrapperINSA_8equal_toIdEEEEPmJS6_EEE10hipError_tPvRmT3_T4_T5_T6_T7_T9_mT8_P12ihipStream_tbDpT10_ENKUlT_T0_E_clISt17integral_constantIbLb0EES1A_EEDaS15_S16_EUlS15_E_NS1_11comp_targetILNS1_3genE9ELNS1_11target_archE1100ELNS1_3gpuE3ELNS1_3repE0EEENS1_30default_config_static_selectorELNS0_4arch9wavefront6targetE1EEEvT1_ ; -- Begin function _ZN7rocprim17ROCPRIM_400000_NS6detail17trampoline_kernelINS0_14default_configENS1_25partition_config_selectorILNS1_17partition_subalgoE8EdNS0_10empty_typeEbEEZZNS1_14partition_implILS5_8ELb0ES3_jN6thrust23THRUST_200600_302600_NS6detail15normal_iteratorINSA_10device_ptrIdEEEEPS6_PKS6_NS0_5tupleIJSF_S6_EEENSJ_IJSG_SG_EEENS0_18inequality_wrapperINSA_8equal_toIdEEEEPmJS6_EEE10hipError_tPvRmT3_T4_T5_T6_T7_T9_mT8_P12ihipStream_tbDpT10_ENKUlT_T0_E_clISt17integral_constantIbLb0EES1A_EEDaS15_S16_EUlS15_E_NS1_11comp_targetILNS1_3genE9ELNS1_11target_archE1100ELNS1_3gpuE3ELNS1_3repE0EEENS1_30default_config_static_selectorELNS0_4arch9wavefront6targetE1EEEvT1_
	.globl	_ZN7rocprim17ROCPRIM_400000_NS6detail17trampoline_kernelINS0_14default_configENS1_25partition_config_selectorILNS1_17partition_subalgoE8EdNS0_10empty_typeEbEEZZNS1_14partition_implILS5_8ELb0ES3_jN6thrust23THRUST_200600_302600_NS6detail15normal_iteratorINSA_10device_ptrIdEEEEPS6_PKS6_NS0_5tupleIJSF_S6_EEENSJ_IJSG_SG_EEENS0_18inequality_wrapperINSA_8equal_toIdEEEEPmJS6_EEE10hipError_tPvRmT3_T4_T5_T6_T7_T9_mT8_P12ihipStream_tbDpT10_ENKUlT_T0_E_clISt17integral_constantIbLb0EES1A_EEDaS15_S16_EUlS15_E_NS1_11comp_targetILNS1_3genE9ELNS1_11target_archE1100ELNS1_3gpuE3ELNS1_3repE0EEENS1_30default_config_static_selectorELNS0_4arch9wavefront6targetE1EEEvT1_
	.p2align	8
	.type	_ZN7rocprim17ROCPRIM_400000_NS6detail17trampoline_kernelINS0_14default_configENS1_25partition_config_selectorILNS1_17partition_subalgoE8EdNS0_10empty_typeEbEEZZNS1_14partition_implILS5_8ELb0ES3_jN6thrust23THRUST_200600_302600_NS6detail15normal_iteratorINSA_10device_ptrIdEEEEPS6_PKS6_NS0_5tupleIJSF_S6_EEENSJ_IJSG_SG_EEENS0_18inequality_wrapperINSA_8equal_toIdEEEEPmJS6_EEE10hipError_tPvRmT3_T4_T5_T6_T7_T9_mT8_P12ihipStream_tbDpT10_ENKUlT_T0_E_clISt17integral_constantIbLb0EES1A_EEDaS15_S16_EUlS15_E_NS1_11comp_targetILNS1_3genE9ELNS1_11target_archE1100ELNS1_3gpuE3ELNS1_3repE0EEENS1_30default_config_static_selectorELNS0_4arch9wavefront6targetE1EEEvT1_,@function
_ZN7rocprim17ROCPRIM_400000_NS6detail17trampoline_kernelINS0_14default_configENS1_25partition_config_selectorILNS1_17partition_subalgoE8EdNS0_10empty_typeEbEEZZNS1_14partition_implILS5_8ELb0ES3_jN6thrust23THRUST_200600_302600_NS6detail15normal_iteratorINSA_10device_ptrIdEEEEPS6_PKS6_NS0_5tupleIJSF_S6_EEENSJ_IJSG_SG_EEENS0_18inequality_wrapperINSA_8equal_toIdEEEEPmJS6_EEE10hipError_tPvRmT3_T4_T5_T6_T7_T9_mT8_P12ihipStream_tbDpT10_ENKUlT_T0_E_clISt17integral_constantIbLb0EES1A_EEDaS15_S16_EUlS15_E_NS1_11comp_targetILNS1_3genE9ELNS1_11target_archE1100ELNS1_3gpuE3ELNS1_3repE0EEENS1_30default_config_static_selectorELNS0_4arch9wavefront6targetE1EEEvT1_: ; @_ZN7rocprim17ROCPRIM_400000_NS6detail17trampoline_kernelINS0_14default_configENS1_25partition_config_selectorILNS1_17partition_subalgoE8EdNS0_10empty_typeEbEEZZNS1_14partition_implILS5_8ELb0ES3_jN6thrust23THRUST_200600_302600_NS6detail15normal_iteratorINSA_10device_ptrIdEEEEPS6_PKS6_NS0_5tupleIJSF_S6_EEENSJ_IJSG_SG_EEENS0_18inequality_wrapperINSA_8equal_toIdEEEEPmJS6_EEE10hipError_tPvRmT3_T4_T5_T6_T7_T9_mT8_P12ihipStream_tbDpT10_ENKUlT_T0_E_clISt17integral_constantIbLb0EES1A_EEDaS15_S16_EUlS15_E_NS1_11comp_targetILNS1_3genE9ELNS1_11target_archE1100ELNS1_3gpuE3ELNS1_3repE0EEENS1_30default_config_static_selectorELNS0_4arch9wavefront6targetE1EEEvT1_
; %bb.0:
	.section	.rodata,"a",@progbits
	.p2align	6, 0x0
	.amdhsa_kernel _ZN7rocprim17ROCPRIM_400000_NS6detail17trampoline_kernelINS0_14default_configENS1_25partition_config_selectorILNS1_17partition_subalgoE8EdNS0_10empty_typeEbEEZZNS1_14partition_implILS5_8ELb0ES3_jN6thrust23THRUST_200600_302600_NS6detail15normal_iteratorINSA_10device_ptrIdEEEEPS6_PKS6_NS0_5tupleIJSF_S6_EEENSJ_IJSG_SG_EEENS0_18inequality_wrapperINSA_8equal_toIdEEEEPmJS6_EEE10hipError_tPvRmT3_T4_T5_T6_T7_T9_mT8_P12ihipStream_tbDpT10_ENKUlT_T0_E_clISt17integral_constantIbLb0EES1A_EEDaS15_S16_EUlS15_E_NS1_11comp_targetILNS1_3genE9ELNS1_11target_archE1100ELNS1_3gpuE3ELNS1_3repE0EEENS1_30default_config_static_selectorELNS0_4arch9wavefront6targetE1EEEvT1_
		.amdhsa_group_segment_fixed_size 0
		.amdhsa_private_segment_fixed_size 0
		.amdhsa_kernarg_size 112
		.amdhsa_user_sgpr_count 6
		.amdhsa_user_sgpr_private_segment_buffer 1
		.amdhsa_user_sgpr_dispatch_ptr 0
		.amdhsa_user_sgpr_queue_ptr 0
		.amdhsa_user_sgpr_kernarg_segment_ptr 1
		.amdhsa_user_sgpr_dispatch_id 0
		.amdhsa_user_sgpr_flat_scratch_init 0
		.amdhsa_user_sgpr_private_segment_size 0
		.amdhsa_uses_dynamic_stack 0
		.amdhsa_system_sgpr_private_segment_wavefront_offset 0
		.amdhsa_system_sgpr_workgroup_id_x 1
		.amdhsa_system_sgpr_workgroup_id_y 0
		.amdhsa_system_sgpr_workgroup_id_z 0
		.amdhsa_system_sgpr_workgroup_info 0
		.amdhsa_system_vgpr_workitem_id 0
		.amdhsa_next_free_vgpr 1
		.amdhsa_next_free_sgpr 0
		.amdhsa_reserve_vcc 0
		.amdhsa_reserve_flat_scratch 0
		.amdhsa_float_round_mode_32 0
		.amdhsa_float_round_mode_16_64 0
		.amdhsa_float_denorm_mode_32 3
		.amdhsa_float_denorm_mode_16_64 3
		.amdhsa_dx10_clamp 1
		.amdhsa_ieee_mode 1
		.amdhsa_fp16_overflow 0
		.amdhsa_exception_fp_ieee_invalid_op 0
		.amdhsa_exception_fp_denorm_src 0
		.amdhsa_exception_fp_ieee_div_zero 0
		.amdhsa_exception_fp_ieee_overflow 0
		.amdhsa_exception_fp_ieee_underflow 0
		.amdhsa_exception_fp_ieee_inexact 0
		.amdhsa_exception_int_div_zero 0
	.end_amdhsa_kernel
	.section	.text._ZN7rocprim17ROCPRIM_400000_NS6detail17trampoline_kernelINS0_14default_configENS1_25partition_config_selectorILNS1_17partition_subalgoE8EdNS0_10empty_typeEbEEZZNS1_14partition_implILS5_8ELb0ES3_jN6thrust23THRUST_200600_302600_NS6detail15normal_iteratorINSA_10device_ptrIdEEEEPS6_PKS6_NS0_5tupleIJSF_S6_EEENSJ_IJSG_SG_EEENS0_18inequality_wrapperINSA_8equal_toIdEEEEPmJS6_EEE10hipError_tPvRmT3_T4_T5_T6_T7_T9_mT8_P12ihipStream_tbDpT10_ENKUlT_T0_E_clISt17integral_constantIbLb0EES1A_EEDaS15_S16_EUlS15_E_NS1_11comp_targetILNS1_3genE9ELNS1_11target_archE1100ELNS1_3gpuE3ELNS1_3repE0EEENS1_30default_config_static_selectorELNS0_4arch9wavefront6targetE1EEEvT1_,"axG",@progbits,_ZN7rocprim17ROCPRIM_400000_NS6detail17trampoline_kernelINS0_14default_configENS1_25partition_config_selectorILNS1_17partition_subalgoE8EdNS0_10empty_typeEbEEZZNS1_14partition_implILS5_8ELb0ES3_jN6thrust23THRUST_200600_302600_NS6detail15normal_iteratorINSA_10device_ptrIdEEEEPS6_PKS6_NS0_5tupleIJSF_S6_EEENSJ_IJSG_SG_EEENS0_18inequality_wrapperINSA_8equal_toIdEEEEPmJS6_EEE10hipError_tPvRmT3_T4_T5_T6_T7_T9_mT8_P12ihipStream_tbDpT10_ENKUlT_T0_E_clISt17integral_constantIbLb0EES1A_EEDaS15_S16_EUlS15_E_NS1_11comp_targetILNS1_3genE9ELNS1_11target_archE1100ELNS1_3gpuE3ELNS1_3repE0EEENS1_30default_config_static_selectorELNS0_4arch9wavefront6targetE1EEEvT1_,comdat
.Lfunc_end10:
	.size	_ZN7rocprim17ROCPRIM_400000_NS6detail17trampoline_kernelINS0_14default_configENS1_25partition_config_selectorILNS1_17partition_subalgoE8EdNS0_10empty_typeEbEEZZNS1_14partition_implILS5_8ELb0ES3_jN6thrust23THRUST_200600_302600_NS6detail15normal_iteratorINSA_10device_ptrIdEEEEPS6_PKS6_NS0_5tupleIJSF_S6_EEENSJ_IJSG_SG_EEENS0_18inequality_wrapperINSA_8equal_toIdEEEEPmJS6_EEE10hipError_tPvRmT3_T4_T5_T6_T7_T9_mT8_P12ihipStream_tbDpT10_ENKUlT_T0_E_clISt17integral_constantIbLb0EES1A_EEDaS15_S16_EUlS15_E_NS1_11comp_targetILNS1_3genE9ELNS1_11target_archE1100ELNS1_3gpuE3ELNS1_3repE0EEENS1_30default_config_static_selectorELNS0_4arch9wavefront6targetE1EEEvT1_, .Lfunc_end10-_ZN7rocprim17ROCPRIM_400000_NS6detail17trampoline_kernelINS0_14default_configENS1_25partition_config_selectorILNS1_17partition_subalgoE8EdNS0_10empty_typeEbEEZZNS1_14partition_implILS5_8ELb0ES3_jN6thrust23THRUST_200600_302600_NS6detail15normal_iteratorINSA_10device_ptrIdEEEEPS6_PKS6_NS0_5tupleIJSF_S6_EEENSJ_IJSG_SG_EEENS0_18inequality_wrapperINSA_8equal_toIdEEEEPmJS6_EEE10hipError_tPvRmT3_T4_T5_T6_T7_T9_mT8_P12ihipStream_tbDpT10_ENKUlT_T0_E_clISt17integral_constantIbLb0EES1A_EEDaS15_S16_EUlS15_E_NS1_11comp_targetILNS1_3genE9ELNS1_11target_archE1100ELNS1_3gpuE3ELNS1_3repE0EEENS1_30default_config_static_selectorELNS0_4arch9wavefront6targetE1EEEvT1_
                                        ; -- End function
	.set _ZN7rocprim17ROCPRIM_400000_NS6detail17trampoline_kernelINS0_14default_configENS1_25partition_config_selectorILNS1_17partition_subalgoE8EdNS0_10empty_typeEbEEZZNS1_14partition_implILS5_8ELb0ES3_jN6thrust23THRUST_200600_302600_NS6detail15normal_iteratorINSA_10device_ptrIdEEEEPS6_PKS6_NS0_5tupleIJSF_S6_EEENSJ_IJSG_SG_EEENS0_18inequality_wrapperINSA_8equal_toIdEEEEPmJS6_EEE10hipError_tPvRmT3_T4_T5_T6_T7_T9_mT8_P12ihipStream_tbDpT10_ENKUlT_T0_E_clISt17integral_constantIbLb0EES1A_EEDaS15_S16_EUlS15_E_NS1_11comp_targetILNS1_3genE9ELNS1_11target_archE1100ELNS1_3gpuE3ELNS1_3repE0EEENS1_30default_config_static_selectorELNS0_4arch9wavefront6targetE1EEEvT1_.num_vgpr, 0
	.set _ZN7rocprim17ROCPRIM_400000_NS6detail17trampoline_kernelINS0_14default_configENS1_25partition_config_selectorILNS1_17partition_subalgoE8EdNS0_10empty_typeEbEEZZNS1_14partition_implILS5_8ELb0ES3_jN6thrust23THRUST_200600_302600_NS6detail15normal_iteratorINSA_10device_ptrIdEEEEPS6_PKS6_NS0_5tupleIJSF_S6_EEENSJ_IJSG_SG_EEENS0_18inequality_wrapperINSA_8equal_toIdEEEEPmJS6_EEE10hipError_tPvRmT3_T4_T5_T6_T7_T9_mT8_P12ihipStream_tbDpT10_ENKUlT_T0_E_clISt17integral_constantIbLb0EES1A_EEDaS15_S16_EUlS15_E_NS1_11comp_targetILNS1_3genE9ELNS1_11target_archE1100ELNS1_3gpuE3ELNS1_3repE0EEENS1_30default_config_static_selectorELNS0_4arch9wavefront6targetE1EEEvT1_.num_agpr, 0
	.set _ZN7rocprim17ROCPRIM_400000_NS6detail17trampoline_kernelINS0_14default_configENS1_25partition_config_selectorILNS1_17partition_subalgoE8EdNS0_10empty_typeEbEEZZNS1_14partition_implILS5_8ELb0ES3_jN6thrust23THRUST_200600_302600_NS6detail15normal_iteratorINSA_10device_ptrIdEEEEPS6_PKS6_NS0_5tupleIJSF_S6_EEENSJ_IJSG_SG_EEENS0_18inequality_wrapperINSA_8equal_toIdEEEEPmJS6_EEE10hipError_tPvRmT3_T4_T5_T6_T7_T9_mT8_P12ihipStream_tbDpT10_ENKUlT_T0_E_clISt17integral_constantIbLb0EES1A_EEDaS15_S16_EUlS15_E_NS1_11comp_targetILNS1_3genE9ELNS1_11target_archE1100ELNS1_3gpuE3ELNS1_3repE0EEENS1_30default_config_static_selectorELNS0_4arch9wavefront6targetE1EEEvT1_.numbered_sgpr, 0
	.set _ZN7rocprim17ROCPRIM_400000_NS6detail17trampoline_kernelINS0_14default_configENS1_25partition_config_selectorILNS1_17partition_subalgoE8EdNS0_10empty_typeEbEEZZNS1_14partition_implILS5_8ELb0ES3_jN6thrust23THRUST_200600_302600_NS6detail15normal_iteratorINSA_10device_ptrIdEEEEPS6_PKS6_NS0_5tupleIJSF_S6_EEENSJ_IJSG_SG_EEENS0_18inequality_wrapperINSA_8equal_toIdEEEEPmJS6_EEE10hipError_tPvRmT3_T4_T5_T6_T7_T9_mT8_P12ihipStream_tbDpT10_ENKUlT_T0_E_clISt17integral_constantIbLb0EES1A_EEDaS15_S16_EUlS15_E_NS1_11comp_targetILNS1_3genE9ELNS1_11target_archE1100ELNS1_3gpuE3ELNS1_3repE0EEENS1_30default_config_static_selectorELNS0_4arch9wavefront6targetE1EEEvT1_.num_named_barrier, 0
	.set _ZN7rocprim17ROCPRIM_400000_NS6detail17trampoline_kernelINS0_14default_configENS1_25partition_config_selectorILNS1_17partition_subalgoE8EdNS0_10empty_typeEbEEZZNS1_14partition_implILS5_8ELb0ES3_jN6thrust23THRUST_200600_302600_NS6detail15normal_iteratorINSA_10device_ptrIdEEEEPS6_PKS6_NS0_5tupleIJSF_S6_EEENSJ_IJSG_SG_EEENS0_18inequality_wrapperINSA_8equal_toIdEEEEPmJS6_EEE10hipError_tPvRmT3_T4_T5_T6_T7_T9_mT8_P12ihipStream_tbDpT10_ENKUlT_T0_E_clISt17integral_constantIbLb0EES1A_EEDaS15_S16_EUlS15_E_NS1_11comp_targetILNS1_3genE9ELNS1_11target_archE1100ELNS1_3gpuE3ELNS1_3repE0EEENS1_30default_config_static_selectorELNS0_4arch9wavefront6targetE1EEEvT1_.private_seg_size, 0
	.set _ZN7rocprim17ROCPRIM_400000_NS6detail17trampoline_kernelINS0_14default_configENS1_25partition_config_selectorILNS1_17partition_subalgoE8EdNS0_10empty_typeEbEEZZNS1_14partition_implILS5_8ELb0ES3_jN6thrust23THRUST_200600_302600_NS6detail15normal_iteratorINSA_10device_ptrIdEEEEPS6_PKS6_NS0_5tupleIJSF_S6_EEENSJ_IJSG_SG_EEENS0_18inequality_wrapperINSA_8equal_toIdEEEEPmJS6_EEE10hipError_tPvRmT3_T4_T5_T6_T7_T9_mT8_P12ihipStream_tbDpT10_ENKUlT_T0_E_clISt17integral_constantIbLb0EES1A_EEDaS15_S16_EUlS15_E_NS1_11comp_targetILNS1_3genE9ELNS1_11target_archE1100ELNS1_3gpuE3ELNS1_3repE0EEENS1_30default_config_static_selectorELNS0_4arch9wavefront6targetE1EEEvT1_.uses_vcc, 0
	.set _ZN7rocprim17ROCPRIM_400000_NS6detail17trampoline_kernelINS0_14default_configENS1_25partition_config_selectorILNS1_17partition_subalgoE8EdNS0_10empty_typeEbEEZZNS1_14partition_implILS5_8ELb0ES3_jN6thrust23THRUST_200600_302600_NS6detail15normal_iteratorINSA_10device_ptrIdEEEEPS6_PKS6_NS0_5tupleIJSF_S6_EEENSJ_IJSG_SG_EEENS0_18inequality_wrapperINSA_8equal_toIdEEEEPmJS6_EEE10hipError_tPvRmT3_T4_T5_T6_T7_T9_mT8_P12ihipStream_tbDpT10_ENKUlT_T0_E_clISt17integral_constantIbLb0EES1A_EEDaS15_S16_EUlS15_E_NS1_11comp_targetILNS1_3genE9ELNS1_11target_archE1100ELNS1_3gpuE3ELNS1_3repE0EEENS1_30default_config_static_selectorELNS0_4arch9wavefront6targetE1EEEvT1_.uses_flat_scratch, 0
	.set _ZN7rocprim17ROCPRIM_400000_NS6detail17trampoline_kernelINS0_14default_configENS1_25partition_config_selectorILNS1_17partition_subalgoE8EdNS0_10empty_typeEbEEZZNS1_14partition_implILS5_8ELb0ES3_jN6thrust23THRUST_200600_302600_NS6detail15normal_iteratorINSA_10device_ptrIdEEEEPS6_PKS6_NS0_5tupleIJSF_S6_EEENSJ_IJSG_SG_EEENS0_18inequality_wrapperINSA_8equal_toIdEEEEPmJS6_EEE10hipError_tPvRmT3_T4_T5_T6_T7_T9_mT8_P12ihipStream_tbDpT10_ENKUlT_T0_E_clISt17integral_constantIbLb0EES1A_EEDaS15_S16_EUlS15_E_NS1_11comp_targetILNS1_3genE9ELNS1_11target_archE1100ELNS1_3gpuE3ELNS1_3repE0EEENS1_30default_config_static_selectorELNS0_4arch9wavefront6targetE1EEEvT1_.has_dyn_sized_stack, 0
	.set _ZN7rocprim17ROCPRIM_400000_NS6detail17trampoline_kernelINS0_14default_configENS1_25partition_config_selectorILNS1_17partition_subalgoE8EdNS0_10empty_typeEbEEZZNS1_14partition_implILS5_8ELb0ES3_jN6thrust23THRUST_200600_302600_NS6detail15normal_iteratorINSA_10device_ptrIdEEEEPS6_PKS6_NS0_5tupleIJSF_S6_EEENSJ_IJSG_SG_EEENS0_18inequality_wrapperINSA_8equal_toIdEEEEPmJS6_EEE10hipError_tPvRmT3_T4_T5_T6_T7_T9_mT8_P12ihipStream_tbDpT10_ENKUlT_T0_E_clISt17integral_constantIbLb0EES1A_EEDaS15_S16_EUlS15_E_NS1_11comp_targetILNS1_3genE9ELNS1_11target_archE1100ELNS1_3gpuE3ELNS1_3repE0EEENS1_30default_config_static_selectorELNS0_4arch9wavefront6targetE1EEEvT1_.has_recursion, 0
	.set _ZN7rocprim17ROCPRIM_400000_NS6detail17trampoline_kernelINS0_14default_configENS1_25partition_config_selectorILNS1_17partition_subalgoE8EdNS0_10empty_typeEbEEZZNS1_14partition_implILS5_8ELb0ES3_jN6thrust23THRUST_200600_302600_NS6detail15normal_iteratorINSA_10device_ptrIdEEEEPS6_PKS6_NS0_5tupleIJSF_S6_EEENSJ_IJSG_SG_EEENS0_18inequality_wrapperINSA_8equal_toIdEEEEPmJS6_EEE10hipError_tPvRmT3_T4_T5_T6_T7_T9_mT8_P12ihipStream_tbDpT10_ENKUlT_T0_E_clISt17integral_constantIbLb0EES1A_EEDaS15_S16_EUlS15_E_NS1_11comp_targetILNS1_3genE9ELNS1_11target_archE1100ELNS1_3gpuE3ELNS1_3repE0EEENS1_30default_config_static_selectorELNS0_4arch9wavefront6targetE1EEEvT1_.has_indirect_call, 0
	.section	.AMDGPU.csdata,"",@progbits
; Kernel info:
; codeLenInByte = 0
; TotalNumSgprs: 4
; NumVgprs: 0
; ScratchSize: 0
; MemoryBound: 0
; FloatMode: 240
; IeeeMode: 1
; LDSByteSize: 0 bytes/workgroup (compile time only)
; SGPRBlocks: 0
; VGPRBlocks: 0
; NumSGPRsForWavesPerEU: 4
; NumVGPRsForWavesPerEU: 1
; Occupancy: 10
; WaveLimiterHint : 0
; COMPUTE_PGM_RSRC2:SCRATCH_EN: 0
; COMPUTE_PGM_RSRC2:USER_SGPR: 6
; COMPUTE_PGM_RSRC2:TRAP_HANDLER: 0
; COMPUTE_PGM_RSRC2:TGID_X_EN: 1
; COMPUTE_PGM_RSRC2:TGID_Y_EN: 0
; COMPUTE_PGM_RSRC2:TGID_Z_EN: 0
; COMPUTE_PGM_RSRC2:TIDIG_COMP_CNT: 0
	.section	.text._ZN7rocprim17ROCPRIM_400000_NS6detail17trampoline_kernelINS0_14default_configENS1_25partition_config_selectorILNS1_17partition_subalgoE8EdNS0_10empty_typeEbEEZZNS1_14partition_implILS5_8ELb0ES3_jN6thrust23THRUST_200600_302600_NS6detail15normal_iteratorINSA_10device_ptrIdEEEEPS6_PKS6_NS0_5tupleIJSF_S6_EEENSJ_IJSG_SG_EEENS0_18inequality_wrapperINSA_8equal_toIdEEEEPmJS6_EEE10hipError_tPvRmT3_T4_T5_T6_T7_T9_mT8_P12ihipStream_tbDpT10_ENKUlT_T0_E_clISt17integral_constantIbLb0EES1A_EEDaS15_S16_EUlS15_E_NS1_11comp_targetILNS1_3genE8ELNS1_11target_archE1030ELNS1_3gpuE2ELNS1_3repE0EEENS1_30default_config_static_selectorELNS0_4arch9wavefront6targetE1EEEvT1_,"axG",@progbits,_ZN7rocprim17ROCPRIM_400000_NS6detail17trampoline_kernelINS0_14default_configENS1_25partition_config_selectorILNS1_17partition_subalgoE8EdNS0_10empty_typeEbEEZZNS1_14partition_implILS5_8ELb0ES3_jN6thrust23THRUST_200600_302600_NS6detail15normal_iteratorINSA_10device_ptrIdEEEEPS6_PKS6_NS0_5tupleIJSF_S6_EEENSJ_IJSG_SG_EEENS0_18inequality_wrapperINSA_8equal_toIdEEEEPmJS6_EEE10hipError_tPvRmT3_T4_T5_T6_T7_T9_mT8_P12ihipStream_tbDpT10_ENKUlT_T0_E_clISt17integral_constantIbLb0EES1A_EEDaS15_S16_EUlS15_E_NS1_11comp_targetILNS1_3genE8ELNS1_11target_archE1030ELNS1_3gpuE2ELNS1_3repE0EEENS1_30default_config_static_selectorELNS0_4arch9wavefront6targetE1EEEvT1_,comdat
	.protected	_ZN7rocprim17ROCPRIM_400000_NS6detail17trampoline_kernelINS0_14default_configENS1_25partition_config_selectorILNS1_17partition_subalgoE8EdNS0_10empty_typeEbEEZZNS1_14partition_implILS5_8ELb0ES3_jN6thrust23THRUST_200600_302600_NS6detail15normal_iteratorINSA_10device_ptrIdEEEEPS6_PKS6_NS0_5tupleIJSF_S6_EEENSJ_IJSG_SG_EEENS0_18inequality_wrapperINSA_8equal_toIdEEEEPmJS6_EEE10hipError_tPvRmT3_T4_T5_T6_T7_T9_mT8_P12ihipStream_tbDpT10_ENKUlT_T0_E_clISt17integral_constantIbLb0EES1A_EEDaS15_S16_EUlS15_E_NS1_11comp_targetILNS1_3genE8ELNS1_11target_archE1030ELNS1_3gpuE2ELNS1_3repE0EEENS1_30default_config_static_selectorELNS0_4arch9wavefront6targetE1EEEvT1_ ; -- Begin function _ZN7rocprim17ROCPRIM_400000_NS6detail17trampoline_kernelINS0_14default_configENS1_25partition_config_selectorILNS1_17partition_subalgoE8EdNS0_10empty_typeEbEEZZNS1_14partition_implILS5_8ELb0ES3_jN6thrust23THRUST_200600_302600_NS6detail15normal_iteratorINSA_10device_ptrIdEEEEPS6_PKS6_NS0_5tupleIJSF_S6_EEENSJ_IJSG_SG_EEENS0_18inequality_wrapperINSA_8equal_toIdEEEEPmJS6_EEE10hipError_tPvRmT3_T4_T5_T6_T7_T9_mT8_P12ihipStream_tbDpT10_ENKUlT_T0_E_clISt17integral_constantIbLb0EES1A_EEDaS15_S16_EUlS15_E_NS1_11comp_targetILNS1_3genE8ELNS1_11target_archE1030ELNS1_3gpuE2ELNS1_3repE0EEENS1_30default_config_static_selectorELNS0_4arch9wavefront6targetE1EEEvT1_
	.globl	_ZN7rocprim17ROCPRIM_400000_NS6detail17trampoline_kernelINS0_14default_configENS1_25partition_config_selectorILNS1_17partition_subalgoE8EdNS0_10empty_typeEbEEZZNS1_14partition_implILS5_8ELb0ES3_jN6thrust23THRUST_200600_302600_NS6detail15normal_iteratorINSA_10device_ptrIdEEEEPS6_PKS6_NS0_5tupleIJSF_S6_EEENSJ_IJSG_SG_EEENS0_18inequality_wrapperINSA_8equal_toIdEEEEPmJS6_EEE10hipError_tPvRmT3_T4_T5_T6_T7_T9_mT8_P12ihipStream_tbDpT10_ENKUlT_T0_E_clISt17integral_constantIbLb0EES1A_EEDaS15_S16_EUlS15_E_NS1_11comp_targetILNS1_3genE8ELNS1_11target_archE1030ELNS1_3gpuE2ELNS1_3repE0EEENS1_30default_config_static_selectorELNS0_4arch9wavefront6targetE1EEEvT1_
	.p2align	8
	.type	_ZN7rocprim17ROCPRIM_400000_NS6detail17trampoline_kernelINS0_14default_configENS1_25partition_config_selectorILNS1_17partition_subalgoE8EdNS0_10empty_typeEbEEZZNS1_14partition_implILS5_8ELb0ES3_jN6thrust23THRUST_200600_302600_NS6detail15normal_iteratorINSA_10device_ptrIdEEEEPS6_PKS6_NS0_5tupleIJSF_S6_EEENSJ_IJSG_SG_EEENS0_18inequality_wrapperINSA_8equal_toIdEEEEPmJS6_EEE10hipError_tPvRmT3_T4_T5_T6_T7_T9_mT8_P12ihipStream_tbDpT10_ENKUlT_T0_E_clISt17integral_constantIbLb0EES1A_EEDaS15_S16_EUlS15_E_NS1_11comp_targetILNS1_3genE8ELNS1_11target_archE1030ELNS1_3gpuE2ELNS1_3repE0EEENS1_30default_config_static_selectorELNS0_4arch9wavefront6targetE1EEEvT1_,@function
_ZN7rocprim17ROCPRIM_400000_NS6detail17trampoline_kernelINS0_14default_configENS1_25partition_config_selectorILNS1_17partition_subalgoE8EdNS0_10empty_typeEbEEZZNS1_14partition_implILS5_8ELb0ES3_jN6thrust23THRUST_200600_302600_NS6detail15normal_iteratorINSA_10device_ptrIdEEEEPS6_PKS6_NS0_5tupleIJSF_S6_EEENSJ_IJSG_SG_EEENS0_18inequality_wrapperINSA_8equal_toIdEEEEPmJS6_EEE10hipError_tPvRmT3_T4_T5_T6_T7_T9_mT8_P12ihipStream_tbDpT10_ENKUlT_T0_E_clISt17integral_constantIbLb0EES1A_EEDaS15_S16_EUlS15_E_NS1_11comp_targetILNS1_3genE8ELNS1_11target_archE1030ELNS1_3gpuE2ELNS1_3repE0EEENS1_30default_config_static_selectorELNS0_4arch9wavefront6targetE1EEEvT1_: ; @_ZN7rocprim17ROCPRIM_400000_NS6detail17trampoline_kernelINS0_14default_configENS1_25partition_config_selectorILNS1_17partition_subalgoE8EdNS0_10empty_typeEbEEZZNS1_14partition_implILS5_8ELb0ES3_jN6thrust23THRUST_200600_302600_NS6detail15normal_iteratorINSA_10device_ptrIdEEEEPS6_PKS6_NS0_5tupleIJSF_S6_EEENSJ_IJSG_SG_EEENS0_18inequality_wrapperINSA_8equal_toIdEEEEPmJS6_EEE10hipError_tPvRmT3_T4_T5_T6_T7_T9_mT8_P12ihipStream_tbDpT10_ENKUlT_T0_E_clISt17integral_constantIbLb0EES1A_EEDaS15_S16_EUlS15_E_NS1_11comp_targetILNS1_3genE8ELNS1_11target_archE1030ELNS1_3gpuE2ELNS1_3repE0EEENS1_30default_config_static_selectorELNS0_4arch9wavefront6targetE1EEEvT1_
; %bb.0:
	.section	.rodata,"a",@progbits
	.p2align	6, 0x0
	.amdhsa_kernel _ZN7rocprim17ROCPRIM_400000_NS6detail17trampoline_kernelINS0_14default_configENS1_25partition_config_selectorILNS1_17partition_subalgoE8EdNS0_10empty_typeEbEEZZNS1_14partition_implILS5_8ELb0ES3_jN6thrust23THRUST_200600_302600_NS6detail15normal_iteratorINSA_10device_ptrIdEEEEPS6_PKS6_NS0_5tupleIJSF_S6_EEENSJ_IJSG_SG_EEENS0_18inequality_wrapperINSA_8equal_toIdEEEEPmJS6_EEE10hipError_tPvRmT3_T4_T5_T6_T7_T9_mT8_P12ihipStream_tbDpT10_ENKUlT_T0_E_clISt17integral_constantIbLb0EES1A_EEDaS15_S16_EUlS15_E_NS1_11comp_targetILNS1_3genE8ELNS1_11target_archE1030ELNS1_3gpuE2ELNS1_3repE0EEENS1_30default_config_static_selectorELNS0_4arch9wavefront6targetE1EEEvT1_
		.amdhsa_group_segment_fixed_size 0
		.amdhsa_private_segment_fixed_size 0
		.amdhsa_kernarg_size 112
		.amdhsa_user_sgpr_count 6
		.amdhsa_user_sgpr_private_segment_buffer 1
		.amdhsa_user_sgpr_dispatch_ptr 0
		.amdhsa_user_sgpr_queue_ptr 0
		.amdhsa_user_sgpr_kernarg_segment_ptr 1
		.amdhsa_user_sgpr_dispatch_id 0
		.amdhsa_user_sgpr_flat_scratch_init 0
		.amdhsa_user_sgpr_private_segment_size 0
		.amdhsa_uses_dynamic_stack 0
		.amdhsa_system_sgpr_private_segment_wavefront_offset 0
		.amdhsa_system_sgpr_workgroup_id_x 1
		.amdhsa_system_sgpr_workgroup_id_y 0
		.amdhsa_system_sgpr_workgroup_id_z 0
		.amdhsa_system_sgpr_workgroup_info 0
		.amdhsa_system_vgpr_workitem_id 0
		.amdhsa_next_free_vgpr 1
		.amdhsa_next_free_sgpr 0
		.amdhsa_reserve_vcc 0
		.amdhsa_reserve_flat_scratch 0
		.amdhsa_float_round_mode_32 0
		.amdhsa_float_round_mode_16_64 0
		.amdhsa_float_denorm_mode_32 3
		.amdhsa_float_denorm_mode_16_64 3
		.amdhsa_dx10_clamp 1
		.amdhsa_ieee_mode 1
		.amdhsa_fp16_overflow 0
		.amdhsa_exception_fp_ieee_invalid_op 0
		.amdhsa_exception_fp_denorm_src 0
		.amdhsa_exception_fp_ieee_div_zero 0
		.amdhsa_exception_fp_ieee_overflow 0
		.amdhsa_exception_fp_ieee_underflow 0
		.amdhsa_exception_fp_ieee_inexact 0
		.amdhsa_exception_int_div_zero 0
	.end_amdhsa_kernel
	.section	.text._ZN7rocprim17ROCPRIM_400000_NS6detail17trampoline_kernelINS0_14default_configENS1_25partition_config_selectorILNS1_17partition_subalgoE8EdNS0_10empty_typeEbEEZZNS1_14partition_implILS5_8ELb0ES3_jN6thrust23THRUST_200600_302600_NS6detail15normal_iteratorINSA_10device_ptrIdEEEEPS6_PKS6_NS0_5tupleIJSF_S6_EEENSJ_IJSG_SG_EEENS0_18inequality_wrapperINSA_8equal_toIdEEEEPmJS6_EEE10hipError_tPvRmT3_T4_T5_T6_T7_T9_mT8_P12ihipStream_tbDpT10_ENKUlT_T0_E_clISt17integral_constantIbLb0EES1A_EEDaS15_S16_EUlS15_E_NS1_11comp_targetILNS1_3genE8ELNS1_11target_archE1030ELNS1_3gpuE2ELNS1_3repE0EEENS1_30default_config_static_selectorELNS0_4arch9wavefront6targetE1EEEvT1_,"axG",@progbits,_ZN7rocprim17ROCPRIM_400000_NS6detail17trampoline_kernelINS0_14default_configENS1_25partition_config_selectorILNS1_17partition_subalgoE8EdNS0_10empty_typeEbEEZZNS1_14partition_implILS5_8ELb0ES3_jN6thrust23THRUST_200600_302600_NS6detail15normal_iteratorINSA_10device_ptrIdEEEEPS6_PKS6_NS0_5tupleIJSF_S6_EEENSJ_IJSG_SG_EEENS0_18inequality_wrapperINSA_8equal_toIdEEEEPmJS6_EEE10hipError_tPvRmT3_T4_T5_T6_T7_T9_mT8_P12ihipStream_tbDpT10_ENKUlT_T0_E_clISt17integral_constantIbLb0EES1A_EEDaS15_S16_EUlS15_E_NS1_11comp_targetILNS1_3genE8ELNS1_11target_archE1030ELNS1_3gpuE2ELNS1_3repE0EEENS1_30default_config_static_selectorELNS0_4arch9wavefront6targetE1EEEvT1_,comdat
.Lfunc_end11:
	.size	_ZN7rocprim17ROCPRIM_400000_NS6detail17trampoline_kernelINS0_14default_configENS1_25partition_config_selectorILNS1_17partition_subalgoE8EdNS0_10empty_typeEbEEZZNS1_14partition_implILS5_8ELb0ES3_jN6thrust23THRUST_200600_302600_NS6detail15normal_iteratorINSA_10device_ptrIdEEEEPS6_PKS6_NS0_5tupleIJSF_S6_EEENSJ_IJSG_SG_EEENS0_18inequality_wrapperINSA_8equal_toIdEEEEPmJS6_EEE10hipError_tPvRmT3_T4_T5_T6_T7_T9_mT8_P12ihipStream_tbDpT10_ENKUlT_T0_E_clISt17integral_constantIbLb0EES1A_EEDaS15_S16_EUlS15_E_NS1_11comp_targetILNS1_3genE8ELNS1_11target_archE1030ELNS1_3gpuE2ELNS1_3repE0EEENS1_30default_config_static_selectorELNS0_4arch9wavefront6targetE1EEEvT1_, .Lfunc_end11-_ZN7rocprim17ROCPRIM_400000_NS6detail17trampoline_kernelINS0_14default_configENS1_25partition_config_selectorILNS1_17partition_subalgoE8EdNS0_10empty_typeEbEEZZNS1_14partition_implILS5_8ELb0ES3_jN6thrust23THRUST_200600_302600_NS6detail15normal_iteratorINSA_10device_ptrIdEEEEPS6_PKS6_NS0_5tupleIJSF_S6_EEENSJ_IJSG_SG_EEENS0_18inequality_wrapperINSA_8equal_toIdEEEEPmJS6_EEE10hipError_tPvRmT3_T4_T5_T6_T7_T9_mT8_P12ihipStream_tbDpT10_ENKUlT_T0_E_clISt17integral_constantIbLb0EES1A_EEDaS15_S16_EUlS15_E_NS1_11comp_targetILNS1_3genE8ELNS1_11target_archE1030ELNS1_3gpuE2ELNS1_3repE0EEENS1_30default_config_static_selectorELNS0_4arch9wavefront6targetE1EEEvT1_
                                        ; -- End function
	.set _ZN7rocprim17ROCPRIM_400000_NS6detail17trampoline_kernelINS0_14default_configENS1_25partition_config_selectorILNS1_17partition_subalgoE8EdNS0_10empty_typeEbEEZZNS1_14partition_implILS5_8ELb0ES3_jN6thrust23THRUST_200600_302600_NS6detail15normal_iteratorINSA_10device_ptrIdEEEEPS6_PKS6_NS0_5tupleIJSF_S6_EEENSJ_IJSG_SG_EEENS0_18inequality_wrapperINSA_8equal_toIdEEEEPmJS6_EEE10hipError_tPvRmT3_T4_T5_T6_T7_T9_mT8_P12ihipStream_tbDpT10_ENKUlT_T0_E_clISt17integral_constantIbLb0EES1A_EEDaS15_S16_EUlS15_E_NS1_11comp_targetILNS1_3genE8ELNS1_11target_archE1030ELNS1_3gpuE2ELNS1_3repE0EEENS1_30default_config_static_selectorELNS0_4arch9wavefront6targetE1EEEvT1_.num_vgpr, 0
	.set _ZN7rocprim17ROCPRIM_400000_NS6detail17trampoline_kernelINS0_14default_configENS1_25partition_config_selectorILNS1_17partition_subalgoE8EdNS0_10empty_typeEbEEZZNS1_14partition_implILS5_8ELb0ES3_jN6thrust23THRUST_200600_302600_NS6detail15normal_iteratorINSA_10device_ptrIdEEEEPS6_PKS6_NS0_5tupleIJSF_S6_EEENSJ_IJSG_SG_EEENS0_18inequality_wrapperINSA_8equal_toIdEEEEPmJS6_EEE10hipError_tPvRmT3_T4_T5_T6_T7_T9_mT8_P12ihipStream_tbDpT10_ENKUlT_T0_E_clISt17integral_constantIbLb0EES1A_EEDaS15_S16_EUlS15_E_NS1_11comp_targetILNS1_3genE8ELNS1_11target_archE1030ELNS1_3gpuE2ELNS1_3repE0EEENS1_30default_config_static_selectorELNS0_4arch9wavefront6targetE1EEEvT1_.num_agpr, 0
	.set _ZN7rocprim17ROCPRIM_400000_NS6detail17trampoline_kernelINS0_14default_configENS1_25partition_config_selectorILNS1_17partition_subalgoE8EdNS0_10empty_typeEbEEZZNS1_14partition_implILS5_8ELb0ES3_jN6thrust23THRUST_200600_302600_NS6detail15normal_iteratorINSA_10device_ptrIdEEEEPS6_PKS6_NS0_5tupleIJSF_S6_EEENSJ_IJSG_SG_EEENS0_18inequality_wrapperINSA_8equal_toIdEEEEPmJS6_EEE10hipError_tPvRmT3_T4_T5_T6_T7_T9_mT8_P12ihipStream_tbDpT10_ENKUlT_T0_E_clISt17integral_constantIbLb0EES1A_EEDaS15_S16_EUlS15_E_NS1_11comp_targetILNS1_3genE8ELNS1_11target_archE1030ELNS1_3gpuE2ELNS1_3repE0EEENS1_30default_config_static_selectorELNS0_4arch9wavefront6targetE1EEEvT1_.numbered_sgpr, 0
	.set _ZN7rocprim17ROCPRIM_400000_NS6detail17trampoline_kernelINS0_14default_configENS1_25partition_config_selectorILNS1_17partition_subalgoE8EdNS0_10empty_typeEbEEZZNS1_14partition_implILS5_8ELb0ES3_jN6thrust23THRUST_200600_302600_NS6detail15normal_iteratorINSA_10device_ptrIdEEEEPS6_PKS6_NS0_5tupleIJSF_S6_EEENSJ_IJSG_SG_EEENS0_18inequality_wrapperINSA_8equal_toIdEEEEPmJS6_EEE10hipError_tPvRmT3_T4_T5_T6_T7_T9_mT8_P12ihipStream_tbDpT10_ENKUlT_T0_E_clISt17integral_constantIbLb0EES1A_EEDaS15_S16_EUlS15_E_NS1_11comp_targetILNS1_3genE8ELNS1_11target_archE1030ELNS1_3gpuE2ELNS1_3repE0EEENS1_30default_config_static_selectorELNS0_4arch9wavefront6targetE1EEEvT1_.num_named_barrier, 0
	.set _ZN7rocprim17ROCPRIM_400000_NS6detail17trampoline_kernelINS0_14default_configENS1_25partition_config_selectorILNS1_17partition_subalgoE8EdNS0_10empty_typeEbEEZZNS1_14partition_implILS5_8ELb0ES3_jN6thrust23THRUST_200600_302600_NS6detail15normal_iteratorINSA_10device_ptrIdEEEEPS6_PKS6_NS0_5tupleIJSF_S6_EEENSJ_IJSG_SG_EEENS0_18inequality_wrapperINSA_8equal_toIdEEEEPmJS6_EEE10hipError_tPvRmT3_T4_T5_T6_T7_T9_mT8_P12ihipStream_tbDpT10_ENKUlT_T0_E_clISt17integral_constantIbLb0EES1A_EEDaS15_S16_EUlS15_E_NS1_11comp_targetILNS1_3genE8ELNS1_11target_archE1030ELNS1_3gpuE2ELNS1_3repE0EEENS1_30default_config_static_selectorELNS0_4arch9wavefront6targetE1EEEvT1_.private_seg_size, 0
	.set _ZN7rocprim17ROCPRIM_400000_NS6detail17trampoline_kernelINS0_14default_configENS1_25partition_config_selectorILNS1_17partition_subalgoE8EdNS0_10empty_typeEbEEZZNS1_14partition_implILS5_8ELb0ES3_jN6thrust23THRUST_200600_302600_NS6detail15normal_iteratorINSA_10device_ptrIdEEEEPS6_PKS6_NS0_5tupleIJSF_S6_EEENSJ_IJSG_SG_EEENS0_18inequality_wrapperINSA_8equal_toIdEEEEPmJS6_EEE10hipError_tPvRmT3_T4_T5_T6_T7_T9_mT8_P12ihipStream_tbDpT10_ENKUlT_T0_E_clISt17integral_constantIbLb0EES1A_EEDaS15_S16_EUlS15_E_NS1_11comp_targetILNS1_3genE8ELNS1_11target_archE1030ELNS1_3gpuE2ELNS1_3repE0EEENS1_30default_config_static_selectorELNS0_4arch9wavefront6targetE1EEEvT1_.uses_vcc, 0
	.set _ZN7rocprim17ROCPRIM_400000_NS6detail17trampoline_kernelINS0_14default_configENS1_25partition_config_selectorILNS1_17partition_subalgoE8EdNS0_10empty_typeEbEEZZNS1_14partition_implILS5_8ELb0ES3_jN6thrust23THRUST_200600_302600_NS6detail15normal_iteratorINSA_10device_ptrIdEEEEPS6_PKS6_NS0_5tupleIJSF_S6_EEENSJ_IJSG_SG_EEENS0_18inequality_wrapperINSA_8equal_toIdEEEEPmJS6_EEE10hipError_tPvRmT3_T4_T5_T6_T7_T9_mT8_P12ihipStream_tbDpT10_ENKUlT_T0_E_clISt17integral_constantIbLb0EES1A_EEDaS15_S16_EUlS15_E_NS1_11comp_targetILNS1_3genE8ELNS1_11target_archE1030ELNS1_3gpuE2ELNS1_3repE0EEENS1_30default_config_static_selectorELNS0_4arch9wavefront6targetE1EEEvT1_.uses_flat_scratch, 0
	.set _ZN7rocprim17ROCPRIM_400000_NS6detail17trampoline_kernelINS0_14default_configENS1_25partition_config_selectorILNS1_17partition_subalgoE8EdNS0_10empty_typeEbEEZZNS1_14partition_implILS5_8ELb0ES3_jN6thrust23THRUST_200600_302600_NS6detail15normal_iteratorINSA_10device_ptrIdEEEEPS6_PKS6_NS0_5tupleIJSF_S6_EEENSJ_IJSG_SG_EEENS0_18inequality_wrapperINSA_8equal_toIdEEEEPmJS6_EEE10hipError_tPvRmT3_T4_T5_T6_T7_T9_mT8_P12ihipStream_tbDpT10_ENKUlT_T0_E_clISt17integral_constantIbLb0EES1A_EEDaS15_S16_EUlS15_E_NS1_11comp_targetILNS1_3genE8ELNS1_11target_archE1030ELNS1_3gpuE2ELNS1_3repE0EEENS1_30default_config_static_selectorELNS0_4arch9wavefront6targetE1EEEvT1_.has_dyn_sized_stack, 0
	.set _ZN7rocprim17ROCPRIM_400000_NS6detail17trampoline_kernelINS0_14default_configENS1_25partition_config_selectorILNS1_17partition_subalgoE8EdNS0_10empty_typeEbEEZZNS1_14partition_implILS5_8ELb0ES3_jN6thrust23THRUST_200600_302600_NS6detail15normal_iteratorINSA_10device_ptrIdEEEEPS6_PKS6_NS0_5tupleIJSF_S6_EEENSJ_IJSG_SG_EEENS0_18inequality_wrapperINSA_8equal_toIdEEEEPmJS6_EEE10hipError_tPvRmT3_T4_T5_T6_T7_T9_mT8_P12ihipStream_tbDpT10_ENKUlT_T0_E_clISt17integral_constantIbLb0EES1A_EEDaS15_S16_EUlS15_E_NS1_11comp_targetILNS1_3genE8ELNS1_11target_archE1030ELNS1_3gpuE2ELNS1_3repE0EEENS1_30default_config_static_selectorELNS0_4arch9wavefront6targetE1EEEvT1_.has_recursion, 0
	.set _ZN7rocprim17ROCPRIM_400000_NS6detail17trampoline_kernelINS0_14default_configENS1_25partition_config_selectorILNS1_17partition_subalgoE8EdNS0_10empty_typeEbEEZZNS1_14partition_implILS5_8ELb0ES3_jN6thrust23THRUST_200600_302600_NS6detail15normal_iteratorINSA_10device_ptrIdEEEEPS6_PKS6_NS0_5tupleIJSF_S6_EEENSJ_IJSG_SG_EEENS0_18inequality_wrapperINSA_8equal_toIdEEEEPmJS6_EEE10hipError_tPvRmT3_T4_T5_T6_T7_T9_mT8_P12ihipStream_tbDpT10_ENKUlT_T0_E_clISt17integral_constantIbLb0EES1A_EEDaS15_S16_EUlS15_E_NS1_11comp_targetILNS1_3genE8ELNS1_11target_archE1030ELNS1_3gpuE2ELNS1_3repE0EEENS1_30default_config_static_selectorELNS0_4arch9wavefront6targetE1EEEvT1_.has_indirect_call, 0
	.section	.AMDGPU.csdata,"",@progbits
; Kernel info:
; codeLenInByte = 0
; TotalNumSgprs: 4
; NumVgprs: 0
; ScratchSize: 0
; MemoryBound: 0
; FloatMode: 240
; IeeeMode: 1
; LDSByteSize: 0 bytes/workgroup (compile time only)
; SGPRBlocks: 0
; VGPRBlocks: 0
; NumSGPRsForWavesPerEU: 4
; NumVGPRsForWavesPerEU: 1
; Occupancy: 10
; WaveLimiterHint : 0
; COMPUTE_PGM_RSRC2:SCRATCH_EN: 0
; COMPUTE_PGM_RSRC2:USER_SGPR: 6
; COMPUTE_PGM_RSRC2:TRAP_HANDLER: 0
; COMPUTE_PGM_RSRC2:TGID_X_EN: 1
; COMPUTE_PGM_RSRC2:TGID_Y_EN: 0
; COMPUTE_PGM_RSRC2:TGID_Z_EN: 0
; COMPUTE_PGM_RSRC2:TIDIG_COMP_CNT: 0
	.section	.text._ZN7rocprim17ROCPRIM_400000_NS6detail17trampoline_kernelINS0_14default_configENS1_25transform_config_selectorImLb1EEEZNS1_14transform_implILb1ES3_S5_PmS7_NS0_8identityIvEEEE10hipError_tT2_T3_mT4_P12ihipStream_tbEUlT_E_NS1_11comp_targetILNS1_3genE0ELNS1_11target_archE4294967295ELNS1_3gpuE0ELNS1_3repE0EEENS1_30default_config_static_selectorELNS0_4arch9wavefront6targetE1EEEvT1_,"axG",@progbits,_ZN7rocprim17ROCPRIM_400000_NS6detail17trampoline_kernelINS0_14default_configENS1_25transform_config_selectorImLb1EEEZNS1_14transform_implILb1ES3_S5_PmS7_NS0_8identityIvEEEE10hipError_tT2_T3_mT4_P12ihipStream_tbEUlT_E_NS1_11comp_targetILNS1_3genE0ELNS1_11target_archE4294967295ELNS1_3gpuE0ELNS1_3repE0EEENS1_30default_config_static_selectorELNS0_4arch9wavefront6targetE1EEEvT1_,comdat
	.protected	_ZN7rocprim17ROCPRIM_400000_NS6detail17trampoline_kernelINS0_14default_configENS1_25transform_config_selectorImLb1EEEZNS1_14transform_implILb1ES3_S5_PmS7_NS0_8identityIvEEEE10hipError_tT2_T3_mT4_P12ihipStream_tbEUlT_E_NS1_11comp_targetILNS1_3genE0ELNS1_11target_archE4294967295ELNS1_3gpuE0ELNS1_3repE0EEENS1_30default_config_static_selectorELNS0_4arch9wavefront6targetE1EEEvT1_ ; -- Begin function _ZN7rocprim17ROCPRIM_400000_NS6detail17trampoline_kernelINS0_14default_configENS1_25transform_config_selectorImLb1EEEZNS1_14transform_implILb1ES3_S5_PmS7_NS0_8identityIvEEEE10hipError_tT2_T3_mT4_P12ihipStream_tbEUlT_E_NS1_11comp_targetILNS1_3genE0ELNS1_11target_archE4294967295ELNS1_3gpuE0ELNS1_3repE0EEENS1_30default_config_static_selectorELNS0_4arch9wavefront6targetE1EEEvT1_
	.globl	_ZN7rocprim17ROCPRIM_400000_NS6detail17trampoline_kernelINS0_14default_configENS1_25transform_config_selectorImLb1EEEZNS1_14transform_implILb1ES3_S5_PmS7_NS0_8identityIvEEEE10hipError_tT2_T3_mT4_P12ihipStream_tbEUlT_E_NS1_11comp_targetILNS1_3genE0ELNS1_11target_archE4294967295ELNS1_3gpuE0ELNS1_3repE0EEENS1_30default_config_static_selectorELNS0_4arch9wavefront6targetE1EEEvT1_
	.p2align	8
	.type	_ZN7rocprim17ROCPRIM_400000_NS6detail17trampoline_kernelINS0_14default_configENS1_25transform_config_selectorImLb1EEEZNS1_14transform_implILb1ES3_S5_PmS7_NS0_8identityIvEEEE10hipError_tT2_T3_mT4_P12ihipStream_tbEUlT_E_NS1_11comp_targetILNS1_3genE0ELNS1_11target_archE4294967295ELNS1_3gpuE0ELNS1_3repE0EEENS1_30default_config_static_selectorELNS0_4arch9wavefront6targetE1EEEvT1_,@function
_ZN7rocprim17ROCPRIM_400000_NS6detail17trampoline_kernelINS0_14default_configENS1_25transform_config_selectorImLb1EEEZNS1_14transform_implILb1ES3_S5_PmS7_NS0_8identityIvEEEE10hipError_tT2_T3_mT4_P12ihipStream_tbEUlT_E_NS1_11comp_targetILNS1_3genE0ELNS1_11target_archE4294967295ELNS1_3gpuE0ELNS1_3repE0EEENS1_30default_config_static_selectorELNS0_4arch9wavefront6targetE1EEEvT1_: ; @_ZN7rocprim17ROCPRIM_400000_NS6detail17trampoline_kernelINS0_14default_configENS1_25transform_config_selectorImLb1EEEZNS1_14transform_implILb1ES3_S5_PmS7_NS0_8identityIvEEEE10hipError_tT2_T3_mT4_P12ihipStream_tbEUlT_E_NS1_11comp_targetILNS1_3genE0ELNS1_11target_archE4294967295ELNS1_3gpuE0ELNS1_3repE0EEENS1_30default_config_static_selectorELNS0_4arch9wavefront6targetE1EEEvT1_
; %bb.0:
	.section	.rodata,"a",@progbits
	.p2align	6, 0x0
	.amdhsa_kernel _ZN7rocprim17ROCPRIM_400000_NS6detail17trampoline_kernelINS0_14default_configENS1_25transform_config_selectorImLb1EEEZNS1_14transform_implILb1ES3_S5_PmS7_NS0_8identityIvEEEE10hipError_tT2_T3_mT4_P12ihipStream_tbEUlT_E_NS1_11comp_targetILNS1_3genE0ELNS1_11target_archE4294967295ELNS1_3gpuE0ELNS1_3repE0EEENS1_30default_config_static_selectorELNS0_4arch9wavefront6targetE1EEEvT1_
		.amdhsa_group_segment_fixed_size 0
		.amdhsa_private_segment_fixed_size 0
		.amdhsa_kernarg_size 40
		.amdhsa_user_sgpr_count 6
		.amdhsa_user_sgpr_private_segment_buffer 1
		.amdhsa_user_sgpr_dispatch_ptr 0
		.amdhsa_user_sgpr_queue_ptr 0
		.amdhsa_user_sgpr_kernarg_segment_ptr 1
		.amdhsa_user_sgpr_dispatch_id 0
		.amdhsa_user_sgpr_flat_scratch_init 0
		.amdhsa_user_sgpr_private_segment_size 0
		.amdhsa_uses_dynamic_stack 0
		.amdhsa_system_sgpr_private_segment_wavefront_offset 0
		.amdhsa_system_sgpr_workgroup_id_x 1
		.amdhsa_system_sgpr_workgroup_id_y 0
		.amdhsa_system_sgpr_workgroup_id_z 0
		.amdhsa_system_sgpr_workgroup_info 0
		.amdhsa_system_vgpr_workitem_id 0
		.amdhsa_next_free_vgpr 1
		.amdhsa_next_free_sgpr 0
		.amdhsa_reserve_vcc 0
		.amdhsa_reserve_flat_scratch 0
		.amdhsa_float_round_mode_32 0
		.amdhsa_float_round_mode_16_64 0
		.amdhsa_float_denorm_mode_32 3
		.amdhsa_float_denorm_mode_16_64 3
		.amdhsa_dx10_clamp 1
		.amdhsa_ieee_mode 1
		.amdhsa_fp16_overflow 0
		.amdhsa_exception_fp_ieee_invalid_op 0
		.amdhsa_exception_fp_denorm_src 0
		.amdhsa_exception_fp_ieee_div_zero 0
		.amdhsa_exception_fp_ieee_overflow 0
		.amdhsa_exception_fp_ieee_underflow 0
		.amdhsa_exception_fp_ieee_inexact 0
		.amdhsa_exception_int_div_zero 0
	.end_amdhsa_kernel
	.section	.text._ZN7rocprim17ROCPRIM_400000_NS6detail17trampoline_kernelINS0_14default_configENS1_25transform_config_selectorImLb1EEEZNS1_14transform_implILb1ES3_S5_PmS7_NS0_8identityIvEEEE10hipError_tT2_T3_mT4_P12ihipStream_tbEUlT_E_NS1_11comp_targetILNS1_3genE0ELNS1_11target_archE4294967295ELNS1_3gpuE0ELNS1_3repE0EEENS1_30default_config_static_selectorELNS0_4arch9wavefront6targetE1EEEvT1_,"axG",@progbits,_ZN7rocprim17ROCPRIM_400000_NS6detail17trampoline_kernelINS0_14default_configENS1_25transform_config_selectorImLb1EEEZNS1_14transform_implILb1ES3_S5_PmS7_NS0_8identityIvEEEE10hipError_tT2_T3_mT4_P12ihipStream_tbEUlT_E_NS1_11comp_targetILNS1_3genE0ELNS1_11target_archE4294967295ELNS1_3gpuE0ELNS1_3repE0EEENS1_30default_config_static_selectorELNS0_4arch9wavefront6targetE1EEEvT1_,comdat
.Lfunc_end12:
	.size	_ZN7rocprim17ROCPRIM_400000_NS6detail17trampoline_kernelINS0_14default_configENS1_25transform_config_selectorImLb1EEEZNS1_14transform_implILb1ES3_S5_PmS7_NS0_8identityIvEEEE10hipError_tT2_T3_mT4_P12ihipStream_tbEUlT_E_NS1_11comp_targetILNS1_3genE0ELNS1_11target_archE4294967295ELNS1_3gpuE0ELNS1_3repE0EEENS1_30default_config_static_selectorELNS0_4arch9wavefront6targetE1EEEvT1_, .Lfunc_end12-_ZN7rocprim17ROCPRIM_400000_NS6detail17trampoline_kernelINS0_14default_configENS1_25transform_config_selectorImLb1EEEZNS1_14transform_implILb1ES3_S5_PmS7_NS0_8identityIvEEEE10hipError_tT2_T3_mT4_P12ihipStream_tbEUlT_E_NS1_11comp_targetILNS1_3genE0ELNS1_11target_archE4294967295ELNS1_3gpuE0ELNS1_3repE0EEENS1_30default_config_static_selectorELNS0_4arch9wavefront6targetE1EEEvT1_
                                        ; -- End function
	.set _ZN7rocprim17ROCPRIM_400000_NS6detail17trampoline_kernelINS0_14default_configENS1_25transform_config_selectorImLb1EEEZNS1_14transform_implILb1ES3_S5_PmS7_NS0_8identityIvEEEE10hipError_tT2_T3_mT4_P12ihipStream_tbEUlT_E_NS1_11comp_targetILNS1_3genE0ELNS1_11target_archE4294967295ELNS1_3gpuE0ELNS1_3repE0EEENS1_30default_config_static_selectorELNS0_4arch9wavefront6targetE1EEEvT1_.num_vgpr, 0
	.set _ZN7rocprim17ROCPRIM_400000_NS6detail17trampoline_kernelINS0_14default_configENS1_25transform_config_selectorImLb1EEEZNS1_14transform_implILb1ES3_S5_PmS7_NS0_8identityIvEEEE10hipError_tT2_T3_mT4_P12ihipStream_tbEUlT_E_NS1_11comp_targetILNS1_3genE0ELNS1_11target_archE4294967295ELNS1_3gpuE0ELNS1_3repE0EEENS1_30default_config_static_selectorELNS0_4arch9wavefront6targetE1EEEvT1_.num_agpr, 0
	.set _ZN7rocprim17ROCPRIM_400000_NS6detail17trampoline_kernelINS0_14default_configENS1_25transform_config_selectorImLb1EEEZNS1_14transform_implILb1ES3_S5_PmS7_NS0_8identityIvEEEE10hipError_tT2_T3_mT4_P12ihipStream_tbEUlT_E_NS1_11comp_targetILNS1_3genE0ELNS1_11target_archE4294967295ELNS1_3gpuE0ELNS1_3repE0EEENS1_30default_config_static_selectorELNS0_4arch9wavefront6targetE1EEEvT1_.numbered_sgpr, 0
	.set _ZN7rocprim17ROCPRIM_400000_NS6detail17trampoline_kernelINS0_14default_configENS1_25transform_config_selectorImLb1EEEZNS1_14transform_implILb1ES3_S5_PmS7_NS0_8identityIvEEEE10hipError_tT2_T3_mT4_P12ihipStream_tbEUlT_E_NS1_11comp_targetILNS1_3genE0ELNS1_11target_archE4294967295ELNS1_3gpuE0ELNS1_3repE0EEENS1_30default_config_static_selectorELNS0_4arch9wavefront6targetE1EEEvT1_.num_named_barrier, 0
	.set _ZN7rocprim17ROCPRIM_400000_NS6detail17trampoline_kernelINS0_14default_configENS1_25transform_config_selectorImLb1EEEZNS1_14transform_implILb1ES3_S5_PmS7_NS0_8identityIvEEEE10hipError_tT2_T3_mT4_P12ihipStream_tbEUlT_E_NS1_11comp_targetILNS1_3genE0ELNS1_11target_archE4294967295ELNS1_3gpuE0ELNS1_3repE0EEENS1_30default_config_static_selectorELNS0_4arch9wavefront6targetE1EEEvT1_.private_seg_size, 0
	.set _ZN7rocprim17ROCPRIM_400000_NS6detail17trampoline_kernelINS0_14default_configENS1_25transform_config_selectorImLb1EEEZNS1_14transform_implILb1ES3_S5_PmS7_NS0_8identityIvEEEE10hipError_tT2_T3_mT4_P12ihipStream_tbEUlT_E_NS1_11comp_targetILNS1_3genE0ELNS1_11target_archE4294967295ELNS1_3gpuE0ELNS1_3repE0EEENS1_30default_config_static_selectorELNS0_4arch9wavefront6targetE1EEEvT1_.uses_vcc, 0
	.set _ZN7rocprim17ROCPRIM_400000_NS6detail17trampoline_kernelINS0_14default_configENS1_25transform_config_selectorImLb1EEEZNS1_14transform_implILb1ES3_S5_PmS7_NS0_8identityIvEEEE10hipError_tT2_T3_mT4_P12ihipStream_tbEUlT_E_NS1_11comp_targetILNS1_3genE0ELNS1_11target_archE4294967295ELNS1_3gpuE0ELNS1_3repE0EEENS1_30default_config_static_selectorELNS0_4arch9wavefront6targetE1EEEvT1_.uses_flat_scratch, 0
	.set _ZN7rocprim17ROCPRIM_400000_NS6detail17trampoline_kernelINS0_14default_configENS1_25transform_config_selectorImLb1EEEZNS1_14transform_implILb1ES3_S5_PmS7_NS0_8identityIvEEEE10hipError_tT2_T3_mT4_P12ihipStream_tbEUlT_E_NS1_11comp_targetILNS1_3genE0ELNS1_11target_archE4294967295ELNS1_3gpuE0ELNS1_3repE0EEENS1_30default_config_static_selectorELNS0_4arch9wavefront6targetE1EEEvT1_.has_dyn_sized_stack, 0
	.set _ZN7rocprim17ROCPRIM_400000_NS6detail17trampoline_kernelINS0_14default_configENS1_25transform_config_selectorImLb1EEEZNS1_14transform_implILb1ES3_S5_PmS7_NS0_8identityIvEEEE10hipError_tT2_T3_mT4_P12ihipStream_tbEUlT_E_NS1_11comp_targetILNS1_3genE0ELNS1_11target_archE4294967295ELNS1_3gpuE0ELNS1_3repE0EEENS1_30default_config_static_selectorELNS0_4arch9wavefront6targetE1EEEvT1_.has_recursion, 0
	.set _ZN7rocprim17ROCPRIM_400000_NS6detail17trampoline_kernelINS0_14default_configENS1_25transform_config_selectorImLb1EEEZNS1_14transform_implILb1ES3_S5_PmS7_NS0_8identityIvEEEE10hipError_tT2_T3_mT4_P12ihipStream_tbEUlT_E_NS1_11comp_targetILNS1_3genE0ELNS1_11target_archE4294967295ELNS1_3gpuE0ELNS1_3repE0EEENS1_30default_config_static_selectorELNS0_4arch9wavefront6targetE1EEEvT1_.has_indirect_call, 0
	.section	.AMDGPU.csdata,"",@progbits
; Kernel info:
; codeLenInByte = 0
; TotalNumSgprs: 4
; NumVgprs: 0
; ScratchSize: 0
; MemoryBound: 0
; FloatMode: 240
; IeeeMode: 1
; LDSByteSize: 0 bytes/workgroup (compile time only)
; SGPRBlocks: 0
; VGPRBlocks: 0
; NumSGPRsForWavesPerEU: 4
; NumVGPRsForWavesPerEU: 1
; Occupancy: 10
; WaveLimiterHint : 0
; COMPUTE_PGM_RSRC2:SCRATCH_EN: 0
; COMPUTE_PGM_RSRC2:USER_SGPR: 6
; COMPUTE_PGM_RSRC2:TRAP_HANDLER: 0
; COMPUTE_PGM_RSRC2:TGID_X_EN: 1
; COMPUTE_PGM_RSRC2:TGID_Y_EN: 0
; COMPUTE_PGM_RSRC2:TGID_Z_EN: 0
; COMPUTE_PGM_RSRC2:TIDIG_COMP_CNT: 0
	.section	.text._ZN7rocprim17ROCPRIM_400000_NS6detail17trampoline_kernelINS0_14default_configENS1_25transform_config_selectorImLb1EEEZNS1_14transform_implILb1ES3_S5_PmS7_NS0_8identityIvEEEE10hipError_tT2_T3_mT4_P12ihipStream_tbEUlT_E_NS1_11comp_targetILNS1_3genE10ELNS1_11target_archE1201ELNS1_3gpuE5ELNS1_3repE0EEENS1_30default_config_static_selectorELNS0_4arch9wavefront6targetE1EEEvT1_,"axG",@progbits,_ZN7rocprim17ROCPRIM_400000_NS6detail17trampoline_kernelINS0_14default_configENS1_25transform_config_selectorImLb1EEEZNS1_14transform_implILb1ES3_S5_PmS7_NS0_8identityIvEEEE10hipError_tT2_T3_mT4_P12ihipStream_tbEUlT_E_NS1_11comp_targetILNS1_3genE10ELNS1_11target_archE1201ELNS1_3gpuE5ELNS1_3repE0EEENS1_30default_config_static_selectorELNS0_4arch9wavefront6targetE1EEEvT1_,comdat
	.protected	_ZN7rocprim17ROCPRIM_400000_NS6detail17trampoline_kernelINS0_14default_configENS1_25transform_config_selectorImLb1EEEZNS1_14transform_implILb1ES3_S5_PmS7_NS0_8identityIvEEEE10hipError_tT2_T3_mT4_P12ihipStream_tbEUlT_E_NS1_11comp_targetILNS1_3genE10ELNS1_11target_archE1201ELNS1_3gpuE5ELNS1_3repE0EEENS1_30default_config_static_selectorELNS0_4arch9wavefront6targetE1EEEvT1_ ; -- Begin function _ZN7rocprim17ROCPRIM_400000_NS6detail17trampoline_kernelINS0_14default_configENS1_25transform_config_selectorImLb1EEEZNS1_14transform_implILb1ES3_S5_PmS7_NS0_8identityIvEEEE10hipError_tT2_T3_mT4_P12ihipStream_tbEUlT_E_NS1_11comp_targetILNS1_3genE10ELNS1_11target_archE1201ELNS1_3gpuE5ELNS1_3repE0EEENS1_30default_config_static_selectorELNS0_4arch9wavefront6targetE1EEEvT1_
	.globl	_ZN7rocprim17ROCPRIM_400000_NS6detail17trampoline_kernelINS0_14default_configENS1_25transform_config_selectorImLb1EEEZNS1_14transform_implILb1ES3_S5_PmS7_NS0_8identityIvEEEE10hipError_tT2_T3_mT4_P12ihipStream_tbEUlT_E_NS1_11comp_targetILNS1_3genE10ELNS1_11target_archE1201ELNS1_3gpuE5ELNS1_3repE0EEENS1_30default_config_static_selectorELNS0_4arch9wavefront6targetE1EEEvT1_
	.p2align	8
	.type	_ZN7rocprim17ROCPRIM_400000_NS6detail17trampoline_kernelINS0_14default_configENS1_25transform_config_selectorImLb1EEEZNS1_14transform_implILb1ES3_S5_PmS7_NS0_8identityIvEEEE10hipError_tT2_T3_mT4_P12ihipStream_tbEUlT_E_NS1_11comp_targetILNS1_3genE10ELNS1_11target_archE1201ELNS1_3gpuE5ELNS1_3repE0EEENS1_30default_config_static_selectorELNS0_4arch9wavefront6targetE1EEEvT1_,@function
_ZN7rocprim17ROCPRIM_400000_NS6detail17trampoline_kernelINS0_14default_configENS1_25transform_config_selectorImLb1EEEZNS1_14transform_implILb1ES3_S5_PmS7_NS0_8identityIvEEEE10hipError_tT2_T3_mT4_P12ihipStream_tbEUlT_E_NS1_11comp_targetILNS1_3genE10ELNS1_11target_archE1201ELNS1_3gpuE5ELNS1_3repE0EEENS1_30default_config_static_selectorELNS0_4arch9wavefront6targetE1EEEvT1_: ; @_ZN7rocprim17ROCPRIM_400000_NS6detail17trampoline_kernelINS0_14default_configENS1_25transform_config_selectorImLb1EEEZNS1_14transform_implILb1ES3_S5_PmS7_NS0_8identityIvEEEE10hipError_tT2_T3_mT4_P12ihipStream_tbEUlT_E_NS1_11comp_targetILNS1_3genE10ELNS1_11target_archE1201ELNS1_3gpuE5ELNS1_3repE0EEENS1_30default_config_static_selectorELNS0_4arch9wavefront6targetE1EEEvT1_
; %bb.0:
	.section	.rodata,"a",@progbits
	.p2align	6, 0x0
	.amdhsa_kernel _ZN7rocprim17ROCPRIM_400000_NS6detail17trampoline_kernelINS0_14default_configENS1_25transform_config_selectorImLb1EEEZNS1_14transform_implILb1ES3_S5_PmS7_NS0_8identityIvEEEE10hipError_tT2_T3_mT4_P12ihipStream_tbEUlT_E_NS1_11comp_targetILNS1_3genE10ELNS1_11target_archE1201ELNS1_3gpuE5ELNS1_3repE0EEENS1_30default_config_static_selectorELNS0_4arch9wavefront6targetE1EEEvT1_
		.amdhsa_group_segment_fixed_size 0
		.amdhsa_private_segment_fixed_size 0
		.amdhsa_kernarg_size 40
		.amdhsa_user_sgpr_count 6
		.amdhsa_user_sgpr_private_segment_buffer 1
		.amdhsa_user_sgpr_dispatch_ptr 0
		.amdhsa_user_sgpr_queue_ptr 0
		.amdhsa_user_sgpr_kernarg_segment_ptr 1
		.amdhsa_user_sgpr_dispatch_id 0
		.amdhsa_user_sgpr_flat_scratch_init 0
		.amdhsa_user_sgpr_private_segment_size 0
		.amdhsa_uses_dynamic_stack 0
		.amdhsa_system_sgpr_private_segment_wavefront_offset 0
		.amdhsa_system_sgpr_workgroup_id_x 1
		.amdhsa_system_sgpr_workgroup_id_y 0
		.amdhsa_system_sgpr_workgroup_id_z 0
		.amdhsa_system_sgpr_workgroup_info 0
		.amdhsa_system_vgpr_workitem_id 0
		.amdhsa_next_free_vgpr 1
		.amdhsa_next_free_sgpr 0
		.amdhsa_reserve_vcc 0
		.amdhsa_reserve_flat_scratch 0
		.amdhsa_float_round_mode_32 0
		.amdhsa_float_round_mode_16_64 0
		.amdhsa_float_denorm_mode_32 3
		.amdhsa_float_denorm_mode_16_64 3
		.amdhsa_dx10_clamp 1
		.amdhsa_ieee_mode 1
		.amdhsa_fp16_overflow 0
		.amdhsa_exception_fp_ieee_invalid_op 0
		.amdhsa_exception_fp_denorm_src 0
		.amdhsa_exception_fp_ieee_div_zero 0
		.amdhsa_exception_fp_ieee_overflow 0
		.amdhsa_exception_fp_ieee_underflow 0
		.amdhsa_exception_fp_ieee_inexact 0
		.amdhsa_exception_int_div_zero 0
	.end_amdhsa_kernel
	.section	.text._ZN7rocprim17ROCPRIM_400000_NS6detail17trampoline_kernelINS0_14default_configENS1_25transform_config_selectorImLb1EEEZNS1_14transform_implILb1ES3_S5_PmS7_NS0_8identityIvEEEE10hipError_tT2_T3_mT4_P12ihipStream_tbEUlT_E_NS1_11comp_targetILNS1_3genE10ELNS1_11target_archE1201ELNS1_3gpuE5ELNS1_3repE0EEENS1_30default_config_static_selectorELNS0_4arch9wavefront6targetE1EEEvT1_,"axG",@progbits,_ZN7rocprim17ROCPRIM_400000_NS6detail17trampoline_kernelINS0_14default_configENS1_25transform_config_selectorImLb1EEEZNS1_14transform_implILb1ES3_S5_PmS7_NS0_8identityIvEEEE10hipError_tT2_T3_mT4_P12ihipStream_tbEUlT_E_NS1_11comp_targetILNS1_3genE10ELNS1_11target_archE1201ELNS1_3gpuE5ELNS1_3repE0EEENS1_30default_config_static_selectorELNS0_4arch9wavefront6targetE1EEEvT1_,comdat
.Lfunc_end13:
	.size	_ZN7rocprim17ROCPRIM_400000_NS6detail17trampoline_kernelINS0_14default_configENS1_25transform_config_selectorImLb1EEEZNS1_14transform_implILb1ES3_S5_PmS7_NS0_8identityIvEEEE10hipError_tT2_T3_mT4_P12ihipStream_tbEUlT_E_NS1_11comp_targetILNS1_3genE10ELNS1_11target_archE1201ELNS1_3gpuE5ELNS1_3repE0EEENS1_30default_config_static_selectorELNS0_4arch9wavefront6targetE1EEEvT1_, .Lfunc_end13-_ZN7rocprim17ROCPRIM_400000_NS6detail17trampoline_kernelINS0_14default_configENS1_25transform_config_selectorImLb1EEEZNS1_14transform_implILb1ES3_S5_PmS7_NS0_8identityIvEEEE10hipError_tT2_T3_mT4_P12ihipStream_tbEUlT_E_NS1_11comp_targetILNS1_3genE10ELNS1_11target_archE1201ELNS1_3gpuE5ELNS1_3repE0EEENS1_30default_config_static_selectorELNS0_4arch9wavefront6targetE1EEEvT1_
                                        ; -- End function
	.set _ZN7rocprim17ROCPRIM_400000_NS6detail17trampoline_kernelINS0_14default_configENS1_25transform_config_selectorImLb1EEEZNS1_14transform_implILb1ES3_S5_PmS7_NS0_8identityIvEEEE10hipError_tT2_T3_mT4_P12ihipStream_tbEUlT_E_NS1_11comp_targetILNS1_3genE10ELNS1_11target_archE1201ELNS1_3gpuE5ELNS1_3repE0EEENS1_30default_config_static_selectorELNS0_4arch9wavefront6targetE1EEEvT1_.num_vgpr, 0
	.set _ZN7rocprim17ROCPRIM_400000_NS6detail17trampoline_kernelINS0_14default_configENS1_25transform_config_selectorImLb1EEEZNS1_14transform_implILb1ES3_S5_PmS7_NS0_8identityIvEEEE10hipError_tT2_T3_mT4_P12ihipStream_tbEUlT_E_NS1_11comp_targetILNS1_3genE10ELNS1_11target_archE1201ELNS1_3gpuE5ELNS1_3repE0EEENS1_30default_config_static_selectorELNS0_4arch9wavefront6targetE1EEEvT1_.num_agpr, 0
	.set _ZN7rocprim17ROCPRIM_400000_NS6detail17trampoline_kernelINS0_14default_configENS1_25transform_config_selectorImLb1EEEZNS1_14transform_implILb1ES3_S5_PmS7_NS0_8identityIvEEEE10hipError_tT2_T3_mT4_P12ihipStream_tbEUlT_E_NS1_11comp_targetILNS1_3genE10ELNS1_11target_archE1201ELNS1_3gpuE5ELNS1_3repE0EEENS1_30default_config_static_selectorELNS0_4arch9wavefront6targetE1EEEvT1_.numbered_sgpr, 0
	.set _ZN7rocprim17ROCPRIM_400000_NS6detail17trampoline_kernelINS0_14default_configENS1_25transform_config_selectorImLb1EEEZNS1_14transform_implILb1ES3_S5_PmS7_NS0_8identityIvEEEE10hipError_tT2_T3_mT4_P12ihipStream_tbEUlT_E_NS1_11comp_targetILNS1_3genE10ELNS1_11target_archE1201ELNS1_3gpuE5ELNS1_3repE0EEENS1_30default_config_static_selectorELNS0_4arch9wavefront6targetE1EEEvT1_.num_named_barrier, 0
	.set _ZN7rocprim17ROCPRIM_400000_NS6detail17trampoline_kernelINS0_14default_configENS1_25transform_config_selectorImLb1EEEZNS1_14transform_implILb1ES3_S5_PmS7_NS0_8identityIvEEEE10hipError_tT2_T3_mT4_P12ihipStream_tbEUlT_E_NS1_11comp_targetILNS1_3genE10ELNS1_11target_archE1201ELNS1_3gpuE5ELNS1_3repE0EEENS1_30default_config_static_selectorELNS0_4arch9wavefront6targetE1EEEvT1_.private_seg_size, 0
	.set _ZN7rocprim17ROCPRIM_400000_NS6detail17trampoline_kernelINS0_14default_configENS1_25transform_config_selectorImLb1EEEZNS1_14transform_implILb1ES3_S5_PmS7_NS0_8identityIvEEEE10hipError_tT2_T3_mT4_P12ihipStream_tbEUlT_E_NS1_11comp_targetILNS1_3genE10ELNS1_11target_archE1201ELNS1_3gpuE5ELNS1_3repE0EEENS1_30default_config_static_selectorELNS0_4arch9wavefront6targetE1EEEvT1_.uses_vcc, 0
	.set _ZN7rocprim17ROCPRIM_400000_NS6detail17trampoline_kernelINS0_14default_configENS1_25transform_config_selectorImLb1EEEZNS1_14transform_implILb1ES3_S5_PmS7_NS0_8identityIvEEEE10hipError_tT2_T3_mT4_P12ihipStream_tbEUlT_E_NS1_11comp_targetILNS1_3genE10ELNS1_11target_archE1201ELNS1_3gpuE5ELNS1_3repE0EEENS1_30default_config_static_selectorELNS0_4arch9wavefront6targetE1EEEvT1_.uses_flat_scratch, 0
	.set _ZN7rocprim17ROCPRIM_400000_NS6detail17trampoline_kernelINS0_14default_configENS1_25transform_config_selectorImLb1EEEZNS1_14transform_implILb1ES3_S5_PmS7_NS0_8identityIvEEEE10hipError_tT2_T3_mT4_P12ihipStream_tbEUlT_E_NS1_11comp_targetILNS1_3genE10ELNS1_11target_archE1201ELNS1_3gpuE5ELNS1_3repE0EEENS1_30default_config_static_selectorELNS0_4arch9wavefront6targetE1EEEvT1_.has_dyn_sized_stack, 0
	.set _ZN7rocprim17ROCPRIM_400000_NS6detail17trampoline_kernelINS0_14default_configENS1_25transform_config_selectorImLb1EEEZNS1_14transform_implILb1ES3_S5_PmS7_NS0_8identityIvEEEE10hipError_tT2_T3_mT4_P12ihipStream_tbEUlT_E_NS1_11comp_targetILNS1_3genE10ELNS1_11target_archE1201ELNS1_3gpuE5ELNS1_3repE0EEENS1_30default_config_static_selectorELNS0_4arch9wavefront6targetE1EEEvT1_.has_recursion, 0
	.set _ZN7rocprim17ROCPRIM_400000_NS6detail17trampoline_kernelINS0_14default_configENS1_25transform_config_selectorImLb1EEEZNS1_14transform_implILb1ES3_S5_PmS7_NS0_8identityIvEEEE10hipError_tT2_T3_mT4_P12ihipStream_tbEUlT_E_NS1_11comp_targetILNS1_3genE10ELNS1_11target_archE1201ELNS1_3gpuE5ELNS1_3repE0EEENS1_30default_config_static_selectorELNS0_4arch9wavefront6targetE1EEEvT1_.has_indirect_call, 0
	.section	.AMDGPU.csdata,"",@progbits
; Kernel info:
; codeLenInByte = 0
; TotalNumSgprs: 4
; NumVgprs: 0
; ScratchSize: 0
; MemoryBound: 0
; FloatMode: 240
; IeeeMode: 1
; LDSByteSize: 0 bytes/workgroup (compile time only)
; SGPRBlocks: 0
; VGPRBlocks: 0
; NumSGPRsForWavesPerEU: 4
; NumVGPRsForWavesPerEU: 1
; Occupancy: 10
; WaveLimiterHint : 0
; COMPUTE_PGM_RSRC2:SCRATCH_EN: 0
; COMPUTE_PGM_RSRC2:USER_SGPR: 6
; COMPUTE_PGM_RSRC2:TRAP_HANDLER: 0
; COMPUTE_PGM_RSRC2:TGID_X_EN: 1
; COMPUTE_PGM_RSRC2:TGID_Y_EN: 0
; COMPUTE_PGM_RSRC2:TGID_Z_EN: 0
; COMPUTE_PGM_RSRC2:TIDIG_COMP_CNT: 0
	.section	.text._ZN7rocprim17ROCPRIM_400000_NS6detail17trampoline_kernelINS0_14default_configENS1_25transform_config_selectorImLb1EEEZNS1_14transform_implILb1ES3_S5_PmS7_NS0_8identityIvEEEE10hipError_tT2_T3_mT4_P12ihipStream_tbEUlT_E_NS1_11comp_targetILNS1_3genE5ELNS1_11target_archE942ELNS1_3gpuE9ELNS1_3repE0EEENS1_30default_config_static_selectorELNS0_4arch9wavefront6targetE1EEEvT1_,"axG",@progbits,_ZN7rocprim17ROCPRIM_400000_NS6detail17trampoline_kernelINS0_14default_configENS1_25transform_config_selectorImLb1EEEZNS1_14transform_implILb1ES3_S5_PmS7_NS0_8identityIvEEEE10hipError_tT2_T3_mT4_P12ihipStream_tbEUlT_E_NS1_11comp_targetILNS1_3genE5ELNS1_11target_archE942ELNS1_3gpuE9ELNS1_3repE0EEENS1_30default_config_static_selectorELNS0_4arch9wavefront6targetE1EEEvT1_,comdat
	.protected	_ZN7rocprim17ROCPRIM_400000_NS6detail17trampoline_kernelINS0_14default_configENS1_25transform_config_selectorImLb1EEEZNS1_14transform_implILb1ES3_S5_PmS7_NS0_8identityIvEEEE10hipError_tT2_T3_mT4_P12ihipStream_tbEUlT_E_NS1_11comp_targetILNS1_3genE5ELNS1_11target_archE942ELNS1_3gpuE9ELNS1_3repE0EEENS1_30default_config_static_selectorELNS0_4arch9wavefront6targetE1EEEvT1_ ; -- Begin function _ZN7rocprim17ROCPRIM_400000_NS6detail17trampoline_kernelINS0_14default_configENS1_25transform_config_selectorImLb1EEEZNS1_14transform_implILb1ES3_S5_PmS7_NS0_8identityIvEEEE10hipError_tT2_T3_mT4_P12ihipStream_tbEUlT_E_NS1_11comp_targetILNS1_3genE5ELNS1_11target_archE942ELNS1_3gpuE9ELNS1_3repE0EEENS1_30default_config_static_selectorELNS0_4arch9wavefront6targetE1EEEvT1_
	.globl	_ZN7rocprim17ROCPRIM_400000_NS6detail17trampoline_kernelINS0_14default_configENS1_25transform_config_selectorImLb1EEEZNS1_14transform_implILb1ES3_S5_PmS7_NS0_8identityIvEEEE10hipError_tT2_T3_mT4_P12ihipStream_tbEUlT_E_NS1_11comp_targetILNS1_3genE5ELNS1_11target_archE942ELNS1_3gpuE9ELNS1_3repE0EEENS1_30default_config_static_selectorELNS0_4arch9wavefront6targetE1EEEvT1_
	.p2align	8
	.type	_ZN7rocprim17ROCPRIM_400000_NS6detail17trampoline_kernelINS0_14default_configENS1_25transform_config_selectorImLb1EEEZNS1_14transform_implILb1ES3_S5_PmS7_NS0_8identityIvEEEE10hipError_tT2_T3_mT4_P12ihipStream_tbEUlT_E_NS1_11comp_targetILNS1_3genE5ELNS1_11target_archE942ELNS1_3gpuE9ELNS1_3repE0EEENS1_30default_config_static_selectorELNS0_4arch9wavefront6targetE1EEEvT1_,@function
_ZN7rocprim17ROCPRIM_400000_NS6detail17trampoline_kernelINS0_14default_configENS1_25transform_config_selectorImLb1EEEZNS1_14transform_implILb1ES3_S5_PmS7_NS0_8identityIvEEEE10hipError_tT2_T3_mT4_P12ihipStream_tbEUlT_E_NS1_11comp_targetILNS1_3genE5ELNS1_11target_archE942ELNS1_3gpuE9ELNS1_3repE0EEENS1_30default_config_static_selectorELNS0_4arch9wavefront6targetE1EEEvT1_: ; @_ZN7rocprim17ROCPRIM_400000_NS6detail17trampoline_kernelINS0_14default_configENS1_25transform_config_selectorImLb1EEEZNS1_14transform_implILb1ES3_S5_PmS7_NS0_8identityIvEEEE10hipError_tT2_T3_mT4_P12ihipStream_tbEUlT_E_NS1_11comp_targetILNS1_3genE5ELNS1_11target_archE942ELNS1_3gpuE9ELNS1_3repE0EEENS1_30default_config_static_selectorELNS0_4arch9wavefront6targetE1EEEvT1_
; %bb.0:
	.section	.rodata,"a",@progbits
	.p2align	6, 0x0
	.amdhsa_kernel _ZN7rocprim17ROCPRIM_400000_NS6detail17trampoline_kernelINS0_14default_configENS1_25transform_config_selectorImLb1EEEZNS1_14transform_implILb1ES3_S5_PmS7_NS0_8identityIvEEEE10hipError_tT2_T3_mT4_P12ihipStream_tbEUlT_E_NS1_11comp_targetILNS1_3genE5ELNS1_11target_archE942ELNS1_3gpuE9ELNS1_3repE0EEENS1_30default_config_static_selectorELNS0_4arch9wavefront6targetE1EEEvT1_
		.amdhsa_group_segment_fixed_size 0
		.amdhsa_private_segment_fixed_size 0
		.amdhsa_kernarg_size 40
		.amdhsa_user_sgpr_count 6
		.amdhsa_user_sgpr_private_segment_buffer 1
		.amdhsa_user_sgpr_dispatch_ptr 0
		.amdhsa_user_sgpr_queue_ptr 0
		.amdhsa_user_sgpr_kernarg_segment_ptr 1
		.amdhsa_user_sgpr_dispatch_id 0
		.amdhsa_user_sgpr_flat_scratch_init 0
		.amdhsa_user_sgpr_private_segment_size 0
		.amdhsa_uses_dynamic_stack 0
		.amdhsa_system_sgpr_private_segment_wavefront_offset 0
		.amdhsa_system_sgpr_workgroup_id_x 1
		.amdhsa_system_sgpr_workgroup_id_y 0
		.amdhsa_system_sgpr_workgroup_id_z 0
		.amdhsa_system_sgpr_workgroup_info 0
		.amdhsa_system_vgpr_workitem_id 0
		.amdhsa_next_free_vgpr 1
		.amdhsa_next_free_sgpr 0
		.amdhsa_reserve_vcc 0
		.amdhsa_reserve_flat_scratch 0
		.amdhsa_float_round_mode_32 0
		.amdhsa_float_round_mode_16_64 0
		.amdhsa_float_denorm_mode_32 3
		.amdhsa_float_denorm_mode_16_64 3
		.amdhsa_dx10_clamp 1
		.amdhsa_ieee_mode 1
		.amdhsa_fp16_overflow 0
		.amdhsa_exception_fp_ieee_invalid_op 0
		.amdhsa_exception_fp_denorm_src 0
		.amdhsa_exception_fp_ieee_div_zero 0
		.amdhsa_exception_fp_ieee_overflow 0
		.amdhsa_exception_fp_ieee_underflow 0
		.amdhsa_exception_fp_ieee_inexact 0
		.amdhsa_exception_int_div_zero 0
	.end_amdhsa_kernel
	.section	.text._ZN7rocprim17ROCPRIM_400000_NS6detail17trampoline_kernelINS0_14default_configENS1_25transform_config_selectorImLb1EEEZNS1_14transform_implILb1ES3_S5_PmS7_NS0_8identityIvEEEE10hipError_tT2_T3_mT4_P12ihipStream_tbEUlT_E_NS1_11comp_targetILNS1_3genE5ELNS1_11target_archE942ELNS1_3gpuE9ELNS1_3repE0EEENS1_30default_config_static_selectorELNS0_4arch9wavefront6targetE1EEEvT1_,"axG",@progbits,_ZN7rocprim17ROCPRIM_400000_NS6detail17trampoline_kernelINS0_14default_configENS1_25transform_config_selectorImLb1EEEZNS1_14transform_implILb1ES3_S5_PmS7_NS0_8identityIvEEEE10hipError_tT2_T3_mT4_P12ihipStream_tbEUlT_E_NS1_11comp_targetILNS1_3genE5ELNS1_11target_archE942ELNS1_3gpuE9ELNS1_3repE0EEENS1_30default_config_static_selectorELNS0_4arch9wavefront6targetE1EEEvT1_,comdat
.Lfunc_end14:
	.size	_ZN7rocprim17ROCPRIM_400000_NS6detail17trampoline_kernelINS0_14default_configENS1_25transform_config_selectorImLb1EEEZNS1_14transform_implILb1ES3_S5_PmS7_NS0_8identityIvEEEE10hipError_tT2_T3_mT4_P12ihipStream_tbEUlT_E_NS1_11comp_targetILNS1_3genE5ELNS1_11target_archE942ELNS1_3gpuE9ELNS1_3repE0EEENS1_30default_config_static_selectorELNS0_4arch9wavefront6targetE1EEEvT1_, .Lfunc_end14-_ZN7rocprim17ROCPRIM_400000_NS6detail17trampoline_kernelINS0_14default_configENS1_25transform_config_selectorImLb1EEEZNS1_14transform_implILb1ES3_S5_PmS7_NS0_8identityIvEEEE10hipError_tT2_T3_mT4_P12ihipStream_tbEUlT_E_NS1_11comp_targetILNS1_3genE5ELNS1_11target_archE942ELNS1_3gpuE9ELNS1_3repE0EEENS1_30default_config_static_selectorELNS0_4arch9wavefront6targetE1EEEvT1_
                                        ; -- End function
	.set _ZN7rocprim17ROCPRIM_400000_NS6detail17trampoline_kernelINS0_14default_configENS1_25transform_config_selectorImLb1EEEZNS1_14transform_implILb1ES3_S5_PmS7_NS0_8identityIvEEEE10hipError_tT2_T3_mT4_P12ihipStream_tbEUlT_E_NS1_11comp_targetILNS1_3genE5ELNS1_11target_archE942ELNS1_3gpuE9ELNS1_3repE0EEENS1_30default_config_static_selectorELNS0_4arch9wavefront6targetE1EEEvT1_.num_vgpr, 0
	.set _ZN7rocprim17ROCPRIM_400000_NS6detail17trampoline_kernelINS0_14default_configENS1_25transform_config_selectorImLb1EEEZNS1_14transform_implILb1ES3_S5_PmS7_NS0_8identityIvEEEE10hipError_tT2_T3_mT4_P12ihipStream_tbEUlT_E_NS1_11comp_targetILNS1_3genE5ELNS1_11target_archE942ELNS1_3gpuE9ELNS1_3repE0EEENS1_30default_config_static_selectorELNS0_4arch9wavefront6targetE1EEEvT1_.num_agpr, 0
	.set _ZN7rocprim17ROCPRIM_400000_NS6detail17trampoline_kernelINS0_14default_configENS1_25transform_config_selectorImLb1EEEZNS1_14transform_implILb1ES3_S5_PmS7_NS0_8identityIvEEEE10hipError_tT2_T3_mT4_P12ihipStream_tbEUlT_E_NS1_11comp_targetILNS1_3genE5ELNS1_11target_archE942ELNS1_3gpuE9ELNS1_3repE0EEENS1_30default_config_static_selectorELNS0_4arch9wavefront6targetE1EEEvT1_.numbered_sgpr, 0
	.set _ZN7rocprim17ROCPRIM_400000_NS6detail17trampoline_kernelINS0_14default_configENS1_25transform_config_selectorImLb1EEEZNS1_14transform_implILb1ES3_S5_PmS7_NS0_8identityIvEEEE10hipError_tT2_T3_mT4_P12ihipStream_tbEUlT_E_NS1_11comp_targetILNS1_3genE5ELNS1_11target_archE942ELNS1_3gpuE9ELNS1_3repE0EEENS1_30default_config_static_selectorELNS0_4arch9wavefront6targetE1EEEvT1_.num_named_barrier, 0
	.set _ZN7rocprim17ROCPRIM_400000_NS6detail17trampoline_kernelINS0_14default_configENS1_25transform_config_selectorImLb1EEEZNS1_14transform_implILb1ES3_S5_PmS7_NS0_8identityIvEEEE10hipError_tT2_T3_mT4_P12ihipStream_tbEUlT_E_NS1_11comp_targetILNS1_3genE5ELNS1_11target_archE942ELNS1_3gpuE9ELNS1_3repE0EEENS1_30default_config_static_selectorELNS0_4arch9wavefront6targetE1EEEvT1_.private_seg_size, 0
	.set _ZN7rocprim17ROCPRIM_400000_NS6detail17trampoline_kernelINS0_14default_configENS1_25transform_config_selectorImLb1EEEZNS1_14transform_implILb1ES3_S5_PmS7_NS0_8identityIvEEEE10hipError_tT2_T3_mT4_P12ihipStream_tbEUlT_E_NS1_11comp_targetILNS1_3genE5ELNS1_11target_archE942ELNS1_3gpuE9ELNS1_3repE0EEENS1_30default_config_static_selectorELNS0_4arch9wavefront6targetE1EEEvT1_.uses_vcc, 0
	.set _ZN7rocprim17ROCPRIM_400000_NS6detail17trampoline_kernelINS0_14default_configENS1_25transform_config_selectorImLb1EEEZNS1_14transform_implILb1ES3_S5_PmS7_NS0_8identityIvEEEE10hipError_tT2_T3_mT4_P12ihipStream_tbEUlT_E_NS1_11comp_targetILNS1_3genE5ELNS1_11target_archE942ELNS1_3gpuE9ELNS1_3repE0EEENS1_30default_config_static_selectorELNS0_4arch9wavefront6targetE1EEEvT1_.uses_flat_scratch, 0
	.set _ZN7rocprim17ROCPRIM_400000_NS6detail17trampoline_kernelINS0_14default_configENS1_25transform_config_selectorImLb1EEEZNS1_14transform_implILb1ES3_S5_PmS7_NS0_8identityIvEEEE10hipError_tT2_T3_mT4_P12ihipStream_tbEUlT_E_NS1_11comp_targetILNS1_3genE5ELNS1_11target_archE942ELNS1_3gpuE9ELNS1_3repE0EEENS1_30default_config_static_selectorELNS0_4arch9wavefront6targetE1EEEvT1_.has_dyn_sized_stack, 0
	.set _ZN7rocprim17ROCPRIM_400000_NS6detail17trampoline_kernelINS0_14default_configENS1_25transform_config_selectorImLb1EEEZNS1_14transform_implILb1ES3_S5_PmS7_NS0_8identityIvEEEE10hipError_tT2_T3_mT4_P12ihipStream_tbEUlT_E_NS1_11comp_targetILNS1_3genE5ELNS1_11target_archE942ELNS1_3gpuE9ELNS1_3repE0EEENS1_30default_config_static_selectorELNS0_4arch9wavefront6targetE1EEEvT1_.has_recursion, 0
	.set _ZN7rocprim17ROCPRIM_400000_NS6detail17trampoline_kernelINS0_14default_configENS1_25transform_config_selectorImLb1EEEZNS1_14transform_implILb1ES3_S5_PmS7_NS0_8identityIvEEEE10hipError_tT2_T3_mT4_P12ihipStream_tbEUlT_E_NS1_11comp_targetILNS1_3genE5ELNS1_11target_archE942ELNS1_3gpuE9ELNS1_3repE0EEENS1_30default_config_static_selectorELNS0_4arch9wavefront6targetE1EEEvT1_.has_indirect_call, 0
	.section	.AMDGPU.csdata,"",@progbits
; Kernel info:
; codeLenInByte = 0
; TotalNumSgprs: 4
; NumVgprs: 0
; ScratchSize: 0
; MemoryBound: 0
; FloatMode: 240
; IeeeMode: 1
; LDSByteSize: 0 bytes/workgroup (compile time only)
; SGPRBlocks: 0
; VGPRBlocks: 0
; NumSGPRsForWavesPerEU: 4
; NumVGPRsForWavesPerEU: 1
; Occupancy: 10
; WaveLimiterHint : 0
; COMPUTE_PGM_RSRC2:SCRATCH_EN: 0
; COMPUTE_PGM_RSRC2:USER_SGPR: 6
; COMPUTE_PGM_RSRC2:TRAP_HANDLER: 0
; COMPUTE_PGM_RSRC2:TGID_X_EN: 1
; COMPUTE_PGM_RSRC2:TGID_Y_EN: 0
; COMPUTE_PGM_RSRC2:TGID_Z_EN: 0
; COMPUTE_PGM_RSRC2:TIDIG_COMP_CNT: 0
	.section	.text._ZN7rocprim17ROCPRIM_400000_NS6detail17trampoline_kernelINS0_14default_configENS1_25transform_config_selectorImLb1EEEZNS1_14transform_implILb1ES3_S5_PmS7_NS0_8identityIvEEEE10hipError_tT2_T3_mT4_P12ihipStream_tbEUlT_E_NS1_11comp_targetILNS1_3genE4ELNS1_11target_archE910ELNS1_3gpuE8ELNS1_3repE0EEENS1_30default_config_static_selectorELNS0_4arch9wavefront6targetE1EEEvT1_,"axG",@progbits,_ZN7rocprim17ROCPRIM_400000_NS6detail17trampoline_kernelINS0_14default_configENS1_25transform_config_selectorImLb1EEEZNS1_14transform_implILb1ES3_S5_PmS7_NS0_8identityIvEEEE10hipError_tT2_T3_mT4_P12ihipStream_tbEUlT_E_NS1_11comp_targetILNS1_3genE4ELNS1_11target_archE910ELNS1_3gpuE8ELNS1_3repE0EEENS1_30default_config_static_selectorELNS0_4arch9wavefront6targetE1EEEvT1_,comdat
	.protected	_ZN7rocprim17ROCPRIM_400000_NS6detail17trampoline_kernelINS0_14default_configENS1_25transform_config_selectorImLb1EEEZNS1_14transform_implILb1ES3_S5_PmS7_NS0_8identityIvEEEE10hipError_tT2_T3_mT4_P12ihipStream_tbEUlT_E_NS1_11comp_targetILNS1_3genE4ELNS1_11target_archE910ELNS1_3gpuE8ELNS1_3repE0EEENS1_30default_config_static_selectorELNS0_4arch9wavefront6targetE1EEEvT1_ ; -- Begin function _ZN7rocprim17ROCPRIM_400000_NS6detail17trampoline_kernelINS0_14default_configENS1_25transform_config_selectorImLb1EEEZNS1_14transform_implILb1ES3_S5_PmS7_NS0_8identityIvEEEE10hipError_tT2_T3_mT4_P12ihipStream_tbEUlT_E_NS1_11comp_targetILNS1_3genE4ELNS1_11target_archE910ELNS1_3gpuE8ELNS1_3repE0EEENS1_30default_config_static_selectorELNS0_4arch9wavefront6targetE1EEEvT1_
	.globl	_ZN7rocprim17ROCPRIM_400000_NS6detail17trampoline_kernelINS0_14default_configENS1_25transform_config_selectorImLb1EEEZNS1_14transform_implILb1ES3_S5_PmS7_NS0_8identityIvEEEE10hipError_tT2_T3_mT4_P12ihipStream_tbEUlT_E_NS1_11comp_targetILNS1_3genE4ELNS1_11target_archE910ELNS1_3gpuE8ELNS1_3repE0EEENS1_30default_config_static_selectorELNS0_4arch9wavefront6targetE1EEEvT1_
	.p2align	8
	.type	_ZN7rocprim17ROCPRIM_400000_NS6detail17trampoline_kernelINS0_14default_configENS1_25transform_config_selectorImLb1EEEZNS1_14transform_implILb1ES3_S5_PmS7_NS0_8identityIvEEEE10hipError_tT2_T3_mT4_P12ihipStream_tbEUlT_E_NS1_11comp_targetILNS1_3genE4ELNS1_11target_archE910ELNS1_3gpuE8ELNS1_3repE0EEENS1_30default_config_static_selectorELNS0_4arch9wavefront6targetE1EEEvT1_,@function
_ZN7rocprim17ROCPRIM_400000_NS6detail17trampoline_kernelINS0_14default_configENS1_25transform_config_selectorImLb1EEEZNS1_14transform_implILb1ES3_S5_PmS7_NS0_8identityIvEEEE10hipError_tT2_T3_mT4_P12ihipStream_tbEUlT_E_NS1_11comp_targetILNS1_3genE4ELNS1_11target_archE910ELNS1_3gpuE8ELNS1_3repE0EEENS1_30default_config_static_selectorELNS0_4arch9wavefront6targetE1EEEvT1_: ; @_ZN7rocprim17ROCPRIM_400000_NS6detail17trampoline_kernelINS0_14default_configENS1_25transform_config_selectorImLb1EEEZNS1_14transform_implILb1ES3_S5_PmS7_NS0_8identityIvEEEE10hipError_tT2_T3_mT4_P12ihipStream_tbEUlT_E_NS1_11comp_targetILNS1_3genE4ELNS1_11target_archE910ELNS1_3gpuE8ELNS1_3repE0EEENS1_30default_config_static_selectorELNS0_4arch9wavefront6targetE1EEEvT1_
; %bb.0:
	.section	.rodata,"a",@progbits
	.p2align	6, 0x0
	.amdhsa_kernel _ZN7rocprim17ROCPRIM_400000_NS6detail17trampoline_kernelINS0_14default_configENS1_25transform_config_selectorImLb1EEEZNS1_14transform_implILb1ES3_S5_PmS7_NS0_8identityIvEEEE10hipError_tT2_T3_mT4_P12ihipStream_tbEUlT_E_NS1_11comp_targetILNS1_3genE4ELNS1_11target_archE910ELNS1_3gpuE8ELNS1_3repE0EEENS1_30default_config_static_selectorELNS0_4arch9wavefront6targetE1EEEvT1_
		.amdhsa_group_segment_fixed_size 0
		.amdhsa_private_segment_fixed_size 0
		.amdhsa_kernarg_size 40
		.amdhsa_user_sgpr_count 6
		.amdhsa_user_sgpr_private_segment_buffer 1
		.amdhsa_user_sgpr_dispatch_ptr 0
		.amdhsa_user_sgpr_queue_ptr 0
		.amdhsa_user_sgpr_kernarg_segment_ptr 1
		.amdhsa_user_sgpr_dispatch_id 0
		.amdhsa_user_sgpr_flat_scratch_init 0
		.amdhsa_user_sgpr_private_segment_size 0
		.amdhsa_uses_dynamic_stack 0
		.amdhsa_system_sgpr_private_segment_wavefront_offset 0
		.amdhsa_system_sgpr_workgroup_id_x 1
		.amdhsa_system_sgpr_workgroup_id_y 0
		.amdhsa_system_sgpr_workgroup_id_z 0
		.amdhsa_system_sgpr_workgroup_info 0
		.amdhsa_system_vgpr_workitem_id 0
		.amdhsa_next_free_vgpr 1
		.amdhsa_next_free_sgpr 0
		.amdhsa_reserve_vcc 0
		.amdhsa_reserve_flat_scratch 0
		.amdhsa_float_round_mode_32 0
		.amdhsa_float_round_mode_16_64 0
		.amdhsa_float_denorm_mode_32 3
		.amdhsa_float_denorm_mode_16_64 3
		.amdhsa_dx10_clamp 1
		.amdhsa_ieee_mode 1
		.amdhsa_fp16_overflow 0
		.amdhsa_exception_fp_ieee_invalid_op 0
		.amdhsa_exception_fp_denorm_src 0
		.amdhsa_exception_fp_ieee_div_zero 0
		.amdhsa_exception_fp_ieee_overflow 0
		.amdhsa_exception_fp_ieee_underflow 0
		.amdhsa_exception_fp_ieee_inexact 0
		.amdhsa_exception_int_div_zero 0
	.end_amdhsa_kernel
	.section	.text._ZN7rocprim17ROCPRIM_400000_NS6detail17trampoline_kernelINS0_14default_configENS1_25transform_config_selectorImLb1EEEZNS1_14transform_implILb1ES3_S5_PmS7_NS0_8identityIvEEEE10hipError_tT2_T3_mT4_P12ihipStream_tbEUlT_E_NS1_11comp_targetILNS1_3genE4ELNS1_11target_archE910ELNS1_3gpuE8ELNS1_3repE0EEENS1_30default_config_static_selectorELNS0_4arch9wavefront6targetE1EEEvT1_,"axG",@progbits,_ZN7rocprim17ROCPRIM_400000_NS6detail17trampoline_kernelINS0_14default_configENS1_25transform_config_selectorImLb1EEEZNS1_14transform_implILb1ES3_S5_PmS7_NS0_8identityIvEEEE10hipError_tT2_T3_mT4_P12ihipStream_tbEUlT_E_NS1_11comp_targetILNS1_3genE4ELNS1_11target_archE910ELNS1_3gpuE8ELNS1_3repE0EEENS1_30default_config_static_selectorELNS0_4arch9wavefront6targetE1EEEvT1_,comdat
.Lfunc_end15:
	.size	_ZN7rocprim17ROCPRIM_400000_NS6detail17trampoline_kernelINS0_14default_configENS1_25transform_config_selectorImLb1EEEZNS1_14transform_implILb1ES3_S5_PmS7_NS0_8identityIvEEEE10hipError_tT2_T3_mT4_P12ihipStream_tbEUlT_E_NS1_11comp_targetILNS1_3genE4ELNS1_11target_archE910ELNS1_3gpuE8ELNS1_3repE0EEENS1_30default_config_static_selectorELNS0_4arch9wavefront6targetE1EEEvT1_, .Lfunc_end15-_ZN7rocprim17ROCPRIM_400000_NS6detail17trampoline_kernelINS0_14default_configENS1_25transform_config_selectorImLb1EEEZNS1_14transform_implILb1ES3_S5_PmS7_NS0_8identityIvEEEE10hipError_tT2_T3_mT4_P12ihipStream_tbEUlT_E_NS1_11comp_targetILNS1_3genE4ELNS1_11target_archE910ELNS1_3gpuE8ELNS1_3repE0EEENS1_30default_config_static_selectorELNS0_4arch9wavefront6targetE1EEEvT1_
                                        ; -- End function
	.set _ZN7rocprim17ROCPRIM_400000_NS6detail17trampoline_kernelINS0_14default_configENS1_25transform_config_selectorImLb1EEEZNS1_14transform_implILb1ES3_S5_PmS7_NS0_8identityIvEEEE10hipError_tT2_T3_mT4_P12ihipStream_tbEUlT_E_NS1_11comp_targetILNS1_3genE4ELNS1_11target_archE910ELNS1_3gpuE8ELNS1_3repE0EEENS1_30default_config_static_selectorELNS0_4arch9wavefront6targetE1EEEvT1_.num_vgpr, 0
	.set _ZN7rocprim17ROCPRIM_400000_NS6detail17trampoline_kernelINS0_14default_configENS1_25transform_config_selectorImLb1EEEZNS1_14transform_implILb1ES3_S5_PmS7_NS0_8identityIvEEEE10hipError_tT2_T3_mT4_P12ihipStream_tbEUlT_E_NS1_11comp_targetILNS1_3genE4ELNS1_11target_archE910ELNS1_3gpuE8ELNS1_3repE0EEENS1_30default_config_static_selectorELNS0_4arch9wavefront6targetE1EEEvT1_.num_agpr, 0
	.set _ZN7rocprim17ROCPRIM_400000_NS6detail17trampoline_kernelINS0_14default_configENS1_25transform_config_selectorImLb1EEEZNS1_14transform_implILb1ES3_S5_PmS7_NS0_8identityIvEEEE10hipError_tT2_T3_mT4_P12ihipStream_tbEUlT_E_NS1_11comp_targetILNS1_3genE4ELNS1_11target_archE910ELNS1_3gpuE8ELNS1_3repE0EEENS1_30default_config_static_selectorELNS0_4arch9wavefront6targetE1EEEvT1_.numbered_sgpr, 0
	.set _ZN7rocprim17ROCPRIM_400000_NS6detail17trampoline_kernelINS0_14default_configENS1_25transform_config_selectorImLb1EEEZNS1_14transform_implILb1ES3_S5_PmS7_NS0_8identityIvEEEE10hipError_tT2_T3_mT4_P12ihipStream_tbEUlT_E_NS1_11comp_targetILNS1_3genE4ELNS1_11target_archE910ELNS1_3gpuE8ELNS1_3repE0EEENS1_30default_config_static_selectorELNS0_4arch9wavefront6targetE1EEEvT1_.num_named_barrier, 0
	.set _ZN7rocprim17ROCPRIM_400000_NS6detail17trampoline_kernelINS0_14default_configENS1_25transform_config_selectorImLb1EEEZNS1_14transform_implILb1ES3_S5_PmS7_NS0_8identityIvEEEE10hipError_tT2_T3_mT4_P12ihipStream_tbEUlT_E_NS1_11comp_targetILNS1_3genE4ELNS1_11target_archE910ELNS1_3gpuE8ELNS1_3repE0EEENS1_30default_config_static_selectorELNS0_4arch9wavefront6targetE1EEEvT1_.private_seg_size, 0
	.set _ZN7rocprim17ROCPRIM_400000_NS6detail17trampoline_kernelINS0_14default_configENS1_25transform_config_selectorImLb1EEEZNS1_14transform_implILb1ES3_S5_PmS7_NS0_8identityIvEEEE10hipError_tT2_T3_mT4_P12ihipStream_tbEUlT_E_NS1_11comp_targetILNS1_3genE4ELNS1_11target_archE910ELNS1_3gpuE8ELNS1_3repE0EEENS1_30default_config_static_selectorELNS0_4arch9wavefront6targetE1EEEvT1_.uses_vcc, 0
	.set _ZN7rocprim17ROCPRIM_400000_NS6detail17trampoline_kernelINS0_14default_configENS1_25transform_config_selectorImLb1EEEZNS1_14transform_implILb1ES3_S5_PmS7_NS0_8identityIvEEEE10hipError_tT2_T3_mT4_P12ihipStream_tbEUlT_E_NS1_11comp_targetILNS1_3genE4ELNS1_11target_archE910ELNS1_3gpuE8ELNS1_3repE0EEENS1_30default_config_static_selectorELNS0_4arch9wavefront6targetE1EEEvT1_.uses_flat_scratch, 0
	.set _ZN7rocprim17ROCPRIM_400000_NS6detail17trampoline_kernelINS0_14default_configENS1_25transform_config_selectorImLb1EEEZNS1_14transform_implILb1ES3_S5_PmS7_NS0_8identityIvEEEE10hipError_tT2_T3_mT4_P12ihipStream_tbEUlT_E_NS1_11comp_targetILNS1_3genE4ELNS1_11target_archE910ELNS1_3gpuE8ELNS1_3repE0EEENS1_30default_config_static_selectorELNS0_4arch9wavefront6targetE1EEEvT1_.has_dyn_sized_stack, 0
	.set _ZN7rocprim17ROCPRIM_400000_NS6detail17trampoline_kernelINS0_14default_configENS1_25transform_config_selectorImLb1EEEZNS1_14transform_implILb1ES3_S5_PmS7_NS0_8identityIvEEEE10hipError_tT2_T3_mT4_P12ihipStream_tbEUlT_E_NS1_11comp_targetILNS1_3genE4ELNS1_11target_archE910ELNS1_3gpuE8ELNS1_3repE0EEENS1_30default_config_static_selectorELNS0_4arch9wavefront6targetE1EEEvT1_.has_recursion, 0
	.set _ZN7rocprim17ROCPRIM_400000_NS6detail17trampoline_kernelINS0_14default_configENS1_25transform_config_selectorImLb1EEEZNS1_14transform_implILb1ES3_S5_PmS7_NS0_8identityIvEEEE10hipError_tT2_T3_mT4_P12ihipStream_tbEUlT_E_NS1_11comp_targetILNS1_3genE4ELNS1_11target_archE910ELNS1_3gpuE8ELNS1_3repE0EEENS1_30default_config_static_selectorELNS0_4arch9wavefront6targetE1EEEvT1_.has_indirect_call, 0
	.section	.AMDGPU.csdata,"",@progbits
; Kernel info:
; codeLenInByte = 0
; TotalNumSgprs: 4
; NumVgprs: 0
; ScratchSize: 0
; MemoryBound: 0
; FloatMode: 240
; IeeeMode: 1
; LDSByteSize: 0 bytes/workgroup (compile time only)
; SGPRBlocks: 0
; VGPRBlocks: 0
; NumSGPRsForWavesPerEU: 4
; NumVGPRsForWavesPerEU: 1
; Occupancy: 10
; WaveLimiterHint : 0
; COMPUTE_PGM_RSRC2:SCRATCH_EN: 0
; COMPUTE_PGM_RSRC2:USER_SGPR: 6
; COMPUTE_PGM_RSRC2:TRAP_HANDLER: 0
; COMPUTE_PGM_RSRC2:TGID_X_EN: 1
; COMPUTE_PGM_RSRC2:TGID_Y_EN: 0
; COMPUTE_PGM_RSRC2:TGID_Z_EN: 0
; COMPUTE_PGM_RSRC2:TIDIG_COMP_CNT: 0
	.section	.text._ZN7rocprim17ROCPRIM_400000_NS6detail17trampoline_kernelINS0_14default_configENS1_25transform_config_selectorImLb1EEEZNS1_14transform_implILb1ES3_S5_PmS7_NS0_8identityIvEEEE10hipError_tT2_T3_mT4_P12ihipStream_tbEUlT_E_NS1_11comp_targetILNS1_3genE3ELNS1_11target_archE908ELNS1_3gpuE7ELNS1_3repE0EEENS1_30default_config_static_selectorELNS0_4arch9wavefront6targetE1EEEvT1_,"axG",@progbits,_ZN7rocprim17ROCPRIM_400000_NS6detail17trampoline_kernelINS0_14default_configENS1_25transform_config_selectorImLb1EEEZNS1_14transform_implILb1ES3_S5_PmS7_NS0_8identityIvEEEE10hipError_tT2_T3_mT4_P12ihipStream_tbEUlT_E_NS1_11comp_targetILNS1_3genE3ELNS1_11target_archE908ELNS1_3gpuE7ELNS1_3repE0EEENS1_30default_config_static_selectorELNS0_4arch9wavefront6targetE1EEEvT1_,comdat
	.protected	_ZN7rocprim17ROCPRIM_400000_NS6detail17trampoline_kernelINS0_14default_configENS1_25transform_config_selectorImLb1EEEZNS1_14transform_implILb1ES3_S5_PmS7_NS0_8identityIvEEEE10hipError_tT2_T3_mT4_P12ihipStream_tbEUlT_E_NS1_11comp_targetILNS1_3genE3ELNS1_11target_archE908ELNS1_3gpuE7ELNS1_3repE0EEENS1_30default_config_static_selectorELNS0_4arch9wavefront6targetE1EEEvT1_ ; -- Begin function _ZN7rocprim17ROCPRIM_400000_NS6detail17trampoline_kernelINS0_14default_configENS1_25transform_config_selectorImLb1EEEZNS1_14transform_implILb1ES3_S5_PmS7_NS0_8identityIvEEEE10hipError_tT2_T3_mT4_P12ihipStream_tbEUlT_E_NS1_11comp_targetILNS1_3genE3ELNS1_11target_archE908ELNS1_3gpuE7ELNS1_3repE0EEENS1_30default_config_static_selectorELNS0_4arch9wavefront6targetE1EEEvT1_
	.globl	_ZN7rocprim17ROCPRIM_400000_NS6detail17trampoline_kernelINS0_14default_configENS1_25transform_config_selectorImLb1EEEZNS1_14transform_implILb1ES3_S5_PmS7_NS0_8identityIvEEEE10hipError_tT2_T3_mT4_P12ihipStream_tbEUlT_E_NS1_11comp_targetILNS1_3genE3ELNS1_11target_archE908ELNS1_3gpuE7ELNS1_3repE0EEENS1_30default_config_static_selectorELNS0_4arch9wavefront6targetE1EEEvT1_
	.p2align	8
	.type	_ZN7rocprim17ROCPRIM_400000_NS6detail17trampoline_kernelINS0_14default_configENS1_25transform_config_selectorImLb1EEEZNS1_14transform_implILb1ES3_S5_PmS7_NS0_8identityIvEEEE10hipError_tT2_T3_mT4_P12ihipStream_tbEUlT_E_NS1_11comp_targetILNS1_3genE3ELNS1_11target_archE908ELNS1_3gpuE7ELNS1_3repE0EEENS1_30default_config_static_selectorELNS0_4arch9wavefront6targetE1EEEvT1_,@function
_ZN7rocprim17ROCPRIM_400000_NS6detail17trampoline_kernelINS0_14default_configENS1_25transform_config_selectorImLb1EEEZNS1_14transform_implILb1ES3_S5_PmS7_NS0_8identityIvEEEE10hipError_tT2_T3_mT4_P12ihipStream_tbEUlT_E_NS1_11comp_targetILNS1_3genE3ELNS1_11target_archE908ELNS1_3gpuE7ELNS1_3repE0EEENS1_30default_config_static_selectorELNS0_4arch9wavefront6targetE1EEEvT1_: ; @_ZN7rocprim17ROCPRIM_400000_NS6detail17trampoline_kernelINS0_14default_configENS1_25transform_config_selectorImLb1EEEZNS1_14transform_implILb1ES3_S5_PmS7_NS0_8identityIvEEEE10hipError_tT2_T3_mT4_P12ihipStream_tbEUlT_E_NS1_11comp_targetILNS1_3genE3ELNS1_11target_archE908ELNS1_3gpuE7ELNS1_3repE0EEENS1_30default_config_static_selectorELNS0_4arch9wavefront6targetE1EEEvT1_
; %bb.0:
	.section	.rodata,"a",@progbits
	.p2align	6, 0x0
	.amdhsa_kernel _ZN7rocprim17ROCPRIM_400000_NS6detail17trampoline_kernelINS0_14default_configENS1_25transform_config_selectorImLb1EEEZNS1_14transform_implILb1ES3_S5_PmS7_NS0_8identityIvEEEE10hipError_tT2_T3_mT4_P12ihipStream_tbEUlT_E_NS1_11comp_targetILNS1_3genE3ELNS1_11target_archE908ELNS1_3gpuE7ELNS1_3repE0EEENS1_30default_config_static_selectorELNS0_4arch9wavefront6targetE1EEEvT1_
		.amdhsa_group_segment_fixed_size 0
		.amdhsa_private_segment_fixed_size 0
		.amdhsa_kernarg_size 40
		.amdhsa_user_sgpr_count 6
		.amdhsa_user_sgpr_private_segment_buffer 1
		.amdhsa_user_sgpr_dispatch_ptr 0
		.amdhsa_user_sgpr_queue_ptr 0
		.amdhsa_user_sgpr_kernarg_segment_ptr 1
		.amdhsa_user_sgpr_dispatch_id 0
		.amdhsa_user_sgpr_flat_scratch_init 0
		.amdhsa_user_sgpr_private_segment_size 0
		.amdhsa_uses_dynamic_stack 0
		.amdhsa_system_sgpr_private_segment_wavefront_offset 0
		.amdhsa_system_sgpr_workgroup_id_x 1
		.amdhsa_system_sgpr_workgroup_id_y 0
		.amdhsa_system_sgpr_workgroup_id_z 0
		.amdhsa_system_sgpr_workgroup_info 0
		.amdhsa_system_vgpr_workitem_id 0
		.amdhsa_next_free_vgpr 1
		.amdhsa_next_free_sgpr 0
		.amdhsa_reserve_vcc 0
		.amdhsa_reserve_flat_scratch 0
		.amdhsa_float_round_mode_32 0
		.amdhsa_float_round_mode_16_64 0
		.amdhsa_float_denorm_mode_32 3
		.amdhsa_float_denorm_mode_16_64 3
		.amdhsa_dx10_clamp 1
		.amdhsa_ieee_mode 1
		.amdhsa_fp16_overflow 0
		.amdhsa_exception_fp_ieee_invalid_op 0
		.amdhsa_exception_fp_denorm_src 0
		.amdhsa_exception_fp_ieee_div_zero 0
		.amdhsa_exception_fp_ieee_overflow 0
		.amdhsa_exception_fp_ieee_underflow 0
		.amdhsa_exception_fp_ieee_inexact 0
		.amdhsa_exception_int_div_zero 0
	.end_amdhsa_kernel
	.section	.text._ZN7rocprim17ROCPRIM_400000_NS6detail17trampoline_kernelINS0_14default_configENS1_25transform_config_selectorImLb1EEEZNS1_14transform_implILb1ES3_S5_PmS7_NS0_8identityIvEEEE10hipError_tT2_T3_mT4_P12ihipStream_tbEUlT_E_NS1_11comp_targetILNS1_3genE3ELNS1_11target_archE908ELNS1_3gpuE7ELNS1_3repE0EEENS1_30default_config_static_selectorELNS0_4arch9wavefront6targetE1EEEvT1_,"axG",@progbits,_ZN7rocprim17ROCPRIM_400000_NS6detail17trampoline_kernelINS0_14default_configENS1_25transform_config_selectorImLb1EEEZNS1_14transform_implILb1ES3_S5_PmS7_NS0_8identityIvEEEE10hipError_tT2_T3_mT4_P12ihipStream_tbEUlT_E_NS1_11comp_targetILNS1_3genE3ELNS1_11target_archE908ELNS1_3gpuE7ELNS1_3repE0EEENS1_30default_config_static_selectorELNS0_4arch9wavefront6targetE1EEEvT1_,comdat
.Lfunc_end16:
	.size	_ZN7rocprim17ROCPRIM_400000_NS6detail17trampoline_kernelINS0_14default_configENS1_25transform_config_selectorImLb1EEEZNS1_14transform_implILb1ES3_S5_PmS7_NS0_8identityIvEEEE10hipError_tT2_T3_mT4_P12ihipStream_tbEUlT_E_NS1_11comp_targetILNS1_3genE3ELNS1_11target_archE908ELNS1_3gpuE7ELNS1_3repE0EEENS1_30default_config_static_selectorELNS0_4arch9wavefront6targetE1EEEvT1_, .Lfunc_end16-_ZN7rocprim17ROCPRIM_400000_NS6detail17trampoline_kernelINS0_14default_configENS1_25transform_config_selectorImLb1EEEZNS1_14transform_implILb1ES3_S5_PmS7_NS0_8identityIvEEEE10hipError_tT2_T3_mT4_P12ihipStream_tbEUlT_E_NS1_11comp_targetILNS1_3genE3ELNS1_11target_archE908ELNS1_3gpuE7ELNS1_3repE0EEENS1_30default_config_static_selectorELNS0_4arch9wavefront6targetE1EEEvT1_
                                        ; -- End function
	.set _ZN7rocprim17ROCPRIM_400000_NS6detail17trampoline_kernelINS0_14default_configENS1_25transform_config_selectorImLb1EEEZNS1_14transform_implILb1ES3_S5_PmS7_NS0_8identityIvEEEE10hipError_tT2_T3_mT4_P12ihipStream_tbEUlT_E_NS1_11comp_targetILNS1_3genE3ELNS1_11target_archE908ELNS1_3gpuE7ELNS1_3repE0EEENS1_30default_config_static_selectorELNS0_4arch9wavefront6targetE1EEEvT1_.num_vgpr, 0
	.set _ZN7rocprim17ROCPRIM_400000_NS6detail17trampoline_kernelINS0_14default_configENS1_25transform_config_selectorImLb1EEEZNS1_14transform_implILb1ES3_S5_PmS7_NS0_8identityIvEEEE10hipError_tT2_T3_mT4_P12ihipStream_tbEUlT_E_NS1_11comp_targetILNS1_3genE3ELNS1_11target_archE908ELNS1_3gpuE7ELNS1_3repE0EEENS1_30default_config_static_selectorELNS0_4arch9wavefront6targetE1EEEvT1_.num_agpr, 0
	.set _ZN7rocprim17ROCPRIM_400000_NS6detail17trampoline_kernelINS0_14default_configENS1_25transform_config_selectorImLb1EEEZNS1_14transform_implILb1ES3_S5_PmS7_NS0_8identityIvEEEE10hipError_tT2_T3_mT4_P12ihipStream_tbEUlT_E_NS1_11comp_targetILNS1_3genE3ELNS1_11target_archE908ELNS1_3gpuE7ELNS1_3repE0EEENS1_30default_config_static_selectorELNS0_4arch9wavefront6targetE1EEEvT1_.numbered_sgpr, 0
	.set _ZN7rocprim17ROCPRIM_400000_NS6detail17trampoline_kernelINS0_14default_configENS1_25transform_config_selectorImLb1EEEZNS1_14transform_implILb1ES3_S5_PmS7_NS0_8identityIvEEEE10hipError_tT2_T3_mT4_P12ihipStream_tbEUlT_E_NS1_11comp_targetILNS1_3genE3ELNS1_11target_archE908ELNS1_3gpuE7ELNS1_3repE0EEENS1_30default_config_static_selectorELNS0_4arch9wavefront6targetE1EEEvT1_.num_named_barrier, 0
	.set _ZN7rocprim17ROCPRIM_400000_NS6detail17trampoline_kernelINS0_14default_configENS1_25transform_config_selectorImLb1EEEZNS1_14transform_implILb1ES3_S5_PmS7_NS0_8identityIvEEEE10hipError_tT2_T3_mT4_P12ihipStream_tbEUlT_E_NS1_11comp_targetILNS1_3genE3ELNS1_11target_archE908ELNS1_3gpuE7ELNS1_3repE0EEENS1_30default_config_static_selectorELNS0_4arch9wavefront6targetE1EEEvT1_.private_seg_size, 0
	.set _ZN7rocprim17ROCPRIM_400000_NS6detail17trampoline_kernelINS0_14default_configENS1_25transform_config_selectorImLb1EEEZNS1_14transform_implILb1ES3_S5_PmS7_NS0_8identityIvEEEE10hipError_tT2_T3_mT4_P12ihipStream_tbEUlT_E_NS1_11comp_targetILNS1_3genE3ELNS1_11target_archE908ELNS1_3gpuE7ELNS1_3repE0EEENS1_30default_config_static_selectorELNS0_4arch9wavefront6targetE1EEEvT1_.uses_vcc, 0
	.set _ZN7rocprim17ROCPRIM_400000_NS6detail17trampoline_kernelINS0_14default_configENS1_25transform_config_selectorImLb1EEEZNS1_14transform_implILb1ES3_S5_PmS7_NS0_8identityIvEEEE10hipError_tT2_T3_mT4_P12ihipStream_tbEUlT_E_NS1_11comp_targetILNS1_3genE3ELNS1_11target_archE908ELNS1_3gpuE7ELNS1_3repE0EEENS1_30default_config_static_selectorELNS0_4arch9wavefront6targetE1EEEvT1_.uses_flat_scratch, 0
	.set _ZN7rocprim17ROCPRIM_400000_NS6detail17trampoline_kernelINS0_14default_configENS1_25transform_config_selectorImLb1EEEZNS1_14transform_implILb1ES3_S5_PmS7_NS0_8identityIvEEEE10hipError_tT2_T3_mT4_P12ihipStream_tbEUlT_E_NS1_11comp_targetILNS1_3genE3ELNS1_11target_archE908ELNS1_3gpuE7ELNS1_3repE0EEENS1_30default_config_static_selectorELNS0_4arch9wavefront6targetE1EEEvT1_.has_dyn_sized_stack, 0
	.set _ZN7rocprim17ROCPRIM_400000_NS6detail17trampoline_kernelINS0_14default_configENS1_25transform_config_selectorImLb1EEEZNS1_14transform_implILb1ES3_S5_PmS7_NS0_8identityIvEEEE10hipError_tT2_T3_mT4_P12ihipStream_tbEUlT_E_NS1_11comp_targetILNS1_3genE3ELNS1_11target_archE908ELNS1_3gpuE7ELNS1_3repE0EEENS1_30default_config_static_selectorELNS0_4arch9wavefront6targetE1EEEvT1_.has_recursion, 0
	.set _ZN7rocprim17ROCPRIM_400000_NS6detail17trampoline_kernelINS0_14default_configENS1_25transform_config_selectorImLb1EEEZNS1_14transform_implILb1ES3_S5_PmS7_NS0_8identityIvEEEE10hipError_tT2_T3_mT4_P12ihipStream_tbEUlT_E_NS1_11comp_targetILNS1_3genE3ELNS1_11target_archE908ELNS1_3gpuE7ELNS1_3repE0EEENS1_30default_config_static_selectorELNS0_4arch9wavefront6targetE1EEEvT1_.has_indirect_call, 0
	.section	.AMDGPU.csdata,"",@progbits
; Kernel info:
; codeLenInByte = 0
; TotalNumSgprs: 4
; NumVgprs: 0
; ScratchSize: 0
; MemoryBound: 0
; FloatMode: 240
; IeeeMode: 1
; LDSByteSize: 0 bytes/workgroup (compile time only)
; SGPRBlocks: 0
; VGPRBlocks: 0
; NumSGPRsForWavesPerEU: 4
; NumVGPRsForWavesPerEU: 1
; Occupancy: 10
; WaveLimiterHint : 0
; COMPUTE_PGM_RSRC2:SCRATCH_EN: 0
; COMPUTE_PGM_RSRC2:USER_SGPR: 6
; COMPUTE_PGM_RSRC2:TRAP_HANDLER: 0
; COMPUTE_PGM_RSRC2:TGID_X_EN: 1
; COMPUTE_PGM_RSRC2:TGID_Y_EN: 0
; COMPUTE_PGM_RSRC2:TGID_Z_EN: 0
; COMPUTE_PGM_RSRC2:TIDIG_COMP_CNT: 0
	.section	.text._ZN7rocprim17ROCPRIM_400000_NS6detail17trampoline_kernelINS0_14default_configENS1_25transform_config_selectorImLb1EEEZNS1_14transform_implILb1ES3_S5_PmS7_NS0_8identityIvEEEE10hipError_tT2_T3_mT4_P12ihipStream_tbEUlT_E_NS1_11comp_targetILNS1_3genE2ELNS1_11target_archE906ELNS1_3gpuE6ELNS1_3repE0EEENS1_30default_config_static_selectorELNS0_4arch9wavefront6targetE1EEEvT1_,"axG",@progbits,_ZN7rocprim17ROCPRIM_400000_NS6detail17trampoline_kernelINS0_14default_configENS1_25transform_config_selectorImLb1EEEZNS1_14transform_implILb1ES3_S5_PmS7_NS0_8identityIvEEEE10hipError_tT2_T3_mT4_P12ihipStream_tbEUlT_E_NS1_11comp_targetILNS1_3genE2ELNS1_11target_archE906ELNS1_3gpuE6ELNS1_3repE0EEENS1_30default_config_static_selectorELNS0_4arch9wavefront6targetE1EEEvT1_,comdat
	.protected	_ZN7rocprim17ROCPRIM_400000_NS6detail17trampoline_kernelINS0_14default_configENS1_25transform_config_selectorImLb1EEEZNS1_14transform_implILb1ES3_S5_PmS7_NS0_8identityIvEEEE10hipError_tT2_T3_mT4_P12ihipStream_tbEUlT_E_NS1_11comp_targetILNS1_3genE2ELNS1_11target_archE906ELNS1_3gpuE6ELNS1_3repE0EEENS1_30default_config_static_selectorELNS0_4arch9wavefront6targetE1EEEvT1_ ; -- Begin function _ZN7rocprim17ROCPRIM_400000_NS6detail17trampoline_kernelINS0_14default_configENS1_25transform_config_selectorImLb1EEEZNS1_14transform_implILb1ES3_S5_PmS7_NS0_8identityIvEEEE10hipError_tT2_T3_mT4_P12ihipStream_tbEUlT_E_NS1_11comp_targetILNS1_3genE2ELNS1_11target_archE906ELNS1_3gpuE6ELNS1_3repE0EEENS1_30default_config_static_selectorELNS0_4arch9wavefront6targetE1EEEvT1_
	.globl	_ZN7rocprim17ROCPRIM_400000_NS6detail17trampoline_kernelINS0_14default_configENS1_25transform_config_selectorImLb1EEEZNS1_14transform_implILb1ES3_S5_PmS7_NS0_8identityIvEEEE10hipError_tT2_T3_mT4_P12ihipStream_tbEUlT_E_NS1_11comp_targetILNS1_3genE2ELNS1_11target_archE906ELNS1_3gpuE6ELNS1_3repE0EEENS1_30default_config_static_selectorELNS0_4arch9wavefront6targetE1EEEvT1_
	.p2align	8
	.type	_ZN7rocprim17ROCPRIM_400000_NS6detail17trampoline_kernelINS0_14default_configENS1_25transform_config_selectorImLb1EEEZNS1_14transform_implILb1ES3_S5_PmS7_NS0_8identityIvEEEE10hipError_tT2_T3_mT4_P12ihipStream_tbEUlT_E_NS1_11comp_targetILNS1_3genE2ELNS1_11target_archE906ELNS1_3gpuE6ELNS1_3repE0EEENS1_30default_config_static_selectorELNS0_4arch9wavefront6targetE1EEEvT1_,@function
_ZN7rocprim17ROCPRIM_400000_NS6detail17trampoline_kernelINS0_14default_configENS1_25transform_config_selectorImLb1EEEZNS1_14transform_implILb1ES3_S5_PmS7_NS0_8identityIvEEEE10hipError_tT2_T3_mT4_P12ihipStream_tbEUlT_E_NS1_11comp_targetILNS1_3genE2ELNS1_11target_archE906ELNS1_3gpuE6ELNS1_3repE0EEENS1_30default_config_static_selectorELNS0_4arch9wavefront6targetE1EEEvT1_: ; @_ZN7rocprim17ROCPRIM_400000_NS6detail17trampoline_kernelINS0_14default_configENS1_25transform_config_selectorImLb1EEEZNS1_14transform_implILb1ES3_S5_PmS7_NS0_8identityIvEEEE10hipError_tT2_T3_mT4_P12ihipStream_tbEUlT_E_NS1_11comp_targetILNS1_3genE2ELNS1_11target_archE906ELNS1_3gpuE6ELNS1_3repE0EEENS1_30default_config_static_selectorELNS0_4arch9wavefront6targetE1EEEvT1_
; %bb.0:
	s_load_dword s1, s[4:5], 0x28
	s_load_dword s7, s[4:5], 0x10
	s_lshl_b32 s0, s6, 9
	s_waitcnt lgkmcnt(0)
	s_add_i32 s1, s1, -1
	s_cmp_lg_u32 s6, s1
	s_cselect_b64 s[2:3], -1, 0
	s_sub_i32 s1, s7, s0
	v_cmp_gt_u32_e32 vcc, s1, v0
	s_or_b64 s[2:3], vcc, s[2:3]
	s_and_saveexec_b64 s[6:7], s[2:3]
	s_cbranch_execz .LBB17_2
; %bb.1:
	s_load_dwordx4 s[8:11], s[4:5], 0x0
	s_load_dwordx2 s[2:3], s[4:5], 0x18
	s_mov_b32 s1, 0
	v_lshlrev_b32_e32 v2, 3, v0
	s_waitcnt lgkmcnt(0)
	s_lshl_b64 s[4:5], s[10:11], 3
	s_add_u32 s6, s8, s4
	s_addc_u32 s7, s9, s5
	s_lshl_b64 s[0:1], s[0:1], 3
	s_add_u32 s6, s6, s0
	s_addc_u32 s7, s7, s1
	global_load_dwordx2 v[0:1], v2, s[6:7]
	s_add_u32 s2, s2, s4
	s_addc_u32 s3, s3, s5
	s_add_u32 s0, s2, s0
	s_addc_u32 s1, s3, s1
	s_waitcnt vmcnt(0)
	global_store_dwordx2 v2, v[0:1], s[0:1]
.LBB17_2:
	s_endpgm
	.section	.rodata,"a",@progbits
	.p2align	6, 0x0
	.amdhsa_kernel _ZN7rocprim17ROCPRIM_400000_NS6detail17trampoline_kernelINS0_14default_configENS1_25transform_config_selectorImLb1EEEZNS1_14transform_implILb1ES3_S5_PmS7_NS0_8identityIvEEEE10hipError_tT2_T3_mT4_P12ihipStream_tbEUlT_E_NS1_11comp_targetILNS1_3genE2ELNS1_11target_archE906ELNS1_3gpuE6ELNS1_3repE0EEENS1_30default_config_static_selectorELNS0_4arch9wavefront6targetE1EEEvT1_
		.amdhsa_group_segment_fixed_size 0
		.amdhsa_private_segment_fixed_size 0
		.amdhsa_kernarg_size 296
		.amdhsa_user_sgpr_count 6
		.amdhsa_user_sgpr_private_segment_buffer 1
		.amdhsa_user_sgpr_dispatch_ptr 0
		.amdhsa_user_sgpr_queue_ptr 0
		.amdhsa_user_sgpr_kernarg_segment_ptr 1
		.amdhsa_user_sgpr_dispatch_id 0
		.amdhsa_user_sgpr_flat_scratch_init 0
		.amdhsa_user_sgpr_private_segment_size 0
		.amdhsa_uses_dynamic_stack 0
		.amdhsa_system_sgpr_private_segment_wavefront_offset 0
		.amdhsa_system_sgpr_workgroup_id_x 1
		.amdhsa_system_sgpr_workgroup_id_y 0
		.amdhsa_system_sgpr_workgroup_id_z 0
		.amdhsa_system_sgpr_workgroup_info 0
		.amdhsa_system_vgpr_workitem_id 0
		.amdhsa_next_free_vgpr 3
		.amdhsa_next_free_sgpr 12
		.amdhsa_reserve_vcc 1
		.amdhsa_reserve_flat_scratch 0
		.amdhsa_float_round_mode_32 0
		.amdhsa_float_round_mode_16_64 0
		.amdhsa_float_denorm_mode_32 3
		.amdhsa_float_denorm_mode_16_64 3
		.amdhsa_dx10_clamp 1
		.amdhsa_ieee_mode 1
		.amdhsa_fp16_overflow 0
		.amdhsa_exception_fp_ieee_invalid_op 0
		.amdhsa_exception_fp_denorm_src 0
		.amdhsa_exception_fp_ieee_div_zero 0
		.amdhsa_exception_fp_ieee_overflow 0
		.amdhsa_exception_fp_ieee_underflow 0
		.amdhsa_exception_fp_ieee_inexact 0
		.amdhsa_exception_int_div_zero 0
	.end_amdhsa_kernel
	.section	.text._ZN7rocprim17ROCPRIM_400000_NS6detail17trampoline_kernelINS0_14default_configENS1_25transform_config_selectorImLb1EEEZNS1_14transform_implILb1ES3_S5_PmS7_NS0_8identityIvEEEE10hipError_tT2_T3_mT4_P12ihipStream_tbEUlT_E_NS1_11comp_targetILNS1_3genE2ELNS1_11target_archE906ELNS1_3gpuE6ELNS1_3repE0EEENS1_30default_config_static_selectorELNS0_4arch9wavefront6targetE1EEEvT1_,"axG",@progbits,_ZN7rocprim17ROCPRIM_400000_NS6detail17trampoline_kernelINS0_14default_configENS1_25transform_config_selectorImLb1EEEZNS1_14transform_implILb1ES3_S5_PmS7_NS0_8identityIvEEEE10hipError_tT2_T3_mT4_P12ihipStream_tbEUlT_E_NS1_11comp_targetILNS1_3genE2ELNS1_11target_archE906ELNS1_3gpuE6ELNS1_3repE0EEENS1_30default_config_static_selectorELNS0_4arch9wavefront6targetE1EEEvT1_,comdat
.Lfunc_end17:
	.size	_ZN7rocprim17ROCPRIM_400000_NS6detail17trampoline_kernelINS0_14default_configENS1_25transform_config_selectorImLb1EEEZNS1_14transform_implILb1ES3_S5_PmS7_NS0_8identityIvEEEE10hipError_tT2_T3_mT4_P12ihipStream_tbEUlT_E_NS1_11comp_targetILNS1_3genE2ELNS1_11target_archE906ELNS1_3gpuE6ELNS1_3repE0EEENS1_30default_config_static_selectorELNS0_4arch9wavefront6targetE1EEEvT1_, .Lfunc_end17-_ZN7rocprim17ROCPRIM_400000_NS6detail17trampoline_kernelINS0_14default_configENS1_25transform_config_selectorImLb1EEEZNS1_14transform_implILb1ES3_S5_PmS7_NS0_8identityIvEEEE10hipError_tT2_T3_mT4_P12ihipStream_tbEUlT_E_NS1_11comp_targetILNS1_3genE2ELNS1_11target_archE906ELNS1_3gpuE6ELNS1_3repE0EEENS1_30default_config_static_selectorELNS0_4arch9wavefront6targetE1EEEvT1_
                                        ; -- End function
	.set _ZN7rocprim17ROCPRIM_400000_NS6detail17trampoline_kernelINS0_14default_configENS1_25transform_config_selectorImLb1EEEZNS1_14transform_implILb1ES3_S5_PmS7_NS0_8identityIvEEEE10hipError_tT2_T3_mT4_P12ihipStream_tbEUlT_E_NS1_11comp_targetILNS1_3genE2ELNS1_11target_archE906ELNS1_3gpuE6ELNS1_3repE0EEENS1_30default_config_static_selectorELNS0_4arch9wavefront6targetE1EEEvT1_.num_vgpr, 3
	.set _ZN7rocprim17ROCPRIM_400000_NS6detail17trampoline_kernelINS0_14default_configENS1_25transform_config_selectorImLb1EEEZNS1_14transform_implILb1ES3_S5_PmS7_NS0_8identityIvEEEE10hipError_tT2_T3_mT4_P12ihipStream_tbEUlT_E_NS1_11comp_targetILNS1_3genE2ELNS1_11target_archE906ELNS1_3gpuE6ELNS1_3repE0EEENS1_30default_config_static_selectorELNS0_4arch9wavefront6targetE1EEEvT1_.num_agpr, 0
	.set _ZN7rocprim17ROCPRIM_400000_NS6detail17trampoline_kernelINS0_14default_configENS1_25transform_config_selectorImLb1EEEZNS1_14transform_implILb1ES3_S5_PmS7_NS0_8identityIvEEEE10hipError_tT2_T3_mT4_P12ihipStream_tbEUlT_E_NS1_11comp_targetILNS1_3genE2ELNS1_11target_archE906ELNS1_3gpuE6ELNS1_3repE0EEENS1_30default_config_static_selectorELNS0_4arch9wavefront6targetE1EEEvT1_.numbered_sgpr, 12
	.set _ZN7rocprim17ROCPRIM_400000_NS6detail17trampoline_kernelINS0_14default_configENS1_25transform_config_selectorImLb1EEEZNS1_14transform_implILb1ES3_S5_PmS7_NS0_8identityIvEEEE10hipError_tT2_T3_mT4_P12ihipStream_tbEUlT_E_NS1_11comp_targetILNS1_3genE2ELNS1_11target_archE906ELNS1_3gpuE6ELNS1_3repE0EEENS1_30default_config_static_selectorELNS0_4arch9wavefront6targetE1EEEvT1_.num_named_barrier, 0
	.set _ZN7rocprim17ROCPRIM_400000_NS6detail17trampoline_kernelINS0_14default_configENS1_25transform_config_selectorImLb1EEEZNS1_14transform_implILb1ES3_S5_PmS7_NS0_8identityIvEEEE10hipError_tT2_T3_mT4_P12ihipStream_tbEUlT_E_NS1_11comp_targetILNS1_3genE2ELNS1_11target_archE906ELNS1_3gpuE6ELNS1_3repE0EEENS1_30default_config_static_selectorELNS0_4arch9wavefront6targetE1EEEvT1_.private_seg_size, 0
	.set _ZN7rocprim17ROCPRIM_400000_NS6detail17trampoline_kernelINS0_14default_configENS1_25transform_config_selectorImLb1EEEZNS1_14transform_implILb1ES3_S5_PmS7_NS0_8identityIvEEEE10hipError_tT2_T3_mT4_P12ihipStream_tbEUlT_E_NS1_11comp_targetILNS1_3genE2ELNS1_11target_archE906ELNS1_3gpuE6ELNS1_3repE0EEENS1_30default_config_static_selectorELNS0_4arch9wavefront6targetE1EEEvT1_.uses_vcc, 1
	.set _ZN7rocprim17ROCPRIM_400000_NS6detail17trampoline_kernelINS0_14default_configENS1_25transform_config_selectorImLb1EEEZNS1_14transform_implILb1ES3_S5_PmS7_NS0_8identityIvEEEE10hipError_tT2_T3_mT4_P12ihipStream_tbEUlT_E_NS1_11comp_targetILNS1_3genE2ELNS1_11target_archE906ELNS1_3gpuE6ELNS1_3repE0EEENS1_30default_config_static_selectorELNS0_4arch9wavefront6targetE1EEEvT1_.uses_flat_scratch, 0
	.set _ZN7rocprim17ROCPRIM_400000_NS6detail17trampoline_kernelINS0_14default_configENS1_25transform_config_selectorImLb1EEEZNS1_14transform_implILb1ES3_S5_PmS7_NS0_8identityIvEEEE10hipError_tT2_T3_mT4_P12ihipStream_tbEUlT_E_NS1_11comp_targetILNS1_3genE2ELNS1_11target_archE906ELNS1_3gpuE6ELNS1_3repE0EEENS1_30default_config_static_selectorELNS0_4arch9wavefront6targetE1EEEvT1_.has_dyn_sized_stack, 0
	.set _ZN7rocprim17ROCPRIM_400000_NS6detail17trampoline_kernelINS0_14default_configENS1_25transform_config_selectorImLb1EEEZNS1_14transform_implILb1ES3_S5_PmS7_NS0_8identityIvEEEE10hipError_tT2_T3_mT4_P12ihipStream_tbEUlT_E_NS1_11comp_targetILNS1_3genE2ELNS1_11target_archE906ELNS1_3gpuE6ELNS1_3repE0EEENS1_30default_config_static_selectorELNS0_4arch9wavefront6targetE1EEEvT1_.has_recursion, 0
	.set _ZN7rocprim17ROCPRIM_400000_NS6detail17trampoline_kernelINS0_14default_configENS1_25transform_config_selectorImLb1EEEZNS1_14transform_implILb1ES3_S5_PmS7_NS0_8identityIvEEEE10hipError_tT2_T3_mT4_P12ihipStream_tbEUlT_E_NS1_11comp_targetILNS1_3genE2ELNS1_11target_archE906ELNS1_3gpuE6ELNS1_3repE0EEENS1_30default_config_static_selectorELNS0_4arch9wavefront6targetE1EEEvT1_.has_indirect_call, 0
	.section	.AMDGPU.csdata,"",@progbits
; Kernel info:
; codeLenInByte = 148
; TotalNumSgprs: 16
; NumVgprs: 3
; ScratchSize: 0
; MemoryBound: 0
; FloatMode: 240
; IeeeMode: 1
; LDSByteSize: 0 bytes/workgroup (compile time only)
; SGPRBlocks: 1
; VGPRBlocks: 0
; NumSGPRsForWavesPerEU: 16
; NumVGPRsForWavesPerEU: 3
; Occupancy: 10
; WaveLimiterHint : 0
; COMPUTE_PGM_RSRC2:SCRATCH_EN: 0
; COMPUTE_PGM_RSRC2:USER_SGPR: 6
; COMPUTE_PGM_RSRC2:TRAP_HANDLER: 0
; COMPUTE_PGM_RSRC2:TGID_X_EN: 1
; COMPUTE_PGM_RSRC2:TGID_Y_EN: 0
; COMPUTE_PGM_RSRC2:TGID_Z_EN: 0
; COMPUTE_PGM_RSRC2:TIDIG_COMP_CNT: 0
	.section	.text._ZN7rocprim17ROCPRIM_400000_NS6detail17trampoline_kernelINS0_14default_configENS1_25transform_config_selectorImLb1EEEZNS1_14transform_implILb1ES3_S5_PmS7_NS0_8identityIvEEEE10hipError_tT2_T3_mT4_P12ihipStream_tbEUlT_E_NS1_11comp_targetILNS1_3genE9ELNS1_11target_archE1100ELNS1_3gpuE3ELNS1_3repE0EEENS1_30default_config_static_selectorELNS0_4arch9wavefront6targetE1EEEvT1_,"axG",@progbits,_ZN7rocprim17ROCPRIM_400000_NS6detail17trampoline_kernelINS0_14default_configENS1_25transform_config_selectorImLb1EEEZNS1_14transform_implILb1ES3_S5_PmS7_NS0_8identityIvEEEE10hipError_tT2_T3_mT4_P12ihipStream_tbEUlT_E_NS1_11comp_targetILNS1_3genE9ELNS1_11target_archE1100ELNS1_3gpuE3ELNS1_3repE0EEENS1_30default_config_static_selectorELNS0_4arch9wavefront6targetE1EEEvT1_,comdat
	.protected	_ZN7rocprim17ROCPRIM_400000_NS6detail17trampoline_kernelINS0_14default_configENS1_25transform_config_selectorImLb1EEEZNS1_14transform_implILb1ES3_S5_PmS7_NS0_8identityIvEEEE10hipError_tT2_T3_mT4_P12ihipStream_tbEUlT_E_NS1_11comp_targetILNS1_3genE9ELNS1_11target_archE1100ELNS1_3gpuE3ELNS1_3repE0EEENS1_30default_config_static_selectorELNS0_4arch9wavefront6targetE1EEEvT1_ ; -- Begin function _ZN7rocprim17ROCPRIM_400000_NS6detail17trampoline_kernelINS0_14default_configENS1_25transform_config_selectorImLb1EEEZNS1_14transform_implILb1ES3_S5_PmS7_NS0_8identityIvEEEE10hipError_tT2_T3_mT4_P12ihipStream_tbEUlT_E_NS1_11comp_targetILNS1_3genE9ELNS1_11target_archE1100ELNS1_3gpuE3ELNS1_3repE0EEENS1_30default_config_static_selectorELNS0_4arch9wavefront6targetE1EEEvT1_
	.globl	_ZN7rocprim17ROCPRIM_400000_NS6detail17trampoline_kernelINS0_14default_configENS1_25transform_config_selectorImLb1EEEZNS1_14transform_implILb1ES3_S5_PmS7_NS0_8identityIvEEEE10hipError_tT2_T3_mT4_P12ihipStream_tbEUlT_E_NS1_11comp_targetILNS1_3genE9ELNS1_11target_archE1100ELNS1_3gpuE3ELNS1_3repE0EEENS1_30default_config_static_selectorELNS0_4arch9wavefront6targetE1EEEvT1_
	.p2align	8
	.type	_ZN7rocprim17ROCPRIM_400000_NS6detail17trampoline_kernelINS0_14default_configENS1_25transform_config_selectorImLb1EEEZNS1_14transform_implILb1ES3_S5_PmS7_NS0_8identityIvEEEE10hipError_tT2_T3_mT4_P12ihipStream_tbEUlT_E_NS1_11comp_targetILNS1_3genE9ELNS1_11target_archE1100ELNS1_3gpuE3ELNS1_3repE0EEENS1_30default_config_static_selectorELNS0_4arch9wavefront6targetE1EEEvT1_,@function
_ZN7rocprim17ROCPRIM_400000_NS6detail17trampoline_kernelINS0_14default_configENS1_25transform_config_selectorImLb1EEEZNS1_14transform_implILb1ES3_S5_PmS7_NS0_8identityIvEEEE10hipError_tT2_T3_mT4_P12ihipStream_tbEUlT_E_NS1_11comp_targetILNS1_3genE9ELNS1_11target_archE1100ELNS1_3gpuE3ELNS1_3repE0EEENS1_30default_config_static_selectorELNS0_4arch9wavefront6targetE1EEEvT1_: ; @_ZN7rocprim17ROCPRIM_400000_NS6detail17trampoline_kernelINS0_14default_configENS1_25transform_config_selectorImLb1EEEZNS1_14transform_implILb1ES3_S5_PmS7_NS0_8identityIvEEEE10hipError_tT2_T3_mT4_P12ihipStream_tbEUlT_E_NS1_11comp_targetILNS1_3genE9ELNS1_11target_archE1100ELNS1_3gpuE3ELNS1_3repE0EEENS1_30default_config_static_selectorELNS0_4arch9wavefront6targetE1EEEvT1_
; %bb.0:
	.section	.rodata,"a",@progbits
	.p2align	6, 0x0
	.amdhsa_kernel _ZN7rocprim17ROCPRIM_400000_NS6detail17trampoline_kernelINS0_14default_configENS1_25transform_config_selectorImLb1EEEZNS1_14transform_implILb1ES3_S5_PmS7_NS0_8identityIvEEEE10hipError_tT2_T3_mT4_P12ihipStream_tbEUlT_E_NS1_11comp_targetILNS1_3genE9ELNS1_11target_archE1100ELNS1_3gpuE3ELNS1_3repE0EEENS1_30default_config_static_selectorELNS0_4arch9wavefront6targetE1EEEvT1_
		.amdhsa_group_segment_fixed_size 0
		.amdhsa_private_segment_fixed_size 0
		.amdhsa_kernarg_size 40
		.amdhsa_user_sgpr_count 6
		.amdhsa_user_sgpr_private_segment_buffer 1
		.amdhsa_user_sgpr_dispatch_ptr 0
		.amdhsa_user_sgpr_queue_ptr 0
		.amdhsa_user_sgpr_kernarg_segment_ptr 1
		.amdhsa_user_sgpr_dispatch_id 0
		.amdhsa_user_sgpr_flat_scratch_init 0
		.amdhsa_user_sgpr_private_segment_size 0
		.amdhsa_uses_dynamic_stack 0
		.amdhsa_system_sgpr_private_segment_wavefront_offset 0
		.amdhsa_system_sgpr_workgroup_id_x 1
		.amdhsa_system_sgpr_workgroup_id_y 0
		.amdhsa_system_sgpr_workgroup_id_z 0
		.amdhsa_system_sgpr_workgroup_info 0
		.amdhsa_system_vgpr_workitem_id 0
		.amdhsa_next_free_vgpr 1
		.amdhsa_next_free_sgpr 0
		.amdhsa_reserve_vcc 0
		.amdhsa_reserve_flat_scratch 0
		.amdhsa_float_round_mode_32 0
		.amdhsa_float_round_mode_16_64 0
		.amdhsa_float_denorm_mode_32 3
		.amdhsa_float_denorm_mode_16_64 3
		.amdhsa_dx10_clamp 1
		.amdhsa_ieee_mode 1
		.amdhsa_fp16_overflow 0
		.amdhsa_exception_fp_ieee_invalid_op 0
		.amdhsa_exception_fp_denorm_src 0
		.amdhsa_exception_fp_ieee_div_zero 0
		.amdhsa_exception_fp_ieee_overflow 0
		.amdhsa_exception_fp_ieee_underflow 0
		.amdhsa_exception_fp_ieee_inexact 0
		.amdhsa_exception_int_div_zero 0
	.end_amdhsa_kernel
	.section	.text._ZN7rocprim17ROCPRIM_400000_NS6detail17trampoline_kernelINS0_14default_configENS1_25transform_config_selectorImLb1EEEZNS1_14transform_implILb1ES3_S5_PmS7_NS0_8identityIvEEEE10hipError_tT2_T3_mT4_P12ihipStream_tbEUlT_E_NS1_11comp_targetILNS1_3genE9ELNS1_11target_archE1100ELNS1_3gpuE3ELNS1_3repE0EEENS1_30default_config_static_selectorELNS0_4arch9wavefront6targetE1EEEvT1_,"axG",@progbits,_ZN7rocprim17ROCPRIM_400000_NS6detail17trampoline_kernelINS0_14default_configENS1_25transform_config_selectorImLb1EEEZNS1_14transform_implILb1ES3_S5_PmS7_NS0_8identityIvEEEE10hipError_tT2_T3_mT4_P12ihipStream_tbEUlT_E_NS1_11comp_targetILNS1_3genE9ELNS1_11target_archE1100ELNS1_3gpuE3ELNS1_3repE0EEENS1_30default_config_static_selectorELNS0_4arch9wavefront6targetE1EEEvT1_,comdat
.Lfunc_end18:
	.size	_ZN7rocprim17ROCPRIM_400000_NS6detail17trampoline_kernelINS0_14default_configENS1_25transform_config_selectorImLb1EEEZNS1_14transform_implILb1ES3_S5_PmS7_NS0_8identityIvEEEE10hipError_tT2_T3_mT4_P12ihipStream_tbEUlT_E_NS1_11comp_targetILNS1_3genE9ELNS1_11target_archE1100ELNS1_3gpuE3ELNS1_3repE0EEENS1_30default_config_static_selectorELNS0_4arch9wavefront6targetE1EEEvT1_, .Lfunc_end18-_ZN7rocprim17ROCPRIM_400000_NS6detail17trampoline_kernelINS0_14default_configENS1_25transform_config_selectorImLb1EEEZNS1_14transform_implILb1ES3_S5_PmS7_NS0_8identityIvEEEE10hipError_tT2_T3_mT4_P12ihipStream_tbEUlT_E_NS1_11comp_targetILNS1_3genE9ELNS1_11target_archE1100ELNS1_3gpuE3ELNS1_3repE0EEENS1_30default_config_static_selectorELNS0_4arch9wavefront6targetE1EEEvT1_
                                        ; -- End function
	.set _ZN7rocprim17ROCPRIM_400000_NS6detail17trampoline_kernelINS0_14default_configENS1_25transform_config_selectorImLb1EEEZNS1_14transform_implILb1ES3_S5_PmS7_NS0_8identityIvEEEE10hipError_tT2_T3_mT4_P12ihipStream_tbEUlT_E_NS1_11comp_targetILNS1_3genE9ELNS1_11target_archE1100ELNS1_3gpuE3ELNS1_3repE0EEENS1_30default_config_static_selectorELNS0_4arch9wavefront6targetE1EEEvT1_.num_vgpr, 0
	.set _ZN7rocprim17ROCPRIM_400000_NS6detail17trampoline_kernelINS0_14default_configENS1_25transform_config_selectorImLb1EEEZNS1_14transform_implILb1ES3_S5_PmS7_NS0_8identityIvEEEE10hipError_tT2_T3_mT4_P12ihipStream_tbEUlT_E_NS1_11comp_targetILNS1_3genE9ELNS1_11target_archE1100ELNS1_3gpuE3ELNS1_3repE0EEENS1_30default_config_static_selectorELNS0_4arch9wavefront6targetE1EEEvT1_.num_agpr, 0
	.set _ZN7rocprim17ROCPRIM_400000_NS6detail17trampoline_kernelINS0_14default_configENS1_25transform_config_selectorImLb1EEEZNS1_14transform_implILb1ES3_S5_PmS7_NS0_8identityIvEEEE10hipError_tT2_T3_mT4_P12ihipStream_tbEUlT_E_NS1_11comp_targetILNS1_3genE9ELNS1_11target_archE1100ELNS1_3gpuE3ELNS1_3repE0EEENS1_30default_config_static_selectorELNS0_4arch9wavefront6targetE1EEEvT1_.numbered_sgpr, 0
	.set _ZN7rocprim17ROCPRIM_400000_NS6detail17trampoline_kernelINS0_14default_configENS1_25transform_config_selectorImLb1EEEZNS1_14transform_implILb1ES3_S5_PmS7_NS0_8identityIvEEEE10hipError_tT2_T3_mT4_P12ihipStream_tbEUlT_E_NS1_11comp_targetILNS1_3genE9ELNS1_11target_archE1100ELNS1_3gpuE3ELNS1_3repE0EEENS1_30default_config_static_selectorELNS0_4arch9wavefront6targetE1EEEvT1_.num_named_barrier, 0
	.set _ZN7rocprim17ROCPRIM_400000_NS6detail17trampoline_kernelINS0_14default_configENS1_25transform_config_selectorImLb1EEEZNS1_14transform_implILb1ES3_S5_PmS7_NS0_8identityIvEEEE10hipError_tT2_T3_mT4_P12ihipStream_tbEUlT_E_NS1_11comp_targetILNS1_3genE9ELNS1_11target_archE1100ELNS1_3gpuE3ELNS1_3repE0EEENS1_30default_config_static_selectorELNS0_4arch9wavefront6targetE1EEEvT1_.private_seg_size, 0
	.set _ZN7rocprim17ROCPRIM_400000_NS6detail17trampoline_kernelINS0_14default_configENS1_25transform_config_selectorImLb1EEEZNS1_14transform_implILb1ES3_S5_PmS7_NS0_8identityIvEEEE10hipError_tT2_T3_mT4_P12ihipStream_tbEUlT_E_NS1_11comp_targetILNS1_3genE9ELNS1_11target_archE1100ELNS1_3gpuE3ELNS1_3repE0EEENS1_30default_config_static_selectorELNS0_4arch9wavefront6targetE1EEEvT1_.uses_vcc, 0
	.set _ZN7rocprim17ROCPRIM_400000_NS6detail17trampoline_kernelINS0_14default_configENS1_25transform_config_selectorImLb1EEEZNS1_14transform_implILb1ES3_S5_PmS7_NS0_8identityIvEEEE10hipError_tT2_T3_mT4_P12ihipStream_tbEUlT_E_NS1_11comp_targetILNS1_3genE9ELNS1_11target_archE1100ELNS1_3gpuE3ELNS1_3repE0EEENS1_30default_config_static_selectorELNS0_4arch9wavefront6targetE1EEEvT1_.uses_flat_scratch, 0
	.set _ZN7rocprim17ROCPRIM_400000_NS6detail17trampoline_kernelINS0_14default_configENS1_25transform_config_selectorImLb1EEEZNS1_14transform_implILb1ES3_S5_PmS7_NS0_8identityIvEEEE10hipError_tT2_T3_mT4_P12ihipStream_tbEUlT_E_NS1_11comp_targetILNS1_3genE9ELNS1_11target_archE1100ELNS1_3gpuE3ELNS1_3repE0EEENS1_30default_config_static_selectorELNS0_4arch9wavefront6targetE1EEEvT1_.has_dyn_sized_stack, 0
	.set _ZN7rocprim17ROCPRIM_400000_NS6detail17trampoline_kernelINS0_14default_configENS1_25transform_config_selectorImLb1EEEZNS1_14transform_implILb1ES3_S5_PmS7_NS0_8identityIvEEEE10hipError_tT2_T3_mT4_P12ihipStream_tbEUlT_E_NS1_11comp_targetILNS1_3genE9ELNS1_11target_archE1100ELNS1_3gpuE3ELNS1_3repE0EEENS1_30default_config_static_selectorELNS0_4arch9wavefront6targetE1EEEvT1_.has_recursion, 0
	.set _ZN7rocprim17ROCPRIM_400000_NS6detail17trampoline_kernelINS0_14default_configENS1_25transform_config_selectorImLb1EEEZNS1_14transform_implILb1ES3_S5_PmS7_NS0_8identityIvEEEE10hipError_tT2_T3_mT4_P12ihipStream_tbEUlT_E_NS1_11comp_targetILNS1_3genE9ELNS1_11target_archE1100ELNS1_3gpuE3ELNS1_3repE0EEENS1_30default_config_static_selectorELNS0_4arch9wavefront6targetE1EEEvT1_.has_indirect_call, 0
	.section	.AMDGPU.csdata,"",@progbits
; Kernel info:
; codeLenInByte = 0
; TotalNumSgprs: 4
; NumVgprs: 0
; ScratchSize: 0
; MemoryBound: 0
; FloatMode: 240
; IeeeMode: 1
; LDSByteSize: 0 bytes/workgroup (compile time only)
; SGPRBlocks: 0
; VGPRBlocks: 0
; NumSGPRsForWavesPerEU: 4
; NumVGPRsForWavesPerEU: 1
; Occupancy: 10
; WaveLimiterHint : 0
; COMPUTE_PGM_RSRC2:SCRATCH_EN: 0
; COMPUTE_PGM_RSRC2:USER_SGPR: 6
; COMPUTE_PGM_RSRC2:TRAP_HANDLER: 0
; COMPUTE_PGM_RSRC2:TGID_X_EN: 1
; COMPUTE_PGM_RSRC2:TGID_Y_EN: 0
; COMPUTE_PGM_RSRC2:TGID_Z_EN: 0
; COMPUTE_PGM_RSRC2:TIDIG_COMP_CNT: 0
	.section	.text._ZN7rocprim17ROCPRIM_400000_NS6detail17trampoline_kernelINS0_14default_configENS1_25transform_config_selectorImLb1EEEZNS1_14transform_implILb1ES3_S5_PmS7_NS0_8identityIvEEEE10hipError_tT2_T3_mT4_P12ihipStream_tbEUlT_E_NS1_11comp_targetILNS1_3genE8ELNS1_11target_archE1030ELNS1_3gpuE2ELNS1_3repE0EEENS1_30default_config_static_selectorELNS0_4arch9wavefront6targetE1EEEvT1_,"axG",@progbits,_ZN7rocprim17ROCPRIM_400000_NS6detail17trampoline_kernelINS0_14default_configENS1_25transform_config_selectorImLb1EEEZNS1_14transform_implILb1ES3_S5_PmS7_NS0_8identityIvEEEE10hipError_tT2_T3_mT4_P12ihipStream_tbEUlT_E_NS1_11comp_targetILNS1_3genE8ELNS1_11target_archE1030ELNS1_3gpuE2ELNS1_3repE0EEENS1_30default_config_static_selectorELNS0_4arch9wavefront6targetE1EEEvT1_,comdat
	.protected	_ZN7rocprim17ROCPRIM_400000_NS6detail17trampoline_kernelINS0_14default_configENS1_25transform_config_selectorImLb1EEEZNS1_14transform_implILb1ES3_S5_PmS7_NS0_8identityIvEEEE10hipError_tT2_T3_mT4_P12ihipStream_tbEUlT_E_NS1_11comp_targetILNS1_3genE8ELNS1_11target_archE1030ELNS1_3gpuE2ELNS1_3repE0EEENS1_30default_config_static_selectorELNS0_4arch9wavefront6targetE1EEEvT1_ ; -- Begin function _ZN7rocprim17ROCPRIM_400000_NS6detail17trampoline_kernelINS0_14default_configENS1_25transform_config_selectorImLb1EEEZNS1_14transform_implILb1ES3_S5_PmS7_NS0_8identityIvEEEE10hipError_tT2_T3_mT4_P12ihipStream_tbEUlT_E_NS1_11comp_targetILNS1_3genE8ELNS1_11target_archE1030ELNS1_3gpuE2ELNS1_3repE0EEENS1_30default_config_static_selectorELNS0_4arch9wavefront6targetE1EEEvT1_
	.globl	_ZN7rocprim17ROCPRIM_400000_NS6detail17trampoline_kernelINS0_14default_configENS1_25transform_config_selectorImLb1EEEZNS1_14transform_implILb1ES3_S5_PmS7_NS0_8identityIvEEEE10hipError_tT2_T3_mT4_P12ihipStream_tbEUlT_E_NS1_11comp_targetILNS1_3genE8ELNS1_11target_archE1030ELNS1_3gpuE2ELNS1_3repE0EEENS1_30default_config_static_selectorELNS0_4arch9wavefront6targetE1EEEvT1_
	.p2align	8
	.type	_ZN7rocprim17ROCPRIM_400000_NS6detail17trampoline_kernelINS0_14default_configENS1_25transform_config_selectorImLb1EEEZNS1_14transform_implILb1ES3_S5_PmS7_NS0_8identityIvEEEE10hipError_tT2_T3_mT4_P12ihipStream_tbEUlT_E_NS1_11comp_targetILNS1_3genE8ELNS1_11target_archE1030ELNS1_3gpuE2ELNS1_3repE0EEENS1_30default_config_static_selectorELNS0_4arch9wavefront6targetE1EEEvT1_,@function
_ZN7rocprim17ROCPRIM_400000_NS6detail17trampoline_kernelINS0_14default_configENS1_25transform_config_selectorImLb1EEEZNS1_14transform_implILb1ES3_S5_PmS7_NS0_8identityIvEEEE10hipError_tT2_T3_mT4_P12ihipStream_tbEUlT_E_NS1_11comp_targetILNS1_3genE8ELNS1_11target_archE1030ELNS1_3gpuE2ELNS1_3repE0EEENS1_30default_config_static_selectorELNS0_4arch9wavefront6targetE1EEEvT1_: ; @_ZN7rocprim17ROCPRIM_400000_NS6detail17trampoline_kernelINS0_14default_configENS1_25transform_config_selectorImLb1EEEZNS1_14transform_implILb1ES3_S5_PmS7_NS0_8identityIvEEEE10hipError_tT2_T3_mT4_P12ihipStream_tbEUlT_E_NS1_11comp_targetILNS1_3genE8ELNS1_11target_archE1030ELNS1_3gpuE2ELNS1_3repE0EEENS1_30default_config_static_selectorELNS0_4arch9wavefront6targetE1EEEvT1_
; %bb.0:
	.section	.rodata,"a",@progbits
	.p2align	6, 0x0
	.amdhsa_kernel _ZN7rocprim17ROCPRIM_400000_NS6detail17trampoline_kernelINS0_14default_configENS1_25transform_config_selectorImLb1EEEZNS1_14transform_implILb1ES3_S5_PmS7_NS0_8identityIvEEEE10hipError_tT2_T3_mT4_P12ihipStream_tbEUlT_E_NS1_11comp_targetILNS1_3genE8ELNS1_11target_archE1030ELNS1_3gpuE2ELNS1_3repE0EEENS1_30default_config_static_selectorELNS0_4arch9wavefront6targetE1EEEvT1_
		.amdhsa_group_segment_fixed_size 0
		.amdhsa_private_segment_fixed_size 0
		.amdhsa_kernarg_size 40
		.amdhsa_user_sgpr_count 6
		.amdhsa_user_sgpr_private_segment_buffer 1
		.amdhsa_user_sgpr_dispatch_ptr 0
		.amdhsa_user_sgpr_queue_ptr 0
		.amdhsa_user_sgpr_kernarg_segment_ptr 1
		.amdhsa_user_sgpr_dispatch_id 0
		.amdhsa_user_sgpr_flat_scratch_init 0
		.amdhsa_user_sgpr_private_segment_size 0
		.amdhsa_uses_dynamic_stack 0
		.amdhsa_system_sgpr_private_segment_wavefront_offset 0
		.amdhsa_system_sgpr_workgroup_id_x 1
		.amdhsa_system_sgpr_workgroup_id_y 0
		.amdhsa_system_sgpr_workgroup_id_z 0
		.amdhsa_system_sgpr_workgroup_info 0
		.amdhsa_system_vgpr_workitem_id 0
		.amdhsa_next_free_vgpr 1
		.amdhsa_next_free_sgpr 0
		.amdhsa_reserve_vcc 0
		.amdhsa_reserve_flat_scratch 0
		.amdhsa_float_round_mode_32 0
		.amdhsa_float_round_mode_16_64 0
		.amdhsa_float_denorm_mode_32 3
		.amdhsa_float_denorm_mode_16_64 3
		.amdhsa_dx10_clamp 1
		.amdhsa_ieee_mode 1
		.amdhsa_fp16_overflow 0
		.amdhsa_exception_fp_ieee_invalid_op 0
		.amdhsa_exception_fp_denorm_src 0
		.amdhsa_exception_fp_ieee_div_zero 0
		.amdhsa_exception_fp_ieee_overflow 0
		.amdhsa_exception_fp_ieee_underflow 0
		.amdhsa_exception_fp_ieee_inexact 0
		.amdhsa_exception_int_div_zero 0
	.end_amdhsa_kernel
	.section	.text._ZN7rocprim17ROCPRIM_400000_NS6detail17trampoline_kernelINS0_14default_configENS1_25transform_config_selectorImLb1EEEZNS1_14transform_implILb1ES3_S5_PmS7_NS0_8identityIvEEEE10hipError_tT2_T3_mT4_P12ihipStream_tbEUlT_E_NS1_11comp_targetILNS1_3genE8ELNS1_11target_archE1030ELNS1_3gpuE2ELNS1_3repE0EEENS1_30default_config_static_selectorELNS0_4arch9wavefront6targetE1EEEvT1_,"axG",@progbits,_ZN7rocprim17ROCPRIM_400000_NS6detail17trampoline_kernelINS0_14default_configENS1_25transform_config_selectorImLb1EEEZNS1_14transform_implILb1ES3_S5_PmS7_NS0_8identityIvEEEE10hipError_tT2_T3_mT4_P12ihipStream_tbEUlT_E_NS1_11comp_targetILNS1_3genE8ELNS1_11target_archE1030ELNS1_3gpuE2ELNS1_3repE0EEENS1_30default_config_static_selectorELNS0_4arch9wavefront6targetE1EEEvT1_,comdat
.Lfunc_end19:
	.size	_ZN7rocprim17ROCPRIM_400000_NS6detail17trampoline_kernelINS0_14default_configENS1_25transform_config_selectorImLb1EEEZNS1_14transform_implILb1ES3_S5_PmS7_NS0_8identityIvEEEE10hipError_tT2_T3_mT4_P12ihipStream_tbEUlT_E_NS1_11comp_targetILNS1_3genE8ELNS1_11target_archE1030ELNS1_3gpuE2ELNS1_3repE0EEENS1_30default_config_static_selectorELNS0_4arch9wavefront6targetE1EEEvT1_, .Lfunc_end19-_ZN7rocprim17ROCPRIM_400000_NS6detail17trampoline_kernelINS0_14default_configENS1_25transform_config_selectorImLb1EEEZNS1_14transform_implILb1ES3_S5_PmS7_NS0_8identityIvEEEE10hipError_tT2_T3_mT4_P12ihipStream_tbEUlT_E_NS1_11comp_targetILNS1_3genE8ELNS1_11target_archE1030ELNS1_3gpuE2ELNS1_3repE0EEENS1_30default_config_static_selectorELNS0_4arch9wavefront6targetE1EEEvT1_
                                        ; -- End function
	.set _ZN7rocprim17ROCPRIM_400000_NS6detail17trampoline_kernelINS0_14default_configENS1_25transform_config_selectorImLb1EEEZNS1_14transform_implILb1ES3_S5_PmS7_NS0_8identityIvEEEE10hipError_tT2_T3_mT4_P12ihipStream_tbEUlT_E_NS1_11comp_targetILNS1_3genE8ELNS1_11target_archE1030ELNS1_3gpuE2ELNS1_3repE0EEENS1_30default_config_static_selectorELNS0_4arch9wavefront6targetE1EEEvT1_.num_vgpr, 0
	.set _ZN7rocprim17ROCPRIM_400000_NS6detail17trampoline_kernelINS0_14default_configENS1_25transform_config_selectorImLb1EEEZNS1_14transform_implILb1ES3_S5_PmS7_NS0_8identityIvEEEE10hipError_tT2_T3_mT4_P12ihipStream_tbEUlT_E_NS1_11comp_targetILNS1_3genE8ELNS1_11target_archE1030ELNS1_3gpuE2ELNS1_3repE0EEENS1_30default_config_static_selectorELNS0_4arch9wavefront6targetE1EEEvT1_.num_agpr, 0
	.set _ZN7rocprim17ROCPRIM_400000_NS6detail17trampoline_kernelINS0_14default_configENS1_25transform_config_selectorImLb1EEEZNS1_14transform_implILb1ES3_S5_PmS7_NS0_8identityIvEEEE10hipError_tT2_T3_mT4_P12ihipStream_tbEUlT_E_NS1_11comp_targetILNS1_3genE8ELNS1_11target_archE1030ELNS1_3gpuE2ELNS1_3repE0EEENS1_30default_config_static_selectorELNS0_4arch9wavefront6targetE1EEEvT1_.numbered_sgpr, 0
	.set _ZN7rocprim17ROCPRIM_400000_NS6detail17trampoline_kernelINS0_14default_configENS1_25transform_config_selectorImLb1EEEZNS1_14transform_implILb1ES3_S5_PmS7_NS0_8identityIvEEEE10hipError_tT2_T3_mT4_P12ihipStream_tbEUlT_E_NS1_11comp_targetILNS1_3genE8ELNS1_11target_archE1030ELNS1_3gpuE2ELNS1_3repE0EEENS1_30default_config_static_selectorELNS0_4arch9wavefront6targetE1EEEvT1_.num_named_barrier, 0
	.set _ZN7rocprim17ROCPRIM_400000_NS6detail17trampoline_kernelINS0_14default_configENS1_25transform_config_selectorImLb1EEEZNS1_14transform_implILb1ES3_S5_PmS7_NS0_8identityIvEEEE10hipError_tT2_T3_mT4_P12ihipStream_tbEUlT_E_NS1_11comp_targetILNS1_3genE8ELNS1_11target_archE1030ELNS1_3gpuE2ELNS1_3repE0EEENS1_30default_config_static_selectorELNS0_4arch9wavefront6targetE1EEEvT1_.private_seg_size, 0
	.set _ZN7rocprim17ROCPRIM_400000_NS6detail17trampoline_kernelINS0_14default_configENS1_25transform_config_selectorImLb1EEEZNS1_14transform_implILb1ES3_S5_PmS7_NS0_8identityIvEEEE10hipError_tT2_T3_mT4_P12ihipStream_tbEUlT_E_NS1_11comp_targetILNS1_3genE8ELNS1_11target_archE1030ELNS1_3gpuE2ELNS1_3repE0EEENS1_30default_config_static_selectorELNS0_4arch9wavefront6targetE1EEEvT1_.uses_vcc, 0
	.set _ZN7rocprim17ROCPRIM_400000_NS6detail17trampoline_kernelINS0_14default_configENS1_25transform_config_selectorImLb1EEEZNS1_14transform_implILb1ES3_S5_PmS7_NS0_8identityIvEEEE10hipError_tT2_T3_mT4_P12ihipStream_tbEUlT_E_NS1_11comp_targetILNS1_3genE8ELNS1_11target_archE1030ELNS1_3gpuE2ELNS1_3repE0EEENS1_30default_config_static_selectorELNS0_4arch9wavefront6targetE1EEEvT1_.uses_flat_scratch, 0
	.set _ZN7rocprim17ROCPRIM_400000_NS6detail17trampoline_kernelINS0_14default_configENS1_25transform_config_selectorImLb1EEEZNS1_14transform_implILb1ES3_S5_PmS7_NS0_8identityIvEEEE10hipError_tT2_T3_mT4_P12ihipStream_tbEUlT_E_NS1_11comp_targetILNS1_3genE8ELNS1_11target_archE1030ELNS1_3gpuE2ELNS1_3repE0EEENS1_30default_config_static_selectorELNS0_4arch9wavefront6targetE1EEEvT1_.has_dyn_sized_stack, 0
	.set _ZN7rocprim17ROCPRIM_400000_NS6detail17trampoline_kernelINS0_14default_configENS1_25transform_config_selectorImLb1EEEZNS1_14transform_implILb1ES3_S5_PmS7_NS0_8identityIvEEEE10hipError_tT2_T3_mT4_P12ihipStream_tbEUlT_E_NS1_11comp_targetILNS1_3genE8ELNS1_11target_archE1030ELNS1_3gpuE2ELNS1_3repE0EEENS1_30default_config_static_selectorELNS0_4arch9wavefront6targetE1EEEvT1_.has_recursion, 0
	.set _ZN7rocprim17ROCPRIM_400000_NS6detail17trampoline_kernelINS0_14default_configENS1_25transform_config_selectorImLb1EEEZNS1_14transform_implILb1ES3_S5_PmS7_NS0_8identityIvEEEE10hipError_tT2_T3_mT4_P12ihipStream_tbEUlT_E_NS1_11comp_targetILNS1_3genE8ELNS1_11target_archE1030ELNS1_3gpuE2ELNS1_3repE0EEENS1_30default_config_static_selectorELNS0_4arch9wavefront6targetE1EEEvT1_.has_indirect_call, 0
	.section	.AMDGPU.csdata,"",@progbits
; Kernel info:
; codeLenInByte = 0
; TotalNumSgprs: 4
; NumVgprs: 0
; ScratchSize: 0
; MemoryBound: 0
; FloatMode: 240
; IeeeMode: 1
; LDSByteSize: 0 bytes/workgroup (compile time only)
; SGPRBlocks: 0
; VGPRBlocks: 0
; NumSGPRsForWavesPerEU: 4
; NumVGPRsForWavesPerEU: 1
; Occupancy: 10
; WaveLimiterHint : 0
; COMPUTE_PGM_RSRC2:SCRATCH_EN: 0
; COMPUTE_PGM_RSRC2:USER_SGPR: 6
; COMPUTE_PGM_RSRC2:TRAP_HANDLER: 0
; COMPUTE_PGM_RSRC2:TGID_X_EN: 1
; COMPUTE_PGM_RSRC2:TGID_Y_EN: 0
; COMPUTE_PGM_RSRC2:TGID_Z_EN: 0
; COMPUTE_PGM_RSRC2:TIDIG_COMP_CNT: 0
	.section	.text._ZN7rocprim17ROCPRIM_400000_NS6detail31init_lookback_scan_state_kernelINS1_19lookback_scan_stateIjLb1ELb1EEENS1_16block_id_wrapperIjLb1EEEEEvT_jT0_jPNS7_10value_typeE,"axG",@progbits,_ZN7rocprim17ROCPRIM_400000_NS6detail31init_lookback_scan_state_kernelINS1_19lookback_scan_stateIjLb1ELb1EEENS1_16block_id_wrapperIjLb1EEEEEvT_jT0_jPNS7_10value_typeE,comdat
	.protected	_ZN7rocprim17ROCPRIM_400000_NS6detail31init_lookback_scan_state_kernelINS1_19lookback_scan_stateIjLb1ELb1EEENS1_16block_id_wrapperIjLb1EEEEEvT_jT0_jPNS7_10value_typeE ; -- Begin function _ZN7rocprim17ROCPRIM_400000_NS6detail31init_lookback_scan_state_kernelINS1_19lookback_scan_stateIjLb1ELb1EEENS1_16block_id_wrapperIjLb1EEEEEvT_jT0_jPNS7_10value_typeE
	.globl	_ZN7rocprim17ROCPRIM_400000_NS6detail31init_lookback_scan_state_kernelINS1_19lookback_scan_stateIjLb1ELb1EEENS1_16block_id_wrapperIjLb1EEEEEvT_jT0_jPNS7_10value_typeE
	.p2align	8
	.type	_ZN7rocprim17ROCPRIM_400000_NS6detail31init_lookback_scan_state_kernelINS1_19lookback_scan_stateIjLb1ELb1EEENS1_16block_id_wrapperIjLb1EEEEEvT_jT0_jPNS7_10value_typeE,@function
_ZN7rocprim17ROCPRIM_400000_NS6detail31init_lookback_scan_state_kernelINS1_19lookback_scan_stateIjLb1ELb1EEENS1_16block_id_wrapperIjLb1EEEEEvT_jT0_jPNS7_10value_typeE: ; @_ZN7rocprim17ROCPRIM_400000_NS6detail31init_lookback_scan_state_kernelINS1_19lookback_scan_stateIjLb1ELb1EEENS1_16block_id_wrapperIjLb1EEEEEvT_jT0_jPNS7_10value_typeE
; %bb.0:
	s_load_dword s7, s[4:5], 0x34
	s_load_dwordx2 s[2:3], s[4:5], 0x20
	s_load_dwordx2 s[0:1], s[4:5], 0x0
	s_load_dword s10, s[4:5], 0x8
	s_waitcnt lgkmcnt(0)
	s_and_b32 s7, s7, 0xffff
	s_mul_i32 s6, s6, s7
	s_cmp_eq_u64 s[2:3], 0
	v_add_u32_e32 v0, s6, v0
	s_cbranch_scc1 .LBB20_9
; %bb.1:
	s_load_dword s8, s[4:5], 0x18
	s_mov_b32 s9, 0
	s_waitcnt lgkmcnt(0)
	s_cmp_lt_u32 s8, s10
	s_cselect_b32 s6, s8, 0
	v_cmp_eq_u32_e32 vcc, s6, v0
	s_and_saveexec_b64 s[6:7], vcc
	s_cbranch_execz .LBB20_8
; %bb.2:
	s_add_i32 s8, s8, 64
	s_lshl_b64 s[8:9], s[8:9], 3
	s_add_u32 s8, s0, s8
	s_addc_u32 s9, s1, s9
	v_mov_b32_e32 v1, 0
	global_load_dwordx2 v[3:4], v1, s[8:9] glc
	s_waitcnt vmcnt(0)
	v_and_b32_e32 v2, 0xff, v4
	v_cmp_ne_u64_e32 vcc, 0, v[1:2]
	s_cbranch_vccnz .LBB20_7
; %bb.3:
	s_mov_b32 s11, 1
.LBB20_4:                               ; =>This Loop Header: Depth=1
                                        ;     Child Loop BB20_5 Depth 2
	s_mov_b32 s12, s11
.LBB20_5:                               ;   Parent Loop BB20_4 Depth=1
                                        ; =>  This Inner Loop Header: Depth=2
	s_add_i32 s12, s12, -1
	s_cmp_eq_u32 s12, 0
	s_sleep 1
	s_cbranch_scc0 .LBB20_5
; %bb.6:                                ;   in Loop: Header=BB20_4 Depth=1
	global_load_dwordx2 v[3:4], v1, s[8:9] glc
	s_cmp_lt_u32 s11, 32
	s_cselect_b64 s[12:13], -1, 0
	s_cmp_lg_u64 s[12:13], 0
	s_addc_u32 s11, s11, 0
	s_waitcnt vmcnt(0)
	v_and_b32_e32 v2, 0xff, v4
	v_cmp_ne_u64_e32 vcc, 0, v[1:2]
	s_cbranch_vccz .LBB20_4
.LBB20_7:
	v_mov_b32_e32 v1, 0
	global_store_dword v1, v3, s[2:3]
.LBB20_8:
	s_or_b64 exec, exec, s[6:7]
.LBB20_9:
	v_cmp_eq_u32_e32 vcc, 0, v0
	s_and_saveexec_b64 s[2:3], vcc
	s_cbranch_execnz .LBB20_13
; %bb.10:
	s_or_b64 exec, exec, s[2:3]
	v_cmp_gt_u32_e32 vcc, s10, v0
	s_and_saveexec_b64 s[2:3], vcc
	s_cbranch_execnz .LBB20_14
.LBB20_11:
	s_or_b64 exec, exec, s[2:3]
	v_cmp_gt_u32_e32 vcc, 64, v0
	s_and_saveexec_b64 s[2:3], vcc
	s_cbranch_execnz .LBB20_15
.LBB20_12:
	s_endpgm
.LBB20_13:
	s_load_dwordx2 s[4:5], s[4:5], 0x10
	v_mov_b32_e32 v1, 0
	s_waitcnt lgkmcnt(0)
	global_store_dword v1, v1, s[4:5]
	s_or_b64 exec, exec, s[2:3]
	v_cmp_gt_u32_e32 vcc, s10, v0
	s_and_saveexec_b64 s[2:3], vcc
	s_cbranch_execz .LBB20_11
.LBB20_14:
	v_add_u32_e32 v1, 64, v0
	v_mov_b32_e32 v2, 0
	v_lshlrev_b64 v[3:4], 3, v[1:2]
	v_mov_b32_e32 v1, s1
	v_add_co_u32_e32 v3, vcc, s0, v3
	v_addc_co_u32_e32 v4, vcc, v1, v4, vcc
	v_mov_b32_e32 v1, v2
	global_store_dwordx2 v[3:4], v[1:2], off
	s_or_b64 exec, exec, s[2:3]
	v_cmp_gt_u32_e32 vcc, 64, v0
	s_and_saveexec_b64 s[2:3], vcc
	s_cbranch_execz .LBB20_12
.LBB20_15:
	v_mov_b32_e32 v1, 0
	v_lshlrev_b64 v[2:3], 3, v[0:1]
	v_mov_b32_e32 v0, s1
	v_add_co_u32_e32 v2, vcc, s0, v2
	v_addc_co_u32_e32 v3, vcc, v0, v3, vcc
	v_mov_b32_e32 v5, 0xff
	v_mov_b32_e32 v4, v1
	global_store_dwordx2 v[2:3], v[4:5], off
	s_endpgm
	.section	.rodata,"a",@progbits
	.p2align	6, 0x0
	.amdhsa_kernel _ZN7rocprim17ROCPRIM_400000_NS6detail31init_lookback_scan_state_kernelINS1_19lookback_scan_stateIjLb1ELb1EEENS1_16block_id_wrapperIjLb1EEEEEvT_jT0_jPNS7_10value_typeE
		.amdhsa_group_segment_fixed_size 0
		.amdhsa_private_segment_fixed_size 0
		.amdhsa_kernarg_size 296
		.amdhsa_user_sgpr_count 6
		.amdhsa_user_sgpr_private_segment_buffer 1
		.amdhsa_user_sgpr_dispatch_ptr 0
		.amdhsa_user_sgpr_queue_ptr 0
		.amdhsa_user_sgpr_kernarg_segment_ptr 1
		.amdhsa_user_sgpr_dispatch_id 0
		.amdhsa_user_sgpr_flat_scratch_init 0
		.amdhsa_user_sgpr_private_segment_size 0
		.amdhsa_uses_dynamic_stack 0
		.amdhsa_system_sgpr_private_segment_wavefront_offset 0
		.amdhsa_system_sgpr_workgroup_id_x 1
		.amdhsa_system_sgpr_workgroup_id_y 0
		.amdhsa_system_sgpr_workgroup_id_z 0
		.amdhsa_system_sgpr_workgroup_info 0
		.amdhsa_system_vgpr_workitem_id 0
		.amdhsa_next_free_vgpr 6
		.amdhsa_next_free_sgpr 14
		.amdhsa_reserve_vcc 1
		.amdhsa_reserve_flat_scratch 0
		.amdhsa_float_round_mode_32 0
		.amdhsa_float_round_mode_16_64 0
		.amdhsa_float_denorm_mode_32 3
		.amdhsa_float_denorm_mode_16_64 3
		.amdhsa_dx10_clamp 1
		.amdhsa_ieee_mode 1
		.amdhsa_fp16_overflow 0
		.amdhsa_exception_fp_ieee_invalid_op 0
		.amdhsa_exception_fp_denorm_src 0
		.amdhsa_exception_fp_ieee_div_zero 0
		.amdhsa_exception_fp_ieee_overflow 0
		.amdhsa_exception_fp_ieee_underflow 0
		.amdhsa_exception_fp_ieee_inexact 0
		.amdhsa_exception_int_div_zero 0
	.end_amdhsa_kernel
	.section	.text._ZN7rocprim17ROCPRIM_400000_NS6detail31init_lookback_scan_state_kernelINS1_19lookback_scan_stateIjLb1ELb1EEENS1_16block_id_wrapperIjLb1EEEEEvT_jT0_jPNS7_10value_typeE,"axG",@progbits,_ZN7rocprim17ROCPRIM_400000_NS6detail31init_lookback_scan_state_kernelINS1_19lookback_scan_stateIjLb1ELb1EEENS1_16block_id_wrapperIjLb1EEEEEvT_jT0_jPNS7_10value_typeE,comdat
.Lfunc_end20:
	.size	_ZN7rocprim17ROCPRIM_400000_NS6detail31init_lookback_scan_state_kernelINS1_19lookback_scan_stateIjLb1ELb1EEENS1_16block_id_wrapperIjLb1EEEEEvT_jT0_jPNS7_10value_typeE, .Lfunc_end20-_ZN7rocprim17ROCPRIM_400000_NS6detail31init_lookback_scan_state_kernelINS1_19lookback_scan_stateIjLb1ELb1EEENS1_16block_id_wrapperIjLb1EEEEEvT_jT0_jPNS7_10value_typeE
                                        ; -- End function
	.set _ZN7rocprim17ROCPRIM_400000_NS6detail31init_lookback_scan_state_kernelINS1_19lookback_scan_stateIjLb1ELb1EEENS1_16block_id_wrapperIjLb1EEEEEvT_jT0_jPNS7_10value_typeE.num_vgpr, 6
	.set _ZN7rocprim17ROCPRIM_400000_NS6detail31init_lookback_scan_state_kernelINS1_19lookback_scan_stateIjLb1ELb1EEENS1_16block_id_wrapperIjLb1EEEEEvT_jT0_jPNS7_10value_typeE.num_agpr, 0
	.set _ZN7rocprim17ROCPRIM_400000_NS6detail31init_lookback_scan_state_kernelINS1_19lookback_scan_stateIjLb1ELb1EEENS1_16block_id_wrapperIjLb1EEEEEvT_jT0_jPNS7_10value_typeE.numbered_sgpr, 14
	.set _ZN7rocprim17ROCPRIM_400000_NS6detail31init_lookback_scan_state_kernelINS1_19lookback_scan_stateIjLb1ELb1EEENS1_16block_id_wrapperIjLb1EEEEEvT_jT0_jPNS7_10value_typeE.num_named_barrier, 0
	.set _ZN7rocprim17ROCPRIM_400000_NS6detail31init_lookback_scan_state_kernelINS1_19lookback_scan_stateIjLb1ELb1EEENS1_16block_id_wrapperIjLb1EEEEEvT_jT0_jPNS7_10value_typeE.private_seg_size, 0
	.set _ZN7rocprim17ROCPRIM_400000_NS6detail31init_lookback_scan_state_kernelINS1_19lookback_scan_stateIjLb1ELb1EEENS1_16block_id_wrapperIjLb1EEEEEvT_jT0_jPNS7_10value_typeE.uses_vcc, 1
	.set _ZN7rocprim17ROCPRIM_400000_NS6detail31init_lookback_scan_state_kernelINS1_19lookback_scan_stateIjLb1ELb1EEENS1_16block_id_wrapperIjLb1EEEEEvT_jT0_jPNS7_10value_typeE.uses_flat_scratch, 0
	.set _ZN7rocprim17ROCPRIM_400000_NS6detail31init_lookback_scan_state_kernelINS1_19lookback_scan_stateIjLb1ELb1EEENS1_16block_id_wrapperIjLb1EEEEEvT_jT0_jPNS7_10value_typeE.has_dyn_sized_stack, 0
	.set _ZN7rocprim17ROCPRIM_400000_NS6detail31init_lookback_scan_state_kernelINS1_19lookback_scan_stateIjLb1ELb1EEENS1_16block_id_wrapperIjLb1EEEEEvT_jT0_jPNS7_10value_typeE.has_recursion, 0
	.set _ZN7rocprim17ROCPRIM_400000_NS6detail31init_lookback_scan_state_kernelINS1_19lookback_scan_stateIjLb1ELb1EEENS1_16block_id_wrapperIjLb1EEEEEvT_jT0_jPNS7_10value_typeE.has_indirect_call, 0
	.section	.AMDGPU.csdata,"",@progbits
; Kernel info:
; codeLenInByte = 420
; TotalNumSgprs: 18
; NumVgprs: 6
; ScratchSize: 0
; MemoryBound: 0
; FloatMode: 240
; IeeeMode: 1
; LDSByteSize: 0 bytes/workgroup (compile time only)
; SGPRBlocks: 2
; VGPRBlocks: 1
; NumSGPRsForWavesPerEU: 18
; NumVGPRsForWavesPerEU: 6
; Occupancy: 10
; WaveLimiterHint : 0
; COMPUTE_PGM_RSRC2:SCRATCH_EN: 0
; COMPUTE_PGM_RSRC2:USER_SGPR: 6
; COMPUTE_PGM_RSRC2:TRAP_HANDLER: 0
; COMPUTE_PGM_RSRC2:TGID_X_EN: 1
; COMPUTE_PGM_RSRC2:TGID_Y_EN: 0
; COMPUTE_PGM_RSRC2:TGID_Z_EN: 0
; COMPUTE_PGM_RSRC2:TIDIG_COMP_CNT: 0
	.section	.text._ZN7rocprim17ROCPRIM_400000_NS6detail17trampoline_kernelINS0_14default_configENS1_25partition_config_selectorILNS1_17partition_subalgoE8EdNS0_10empty_typeEbEEZZNS1_14partition_implILS5_8ELb0ES3_jN6thrust23THRUST_200600_302600_NS6detail15normal_iteratorINSA_10device_ptrIdEEEEPS6_PKS6_NS0_5tupleIJSF_S6_EEENSJ_IJSG_SG_EEENS0_18inequality_wrapperINSA_8equal_toIdEEEEPmJS6_EEE10hipError_tPvRmT3_T4_T5_T6_T7_T9_mT8_P12ihipStream_tbDpT10_ENKUlT_T0_E_clISt17integral_constantIbLb1EES1A_EEDaS15_S16_EUlS15_E_NS1_11comp_targetILNS1_3genE0ELNS1_11target_archE4294967295ELNS1_3gpuE0ELNS1_3repE0EEENS1_30default_config_static_selectorELNS0_4arch9wavefront6targetE1EEEvT1_,"axG",@progbits,_ZN7rocprim17ROCPRIM_400000_NS6detail17trampoline_kernelINS0_14default_configENS1_25partition_config_selectorILNS1_17partition_subalgoE8EdNS0_10empty_typeEbEEZZNS1_14partition_implILS5_8ELb0ES3_jN6thrust23THRUST_200600_302600_NS6detail15normal_iteratorINSA_10device_ptrIdEEEEPS6_PKS6_NS0_5tupleIJSF_S6_EEENSJ_IJSG_SG_EEENS0_18inequality_wrapperINSA_8equal_toIdEEEEPmJS6_EEE10hipError_tPvRmT3_T4_T5_T6_T7_T9_mT8_P12ihipStream_tbDpT10_ENKUlT_T0_E_clISt17integral_constantIbLb1EES1A_EEDaS15_S16_EUlS15_E_NS1_11comp_targetILNS1_3genE0ELNS1_11target_archE4294967295ELNS1_3gpuE0ELNS1_3repE0EEENS1_30default_config_static_selectorELNS0_4arch9wavefront6targetE1EEEvT1_,comdat
	.protected	_ZN7rocprim17ROCPRIM_400000_NS6detail17trampoline_kernelINS0_14default_configENS1_25partition_config_selectorILNS1_17partition_subalgoE8EdNS0_10empty_typeEbEEZZNS1_14partition_implILS5_8ELb0ES3_jN6thrust23THRUST_200600_302600_NS6detail15normal_iteratorINSA_10device_ptrIdEEEEPS6_PKS6_NS0_5tupleIJSF_S6_EEENSJ_IJSG_SG_EEENS0_18inequality_wrapperINSA_8equal_toIdEEEEPmJS6_EEE10hipError_tPvRmT3_T4_T5_T6_T7_T9_mT8_P12ihipStream_tbDpT10_ENKUlT_T0_E_clISt17integral_constantIbLb1EES1A_EEDaS15_S16_EUlS15_E_NS1_11comp_targetILNS1_3genE0ELNS1_11target_archE4294967295ELNS1_3gpuE0ELNS1_3repE0EEENS1_30default_config_static_selectorELNS0_4arch9wavefront6targetE1EEEvT1_ ; -- Begin function _ZN7rocprim17ROCPRIM_400000_NS6detail17trampoline_kernelINS0_14default_configENS1_25partition_config_selectorILNS1_17partition_subalgoE8EdNS0_10empty_typeEbEEZZNS1_14partition_implILS5_8ELb0ES3_jN6thrust23THRUST_200600_302600_NS6detail15normal_iteratorINSA_10device_ptrIdEEEEPS6_PKS6_NS0_5tupleIJSF_S6_EEENSJ_IJSG_SG_EEENS0_18inequality_wrapperINSA_8equal_toIdEEEEPmJS6_EEE10hipError_tPvRmT3_T4_T5_T6_T7_T9_mT8_P12ihipStream_tbDpT10_ENKUlT_T0_E_clISt17integral_constantIbLb1EES1A_EEDaS15_S16_EUlS15_E_NS1_11comp_targetILNS1_3genE0ELNS1_11target_archE4294967295ELNS1_3gpuE0ELNS1_3repE0EEENS1_30default_config_static_selectorELNS0_4arch9wavefront6targetE1EEEvT1_
	.globl	_ZN7rocprim17ROCPRIM_400000_NS6detail17trampoline_kernelINS0_14default_configENS1_25partition_config_selectorILNS1_17partition_subalgoE8EdNS0_10empty_typeEbEEZZNS1_14partition_implILS5_8ELb0ES3_jN6thrust23THRUST_200600_302600_NS6detail15normal_iteratorINSA_10device_ptrIdEEEEPS6_PKS6_NS0_5tupleIJSF_S6_EEENSJ_IJSG_SG_EEENS0_18inequality_wrapperINSA_8equal_toIdEEEEPmJS6_EEE10hipError_tPvRmT3_T4_T5_T6_T7_T9_mT8_P12ihipStream_tbDpT10_ENKUlT_T0_E_clISt17integral_constantIbLb1EES1A_EEDaS15_S16_EUlS15_E_NS1_11comp_targetILNS1_3genE0ELNS1_11target_archE4294967295ELNS1_3gpuE0ELNS1_3repE0EEENS1_30default_config_static_selectorELNS0_4arch9wavefront6targetE1EEEvT1_
	.p2align	8
	.type	_ZN7rocprim17ROCPRIM_400000_NS6detail17trampoline_kernelINS0_14default_configENS1_25partition_config_selectorILNS1_17partition_subalgoE8EdNS0_10empty_typeEbEEZZNS1_14partition_implILS5_8ELb0ES3_jN6thrust23THRUST_200600_302600_NS6detail15normal_iteratorINSA_10device_ptrIdEEEEPS6_PKS6_NS0_5tupleIJSF_S6_EEENSJ_IJSG_SG_EEENS0_18inequality_wrapperINSA_8equal_toIdEEEEPmJS6_EEE10hipError_tPvRmT3_T4_T5_T6_T7_T9_mT8_P12ihipStream_tbDpT10_ENKUlT_T0_E_clISt17integral_constantIbLb1EES1A_EEDaS15_S16_EUlS15_E_NS1_11comp_targetILNS1_3genE0ELNS1_11target_archE4294967295ELNS1_3gpuE0ELNS1_3repE0EEENS1_30default_config_static_selectorELNS0_4arch9wavefront6targetE1EEEvT1_,@function
_ZN7rocprim17ROCPRIM_400000_NS6detail17trampoline_kernelINS0_14default_configENS1_25partition_config_selectorILNS1_17partition_subalgoE8EdNS0_10empty_typeEbEEZZNS1_14partition_implILS5_8ELb0ES3_jN6thrust23THRUST_200600_302600_NS6detail15normal_iteratorINSA_10device_ptrIdEEEEPS6_PKS6_NS0_5tupleIJSF_S6_EEENSJ_IJSG_SG_EEENS0_18inequality_wrapperINSA_8equal_toIdEEEEPmJS6_EEE10hipError_tPvRmT3_T4_T5_T6_T7_T9_mT8_P12ihipStream_tbDpT10_ENKUlT_T0_E_clISt17integral_constantIbLb1EES1A_EEDaS15_S16_EUlS15_E_NS1_11comp_targetILNS1_3genE0ELNS1_11target_archE4294967295ELNS1_3gpuE0ELNS1_3repE0EEENS1_30default_config_static_selectorELNS0_4arch9wavefront6targetE1EEEvT1_: ; @_ZN7rocprim17ROCPRIM_400000_NS6detail17trampoline_kernelINS0_14default_configENS1_25partition_config_selectorILNS1_17partition_subalgoE8EdNS0_10empty_typeEbEEZZNS1_14partition_implILS5_8ELb0ES3_jN6thrust23THRUST_200600_302600_NS6detail15normal_iteratorINSA_10device_ptrIdEEEEPS6_PKS6_NS0_5tupleIJSF_S6_EEENSJ_IJSG_SG_EEENS0_18inequality_wrapperINSA_8equal_toIdEEEEPmJS6_EEE10hipError_tPvRmT3_T4_T5_T6_T7_T9_mT8_P12ihipStream_tbDpT10_ENKUlT_T0_E_clISt17integral_constantIbLb1EES1A_EEDaS15_S16_EUlS15_E_NS1_11comp_targetILNS1_3genE0ELNS1_11target_archE4294967295ELNS1_3gpuE0ELNS1_3repE0EEENS1_30default_config_static_selectorELNS0_4arch9wavefront6targetE1EEEvT1_
; %bb.0:
	.section	.rodata,"a",@progbits
	.p2align	6, 0x0
	.amdhsa_kernel _ZN7rocprim17ROCPRIM_400000_NS6detail17trampoline_kernelINS0_14default_configENS1_25partition_config_selectorILNS1_17partition_subalgoE8EdNS0_10empty_typeEbEEZZNS1_14partition_implILS5_8ELb0ES3_jN6thrust23THRUST_200600_302600_NS6detail15normal_iteratorINSA_10device_ptrIdEEEEPS6_PKS6_NS0_5tupleIJSF_S6_EEENSJ_IJSG_SG_EEENS0_18inequality_wrapperINSA_8equal_toIdEEEEPmJS6_EEE10hipError_tPvRmT3_T4_T5_T6_T7_T9_mT8_P12ihipStream_tbDpT10_ENKUlT_T0_E_clISt17integral_constantIbLb1EES1A_EEDaS15_S16_EUlS15_E_NS1_11comp_targetILNS1_3genE0ELNS1_11target_archE4294967295ELNS1_3gpuE0ELNS1_3repE0EEENS1_30default_config_static_selectorELNS0_4arch9wavefront6targetE1EEEvT1_
		.amdhsa_group_segment_fixed_size 0
		.amdhsa_private_segment_fixed_size 0
		.amdhsa_kernarg_size 128
		.amdhsa_user_sgpr_count 6
		.amdhsa_user_sgpr_private_segment_buffer 1
		.amdhsa_user_sgpr_dispatch_ptr 0
		.amdhsa_user_sgpr_queue_ptr 0
		.amdhsa_user_sgpr_kernarg_segment_ptr 1
		.amdhsa_user_sgpr_dispatch_id 0
		.amdhsa_user_sgpr_flat_scratch_init 0
		.amdhsa_user_sgpr_private_segment_size 0
		.amdhsa_uses_dynamic_stack 0
		.amdhsa_system_sgpr_private_segment_wavefront_offset 0
		.amdhsa_system_sgpr_workgroup_id_x 1
		.amdhsa_system_sgpr_workgroup_id_y 0
		.amdhsa_system_sgpr_workgroup_id_z 0
		.amdhsa_system_sgpr_workgroup_info 0
		.amdhsa_system_vgpr_workitem_id 0
		.amdhsa_next_free_vgpr 1
		.amdhsa_next_free_sgpr 0
		.amdhsa_reserve_vcc 0
		.amdhsa_reserve_flat_scratch 0
		.amdhsa_float_round_mode_32 0
		.amdhsa_float_round_mode_16_64 0
		.amdhsa_float_denorm_mode_32 3
		.amdhsa_float_denorm_mode_16_64 3
		.amdhsa_dx10_clamp 1
		.amdhsa_ieee_mode 1
		.amdhsa_fp16_overflow 0
		.amdhsa_exception_fp_ieee_invalid_op 0
		.amdhsa_exception_fp_denorm_src 0
		.amdhsa_exception_fp_ieee_div_zero 0
		.amdhsa_exception_fp_ieee_overflow 0
		.amdhsa_exception_fp_ieee_underflow 0
		.amdhsa_exception_fp_ieee_inexact 0
		.amdhsa_exception_int_div_zero 0
	.end_amdhsa_kernel
	.section	.text._ZN7rocprim17ROCPRIM_400000_NS6detail17trampoline_kernelINS0_14default_configENS1_25partition_config_selectorILNS1_17partition_subalgoE8EdNS0_10empty_typeEbEEZZNS1_14partition_implILS5_8ELb0ES3_jN6thrust23THRUST_200600_302600_NS6detail15normal_iteratorINSA_10device_ptrIdEEEEPS6_PKS6_NS0_5tupleIJSF_S6_EEENSJ_IJSG_SG_EEENS0_18inequality_wrapperINSA_8equal_toIdEEEEPmJS6_EEE10hipError_tPvRmT3_T4_T5_T6_T7_T9_mT8_P12ihipStream_tbDpT10_ENKUlT_T0_E_clISt17integral_constantIbLb1EES1A_EEDaS15_S16_EUlS15_E_NS1_11comp_targetILNS1_3genE0ELNS1_11target_archE4294967295ELNS1_3gpuE0ELNS1_3repE0EEENS1_30default_config_static_selectorELNS0_4arch9wavefront6targetE1EEEvT1_,"axG",@progbits,_ZN7rocprim17ROCPRIM_400000_NS6detail17trampoline_kernelINS0_14default_configENS1_25partition_config_selectorILNS1_17partition_subalgoE8EdNS0_10empty_typeEbEEZZNS1_14partition_implILS5_8ELb0ES3_jN6thrust23THRUST_200600_302600_NS6detail15normal_iteratorINSA_10device_ptrIdEEEEPS6_PKS6_NS0_5tupleIJSF_S6_EEENSJ_IJSG_SG_EEENS0_18inequality_wrapperINSA_8equal_toIdEEEEPmJS6_EEE10hipError_tPvRmT3_T4_T5_T6_T7_T9_mT8_P12ihipStream_tbDpT10_ENKUlT_T0_E_clISt17integral_constantIbLb1EES1A_EEDaS15_S16_EUlS15_E_NS1_11comp_targetILNS1_3genE0ELNS1_11target_archE4294967295ELNS1_3gpuE0ELNS1_3repE0EEENS1_30default_config_static_selectorELNS0_4arch9wavefront6targetE1EEEvT1_,comdat
.Lfunc_end21:
	.size	_ZN7rocprim17ROCPRIM_400000_NS6detail17trampoline_kernelINS0_14default_configENS1_25partition_config_selectorILNS1_17partition_subalgoE8EdNS0_10empty_typeEbEEZZNS1_14partition_implILS5_8ELb0ES3_jN6thrust23THRUST_200600_302600_NS6detail15normal_iteratorINSA_10device_ptrIdEEEEPS6_PKS6_NS0_5tupleIJSF_S6_EEENSJ_IJSG_SG_EEENS0_18inequality_wrapperINSA_8equal_toIdEEEEPmJS6_EEE10hipError_tPvRmT3_T4_T5_T6_T7_T9_mT8_P12ihipStream_tbDpT10_ENKUlT_T0_E_clISt17integral_constantIbLb1EES1A_EEDaS15_S16_EUlS15_E_NS1_11comp_targetILNS1_3genE0ELNS1_11target_archE4294967295ELNS1_3gpuE0ELNS1_3repE0EEENS1_30default_config_static_selectorELNS0_4arch9wavefront6targetE1EEEvT1_, .Lfunc_end21-_ZN7rocprim17ROCPRIM_400000_NS6detail17trampoline_kernelINS0_14default_configENS1_25partition_config_selectorILNS1_17partition_subalgoE8EdNS0_10empty_typeEbEEZZNS1_14partition_implILS5_8ELb0ES3_jN6thrust23THRUST_200600_302600_NS6detail15normal_iteratorINSA_10device_ptrIdEEEEPS6_PKS6_NS0_5tupleIJSF_S6_EEENSJ_IJSG_SG_EEENS0_18inequality_wrapperINSA_8equal_toIdEEEEPmJS6_EEE10hipError_tPvRmT3_T4_T5_T6_T7_T9_mT8_P12ihipStream_tbDpT10_ENKUlT_T0_E_clISt17integral_constantIbLb1EES1A_EEDaS15_S16_EUlS15_E_NS1_11comp_targetILNS1_3genE0ELNS1_11target_archE4294967295ELNS1_3gpuE0ELNS1_3repE0EEENS1_30default_config_static_selectorELNS0_4arch9wavefront6targetE1EEEvT1_
                                        ; -- End function
	.set _ZN7rocprim17ROCPRIM_400000_NS6detail17trampoline_kernelINS0_14default_configENS1_25partition_config_selectorILNS1_17partition_subalgoE8EdNS0_10empty_typeEbEEZZNS1_14partition_implILS5_8ELb0ES3_jN6thrust23THRUST_200600_302600_NS6detail15normal_iteratorINSA_10device_ptrIdEEEEPS6_PKS6_NS0_5tupleIJSF_S6_EEENSJ_IJSG_SG_EEENS0_18inequality_wrapperINSA_8equal_toIdEEEEPmJS6_EEE10hipError_tPvRmT3_T4_T5_T6_T7_T9_mT8_P12ihipStream_tbDpT10_ENKUlT_T0_E_clISt17integral_constantIbLb1EES1A_EEDaS15_S16_EUlS15_E_NS1_11comp_targetILNS1_3genE0ELNS1_11target_archE4294967295ELNS1_3gpuE0ELNS1_3repE0EEENS1_30default_config_static_selectorELNS0_4arch9wavefront6targetE1EEEvT1_.num_vgpr, 0
	.set _ZN7rocprim17ROCPRIM_400000_NS6detail17trampoline_kernelINS0_14default_configENS1_25partition_config_selectorILNS1_17partition_subalgoE8EdNS0_10empty_typeEbEEZZNS1_14partition_implILS5_8ELb0ES3_jN6thrust23THRUST_200600_302600_NS6detail15normal_iteratorINSA_10device_ptrIdEEEEPS6_PKS6_NS0_5tupleIJSF_S6_EEENSJ_IJSG_SG_EEENS0_18inequality_wrapperINSA_8equal_toIdEEEEPmJS6_EEE10hipError_tPvRmT3_T4_T5_T6_T7_T9_mT8_P12ihipStream_tbDpT10_ENKUlT_T0_E_clISt17integral_constantIbLb1EES1A_EEDaS15_S16_EUlS15_E_NS1_11comp_targetILNS1_3genE0ELNS1_11target_archE4294967295ELNS1_3gpuE0ELNS1_3repE0EEENS1_30default_config_static_selectorELNS0_4arch9wavefront6targetE1EEEvT1_.num_agpr, 0
	.set _ZN7rocprim17ROCPRIM_400000_NS6detail17trampoline_kernelINS0_14default_configENS1_25partition_config_selectorILNS1_17partition_subalgoE8EdNS0_10empty_typeEbEEZZNS1_14partition_implILS5_8ELb0ES3_jN6thrust23THRUST_200600_302600_NS6detail15normal_iteratorINSA_10device_ptrIdEEEEPS6_PKS6_NS0_5tupleIJSF_S6_EEENSJ_IJSG_SG_EEENS0_18inequality_wrapperINSA_8equal_toIdEEEEPmJS6_EEE10hipError_tPvRmT3_T4_T5_T6_T7_T9_mT8_P12ihipStream_tbDpT10_ENKUlT_T0_E_clISt17integral_constantIbLb1EES1A_EEDaS15_S16_EUlS15_E_NS1_11comp_targetILNS1_3genE0ELNS1_11target_archE4294967295ELNS1_3gpuE0ELNS1_3repE0EEENS1_30default_config_static_selectorELNS0_4arch9wavefront6targetE1EEEvT1_.numbered_sgpr, 0
	.set _ZN7rocprim17ROCPRIM_400000_NS6detail17trampoline_kernelINS0_14default_configENS1_25partition_config_selectorILNS1_17partition_subalgoE8EdNS0_10empty_typeEbEEZZNS1_14partition_implILS5_8ELb0ES3_jN6thrust23THRUST_200600_302600_NS6detail15normal_iteratorINSA_10device_ptrIdEEEEPS6_PKS6_NS0_5tupleIJSF_S6_EEENSJ_IJSG_SG_EEENS0_18inequality_wrapperINSA_8equal_toIdEEEEPmJS6_EEE10hipError_tPvRmT3_T4_T5_T6_T7_T9_mT8_P12ihipStream_tbDpT10_ENKUlT_T0_E_clISt17integral_constantIbLb1EES1A_EEDaS15_S16_EUlS15_E_NS1_11comp_targetILNS1_3genE0ELNS1_11target_archE4294967295ELNS1_3gpuE0ELNS1_3repE0EEENS1_30default_config_static_selectorELNS0_4arch9wavefront6targetE1EEEvT1_.num_named_barrier, 0
	.set _ZN7rocprim17ROCPRIM_400000_NS6detail17trampoline_kernelINS0_14default_configENS1_25partition_config_selectorILNS1_17partition_subalgoE8EdNS0_10empty_typeEbEEZZNS1_14partition_implILS5_8ELb0ES3_jN6thrust23THRUST_200600_302600_NS6detail15normal_iteratorINSA_10device_ptrIdEEEEPS6_PKS6_NS0_5tupleIJSF_S6_EEENSJ_IJSG_SG_EEENS0_18inequality_wrapperINSA_8equal_toIdEEEEPmJS6_EEE10hipError_tPvRmT3_T4_T5_T6_T7_T9_mT8_P12ihipStream_tbDpT10_ENKUlT_T0_E_clISt17integral_constantIbLb1EES1A_EEDaS15_S16_EUlS15_E_NS1_11comp_targetILNS1_3genE0ELNS1_11target_archE4294967295ELNS1_3gpuE0ELNS1_3repE0EEENS1_30default_config_static_selectorELNS0_4arch9wavefront6targetE1EEEvT1_.private_seg_size, 0
	.set _ZN7rocprim17ROCPRIM_400000_NS6detail17trampoline_kernelINS0_14default_configENS1_25partition_config_selectorILNS1_17partition_subalgoE8EdNS0_10empty_typeEbEEZZNS1_14partition_implILS5_8ELb0ES3_jN6thrust23THRUST_200600_302600_NS6detail15normal_iteratorINSA_10device_ptrIdEEEEPS6_PKS6_NS0_5tupleIJSF_S6_EEENSJ_IJSG_SG_EEENS0_18inequality_wrapperINSA_8equal_toIdEEEEPmJS6_EEE10hipError_tPvRmT3_T4_T5_T6_T7_T9_mT8_P12ihipStream_tbDpT10_ENKUlT_T0_E_clISt17integral_constantIbLb1EES1A_EEDaS15_S16_EUlS15_E_NS1_11comp_targetILNS1_3genE0ELNS1_11target_archE4294967295ELNS1_3gpuE0ELNS1_3repE0EEENS1_30default_config_static_selectorELNS0_4arch9wavefront6targetE1EEEvT1_.uses_vcc, 0
	.set _ZN7rocprim17ROCPRIM_400000_NS6detail17trampoline_kernelINS0_14default_configENS1_25partition_config_selectorILNS1_17partition_subalgoE8EdNS0_10empty_typeEbEEZZNS1_14partition_implILS5_8ELb0ES3_jN6thrust23THRUST_200600_302600_NS6detail15normal_iteratorINSA_10device_ptrIdEEEEPS6_PKS6_NS0_5tupleIJSF_S6_EEENSJ_IJSG_SG_EEENS0_18inequality_wrapperINSA_8equal_toIdEEEEPmJS6_EEE10hipError_tPvRmT3_T4_T5_T6_T7_T9_mT8_P12ihipStream_tbDpT10_ENKUlT_T0_E_clISt17integral_constantIbLb1EES1A_EEDaS15_S16_EUlS15_E_NS1_11comp_targetILNS1_3genE0ELNS1_11target_archE4294967295ELNS1_3gpuE0ELNS1_3repE0EEENS1_30default_config_static_selectorELNS0_4arch9wavefront6targetE1EEEvT1_.uses_flat_scratch, 0
	.set _ZN7rocprim17ROCPRIM_400000_NS6detail17trampoline_kernelINS0_14default_configENS1_25partition_config_selectorILNS1_17partition_subalgoE8EdNS0_10empty_typeEbEEZZNS1_14partition_implILS5_8ELb0ES3_jN6thrust23THRUST_200600_302600_NS6detail15normal_iteratorINSA_10device_ptrIdEEEEPS6_PKS6_NS0_5tupleIJSF_S6_EEENSJ_IJSG_SG_EEENS0_18inequality_wrapperINSA_8equal_toIdEEEEPmJS6_EEE10hipError_tPvRmT3_T4_T5_T6_T7_T9_mT8_P12ihipStream_tbDpT10_ENKUlT_T0_E_clISt17integral_constantIbLb1EES1A_EEDaS15_S16_EUlS15_E_NS1_11comp_targetILNS1_3genE0ELNS1_11target_archE4294967295ELNS1_3gpuE0ELNS1_3repE0EEENS1_30default_config_static_selectorELNS0_4arch9wavefront6targetE1EEEvT1_.has_dyn_sized_stack, 0
	.set _ZN7rocprim17ROCPRIM_400000_NS6detail17trampoline_kernelINS0_14default_configENS1_25partition_config_selectorILNS1_17partition_subalgoE8EdNS0_10empty_typeEbEEZZNS1_14partition_implILS5_8ELb0ES3_jN6thrust23THRUST_200600_302600_NS6detail15normal_iteratorINSA_10device_ptrIdEEEEPS6_PKS6_NS0_5tupleIJSF_S6_EEENSJ_IJSG_SG_EEENS0_18inequality_wrapperINSA_8equal_toIdEEEEPmJS6_EEE10hipError_tPvRmT3_T4_T5_T6_T7_T9_mT8_P12ihipStream_tbDpT10_ENKUlT_T0_E_clISt17integral_constantIbLb1EES1A_EEDaS15_S16_EUlS15_E_NS1_11comp_targetILNS1_3genE0ELNS1_11target_archE4294967295ELNS1_3gpuE0ELNS1_3repE0EEENS1_30default_config_static_selectorELNS0_4arch9wavefront6targetE1EEEvT1_.has_recursion, 0
	.set _ZN7rocprim17ROCPRIM_400000_NS6detail17trampoline_kernelINS0_14default_configENS1_25partition_config_selectorILNS1_17partition_subalgoE8EdNS0_10empty_typeEbEEZZNS1_14partition_implILS5_8ELb0ES3_jN6thrust23THRUST_200600_302600_NS6detail15normal_iteratorINSA_10device_ptrIdEEEEPS6_PKS6_NS0_5tupleIJSF_S6_EEENSJ_IJSG_SG_EEENS0_18inequality_wrapperINSA_8equal_toIdEEEEPmJS6_EEE10hipError_tPvRmT3_T4_T5_T6_T7_T9_mT8_P12ihipStream_tbDpT10_ENKUlT_T0_E_clISt17integral_constantIbLb1EES1A_EEDaS15_S16_EUlS15_E_NS1_11comp_targetILNS1_3genE0ELNS1_11target_archE4294967295ELNS1_3gpuE0ELNS1_3repE0EEENS1_30default_config_static_selectorELNS0_4arch9wavefront6targetE1EEEvT1_.has_indirect_call, 0
	.section	.AMDGPU.csdata,"",@progbits
; Kernel info:
; codeLenInByte = 0
; TotalNumSgprs: 4
; NumVgprs: 0
; ScratchSize: 0
; MemoryBound: 0
; FloatMode: 240
; IeeeMode: 1
; LDSByteSize: 0 bytes/workgroup (compile time only)
; SGPRBlocks: 0
; VGPRBlocks: 0
; NumSGPRsForWavesPerEU: 4
; NumVGPRsForWavesPerEU: 1
; Occupancy: 10
; WaveLimiterHint : 0
; COMPUTE_PGM_RSRC2:SCRATCH_EN: 0
; COMPUTE_PGM_RSRC2:USER_SGPR: 6
; COMPUTE_PGM_RSRC2:TRAP_HANDLER: 0
; COMPUTE_PGM_RSRC2:TGID_X_EN: 1
; COMPUTE_PGM_RSRC2:TGID_Y_EN: 0
; COMPUTE_PGM_RSRC2:TGID_Z_EN: 0
; COMPUTE_PGM_RSRC2:TIDIG_COMP_CNT: 0
	.section	.text._ZN7rocprim17ROCPRIM_400000_NS6detail17trampoline_kernelINS0_14default_configENS1_25partition_config_selectorILNS1_17partition_subalgoE8EdNS0_10empty_typeEbEEZZNS1_14partition_implILS5_8ELb0ES3_jN6thrust23THRUST_200600_302600_NS6detail15normal_iteratorINSA_10device_ptrIdEEEEPS6_PKS6_NS0_5tupleIJSF_S6_EEENSJ_IJSG_SG_EEENS0_18inequality_wrapperINSA_8equal_toIdEEEEPmJS6_EEE10hipError_tPvRmT3_T4_T5_T6_T7_T9_mT8_P12ihipStream_tbDpT10_ENKUlT_T0_E_clISt17integral_constantIbLb1EES1A_EEDaS15_S16_EUlS15_E_NS1_11comp_targetILNS1_3genE5ELNS1_11target_archE942ELNS1_3gpuE9ELNS1_3repE0EEENS1_30default_config_static_selectorELNS0_4arch9wavefront6targetE1EEEvT1_,"axG",@progbits,_ZN7rocprim17ROCPRIM_400000_NS6detail17trampoline_kernelINS0_14default_configENS1_25partition_config_selectorILNS1_17partition_subalgoE8EdNS0_10empty_typeEbEEZZNS1_14partition_implILS5_8ELb0ES3_jN6thrust23THRUST_200600_302600_NS6detail15normal_iteratorINSA_10device_ptrIdEEEEPS6_PKS6_NS0_5tupleIJSF_S6_EEENSJ_IJSG_SG_EEENS0_18inequality_wrapperINSA_8equal_toIdEEEEPmJS6_EEE10hipError_tPvRmT3_T4_T5_T6_T7_T9_mT8_P12ihipStream_tbDpT10_ENKUlT_T0_E_clISt17integral_constantIbLb1EES1A_EEDaS15_S16_EUlS15_E_NS1_11comp_targetILNS1_3genE5ELNS1_11target_archE942ELNS1_3gpuE9ELNS1_3repE0EEENS1_30default_config_static_selectorELNS0_4arch9wavefront6targetE1EEEvT1_,comdat
	.protected	_ZN7rocprim17ROCPRIM_400000_NS6detail17trampoline_kernelINS0_14default_configENS1_25partition_config_selectorILNS1_17partition_subalgoE8EdNS0_10empty_typeEbEEZZNS1_14partition_implILS5_8ELb0ES3_jN6thrust23THRUST_200600_302600_NS6detail15normal_iteratorINSA_10device_ptrIdEEEEPS6_PKS6_NS0_5tupleIJSF_S6_EEENSJ_IJSG_SG_EEENS0_18inequality_wrapperINSA_8equal_toIdEEEEPmJS6_EEE10hipError_tPvRmT3_T4_T5_T6_T7_T9_mT8_P12ihipStream_tbDpT10_ENKUlT_T0_E_clISt17integral_constantIbLb1EES1A_EEDaS15_S16_EUlS15_E_NS1_11comp_targetILNS1_3genE5ELNS1_11target_archE942ELNS1_3gpuE9ELNS1_3repE0EEENS1_30default_config_static_selectorELNS0_4arch9wavefront6targetE1EEEvT1_ ; -- Begin function _ZN7rocprim17ROCPRIM_400000_NS6detail17trampoline_kernelINS0_14default_configENS1_25partition_config_selectorILNS1_17partition_subalgoE8EdNS0_10empty_typeEbEEZZNS1_14partition_implILS5_8ELb0ES3_jN6thrust23THRUST_200600_302600_NS6detail15normal_iteratorINSA_10device_ptrIdEEEEPS6_PKS6_NS0_5tupleIJSF_S6_EEENSJ_IJSG_SG_EEENS0_18inequality_wrapperINSA_8equal_toIdEEEEPmJS6_EEE10hipError_tPvRmT3_T4_T5_T6_T7_T9_mT8_P12ihipStream_tbDpT10_ENKUlT_T0_E_clISt17integral_constantIbLb1EES1A_EEDaS15_S16_EUlS15_E_NS1_11comp_targetILNS1_3genE5ELNS1_11target_archE942ELNS1_3gpuE9ELNS1_3repE0EEENS1_30default_config_static_selectorELNS0_4arch9wavefront6targetE1EEEvT1_
	.globl	_ZN7rocprim17ROCPRIM_400000_NS6detail17trampoline_kernelINS0_14default_configENS1_25partition_config_selectorILNS1_17partition_subalgoE8EdNS0_10empty_typeEbEEZZNS1_14partition_implILS5_8ELb0ES3_jN6thrust23THRUST_200600_302600_NS6detail15normal_iteratorINSA_10device_ptrIdEEEEPS6_PKS6_NS0_5tupleIJSF_S6_EEENSJ_IJSG_SG_EEENS0_18inequality_wrapperINSA_8equal_toIdEEEEPmJS6_EEE10hipError_tPvRmT3_T4_T5_T6_T7_T9_mT8_P12ihipStream_tbDpT10_ENKUlT_T0_E_clISt17integral_constantIbLb1EES1A_EEDaS15_S16_EUlS15_E_NS1_11comp_targetILNS1_3genE5ELNS1_11target_archE942ELNS1_3gpuE9ELNS1_3repE0EEENS1_30default_config_static_selectorELNS0_4arch9wavefront6targetE1EEEvT1_
	.p2align	8
	.type	_ZN7rocprim17ROCPRIM_400000_NS6detail17trampoline_kernelINS0_14default_configENS1_25partition_config_selectorILNS1_17partition_subalgoE8EdNS0_10empty_typeEbEEZZNS1_14partition_implILS5_8ELb0ES3_jN6thrust23THRUST_200600_302600_NS6detail15normal_iteratorINSA_10device_ptrIdEEEEPS6_PKS6_NS0_5tupleIJSF_S6_EEENSJ_IJSG_SG_EEENS0_18inequality_wrapperINSA_8equal_toIdEEEEPmJS6_EEE10hipError_tPvRmT3_T4_T5_T6_T7_T9_mT8_P12ihipStream_tbDpT10_ENKUlT_T0_E_clISt17integral_constantIbLb1EES1A_EEDaS15_S16_EUlS15_E_NS1_11comp_targetILNS1_3genE5ELNS1_11target_archE942ELNS1_3gpuE9ELNS1_3repE0EEENS1_30default_config_static_selectorELNS0_4arch9wavefront6targetE1EEEvT1_,@function
_ZN7rocprim17ROCPRIM_400000_NS6detail17trampoline_kernelINS0_14default_configENS1_25partition_config_selectorILNS1_17partition_subalgoE8EdNS0_10empty_typeEbEEZZNS1_14partition_implILS5_8ELb0ES3_jN6thrust23THRUST_200600_302600_NS6detail15normal_iteratorINSA_10device_ptrIdEEEEPS6_PKS6_NS0_5tupleIJSF_S6_EEENSJ_IJSG_SG_EEENS0_18inequality_wrapperINSA_8equal_toIdEEEEPmJS6_EEE10hipError_tPvRmT3_T4_T5_T6_T7_T9_mT8_P12ihipStream_tbDpT10_ENKUlT_T0_E_clISt17integral_constantIbLb1EES1A_EEDaS15_S16_EUlS15_E_NS1_11comp_targetILNS1_3genE5ELNS1_11target_archE942ELNS1_3gpuE9ELNS1_3repE0EEENS1_30default_config_static_selectorELNS0_4arch9wavefront6targetE1EEEvT1_: ; @_ZN7rocprim17ROCPRIM_400000_NS6detail17trampoline_kernelINS0_14default_configENS1_25partition_config_selectorILNS1_17partition_subalgoE8EdNS0_10empty_typeEbEEZZNS1_14partition_implILS5_8ELb0ES3_jN6thrust23THRUST_200600_302600_NS6detail15normal_iteratorINSA_10device_ptrIdEEEEPS6_PKS6_NS0_5tupleIJSF_S6_EEENSJ_IJSG_SG_EEENS0_18inequality_wrapperINSA_8equal_toIdEEEEPmJS6_EEE10hipError_tPvRmT3_T4_T5_T6_T7_T9_mT8_P12ihipStream_tbDpT10_ENKUlT_T0_E_clISt17integral_constantIbLb1EES1A_EEDaS15_S16_EUlS15_E_NS1_11comp_targetILNS1_3genE5ELNS1_11target_archE942ELNS1_3gpuE9ELNS1_3repE0EEENS1_30default_config_static_selectorELNS0_4arch9wavefront6targetE1EEEvT1_
; %bb.0:
	.section	.rodata,"a",@progbits
	.p2align	6, 0x0
	.amdhsa_kernel _ZN7rocprim17ROCPRIM_400000_NS6detail17trampoline_kernelINS0_14default_configENS1_25partition_config_selectorILNS1_17partition_subalgoE8EdNS0_10empty_typeEbEEZZNS1_14partition_implILS5_8ELb0ES3_jN6thrust23THRUST_200600_302600_NS6detail15normal_iteratorINSA_10device_ptrIdEEEEPS6_PKS6_NS0_5tupleIJSF_S6_EEENSJ_IJSG_SG_EEENS0_18inequality_wrapperINSA_8equal_toIdEEEEPmJS6_EEE10hipError_tPvRmT3_T4_T5_T6_T7_T9_mT8_P12ihipStream_tbDpT10_ENKUlT_T0_E_clISt17integral_constantIbLb1EES1A_EEDaS15_S16_EUlS15_E_NS1_11comp_targetILNS1_3genE5ELNS1_11target_archE942ELNS1_3gpuE9ELNS1_3repE0EEENS1_30default_config_static_selectorELNS0_4arch9wavefront6targetE1EEEvT1_
		.amdhsa_group_segment_fixed_size 0
		.amdhsa_private_segment_fixed_size 0
		.amdhsa_kernarg_size 128
		.amdhsa_user_sgpr_count 6
		.amdhsa_user_sgpr_private_segment_buffer 1
		.amdhsa_user_sgpr_dispatch_ptr 0
		.amdhsa_user_sgpr_queue_ptr 0
		.amdhsa_user_sgpr_kernarg_segment_ptr 1
		.amdhsa_user_sgpr_dispatch_id 0
		.amdhsa_user_sgpr_flat_scratch_init 0
		.amdhsa_user_sgpr_private_segment_size 0
		.amdhsa_uses_dynamic_stack 0
		.amdhsa_system_sgpr_private_segment_wavefront_offset 0
		.amdhsa_system_sgpr_workgroup_id_x 1
		.amdhsa_system_sgpr_workgroup_id_y 0
		.amdhsa_system_sgpr_workgroup_id_z 0
		.amdhsa_system_sgpr_workgroup_info 0
		.amdhsa_system_vgpr_workitem_id 0
		.amdhsa_next_free_vgpr 1
		.amdhsa_next_free_sgpr 0
		.amdhsa_reserve_vcc 0
		.amdhsa_reserve_flat_scratch 0
		.amdhsa_float_round_mode_32 0
		.amdhsa_float_round_mode_16_64 0
		.amdhsa_float_denorm_mode_32 3
		.amdhsa_float_denorm_mode_16_64 3
		.amdhsa_dx10_clamp 1
		.amdhsa_ieee_mode 1
		.amdhsa_fp16_overflow 0
		.amdhsa_exception_fp_ieee_invalid_op 0
		.amdhsa_exception_fp_denorm_src 0
		.amdhsa_exception_fp_ieee_div_zero 0
		.amdhsa_exception_fp_ieee_overflow 0
		.amdhsa_exception_fp_ieee_underflow 0
		.amdhsa_exception_fp_ieee_inexact 0
		.amdhsa_exception_int_div_zero 0
	.end_amdhsa_kernel
	.section	.text._ZN7rocprim17ROCPRIM_400000_NS6detail17trampoline_kernelINS0_14default_configENS1_25partition_config_selectorILNS1_17partition_subalgoE8EdNS0_10empty_typeEbEEZZNS1_14partition_implILS5_8ELb0ES3_jN6thrust23THRUST_200600_302600_NS6detail15normal_iteratorINSA_10device_ptrIdEEEEPS6_PKS6_NS0_5tupleIJSF_S6_EEENSJ_IJSG_SG_EEENS0_18inequality_wrapperINSA_8equal_toIdEEEEPmJS6_EEE10hipError_tPvRmT3_T4_T5_T6_T7_T9_mT8_P12ihipStream_tbDpT10_ENKUlT_T0_E_clISt17integral_constantIbLb1EES1A_EEDaS15_S16_EUlS15_E_NS1_11comp_targetILNS1_3genE5ELNS1_11target_archE942ELNS1_3gpuE9ELNS1_3repE0EEENS1_30default_config_static_selectorELNS0_4arch9wavefront6targetE1EEEvT1_,"axG",@progbits,_ZN7rocprim17ROCPRIM_400000_NS6detail17trampoline_kernelINS0_14default_configENS1_25partition_config_selectorILNS1_17partition_subalgoE8EdNS0_10empty_typeEbEEZZNS1_14partition_implILS5_8ELb0ES3_jN6thrust23THRUST_200600_302600_NS6detail15normal_iteratorINSA_10device_ptrIdEEEEPS6_PKS6_NS0_5tupleIJSF_S6_EEENSJ_IJSG_SG_EEENS0_18inequality_wrapperINSA_8equal_toIdEEEEPmJS6_EEE10hipError_tPvRmT3_T4_T5_T6_T7_T9_mT8_P12ihipStream_tbDpT10_ENKUlT_T0_E_clISt17integral_constantIbLb1EES1A_EEDaS15_S16_EUlS15_E_NS1_11comp_targetILNS1_3genE5ELNS1_11target_archE942ELNS1_3gpuE9ELNS1_3repE0EEENS1_30default_config_static_selectorELNS0_4arch9wavefront6targetE1EEEvT1_,comdat
.Lfunc_end22:
	.size	_ZN7rocprim17ROCPRIM_400000_NS6detail17trampoline_kernelINS0_14default_configENS1_25partition_config_selectorILNS1_17partition_subalgoE8EdNS0_10empty_typeEbEEZZNS1_14partition_implILS5_8ELb0ES3_jN6thrust23THRUST_200600_302600_NS6detail15normal_iteratorINSA_10device_ptrIdEEEEPS6_PKS6_NS0_5tupleIJSF_S6_EEENSJ_IJSG_SG_EEENS0_18inequality_wrapperINSA_8equal_toIdEEEEPmJS6_EEE10hipError_tPvRmT3_T4_T5_T6_T7_T9_mT8_P12ihipStream_tbDpT10_ENKUlT_T0_E_clISt17integral_constantIbLb1EES1A_EEDaS15_S16_EUlS15_E_NS1_11comp_targetILNS1_3genE5ELNS1_11target_archE942ELNS1_3gpuE9ELNS1_3repE0EEENS1_30default_config_static_selectorELNS0_4arch9wavefront6targetE1EEEvT1_, .Lfunc_end22-_ZN7rocprim17ROCPRIM_400000_NS6detail17trampoline_kernelINS0_14default_configENS1_25partition_config_selectorILNS1_17partition_subalgoE8EdNS0_10empty_typeEbEEZZNS1_14partition_implILS5_8ELb0ES3_jN6thrust23THRUST_200600_302600_NS6detail15normal_iteratorINSA_10device_ptrIdEEEEPS6_PKS6_NS0_5tupleIJSF_S6_EEENSJ_IJSG_SG_EEENS0_18inequality_wrapperINSA_8equal_toIdEEEEPmJS6_EEE10hipError_tPvRmT3_T4_T5_T6_T7_T9_mT8_P12ihipStream_tbDpT10_ENKUlT_T0_E_clISt17integral_constantIbLb1EES1A_EEDaS15_S16_EUlS15_E_NS1_11comp_targetILNS1_3genE5ELNS1_11target_archE942ELNS1_3gpuE9ELNS1_3repE0EEENS1_30default_config_static_selectorELNS0_4arch9wavefront6targetE1EEEvT1_
                                        ; -- End function
	.set _ZN7rocprim17ROCPRIM_400000_NS6detail17trampoline_kernelINS0_14default_configENS1_25partition_config_selectorILNS1_17partition_subalgoE8EdNS0_10empty_typeEbEEZZNS1_14partition_implILS5_8ELb0ES3_jN6thrust23THRUST_200600_302600_NS6detail15normal_iteratorINSA_10device_ptrIdEEEEPS6_PKS6_NS0_5tupleIJSF_S6_EEENSJ_IJSG_SG_EEENS0_18inequality_wrapperINSA_8equal_toIdEEEEPmJS6_EEE10hipError_tPvRmT3_T4_T5_T6_T7_T9_mT8_P12ihipStream_tbDpT10_ENKUlT_T0_E_clISt17integral_constantIbLb1EES1A_EEDaS15_S16_EUlS15_E_NS1_11comp_targetILNS1_3genE5ELNS1_11target_archE942ELNS1_3gpuE9ELNS1_3repE0EEENS1_30default_config_static_selectorELNS0_4arch9wavefront6targetE1EEEvT1_.num_vgpr, 0
	.set _ZN7rocprim17ROCPRIM_400000_NS6detail17trampoline_kernelINS0_14default_configENS1_25partition_config_selectorILNS1_17partition_subalgoE8EdNS0_10empty_typeEbEEZZNS1_14partition_implILS5_8ELb0ES3_jN6thrust23THRUST_200600_302600_NS6detail15normal_iteratorINSA_10device_ptrIdEEEEPS6_PKS6_NS0_5tupleIJSF_S6_EEENSJ_IJSG_SG_EEENS0_18inequality_wrapperINSA_8equal_toIdEEEEPmJS6_EEE10hipError_tPvRmT3_T4_T5_T6_T7_T9_mT8_P12ihipStream_tbDpT10_ENKUlT_T0_E_clISt17integral_constantIbLb1EES1A_EEDaS15_S16_EUlS15_E_NS1_11comp_targetILNS1_3genE5ELNS1_11target_archE942ELNS1_3gpuE9ELNS1_3repE0EEENS1_30default_config_static_selectorELNS0_4arch9wavefront6targetE1EEEvT1_.num_agpr, 0
	.set _ZN7rocprim17ROCPRIM_400000_NS6detail17trampoline_kernelINS0_14default_configENS1_25partition_config_selectorILNS1_17partition_subalgoE8EdNS0_10empty_typeEbEEZZNS1_14partition_implILS5_8ELb0ES3_jN6thrust23THRUST_200600_302600_NS6detail15normal_iteratorINSA_10device_ptrIdEEEEPS6_PKS6_NS0_5tupleIJSF_S6_EEENSJ_IJSG_SG_EEENS0_18inequality_wrapperINSA_8equal_toIdEEEEPmJS6_EEE10hipError_tPvRmT3_T4_T5_T6_T7_T9_mT8_P12ihipStream_tbDpT10_ENKUlT_T0_E_clISt17integral_constantIbLb1EES1A_EEDaS15_S16_EUlS15_E_NS1_11comp_targetILNS1_3genE5ELNS1_11target_archE942ELNS1_3gpuE9ELNS1_3repE0EEENS1_30default_config_static_selectorELNS0_4arch9wavefront6targetE1EEEvT1_.numbered_sgpr, 0
	.set _ZN7rocprim17ROCPRIM_400000_NS6detail17trampoline_kernelINS0_14default_configENS1_25partition_config_selectorILNS1_17partition_subalgoE8EdNS0_10empty_typeEbEEZZNS1_14partition_implILS5_8ELb0ES3_jN6thrust23THRUST_200600_302600_NS6detail15normal_iteratorINSA_10device_ptrIdEEEEPS6_PKS6_NS0_5tupleIJSF_S6_EEENSJ_IJSG_SG_EEENS0_18inequality_wrapperINSA_8equal_toIdEEEEPmJS6_EEE10hipError_tPvRmT3_T4_T5_T6_T7_T9_mT8_P12ihipStream_tbDpT10_ENKUlT_T0_E_clISt17integral_constantIbLb1EES1A_EEDaS15_S16_EUlS15_E_NS1_11comp_targetILNS1_3genE5ELNS1_11target_archE942ELNS1_3gpuE9ELNS1_3repE0EEENS1_30default_config_static_selectorELNS0_4arch9wavefront6targetE1EEEvT1_.num_named_barrier, 0
	.set _ZN7rocprim17ROCPRIM_400000_NS6detail17trampoline_kernelINS0_14default_configENS1_25partition_config_selectorILNS1_17partition_subalgoE8EdNS0_10empty_typeEbEEZZNS1_14partition_implILS5_8ELb0ES3_jN6thrust23THRUST_200600_302600_NS6detail15normal_iteratorINSA_10device_ptrIdEEEEPS6_PKS6_NS0_5tupleIJSF_S6_EEENSJ_IJSG_SG_EEENS0_18inequality_wrapperINSA_8equal_toIdEEEEPmJS6_EEE10hipError_tPvRmT3_T4_T5_T6_T7_T9_mT8_P12ihipStream_tbDpT10_ENKUlT_T0_E_clISt17integral_constantIbLb1EES1A_EEDaS15_S16_EUlS15_E_NS1_11comp_targetILNS1_3genE5ELNS1_11target_archE942ELNS1_3gpuE9ELNS1_3repE0EEENS1_30default_config_static_selectorELNS0_4arch9wavefront6targetE1EEEvT1_.private_seg_size, 0
	.set _ZN7rocprim17ROCPRIM_400000_NS6detail17trampoline_kernelINS0_14default_configENS1_25partition_config_selectorILNS1_17partition_subalgoE8EdNS0_10empty_typeEbEEZZNS1_14partition_implILS5_8ELb0ES3_jN6thrust23THRUST_200600_302600_NS6detail15normal_iteratorINSA_10device_ptrIdEEEEPS6_PKS6_NS0_5tupleIJSF_S6_EEENSJ_IJSG_SG_EEENS0_18inequality_wrapperINSA_8equal_toIdEEEEPmJS6_EEE10hipError_tPvRmT3_T4_T5_T6_T7_T9_mT8_P12ihipStream_tbDpT10_ENKUlT_T0_E_clISt17integral_constantIbLb1EES1A_EEDaS15_S16_EUlS15_E_NS1_11comp_targetILNS1_3genE5ELNS1_11target_archE942ELNS1_3gpuE9ELNS1_3repE0EEENS1_30default_config_static_selectorELNS0_4arch9wavefront6targetE1EEEvT1_.uses_vcc, 0
	.set _ZN7rocprim17ROCPRIM_400000_NS6detail17trampoline_kernelINS0_14default_configENS1_25partition_config_selectorILNS1_17partition_subalgoE8EdNS0_10empty_typeEbEEZZNS1_14partition_implILS5_8ELb0ES3_jN6thrust23THRUST_200600_302600_NS6detail15normal_iteratorINSA_10device_ptrIdEEEEPS6_PKS6_NS0_5tupleIJSF_S6_EEENSJ_IJSG_SG_EEENS0_18inequality_wrapperINSA_8equal_toIdEEEEPmJS6_EEE10hipError_tPvRmT3_T4_T5_T6_T7_T9_mT8_P12ihipStream_tbDpT10_ENKUlT_T0_E_clISt17integral_constantIbLb1EES1A_EEDaS15_S16_EUlS15_E_NS1_11comp_targetILNS1_3genE5ELNS1_11target_archE942ELNS1_3gpuE9ELNS1_3repE0EEENS1_30default_config_static_selectorELNS0_4arch9wavefront6targetE1EEEvT1_.uses_flat_scratch, 0
	.set _ZN7rocprim17ROCPRIM_400000_NS6detail17trampoline_kernelINS0_14default_configENS1_25partition_config_selectorILNS1_17partition_subalgoE8EdNS0_10empty_typeEbEEZZNS1_14partition_implILS5_8ELb0ES3_jN6thrust23THRUST_200600_302600_NS6detail15normal_iteratorINSA_10device_ptrIdEEEEPS6_PKS6_NS0_5tupleIJSF_S6_EEENSJ_IJSG_SG_EEENS0_18inequality_wrapperINSA_8equal_toIdEEEEPmJS6_EEE10hipError_tPvRmT3_T4_T5_T6_T7_T9_mT8_P12ihipStream_tbDpT10_ENKUlT_T0_E_clISt17integral_constantIbLb1EES1A_EEDaS15_S16_EUlS15_E_NS1_11comp_targetILNS1_3genE5ELNS1_11target_archE942ELNS1_3gpuE9ELNS1_3repE0EEENS1_30default_config_static_selectorELNS0_4arch9wavefront6targetE1EEEvT1_.has_dyn_sized_stack, 0
	.set _ZN7rocprim17ROCPRIM_400000_NS6detail17trampoline_kernelINS0_14default_configENS1_25partition_config_selectorILNS1_17partition_subalgoE8EdNS0_10empty_typeEbEEZZNS1_14partition_implILS5_8ELb0ES3_jN6thrust23THRUST_200600_302600_NS6detail15normal_iteratorINSA_10device_ptrIdEEEEPS6_PKS6_NS0_5tupleIJSF_S6_EEENSJ_IJSG_SG_EEENS0_18inequality_wrapperINSA_8equal_toIdEEEEPmJS6_EEE10hipError_tPvRmT3_T4_T5_T6_T7_T9_mT8_P12ihipStream_tbDpT10_ENKUlT_T0_E_clISt17integral_constantIbLb1EES1A_EEDaS15_S16_EUlS15_E_NS1_11comp_targetILNS1_3genE5ELNS1_11target_archE942ELNS1_3gpuE9ELNS1_3repE0EEENS1_30default_config_static_selectorELNS0_4arch9wavefront6targetE1EEEvT1_.has_recursion, 0
	.set _ZN7rocprim17ROCPRIM_400000_NS6detail17trampoline_kernelINS0_14default_configENS1_25partition_config_selectorILNS1_17partition_subalgoE8EdNS0_10empty_typeEbEEZZNS1_14partition_implILS5_8ELb0ES3_jN6thrust23THRUST_200600_302600_NS6detail15normal_iteratorINSA_10device_ptrIdEEEEPS6_PKS6_NS0_5tupleIJSF_S6_EEENSJ_IJSG_SG_EEENS0_18inequality_wrapperINSA_8equal_toIdEEEEPmJS6_EEE10hipError_tPvRmT3_T4_T5_T6_T7_T9_mT8_P12ihipStream_tbDpT10_ENKUlT_T0_E_clISt17integral_constantIbLb1EES1A_EEDaS15_S16_EUlS15_E_NS1_11comp_targetILNS1_3genE5ELNS1_11target_archE942ELNS1_3gpuE9ELNS1_3repE0EEENS1_30default_config_static_selectorELNS0_4arch9wavefront6targetE1EEEvT1_.has_indirect_call, 0
	.section	.AMDGPU.csdata,"",@progbits
; Kernel info:
; codeLenInByte = 0
; TotalNumSgprs: 4
; NumVgprs: 0
; ScratchSize: 0
; MemoryBound: 0
; FloatMode: 240
; IeeeMode: 1
; LDSByteSize: 0 bytes/workgroup (compile time only)
; SGPRBlocks: 0
; VGPRBlocks: 0
; NumSGPRsForWavesPerEU: 4
; NumVGPRsForWavesPerEU: 1
; Occupancy: 10
; WaveLimiterHint : 0
; COMPUTE_PGM_RSRC2:SCRATCH_EN: 0
; COMPUTE_PGM_RSRC2:USER_SGPR: 6
; COMPUTE_PGM_RSRC2:TRAP_HANDLER: 0
; COMPUTE_PGM_RSRC2:TGID_X_EN: 1
; COMPUTE_PGM_RSRC2:TGID_Y_EN: 0
; COMPUTE_PGM_RSRC2:TGID_Z_EN: 0
; COMPUTE_PGM_RSRC2:TIDIG_COMP_CNT: 0
	.section	.text._ZN7rocprim17ROCPRIM_400000_NS6detail17trampoline_kernelINS0_14default_configENS1_25partition_config_selectorILNS1_17partition_subalgoE8EdNS0_10empty_typeEbEEZZNS1_14partition_implILS5_8ELb0ES3_jN6thrust23THRUST_200600_302600_NS6detail15normal_iteratorINSA_10device_ptrIdEEEEPS6_PKS6_NS0_5tupleIJSF_S6_EEENSJ_IJSG_SG_EEENS0_18inequality_wrapperINSA_8equal_toIdEEEEPmJS6_EEE10hipError_tPvRmT3_T4_T5_T6_T7_T9_mT8_P12ihipStream_tbDpT10_ENKUlT_T0_E_clISt17integral_constantIbLb1EES1A_EEDaS15_S16_EUlS15_E_NS1_11comp_targetILNS1_3genE4ELNS1_11target_archE910ELNS1_3gpuE8ELNS1_3repE0EEENS1_30default_config_static_selectorELNS0_4arch9wavefront6targetE1EEEvT1_,"axG",@progbits,_ZN7rocprim17ROCPRIM_400000_NS6detail17trampoline_kernelINS0_14default_configENS1_25partition_config_selectorILNS1_17partition_subalgoE8EdNS0_10empty_typeEbEEZZNS1_14partition_implILS5_8ELb0ES3_jN6thrust23THRUST_200600_302600_NS6detail15normal_iteratorINSA_10device_ptrIdEEEEPS6_PKS6_NS0_5tupleIJSF_S6_EEENSJ_IJSG_SG_EEENS0_18inequality_wrapperINSA_8equal_toIdEEEEPmJS6_EEE10hipError_tPvRmT3_T4_T5_T6_T7_T9_mT8_P12ihipStream_tbDpT10_ENKUlT_T0_E_clISt17integral_constantIbLb1EES1A_EEDaS15_S16_EUlS15_E_NS1_11comp_targetILNS1_3genE4ELNS1_11target_archE910ELNS1_3gpuE8ELNS1_3repE0EEENS1_30default_config_static_selectorELNS0_4arch9wavefront6targetE1EEEvT1_,comdat
	.protected	_ZN7rocprim17ROCPRIM_400000_NS6detail17trampoline_kernelINS0_14default_configENS1_25partition_config_selectorILNS1_17partition_subalgoE8EdNS0_10empty_typeEbEEZZNS1_14partition_implILS5_8ELb0ES3_jN6thrust23THRUST_200600_302600_NS6detail15normal_iteratorINSA_10device_ptrIdEEEEPS6_PKS6_NS0_5tupleIJSF_S6_EEENSJ_IJSG_SG_EEENS0_18inequality_wrapperINSA_8equal_toIdEEEEPmJS6_EEE10hipError_tPvRmT3_T4_T5_T6_T7_T9_mT8_P12ihipStream_tbDpT10_ENKUlT_T0_E_clISt17integral_constantIbLb1EES1A_EEDaS15_S16_EUlS15_E_NS1_11comp_targetILNS1_3genE4ELNS1_11target_archE910ELNS1_3gpuE8ELNS1_3repE0EEENS1_30default_config_static_selectorELNS0_4arch9wavefront6targetE1EEEvT1_ ; -- Begin function _ZN7rocprim17ROCPRIM_400000_NS6detail17trampoline_kernelINS0_14default_configENS1_25partition_config_selectorILNS1_17partition_subalgoE8EdNS0_10empty_typeEbEEZZNS1_14partition_implILS5_8ELb0ES3_jN6thrust23THRUST_200600_302600_NS6detail15normal_iteratorINSA_10device_ptrIdEEEEPS6_PKS6_NS0_5tupleIJSF_S6_EEENSJ_IJSG_SG_EEENS0_18inequality_wrapperINSA_8equal_toIdEEEEPmJS6_EEE10hipError_tPvRmT3_T4_T5_T6_T7_T9_mT8_P12ihipStream_tbDpT10_ENKUlT_T0_E_clISt17integral_constantIbLb1EES1A_EEDaS15_S16_EUlS15_E_NS1_11comp_targetILNS1_3genE4ELNS1_11target_archE910ELNS1_3gpuE8ELNS1_3repE0EEENS1_30default_config_static_selectorELNS0_4arch9wavefront6targetE1EEEvT1_
	.globl	_ZN7rocprim17ROCPRIM_400000_NS6detail17trampoline_kernelINS0_14default_configENS1_25partition_config_selectorILNS1_17partition_subalgoE8EdNS0_10empty_typeEbEEZZNS1_14partition_implILS5_8ELb0ES3_jN6thrust23THRUST_200600_302600_NS6detail15normal_iteratorINSA_10device_ptrIdEEEEPS6_PKS6_NS0_5tupleIJSF_S6_EEENSJ_IJSG_SG_EEENS0_18inequality_wrapperINSA_8equal_toIdEEEEPmJS6_EEE10hipError_tPvRmT3_T4_T5_T6_T7_T9_mT8_P12ihipStream_tbDpT10_ENKUlT_T0_E_clISt17integral_constantIbLb1EES1A_EEDaS15_S16_EUlS15_E_NS1_11comp_targetILNS1_3genE4ELNS1_11target_archE910ELNS1_3gpuE8ELNS1_3repE0EEENS1_30default_config_static_selectorELNS0_4arch9wavefront6targetE1EEEvT1_
	.p2align	8
	.type	_ZN7rocprim17ROCPRIM_400000_NS6detail17trampoline_kernelINS0_14default_configENS1_25partition_config_selectorILNS1_17partition_subalgoE8EdNS0_10empty_typeEbEEZZNS1_14partition_implILS5_8ELb0ES3_jN6thrust23THRUST_200600_302600_NS6detail15normal_iteratorINSA_10device_ptrIdEEEEPS6_PKS6_NS0_5tupleIJSF_S6_EEENSJ_IJSG_SG_EEENS0_18inequality_wrapperINSA_8equal_toIdEEEEPmJS6_EEE10hipError_tPvRmT3_T4_T5_T6_T7_T9_mT8_P12ihipStream_tbDpT10_ENKUlT_T0_E_clISt17integral_constantIbLb1EES1A_EEDaS15_S16_EUlS15_E_NS1_11comp_targetILNS1_3genE4ELNS1_11target_archE910ELNS1_3gpuE8ELNS1_3repE0EEENS1_30default_config_static_selectorELNS0_4arch9wavefront6targetE1EEEvT1_,@function
_ZN7rocprim17ROCPRIM_400000_NS6detail17trampoline_kernelINS0_14default_configENS1_25partition_config_selectorILNS1_17partition_subalgoE8EdNS0_10empty_typeEbEEZZNS1_14partition_implILS5_8ELb0ES3_jN6thrust23THRUST_200600_302600_NS6detail15normal_iteratorINSA_10device_ptrIdEEEEPS6_PKS6_NS0_5tupleIJSF_S6_EEENSJ_IJSG_SG_EEENS0_18inequality_wrapperINSA_8equal_toIdEEEEPmJS6_EEE10hipError_tPvRmT3_T4_T5_T6_T7_T9_mT8_P12ihipStream_tbDpT10_ENKUlT_T0_E_clISt17integral_constantIbLb1EES1A_EEDaS15_S16_EUlS15_E_NS1_11comp_targetILNS1_3genE4ELNS1_11target_archE910ELNS1_3gpuE8ELNS1_3repE0EEENS1_30default_config_static_selectorELNS0_4arch9wavefront6targetE1EEEvT1_: ; @_ZN7rocprim17ROCPRIM_400000_NS6detail17trampoline_kernelINS0_14default_configENS1_25partition_config_selectorILNS1_17partition_subalgoE8EdNS0_10empty_typeEbEEZZNS1_14partition_implILS5_8ELb0ES3_jN6thrust23THRUST_200600_302600_NS6detail15normal_iteratorINSA_10device_ptrIdEEEEPS6_PKS6_NS0_5tupleIJSF_S6_EEENSJ_IJSG_SG_EEENS0_18inequality_wrapperINSA_8equal_toIdEEEEPmJS6_EEE10hipError_tPvRmT3_T4_T5_T6_T7_T9_mT8_P12ihipStream_tbDpT10_ENKUlT_T0_E_clISt17integral_constantIbLb1EES1A_EEDaS15_S16_EUlS15_E_NS1_11comp_targetILNS1_3genE4ELNS1_11target_archE910ELNS1_3gpuE8ELNS1_3repE0EEENS1_30default_config_static_selectorELNS0_4arch9wavefront6targetE1EEEvT1_
; %bb.0:
	.section	.rodata,"a",@progbits
	.p2align	6, 0x0
	.amdhsa_kernel _ZN7rocprim17ROCPRIM_400000_NS6detail17trampoline_kernelINS0_14default_configENS1_25partition_config_selectorILNS1_17partition_subalgoE8EdNS0_10empty_typeEbEEZZNS1_14partition_implILS5_8ELb0ES3_jN6thrust23THRUST_200600_302600_NS6detail15normal_iteratorINSA_10device_ptrIdEEEEPS6_PKS6_NS0_5tupleIJSF_S6_EEENSJ_IJSG_SG_EEENS0_18inequality_wrapperINSA_8equal_toIdEEEEPmJS6_EEE10hipError_tPvRmT3_T4_T5_T6_T7_T9_mT8_P12ihipStream_tbDpT10_ENKUlT_T0_E_clISt17integral_constantIbLb1EES1A_EEDaS15_S16_EUlS15_E_NS1_11comp_targetILNS1_3genE4ELNS1_11target_archE910ELNS1_3gpuE8ELNS1_3repE0EEENS1_30default_config_static_selectorELNS0_4arch9wavefront6targetE1EEEvT1_
		.amdhsa_group_segment_fixed_size 0
		.amdhsa_private_segment_fixed_size 0
		.amdhsa_kernarg_size 128
		.amdhsa_user_sgpr_count 6
		.amdhsa_user_sgpr_private_segment_buffer 1
		.amdhsa_user_sgpr_dispatch_ptr 0
		.amdhsa_user_sgpr_queue_ptr 0
		.amdhsa_user_sgpr_kernarg_segment_ptr 1
		.amdhsa_user_sgpr_dispatch_id 0
		.amdhsa_user_sgpr_flat_scratch_init 0
		.amdhsa_user_sgpr_private_segment_size 0
		.amdhsa_uses_dynamic_stack 0
		.amdhsa_system_sgpr_private_segment_wavefront_offset 0
		.amdhsa_system_sgpr_workgroup_id_x 1
		.amdhsa_system_sgpr_workgroup_id_y 0
		.amdhsa_system_sgpr_workgroup_id_z 0
		.amdhsa_system_sgpr_workgroup_info 0
		.amdhsa_system_vgpr_workitem_id 0
		.amdhsa_next_free_vgpr 1
		.amdhsa_next_free_sgpr 0
		.amdhsa_reserve_vcc 0
		.amdhsa_reserve_flat_scratch 0
		.amdhsa_float_round_mode_32 0
		.amdhsa_float_round_mode_16_64 0
		.amdhsa_float_denorm_mode_32 3
		.amdhsa_float_denorm_mode_16_64 3
		.amdhsa_dx10_clamp 1
		.amdhsa_ieee_mode 1
		.amdhsa_fp16_overflow 0
		.amdhsa_exception_fp_ieee_invalid_op 0
		.amdhsa_exception_fp_denorm_src 0
		.amdhsa_exception_fp_ieee_div_zero 0
		.amdhsa_exception_fp_ieee_overflow 0
		.amdhsa_exception_fp_ieee_underflow 0
		.amdhsa_exception_fp_ieee_inexact 0
		.amdhsa_exception_int_div_zero 0
	.end_amdhsa_kernel
	.section	.text._ZN7rocprim17ROCPRIM_400000_NS6detail17trampoline_kernelINS0_14default_configENS1_25partition_config_selectorILNS1_17partition_subalgoE8EdNS0_10empty_typeEbEEZZNS1_14partition_implILS5_8ELb0ES3_jN6thrust23THRUST_200600_302600_NS6detail15normal_iteratorINSA_10device_ptrIdEEEEPS6_PKS6_NS0_5tupleIJSF_S6_EEENSJ_IJSG_SG_EEENS0_18inequality_wrapperINSA_8equal_toIdEEEEPmJS6_EEE10hipError_tPvRmT3_T4_T5_T6_T7_T9_mT8_P12ihipStream_tbDpT10_ENKUlT_T0_E_clISt17integral_constantIbLb1EES1A_EEDaS15_S16_EUlS15_E_NS1_11comp_targetILNS1_3genE4ELNS1_11target_archE910ELNS1_3gpuE8ELNS1_3repE0EEENS1_30default_config_static_selectorELNS0_4arch9wavefront6targetE1EEEvT1_,"axG",@progbits,_ZN7rocprim17ROCPRIM_400000_NS6detail17trampoline_kernelINS0_14default_configENS1_25partition_config_selectorILNS1_17partition_subalgoE8EdNS0_10empty_typeEbEEZZNS1_14partition_implILS5_8ELb0ES3_jN6thrust23THRUST_200600_302600_NS6detail15normal_iteratorINSA_10device_ptrIdEEEEPS6_PKS6_NS0_5tupleIJSF_S6_EEENSJ_IJSG_SG_EEENS0_18inequality_wrapperINSA_8equal_toIdEEEEPmJS6_EEE10hipError_tPvRmT3_T4_T5_T6_T7_T9_mT8_P12ihipStream_tbDpT10_ENKUlT_T0_E_clISt17integral_constantIbLb1EES1A_EEDaS15_S16_EUlS15_E_NS1_11comp_targetILNS1_3genE4ELNS1_11target_archE910ELNS1_3gpuE8ELNS1_3repE0EEENS1_30default_config_static_selectorELNS0_4arch9wavefront6targetE1EEEvT1_,comdat
.Lfunc_end23:
	.size	_ZN7rocprim17ROCPRIM_400000_NS6detail17trampoline_kernelINS0_14default_configENS1_25partition_config_selectorILNS1_17partition_subalgoE8EdNS0_10empty_typeEbEEZZNS1_14partition_implILS5_8ELb0ES3_jN6thrust23THRUST_200600_302600_NS6detail15normal_iteratorINSA_10device_ptrIdEEEEPS6_PKS6_NS0_5tupleIJSF_S6_EEENSJ_IJSG_SG_EEENS0_18inequality_wrapperINSA_8equal_toIdEEEEPmJS6_EEE10hipError_tPvRmT3_T4_T5_T6_T7_T9_mT8_P12ihipStream_tbDpT10_ENKUlT_T0_E_clISt17integral_constantIbLb1EES1A_EEDaS15_S16_EUlS15_E_NS1_11comp_targetILNS1_3genE4ELNS1_11target_archE910ELNS1_3gpuE8ELNS1_3repE0EEENS1_30default_config_static_selectorELNS0_4arch9wavefront6targetE1EEEvT1_, .Lfunc_end23-_ZN7rocprim17ROCPRIM_400000_NS6detail17trampoline_kernelINS0_14default_configENS1_25partition_config_selectorILNS1_17partition_subalgoE8EdNS0_10empty_typeEbEEZZNS1_14partition_implILS5_8ELb0ES3_jN6thrust23THRUST_200600_302600_NS6detail15normal_iteratorINSA_10device_ptrIdEEEEPS6_PKS6_NS0_5tupleIJSF_S6_EEENSJ_IJSG_SG_EEENS0_18inequality_wrapperINSA_8equal_toIdEEEEPmJS6_EEE10hipError_tPvRmT3_T4_T5_T6_T7_T9_mT8_P12ihipStream_tbDpT10_ENKUlT_T0_E_clISt17integral_constantIbLb1EES1A_EEDaS15_S16_EUlS15_E_NS1_11comp_targetILNS1_3genE4ELNS1_11target_archE910ELNS1_3gpuE8ELNS1_3repE0EEENS1_30default_config_static_selectorELNS0_4arch9wavefront6targetE1EEEvT1_
                                        ; -- End function
	.set _ZN7rocprim17ROCPRIM_400000_NS6detail17trampoline_kernelINS0_14default_configENS1_25partition_config_selectorILNS1_17partition_subalgoE8EdNS0_10empty_typeEbEEZZNS1_14partition_implILS5_8ELb0ES3_jN6thrust23THRUST_200600_302600_NS6detail15normal_iteratorINSA_10device_ptrIdEEEEPS6_PKS6_NS0_5tupleIJSF_S6_EEENSJ_IJSG_SG_EEENS0_18inequality_wrapperINSA_8equal_toIdEEEEPmJS6_EEE10hipError_tPvRmT3_T4_T5_T6_T7_T9_mT8_P12ihipStream_tbDpT10_ENKUlT_T0_E_clISt17integral_constantIbLb1EES1A_EEDaS15_S16_EUlS15_E_NS1_11comp_targetILNS1_3genE4ELNS1_11target_archE910ELNS1_3gpuE8ELNS1_3repE0EEENS1_30default_config_static_selectorELNS0_4arch9wavefront6targetE1EEEvT1_.num_vgpr, 0
	.set _ZN7rocprim17ROCPRIM_400000_NS6detail17trampoline_kernelINS0_14default_configENS1_25partition_config_selectorILNS1_17partition_subalgoE8EdNS0_10empty_typeEbEEZZNS1_14partition_implILS5_8ELb0ES3_jN6thrust23THRUST_200600_302600_NS6detail15normal_iteratorINSA_10device_ptrIdEEEEPS6_PKS6_NS0_5tupleIJSF_S6_EEENSJ_IJSG_SG_EEENS0_18inequality_wrapperINSA_8equal_toIdEEEEPmJS6_EEE10hipError_tPvRmT3_T4_T5_T6_T7_T9_mT8_P12ihipStream_tbDpT10_ENKUlT_T0_E_clISt17integral_constantIbLb1EES1A_EEDaS15_S16_EUlS15_E_NS1_11comp_targetILNS1_3genE4ELNS1_11target_archE910ELNS1_3gpuE8ELNS1_3repE0EEENS1_30default_config_static_selectorELNS0_4arch9wavefront6targetE1EEEvT1_.num_agpr, 0
	.set _ZN7rocprim17ROCPRIM_400000_NS6detail17trampoline_kernelINS0_14default_configENS1_25partition_config_selectorILNS1_17partition_subalgoE8EdNS0_10empty_typeEbEEZZNS1_14partition_implILS5_8ELb0ES3_jN6thrust23THRUST_200600_302600_NS6detail15normal_iteratorINSA_10device_ptrIdEEEEPS6_PKS6_NS0_5tupleIJSF_S6_EEENSJ_IJSG_SG_EEENS0_18inequality_wrapperINSA_8equal_toIdEEEEPmJS6_EEE10hipError_tPvRmT3_T4_T5_T6_T7_T9_mT8_P12ihipStream_tbDpT10_ENKUlT_T0_E_clISt17integral_constantIbLb1EES1A_EEDaS15_S16_EUlS15_E_NS1_11comp_targetILNS1_3genE4ELNS1_11target_archE910ELNS1_3gpuE8ELNS1_3repE0EEENS1_30default_config_static_selectorELNS0_4arch9wavefront6targetE1EEEvT1_.numbered_sgpr, 0
	.set _ZN7rocprim17ROCPRIM_400000_NS6detail17trampoline_kernelINS0_14default_configENS1_25partition_config_selectorILNS1_17partition_subalgoE8EdNS0_10empty_typeEbEEZZNS1_14partition_implILS5_8ELb0ES3_jN6thrust23THRUST_200600_302600_NS6detail15normal_iteratorINSA_10device_ptrIdEEEEPS6_PKS6_NS0_5tupleIJSF_S6_EEENSJ_IJSG_SG_EEENS0_18inequality_wrapperINSA_8equal_toIdEEEEPmJS6_EEE10hipError_tPvRmT3_T4_T5_T6_T7_T9_mT8_P12ihipStream_tbDpT10_ENKUlT_T0_E_clISt17integral_constantIbLb1EES1A_EEDaS15_S16_EUlS15_E_NS1_11comp_targetILNS1_3genE4ELNS1_11target_archE910ELNS1_3gpuE8ELNS1_3repE0EEENS1_30default_config_static_selectorELNS0_4arch9wavefront6targetE1EEEvT1_.num_named_barrier, 0
	.set _ZN7rocprim17ROCPRIM_400000_NS6detail17trampoline_kernelINS0_14default_configENS1_25partition_config_selectorILNS1_17partition_subalgoE8EdNS0_10empty_typeEbEEZZNS1_14partition_implILS5_8ELb0ES3_jN6thrust23THRUST_200600_302600_NS6detail15normal_iteratorINSA_10device_ptrIdEEEEPS6_PKS6_NS0_5tupleIJSF_S6_EEENSJ_IJSG_SG_EEENS0_18inequality_wrapperINSA_8equal_toIdEEEEPmJS6_EEE10hipError_tPvRmT3_T4_T5_T6_T7_T9_mT8_P12ihipStream_tbDpT10_ENKUlT_T0_E_clISt17integral_constantIbLb1EES1A_EEDaS15_S16_EUlS15_E_NS1_11comp_targetILNS1_3genE4ELNS1_11target_archE910ELNS1_3gpuE8ELNS1_3repE0EEENS1_30default_config_static_selectorELNS0_4arch9wavefront6targetE1EEEvT1_.private_seg_size, 0
	.set _ZN7rocprim17ROCPRIM_400000_NS6detail17trampoline_kernelINS0_14default_configENS1_25partition_config_selectorILNS1_17partition_subalgoE8EdNS0_10empty_typeEbEEZZNS1_14partition_implILS5_8ELb0ES3_jN6thrust23THRUST_200600_302600_NS6detail15normal_iteratorINSA_10device_ptrIdEEEEPS6_PKS6_NS0_5tupleIJSF_S6_EEENSJ_IJSG_SG_EEENS0_18inequality_wrapperINSA_8equal_toIdEEEEPmJS6_EEE10hipError_tPvRmT3_T4_T5_T6_T7_T9_mT8_P12ihipStream_tbDpT10_ENKUlT_T0_E_clISt17integral_constantIbLb1EES1A_EEDaS15_S16_EUlS15_E_NS1_11comp_targetILNS1_3genE4ELNS1_11target_archE910ELNS1_3gpuE8ELNS1_3repE0EEENS1_30default_config_static_selectorELNS0_4arch9wavefront6targetE1EEEvT1_.uses_vcc, 0
	.set _ZN7rocprim17ROCPRIM_400000_NS6detail17trampoline_kernelINS0_14default_configENS1_25partition_config_selectorILNS1_17partition_subalgoE8EdNS0_10empty_typeEbEEZZNS1_14partition_implILS5_8ELb0ES3_jN6thrust23THRUST_200600_302600_NS6detail15normal_iteratorINSA_10device_ptrIdEEEEPS6_PKS6_NS0_5tupleIJSF_S6_EEENSJ_IJSG_SG_EEENS0_18inequality_wrapperINSA_8equal_toIdEEEEPmJS6_EEE10hipError_tPvRmT3_T4_T5_T6_T7_T9_mT8_P12ihipStream_tbDpT10_ENKUlT_T0_E_clISt17integral_constantIbLb1EES1A_EEDaS15_S16_EUlS15_E_NS1_11comp_targetILNS1_3genE4ELNS1_11target_archE910ELNS1_3gpuE8ELNS1_3repE0EEENS1_30default_config_static_selectorELNS0_4arch9wavefront6targetE1EEEvT1_.uses_flat_scratch, 0
	.set _ZN7rocprim17ROCPRIM_400000_NS6detail17trampoline_kernelINS0_14default_configENS1_25partition_config_selectorILNS1_17partition_subalgoE8EdNS0_10empty_typeEbEEZZNS1_14partition_implILS5_8ELb0ES3_jN6thrust23THRUST_200600_302600_NS6detail15normal_iteratorINSA_10device_ptrIdEEEEPS6_PKS6_NS0_5tupleIJSF_S6_EEENSJ_IJSG_SG_EEENS0_18inequality_wrapperINSA_8equal_toIdEEEEPmJS6_EEE10hipError_tPvRmT3_T4_T5_T6_T7_T9_mT8_P12ihipStream_tbDpT10_ENKUlT_T0_E_clISt17integral_constantIbLb1EES1A_EEDaS15_S16_EUlS15_E_NS1_11comp_targetILNS1_3genE4ELNS1_11target_archE910ELNS1_3gpuE8ELNS1_3repE0EEENS1_30default_config_static_selectorELNS0_4arch9wavefront6targetE1EEEvT1_.has_dyn_sized_stack, 0
	.set _ZN7rocprim17ROCPRIM_400000_NS6detail17trampoline_kernelINS0_14default_configENS1_25partition_config_selectorILNS1_17partition_subalgoE8EdNS0_10empty_typeEbEEZZNS1_14partition_implILS5_8ELb0ES3_jN6thrust23THRUST_200600_302600_NS6detail15normal_iteratorINSA_10device_ptrIdEEEEPS6_PKS6_NS0_5tupleIJSF_S6_EEENSJ_IJSG_SG_EEENS0_18inequality_wrapperINSA_8equal_toIdEEEEPmJS6_EEE10hipError_tPvRmT3_T4_T5_T6_T7_T9_mT8_P12ihipStream_tbDpT10_ENKUlT_T0_E_clISt17integral_constantIbLb1EES1A_EEDaS15_S16_EUlS15_E_NS1_11comp_targetILNS1_3genE4ELNS1_11target_archE910ELNS1_3gpuE8ELNS1_3repE0EEENS1_30default_config_static_selectorELNS0_4arch9wavefront6targetE1EEEvT1_.has_recursion, 0
	.set _ZN7rocprim17ROCPRIM_400000_NS6detail17trampoline_kernelINS0_14default_configENS1_25partition_config_selectorILNS1_17partition_subalgoE8EdNS0_10empty_typeEbEEZZNS1_14partition_implILS5_8ELb0ES3_jN6thrust23THRUST_200600_302600_NS6detail15normal_iteratorINSA_10device_ptrIdEEEEPS6_PKS6_NS0_5tupleIJSF_S6_EEENSJ_IJSG_SG_EEENS0_18inequality_wrapperINSA_8equal_toIdEEEEPmJS6_EEE10hipError_tPvRmT3_T4_T5_T6_T7_T9_mT8_P12ihipStream_tbDpT10_ENKUlT_T0_E_clISt17integral_constantIbLb1EES1A_EEDaS15_S16_EUlS15_E_NS1_11comp_targetILNS1_3genE4ELNS1_11target_archE910ELNS1_3gpuE8ELNS1_3repE0EEENS1_30default_config_static_selectorELNS0_4arch9wavefront6targetE1EEEvT1_.has_indirect_call, 0
	.section	.AMDGPU.csdata,"",@progbits
; Kernel info:
; codeLenInByte = 0
; TotalNumSgprs: 4
; NumVgprs: 0
; ScratchSize: 0
; MemoryBound: 0
; FloatMode: 240
; IeeeMode: 1
; LDSByteSize: 0 bytes/workgroup (compile time only)
; SGPRBlocks: 0
; VGPRBlocks: 0
; NumSGPRsForWavesPerEU: 4
; NumVGPRsForWavesPerEU: 1
; Occupancy: 10
; WaveLimiterHint : 0
; COMPUTE_PGM_RSRC2:SCRATCH_EN: 0
; COMPUTE_PGM_RSRC2:USER_SGPR: 6
; COMPUTE_PGM_RSRC2:TRAP_HANDLER: 0
; COMPUTE_PGM_RSRC2:TGID_X_EN: 1
; COMPUTE_PGM_RSRC2:TGID_Y_EN: 0
; COMPUTE_PGM_RSRC2:TGID_Z_EN: 0
; COMPUTE_PGM_RSRC2:TIDIG_COMP_CNT: 0
	.section	.text._ZN7rocprim17ROCPRIM_400000_NS6detail17trampoline_kernelINS0_14default_configENS1_25partition_config_selectorILNS1_17partition_subalgoE8EdNS0_10empty_typeEbEEZZNS1_14partition_implILS5_8ELb0ES3_jN6thrust23THRUST_200600_302600_NS6detail15normal_iteratorINSA_10device_ptrIdEEEEPS6_PKS6_NS0_5tupleIJSF_S6_EEENSJ_IJSG_SG_EEENS0_18inequality_wrapperINSA_8equal_toIdEEEEPmJS6_EEE10hipError_tPvRmT3_T4_T5_T6_T7_T9_mT8_P12ihipStream_tbDpT10_ENKUlT_T0_E_clISt17integral_constantIbLb1EES1A_EEDaS15_S16_EUlS15_E_NS1_11comp_targetILNS1_3genE3ELNS1_11target_archE908ELNS1_3gpuE7ELNS1_3repE0EEENS1_30default_config_static_selectorELNS0_4arch9wavefront6targetE1EEEvT1_,"axG",@progbits,_ZN7rocprim17ROCPRIM_400000_NS6detail17trampoline_kernelINS0_14default_configENS1_25partition_config_selectorILNS1_17partition_subalgoE8EdNS0_10empty_typeEbEEZZNS1_14partition_implILS5_8ELb0ES3_jN6thrust23THRUST_200600_302600_NS6detail15normal_iteratorINSA_10device_ptrIdEEEEPS6_PKS6_NS0_5tupleIJSF_S6_EEENSJ_IJSG_SG_EEENS0_18inequality_wrapperINSA_8equal_toIdEEEEPmJS6_EEE10hipError_tPvRmT3_T4_T5_T6_T7_T9_mT8_P12ihipStream_tbDpT10_ENKUlT_T0_E_clISt17integral_constantIbLb1EES1A_EEDaS15_S16_EUlS15_E_NS1_11comp_targetILNS1_3genE3ELNS1_11target_archE908ELNS1_3gpuE7ELNS1_3repE0EEENS1_30default_config_static_selectorELNS0_4arch9wavefront6targetE1EEEvT1_,comdat
	.protected	_ZN7rocprim17ROCPRIM_400000_NS6detail17trampoline_kernelINS0_14default_configENS1_25partition_config_selectorILNS1_17partition_subalgoE8EdNS0_10empty_typeEbEEZZNS1_14partition_implILS5_8ELb0ES3_jN6thrust23THRUST_200600_302600_NS6detail15normal_iteratorINSA_10device_ptrIdEEEEPS6_PKS6_NS0_5tupleIJSF_S6_EEENSJ_IJSG_SG_EEENS0_18inequality_wrapperINSA_8equal_toIdEEEEPmJS6_EEE10hipError_tPvRmT3_T4_T5_T6_T7_T9_mT8_P12ihipStream_tbDpT10_ENKUlT_T0_E_clISt17integral_constantIbLb1EES1A_EEDaS15_S16_EUlS15_E_NS1_11comp_targetILNS1_3genE3ELNS1_11target_archE908ELNS1_3gpuE7ELNS1_3repE0EEENS1_30default_config_static_selectorELNS0_4arch9wavefront6targetE1EEEvT1_ ; -- Begin function _ZN7rocprim17ROCPRIM_400000_NS6detail17trampoline_kernelINS0_14default_configENS1_25partition_config_selectorILNS1_17partition_subalgoE8EdNS0_10empty_typeEbEEZZNS1_14partition_implILS5_8ELb0ES3_jN6thrust23THRUST_200600_302600_NS6detail15normal_iteratorINSA_10device_ptrIdEEEEPS6_PKS6_NS0_5tupleIJSF_S6_EEENSJ_IJSG_SG_EEENS0_18inequality_wrapperINSA_8equal_toIdEEEEPmJS6_EEE10hipError_tPvRmT3_T4_T5_T6_T7_T9_mT8_P12ihipStream_tbDpT10_ENKUlT_T0_E_clISt17integral_constantIbLb1EES1A_EEDaS15_S16_EUlS15_E_NS1_11comp_targetILNS1_3genE3ELNS1_11target_archE908ELNS1_3gpuE7ELNS1_3repE0EEENS1_30default_config_static_selectorELNS0_4arch9wavefront6targetE1EEEvT1_
	.globl	_ZN7rocprim17ROCPRIM_400000_NS6detail17trampoline_kernelINS0_14default_configENS1_25partition_config_selectorILNS1_17partition_subalgoE8EdNS0_10empty_typeEbEEZZNS1_14partition_implILS5_8ELb0ES3_jN6thrust23THRUST_200600_302600_NS6detail15normal_iteratorINSA_10device_ptrIdEEEEPS6_PKS6_NS0_5tupleIJSF_S6_EEENSJ_IJSG_SG_EEENS0_18inequality_wrapperINSA_8equal_toIdEEEEPmJS6_EEE10hipError_tPvRmT3_T4_T5_T6_T7_T9_mT8_P12ihipStream_tbDpT10_ENKUlT_T0_E_clISt17integral_constantIbLb1EES1A_EEDaS15_S16_EUlS15_E_NS1_11comp_targetILNS1_3genE3ELNS1_11target_archE908ELNS1_3gpuE7ELNS1_3repE0EEENS1_30default_config_static_selectorELNS0_4arch9wavefront6targetE1EEEvT1_
	.p2align	8
	.type	_ZN7rocprim17ROCPRIM_400000_NS6detail17trampoline_kernelINS0_14default_configENS1_25partition_config_selectorILNS1_17partition_subalgoE8EdNS0_10empty_typeEbEEZZNS1_14partition_implILS5_8ELb0ES3_jN6thrust23THRUST_200600_302600_NS6detail15normal_iteratorINSA_10device_ptrIdEEEEPS6_PKS6_NS0_5tupleIJSF_S6_EEENSJ_IJSG_SG_EEENS0_18inequality_wrapperINSA_8equal_toIdEEEEPmJS6_EEE10hipError_tPvRmT3_T4_T5_T6_T7_T9_mT8_P12ihipStream_tbDpT10_ENKUlT_T0_E_clISt17integral_constantIbLb1EES1A_EEDaS15_S16_EUlS15_E_NS1_11comp_targetILNS1_3genE3ELNS1_11target_archE908ELNS1_3gpuE7ELNS1_3repE0EEENS1_30default_config_static_selectorELNS0_4arch9wavefront6targetE1EEEvT1_,@function
_ZN7rocprim17ROCPRIM_400000_NS6detail17trampoline_kernelINS0_14default_configENS1_25partition_config_selectorILNS1_17partition_subalgoE8EdNS0_10empty_typeEbEEZZNS1_14partition_implILS5_8ELb0ES3_jN6thrust23THRUST_200600_302600_NS6detail15normal_iteratorINSA_10device_ptrIdEEEEPS6_PKS6_NS0_5tupleIJSF_S6_EEENSJ_IJSG_SG_EEENS0_18inequality_wrapperINSA_8equal_toIdEEEEPmJS6_EEE10hipError_tPvRmT3_T4_T5_T6_T7_T9_mT8_P12ihipStream_tbDpT10_ENKUlT_T0_E_clISt17integral_constantIbLb1EES1A_EEDaS15_S16_EUlS15_E_NS1_11comp_targetILNS1_3genE3ELNS1_11target_archE908ELNS1_3gpuE7ELNS1_3repE0EEENS1_30default_config_static_selectorELNS0_4arch9wavefront6targetE1EEEvT1_: ; @_ZN7rocprim17ROCPRIM_400000_NS6detail17trampoline_kernelINS0_14default_configENS1_25partition_config_selectorILNS1_17partition_subalgoE8EdNS0_10empty_typeEbEEZZNS1_14partition_implILS5_8ELb0ES3_jN6thrust23THRUST_200600_302600_NS6detail15normal_iteratorINSA_10device_ptrIdEEEEPS6_PKS6_NS0_5tupleIJSF_S6_EEENSJ_IJSG_SG_EEENS0_18inequality_wrapperINSA_8equal_toIdEEEEPmJS6_EEE10hipError_tPvRmT3_T4_T5_T6_T7_T9_mT8_P12ihipStream_tbDpT10_ENKUlT_T0_E_clISt17integral_constantIbLb1EES1A_EEDaS15_S16_EUlS15_E_NS1_11comp_targetILNS1_3genE3ELNS1_11target_archE908ELNS1_3gpuE7ELNS1_3repE0EEENS1_30default_config_static_selectorELNS0_4arch9wavefront6targetE1EEEvT1_
; %bb.0:
	.section	.rodata,"a",@progbits
	.p2align	6, 0x0
	.amdhsa_kernel _ZN7rocprim17ROCPRIM_400000_NS6detail17trampoline_kernelINS0_14default_configENS1_25partition_config_selectorILNS1_17partition_subalgoE8EdNS0_10empty_typeEbEEZZNS1_14partition_implILS5_8ELb0ES3_jN6thrust23THRUST_200600_302600_NS6detail15normal_iteratorINSA_10device_ptrIdEEEEPS6_PKS6_NS0_5tupleIJSF_S6_EEENSJ_IJSG_SG_EEENS0_18inequality_wrapperINSA_8equal_toIdEEEEPmJS6_EEE10hipError_tPvRmT3_T4_T5_T6_T7_T9_mT8_P12ihipStream_tbDpT10_ENKUlT_T0_E_clISt17integral_constantIbLb1EES1A_EEDaS15_S16_EUlS15_E_NS1_11comp_targetILNS1_3genE3ELNS1_11target_archE908ELNS1_3gpuE7ELNS1_3repE0EEENS1_30default_config_static_selectorELNS0_4arch9wavefront6targetE1EEEvT1_
		.amdhsa_group_segment_fixed_size 0
		.amdhsa_private_segment_fixed_size 0
		.amdhsa_kernarg_size 128
		.amdhsa_user_sgpr_count 6
		.amdhsa_user_sgpr_private_segment_buffer 1
		.amdhsa_user_sgpr_dispatch_ptr 0
		.amdhsa_user_sgpr_queue_ptr 0
		.amdhsa_user_sgpr_kernarg_segment_ptr 1
		.amdhsa_user_sgpr_dispatch_id 0
		.amdhsa_user_sgpr_flat_scratch_init 0
		.amdhsa_user_sgpr_private_segment_size 0
		.amdhsa_uses_dynamic_stack 0
		.amdhsa_system_sgpr_private_segment_wavefront_offset 0
		.amdhsa_system_sgpr_workgroup_id_x 1
		.amdhsa_system_sgpr_workgroup_id_y 0
		.amdhsa_system_sgpr_workgroup_id_z 0
		.amdhsa_system_sgpr_workgroup_info 0
		.amdhsa_system_vgpr_workitem_id 0
		.amdhsa_next_free_vgpr 1
		.amdhsa_next_free_sgpr 0
		.amdhsa_reserve_vcc 0
		.amdhsa_reserve_flat_scratch 0
		.amdhsa_float_round_mode_32 0
		.amdhsa_float_round_mode_16_64 0
		.amdhsa_float_denorm_mode_32 3
		.amdhsa_float_denorm_mode_16_64 3
		.amdhsa_dx10_clamp 1
		.amdhsa_ieee_mode 1
		.amdhsa_fp16_overflow 0
		.amdhsa_exception_fp_ieee_invalid_op 0
		.amdhsa_exception_fp_denorm_src 0
		.amdhsa_exception_fp_ieee_div_zero 0
		.amdhsa_exception_fp_ieee_overflow 0
		.amdhsa_exception_fp_ieee_underflow 0
		.amdhsa_exception_fp_ieee_inexact 0
		.amdhsa_exception_int_div_zero 0
	.end_amdhsa_kernel
	.section	.text._ZN7rocprim17ROCPRIM_400000_NS6detail17trampoline_kernelINS0_14default_configENS1_25partition_config_selectorILNS1_17partition_subalgoE8EdNS0_10empty_typeEbEEZZNS1_14partition_implILS5_8ELb0ES3_jN6thrust23THRUST_200600_302600_NS6detail15normal_iteratorINSA_10device_ptrIdEEEEPS6_PKS6_NS0_5tupleIJSF_S6_EEENSJ_IJSG_SG_EEENS0_18inequality_wrapperINSA_8equal_toIdEEEEPmJS6_EEE10hipError_tPvRmT3_T4_T5_T6_T7_T9_mT8_P12ihipStream_tbDpT10_ENKUlT_T0_E_clISt17integral_constantIbLb1EES1A_EEDaS15_S16_EUlS15_E_NS1_11comp_targetILNS1_3genE3ELNS1_11target_archE908ELNS1_3gpuE7ELNS1_3repE0EEENS1_30default_config_static_selectorELNS0_4arch9wavefront6targetE1EEEvT1_,"axG",@progbits,_ZN7rocprim17ROCPRIM_400000_NS6detail17trampoline_kernelINS0_14default_configENS1_25partition_config_selectorILNS1_17partition_subalgoE8EdNS0_10empty_typeEbEEZZNS1_14partition_implILS5_8ELb0ES3_jN6thrust23THRUST_200600_302600_NS6detail15normal_iteratorINSA_10device_ptrIdEEEEPS6_PKS6_NS0_5tupleIJSF_S6_EEENSJ_IJSG_SG_EEENS0_18inequality_wrapperINSA_8equal_toIdEEEEPmJS6_EEE10hipError_tPvRmT3_T4_T5_T6_T7_T9_mT8_P12ihipStream_tbDpT10_ENKUlT_T0_E_clISt17integral_constantIbLb1EES1A_EEDaS15_S16_EUlS15_E_NS1_11comp_targetILNS1_3genE3ELNS1_11target_archE908ELNS1_3gpuE7ELNS1_3repE0EEENS1_30default_config_static_selectorELNS0_4arch9wavefront6targetE1EEEvT1_,comdat
.Lfunc_end24:
	.size	_ZN7rocprim17ROCPRIM_400000_NS6detail17trampoline_kernelINS0_14default_configENS1_25partition_config_selectorILNS1_17partition_subalgoE8EdNS0_10empty_typeEbEEZZNS1_14partition_implILS5_8ELb0ES3_jN6thrust23THRUST_200600_302600_NS6detail15normal_iteratorINSA_10device_ptrIdEEEEPS6_PKS6_NS0_5tupleIJSF_S6_EEENSJ_IJSG_SG_EEENS0_18inequality_wrapperINSA_8equal_toIdEEEEPmJS6_EEE10hipError_tPvRmT3_T4_T5_T6_T7_T9_mT8_P12ihipStream_tbDpT10_ENKUlT_T0_E_clISt17integral_constantIbLb1EES1A_EEDaS15_S16_EUlS15_E_NS1_11comp_targetILNS1_3genE3ELNS1_11target_archE908ELNS1_3gpuE7ELNS1_3repE0EEENS1_30default_config_static_selectorELNS0_4arch9wavefront6targetE1EEEvT1_, .Lfunc_end24-_ZN7rocprim17ROCPRIM_400000_NS6detail17trampoline_kernelINS0_14default_configENS1_25partition_config_selectorILNS1_17partition_subalgoE8EdNS0_10empty_typeEbEEZZNS1_14partition_implILS5_8ELb0ES3_jN6thrust23THRUST_200600_302600_NS6detail15normal_iteratorINSA_10device_ptrIdEEEEPS6_PKS6_NS0_5tupleIJSF_S6_EEENSJ_IJSG_SG_EEENS0_18inequality_wrapperINSA_8equal_toIdEEEEPmJS6_EEE10hipError_tPvRmT3_T4_T5_T6_T7_T9_mT8_P12ihipStream_tbDpT10_ENKUlT_T0_E_clISt17integral_constantIbLb1EES1A_EEDaS15_S16_EUlS15_E_NS1_11comp_targetILNS1_3genE3ELNS1_11target_archE908ELNS1_3gpuE7ELNS1_3repE0EEENS1_30default_config_static_selectorELNS0_4arch9wavefront6targetE1EEEvT1_
                                        ; -- End function
	.set _ZN7rocprim17ROCPRIM_400000_NS6detail17trampoline_kernelINS0_14default_configENS1_25partition_config_selectorILNS1_17partition_subalgoE8EdNS0_10empty_typeEbEEZZNS1_14partition_implILS5_8ELb0ES3_jN6thrust23THRUST_200600_302600_NS6detail15normal_iteratorINSA_10device_ptrIdEEEEPS6_PKS6_NS0_5tupleIJSF_S6_EEENSJ_IJSG_SG_EEENS0_18inequality_wrapperINSA_8equal_toIdEEEEPmJS6_EEE10hipError_tPvRmT3_T4_T5_T6_T7_T9_mT8_P12ihipStream_tbDpT10_ENKUlT_T0_E_clISt17integral_constantIbLb1EES1A_EEDaS15_S16_EUlS15_E_NS1_11comp_targetILNS1_3genE3ELNS1_11target_archE908ELNS1_3gpuE7ELNS1_3repE0EEENS1_30default_config_static_selectorELNS0_4arch9wavefront6targetE1EEEvT1_.num_vgpr, 0
	.set _ZN7rocprim17ROCPRIM_400000_NS6detail17trampoline_kernelINS0_14default_configENS1_25partition_config_selectorILNS1_17partition_subalgoE8EdNS0_10empty_typeEbEEZZNS1_14partition_implILS5_8ELb0ES3_jN6thrust23THRUST_200600_302600_NS6detail15normal_iteratorINSA_10device_ptrIdEEEEPS6_PKS6_NS0_5tupleIJSF_S6_EEENSJ_IJSG_SG_EEENS0_18inequality_wrapperINSA_8equal_toIdEEEEPmJS6_EEE10hipError_tPvRmT3_T4_T5_T6_T7_T9_mT8_P12ihipStream_tbDpT10_ENKUlT_T0_E_clISt17integral_constantIbLb1EES1A_EEDaS15_S16_EUlS15_E_NS1_11comp_targetILNS1_3genE3ELNS1_11target_archE908ELNS1_3gpuE7ELNS1_3repE0EEENS1_30default_config_static_selectorELNS0_4arch9wavefront6targetE1EEEvT1_.num_agpr, 0
	.set _ZN7rocprim17ROCPRIM_400000_NS6detail17trampoline_kernelINS0_14default_configENS1_25partition_config_selectorILNS1_17partition_subalgoE8EdNS0_10empty_typeEbEEZZNS1_14partition_implILS5_8ELb0ES3_jN6thrust23THRUST_200600_302600_NS6detail15normal_iteratorINSA_10device_ptrIdEEEEPS6_PKS6_NS0_5tupleIJSF_S6_EEENSJ_IJSG_SG_EEENS0_18inequality_wrapperINSA_8equal_toIdEEEEPmJS6_EEE10hipError_tPvRmT3_T4_T5_T6_T7_T9_mT8_P12ihipStream_tbDpT10_ENKUlT_T0_E_clISt17integral_constantIbLb1EES1A_EEDaS15_S16_EUlS15_E_NS1_11comp_targetILNS1_3genE3ELNS1_11target_archE908ELNS1_3gpuE7ELNS1_3repE0EEENS1_30default_config_static_selectorELNS0_4arch9wavefront6targetE1EEEvT1_.numbered_sgpr, 0
	.set _ZN7rocprim17ROCPRIM_400000_NS6detail17trampoline_kernelINS0_14default_configENS1_25partition_config_selectorILNS1_17partition_subalgoE8EdNS0_10empty_typeEbEEZZNS1_14partition_implILS5_8ELb0ES3_jN6thrust23THRUST_200600_302600_NS6detail15normal_iteratorINSA_10device_ptrIdEEEEPS6_PKS6_NS0_5tupleIJSF_S6_EEENSJ_IJSG_SG_EEENS0_18inequality_wrapperINSA_8equal_toIdEEEEPmJS6_EEE10hipError_tPvRmT3_T4_T5_T6_T7_T9_mT8_P12ihipStream_tbDpT10_ENKUlT_T0_E_clISt17integral_constantIbLb1EES1A_EEDaS15_S16_EUlS15_E_NS1_11comp_targetILNS1_3genE3ELNS1_11target_archE908ELNS1_3gpuE7ELNS1_3repE0EEENS1_30default_config_static_selectorELNS0_4arch9wavefront6targetE1EEEvT1_.num_named_barrier, 0
	.set _ZN7rocprim17ROCPRIM_400000_NS6detail17trampoline_kernelINS0_14default_configENS1_25partition_config_selectorILNS1_17partition_subalgoE8EdNS0_10empty_typeEbEEZZNS1_14partition_implILS5_8ELb0ES3_jN6thrust23THRUST_200600_302600_NS6detail15normal_iteratorINSA_10device_ptrIdEEEEPS6_PKS6_NS0_5tupleIJSF_S6_EEENSJ_IJSG_SG_EEENS0_18inequality_wrapperINSA_8equal_toIdEEEEPmJS6_EEE10hipError_tPvRmT3_T4_T5_T6_T7_T9_mT8_P12ihipStream_tbDpT10_ENKUlT_T0_E_clISt17integral_constantIbLb1EES1A_EEDaS15_S16_EUlS15_E_NS1_11comp_targetILNS1_3genE3ELNS1_11target_archE908ELNS1_3gpuE7ELNS1_3repE0EEENS1_30default_config_static_selectorELNS0_4arch9wavefront6targetE1EEEvT1_.private_seg_size, 0
	.set _ZN7rocprim17ROCPRIM_400000_NS6detail17trampoline_kernelINS0_14default_configENS1_25partition_config_selectorILNS1_17partition_subalgoE8EdNS0_10empty_typeEbEEZZNS1_14partition_implILS5_8ELb0ES3_jN6thrust23THRUST_200600_302600_NS6detail15normal_iteratorINSA_10device_ptrIdEEEEPS6_PKS6_NS0_5tupleIJSF_S6_EEENSJ_IJSG_SG_EEENS0_18inequality_wrapperINSA_8equal_toIdEEEEPmJS6_EEE10hipError_tPvRmT3_T4_T5_T6_T7_T9_mT8_P12ihipStream_tbDpT10_ENKUlT_T0_E_clISt17integral_constantIbLb1EES1A_EEDaS15_S16_EUlS15_E_NS1_11comp_targetILNS1_3genE3ELNS1_11target_archE908ELNS1_3gpuE7ELNS1_3repE0EEENS1_30default_config_static_selectorELNS0_4arch9wavefront6targetE1EEEvT1_.uses_vcc, 0
	.set _ZN7rocprim17ROCPRIM_400000_NS6detail17trampoline_kernelINS0_14default_configENS1_25partition_config_selectorILNS1_17partition_subalgoE8EdNS0_10empty_typeEbEEZZNS1_14partition_implILS5_8ELb0ES3_jN6thrust23THRUST_200600_302600_NS6detail15normal_iteratorINSA_10device_ptrIdEEEEPS6_PKS6_NS0_5tupleIJSF_S6_EEENSJ_IJSG_SG_EEENS0_18inequality_wrapperINSA_8equal_toIdEEEEPmJS6_EEE10hipError_tPvRmT3_T4_T5_T6_T7_T9_mT8_P12ihipStream_tbDpT10_ENKUlT_T0_E_clISt17integral_constantIbLb1EES1A_EEDaS15_S16_EUlS15_E_NS1_11comp_targetILNS1_3genE3ELNS1_11target_archE908ELNS1_3gpuE7ELNS1_3repE0EEENS1_30default_config_static_selectorELNS0_4arch9wavefront6targetE1EEEvT1_.uses_flat_scratch, 0
	.set _ZN7rocprim17ROCPRIM_400000_NS6detail17trampoline_kernelINS0_14default_configENS1_25partition_config_selectorILNS1_17partition_subalgoE8EdNS0_10empty_typeEbEEZZNS1_14partition_implILS5_8ELb0ES3_jN6thrust23THRUST_200600_302600_NS6detail15normal_iteratorINSA_10device_ptrIdEEEEPS6_PKS6_NS0_5tupleIJSF_S6_EEENSJ_IJSG_SG_EEENS0_18inequality_wrapperINSA_8equal_toIdEEEEPmJS6_EEE10hipError_tPvRmT3_T4_T5_T6_T7_T9_mT8_P12ihipStream_tbDpT10_ENKUlT_T0_E_clISt17integral_constantIbLb1EES1A_EEDaS15_S16_EUlS15_E_NS1_11comp_targetILNS1_3genE3ELNS1_11target_archE908ELNS1_3gpuE7ELNS1_3repE0EEENS1_30default_config_static_selectorELNS0_4arch9wavefront6targetE1EEEvT1_.has_dyn_sized_stack, 0
	.set _ZN7rocprim17ROCPRIM_400000_NS6detail17trampoline_kernelINS0_14default_configENS1_25partition_config_selectorILNS1_17partition_subalgoE8EdNS0_10empty_typeEbEEZZNS1_14partition_implILS5_8ELb0ES3_jN6thrust23THRUST_200600_302600_NS6detail15normal_iteratorINSA_10device_ptrIdEEEEPS6_PKS6_NS0_5tupleIJSF_S6_EEENSJ_IJSG_SG_EEENS0_18inequality_wrapperINSA_8equal_toIdEEEEPmJS6_EEE10hipError_tPvRmT3_T4_T5_T6_T7_T9_mT8_P12ihipStream_tbDpT10_ENKUlT_T0_E_clISt17integral_constantIbLb1EES1A_EEDaS15_S16_EUlS15_E_NS1_11comp_targetILNS1_3genE3ELNS1_11target_archE908ELNS1_3gpuE7ELNS1_3repE0EEENS1_30default_config_static_selectorELNS0_4arch9wavefront6targetE1EEEvT1_.has_recursion, 0
	.set _ZN7rocprim17ROCPRIM_400000_NS6detail17trampoline_kernelINS0_14default_configENS1_25partition_config_selectorILNS1_17partition_subalgoE8EdNS0_10empty_typeEbEEZZNS1_14partition_implILS5_8ELb0ES3_jN6thrust23THRUST_200600_302600_NS6detail15normal_iteratorINSA_10device_ptrIdEEEEPS6_PKS6_NS0_5tupleIJSF_S6_EEENSJ_IJSG_SG_EEENS0_18inequality_wrapperINSA_8equal_toIdEEEEPmJS6_EEE10hipError_tPvRmT3_T4_T5_T6_T7_T9_mT8_P12ihipStream_tbDpT10_ENKUlT_T0_E_clISt17integral_constantIbLb1EES1A_EEDaS15_S16_EUlS15_E_NS1_11comp_targetILNS1_3genE3ELNS1_11target_archE908ELNS1_3gpuE7ELNS1_3repE0EEENS1_30default_config_static_selectorELNS0_4arch9wavefront6targetE1EEEvT1_.has_indirect_call, 0
	.section	.AMDGPU.csdata,"",@progbits
; Kernel info:
; codeLenInByte = 0
; TotalNumSgprs: 4
; NumVgprs: 0
; ScratchSize: 0
; MemoryBound: 0
; FloatMode: 240
; IeeeMode: 1
; LDSByteSize: 0 bytes/workgroup (compile time only)
; SGPRBlocks: 0
; VGPRBlocks: 0
; NumSGPRsForWavesPerEU: 4
; NumVGPRsForWavesPerEU: 1
; Occupancy: 10
; WaveLimiterHint : 0
; COMPUTE_PGM_RSRC2:SCRATCH_EN: 0
; COMPUTE_PGM_RSRC2:USER_SGPR: 6
; COMPUTE_PGM_RSRC2:TRAP_HANDLER: 0
; COMPUTE_PGM_RSRC2:TGID_X_EN: 1
; COMPUTE_PGM_RSRC2:TGID_Y_EN: 0
; COMPUTE_PGM_RSRC2:TGID_Z_EN: 0
; COMPUTE_PGM_RSRC2:TIDIG_COMP_CNT: 0
	.section	.text._ZN7rocprim17ROCPRIM_400000_NS6detail17trampoline_kernelINS0_14default_configENS1_25partition_config_selectorILNS1_17partition_subalgoE8EdNS0_10empty_typeEbEEZZNS1_14partition_implILS5_8ELb0ES3_jN6thrust23THRUST_200600_302600_NS6detail15normal_iteratorINSA_10device_ptrIdEEEEPS6_PKS6_NS0_5tupleIJSF_S6_EEENSJ_IJSG_SG_EEENS0_18inequality_wrapperINSA_8equal_toIdEEEEPmJS6_EEE10hipError_tPvRmT3_T4_T5_T6_T7_T9_mT8_P12ihipStream_tbDpT10_ENKUlT_T0_E_clISt17integral_constantIbLb1EES1A_EEDaS15_S16_EUlS15_E_NS1_11comp_targetILNS1_3genE2ELNS1_11target_archE906ELNS1_3gpuE6ELNS1_3repE0EEENS1_30default_config_static_selectorELNS0_4arch9wavefront6targetE1EEEvT1_,"axG",@progbits,_ZN7rocprim17ROCPRIM_400000_NS6detail17trampoline_kernelINS0_14default_configENS1_25partition_config_selectorILNS1_17partition_subalgoE8EdNS0_10empty_typeEbEEZZNS1_14partition_implILS5_8ELb0ES3_jN6thrust23THRUST_200600_302600_NS6detail15normal_iteratorINSA_10device_ptrIdEEEEPS6_PKS6_NS0_5tupleIJSF_S6_EEENSJ_IJSG_SG_EEENS0_18inequality_wrapperINSA_8equal_toIdEEEEPmJS6_EEE10hipError_tPvRmT3_T4_T5_T6_T7_T9_mT8_P12ihipStream_tbDpT10_ENKUlT_T0_E_clISt17integral_constantIbLb1EES1A_EEDaS15_S16_EUlS15_E_NS1_11comp_targetILNS1_3genE2ELNS1_11target_archE906ELNS1_3gpuE6ELNS1_3repE0EEENS1_30default_config_static_selectorELNS0_4arch9wavefront6targetE1EEEvT1_,comdat
	.protected	_ZN7rocprim17ROCPRIM_400000_NS6detail17trampoline_kernelINS0_14default_configENS1_25partition_config_selectorILNS1_17partition_subalgoE8EdNS0_10empty_typeEbEEZZNS1_14partition_implILS5_8ELb0ES3_jN6thrust23THRUST_200600_302600_NS6detail15normal_iteratorINSA_10device_ptrIdEEEEPS6_PKS6_NS0_5tupleIJSF_S6_EEENSJ_IJSG_SG_EEENS0_18inequality_wrapperINSA_8equal_toIdEEEEPmJS6_EEE10hipError_tPvRmT3_T4_T5_T6_T7_T9_mT8_P12ihipStream_tbDpT10_ENKUlT_T0_E_clISt17integral_constantIbLb1EES1A_EEDaS15_S16_EUlS15_E_NS1_11comp_targetILNS1_3genE2ELNS1_11target_archE906ELNS1_3gpuE6ELNS1_3repE0EEENS1_30default_config_static_selectorELNS0_4arch9wavefront6targetE1EEEvT1_ ; -- Begin function _ZN7rocprim17ROCPRIM_400000_NS6detail17trampoline_kernelINS0_14default_configENS1_25partition_config_selectorILNS1_17partition_subalgoE8EdNS0_10empty_typeEbEEZZNS1_14partition_implILS5_8ELb0ES3_jN6thrust23THRUST_200600_302600_NS6detail15normal_iteratorINSA_10device_ptrIdEEEEPS6_PKS6_NS0_5tupleIJSF_S6_EEENSJ_IJSG_SG_EEENS0_18inequality_wrapperINSA_8equal_toIdEEEEPmJS6_EEE10hipError_tPvRmT3_T4_T5_T6_T7_T9_mT8_P12ihipStream_tbDpT10_ENKUlT_T0_E_clISt17integral_constantIbLb1EES1A_EEDaS15_S16_EUlS15_E_NS1_11comp_targetILNS1_3genE2ELNS1_11target_archE906ELNS1_3gpuE6ELNS1_3repE0EEENS1_30default_config_static_selectorELNS0_4arch9wavefront6targetE1EEEvT1_
	.globl	_ZN7rocprim17ROCPRIM_400000_NS6detail17trampoline_kernelINS0_14default_configENS1_25partition_config_selectorILNS1_17partition_subalgoE8EdNS0_10empty_typeEbEEZZNS1_14partition_implILS5_8ELb0ES3_jN6thrust23THRUST_200600_302600_NS6detail15normal_iteratorINSA_10device_ptrIdEEEEPS6_PKS6_NS0_5tupleIJSF_S6_EEENSJ_IJSG_SG_EEENS0_18inequality_wrapperINSA_8equal_toIdEEEEPmJS6_EEE10hipError_tPvRmT3_T4_T5_T6_T7_T9_mT8_P12ihipStream_tbDpT10_ENKUlT_T0_E_clISt17integral_constantIbLb1EES1A_EEDaS15_S16_EUlS15_E_NS1_11comp_targetILNS1_3genE2ELNS1_11target_archE906ELNS1_3gpuE6ELNS1_3repE0EEENS1_30default_config_static_selectorELNS0_4arch9wavefront6targetE1EEEvT1_
	.p2align	8
	.type	_ZN7rocprim17ROCPRIM_400000_NS6detail17trampoline_kernelINS0_14default_configENS1_25partition_config_selectorILNS1_17partition_subalgoE8EdNS0_10empty_typeEbEEZZNS1_14partition_implILS5_8ELb0ES3_jN6thrust23THRUST_200600_302600_NS6detail15normal_iteratorINSA_10device_ptrIdEEEEPS6_PKS6_NS0_5tupleIJSF_S6_EEENSJ_IJSG_SG_EEENS0_18inequality_wrapperINSA_8equal_toIdEEEEPmJS6_EEE10hipError_tPvRmT3_T4_T5_T6_T7_T9_mT8_P12ihipStream_tbDpT10_ENKUlT_T0_E_clISt17integral_constantIbLb1EES1A_EEDaS15_S16_EUlS15_E_NS1_11comp_targetILNS1_3genE2ELNS1_11target_archE906ELNS1_3gpuE6ELNS1_3repE0EEENS1_30default_config_static_selectorELNS0_4arch9wavefront6targetE1EEEvT1_,@function
_ZN7rocprim17ROCPRIM_400000_NS6detail17trampoline_kernelINS0_14default_configENS1_25partition_config_selectorILNS1_17partition_subalgoE8EdNS0_10empty_typeEbEEZZNS1_14partition_implILS5_8ELb0ES3_jN6thrust23THRUST_200600_302600_NS6detail15normal_iteratorINSA_10device_ptrIdEEEEPS6_PKS6_NS0_5tupleIJSF_S6_EEENSJ_IJSG_SG_EEENS0_18inequality_wrapperINSA_8equal_toIdEEEEPmJS6_EEE10hipError_tPvRmT3_T4_T5_T6_T7_T9_mT8_P12ihipStream_tbDpT10_ENKUlT_T0_E_clISt17integral_constantIbLb1EES1A_EEDaS15_S16_EUlS15_E_NS1_11comp_targetILNS1_3genE2ELNS1_11target_archE906ELNS1_3gpuE6ELNS1_3repE0EEENS1_30default_config_static_selectorELNS0_4arch9wavefront6targetE1EEEvT1_: ; @_ZN7rocprim17ROCPRIM_400000_NS6detail17trampoline_kernelINS0_14default_configENS1_25partition_config_selectorILNS1_17partition_subalgoE8EdNS0_10empty_typeEbEEZZNS1_14partition_implILS5_8ELb0ES3_jN6thrust23THRUST_200600_302600_NS6detail15normal_iteratorINSA_10device_ptrIdEEEEPS6_PKS6_NS0_5tupleIJSF_S6_EEENSJ_IJSG_SG_EEENS0_18inequality_wrapperINSA_8equal_toIdEEEEPmJS6_EEE10hipError_tPvRmT3_T4_T5_T6_T7_T9_mT8_P12ihipStream_tbDpT10_ENKUlT_T0_E_clISt17integral_constantIbLb1EES1A_EEDaS15_S16_EUlS15_E_NS1_11comp_targetILNS1_3genE2ELNS1_11target_archE906ELNS1_3gpuE6ELNS1_3repE0EEENS1_30default_config_static_selectorELNS0_4arch9wavefront6targetE1EEEvT1_
; %bb.0:
	s_endpgm
	.section	.rodata,"a",@progbits
	.p2align	6, 0x0
	.amdhsa_kernel _ZN7rocprim17ROCPRIM_400000_NS6detail17trampoline_kernelINS0_14default_configENS1_25partition_config_selectorILNS1_17partition_subalgoE8EdNS0_10empty_typeEbEEZZNS1_14partition_implILS5_8ELb0ES3_jN6thrust23THRUST_200600_302600_NS6detail15normal_iteratorINSA_10device_ptrIdEEEEPS6_PKS6_NS0_5tupleIJSF_S6_EEENSJ_IJSG_SG_EEENS0_18inequality_wrapperINSA_8equal_toIdEEEEPmJS6_EEE10hipError_tPvRmT3_T4_T5_T6_T7_T9_mT8_P12ihipStream_tbDpT10_ENKUlT_T0_E_clISt17integral_constantIbLb1EES1A_EEDaS15_S16_EUlS15_E_NS1_11comp_targetILNS1_3genE2ELNS1_11target_archE906ELNS1_3gpuE6ELNS1_3repE0EEENS1_30default_config_static_selectorELNS0_4arch9wavefront6targetE1EEEvT1_
		.amdhsa_group_segment_fixed_size 0
		.amdhsa_private_segment_fixed_size 0
		.amdhsa_kernarg_size 128
		.amdhsa_user_sgpr_count 6
		.amdhsa_user_sgpr_private_segment_buffer 1
		.amdhsa_user_sgpr_dispatch_ptr 0
		.amdhsa_user_sgpr_queue_ptr 0
		.amdhsa_user_sgpr_kernarg_segment_ptr 1
		.amdhsa_user_sgpr_dispatch_id 0
		.amdhsa_user_sgpr_flat_scratch_init 0
		.amdhsa_user_sgpr_private_segment_size 0
		.amdhsa_uses_dynamic_stack 0
		.amdhsa_system_sgpr_private_segment_wavefront_offset 0
		.amdhsa_system_sgpr_workgroup_id_x 1
		.amdhsa_system_sgpr_workgroup_id_y 0
		.amdhsa_system_sgpr_workgroup_id_z 0
		.amdhsa_system_sgpr_workgroup_info 0
		.amdhsa_system_vgpr_workitem_id 0
		.amdhsa_next_free_vgpr 1
		.amdhsa_next_free_sgpr 0
		.amdhsa_reserve_vcc 0
		.amdhsa_reserve_flat_scratch 0
		.amdhsa_float_round_mode_32 0
		.amdhsa_float_round_mode_16_64 0
		.amdhsa_float_denorm_mode_32 3
		.amdhsa_float_denorm_mode_16_64 3
		.amdhsa_dx10_clamp 1
		.amdhsa_ieee_mode 1
		.amdhsa_fp16_overflow 0
		.amdhsa_exception_fp_ieee_invalid_op 0
		.amdhsa_exception_fp_denorm_src 0
		.amdhsa_exception_fp_ieee_div_zero 0
		.amdhsa_exception_fp_ieee_overflow 0
		.amdhsa_exception_fp_ieee_underflow 0
		.amdhsa_exception_fp_ieee_inexact 0
		.amdhsa_exception_int_div_zero 0
	.end_amdhsa_kernel
	.section	.text._ZN7rocprim17ROCPRIM_400000_NS6detail17trampoline_kernelINS0_14default_configENS1_25partition_config_selectorILNS1_17partition_subalgoE8EdNS0_10empty_typeEbEEZZNS1_14partition_implILS5_8ELb0ES3_jN6thrust23THRUST_200600_302600_NS6detail15normal_iteratorINSA_10device_ptrIdEEEEPS6_PKS6_NS0_5tupleIJSF_S6_EEENSJ_IJSG_SG_EEENS0_18inequality_wrapperINSA_8equal_toIdEEEEPmJS6_EEE10hipError_tPvRmT3_T4_T5_T6_T7_T9_mT8_P12ihipStream_tbDpT10_ENKUlT_T0_E_clISt17integral_constantIbLb1EES1A_EEDaS15_S16_EUlS15_E_NS1_11comp_targetILNS1_3genE2ELNS1_11target_archE906ELNS1_3gpuE6ELNS1_3repE0EEENS1_30default_config_static_selectorELNS0_4arch9wavefront6targetE1EEEvT1_,"axG",@progbits,_ZN7rocprim17ROCPRIM_400000_NS6detail17trampoline_kernelINS0_14default_configENS1_25partition_config_selectorILNS1_17partition_subalgoE8EdNS0_10empty_typeEbEEZZNS1_14partition_implILS5_8ELb0ES3_jN6thrust23THRUST_200600_302600_NS6detail15normal_iteratorINSA_10device_ptrIdEEEEPS6_PKS6_NS0_5tupleIJSF_S6_EEENSJ_IJSG_SG_EEENS0_18inequality_wrapperINSA_8equal_toIdEEEEPmJS6_EEE10hipError_tPvRmT3_T4_T5_T6_T7_T9_mT8_P12ihipStream_tbDpT10_ENKUlT_T0_E_clISt17integral_constantIbLb1EES1A_EEDaS15_S16_EUlS15_E_NS1_11comp_targetILNS1_3genE2ELNS1_11target_archE906ELNS1_3gpuE6ELNS1_3repE0EEENS1_30default_config_static_selectorELNS0_4arch9wavefront6targetE1EEEvT1_,comdat
.Lfunc_end25:
	.size	_ZN7rocprim17ROCPRIM_400000_NS6detail17trampoline_kernelINS0_14default_configENS1_25partition_config_selectorILNS1_17partition_subalgoE8EdNS0_10empty_typeEbEEZZNS1_14partition_implILS5_8ELb0ES3_jN6thrust23THRUST_200600_302600_NS6detail15normal_iteratorINSA_10device_ptrIdEEEEPS6_PKS6_NS0_5tupleIJSF_S6_EEENSJ_IJSG_SG_EEENS0_18inequality_wrapperINSA_8equal_toIdEEEEPmJS6_EEE10hipError_tPvRmT3_T4_T5_T6_T7_T9_mT8_P12ihipStream_tbDpT10_ENKUlT_T0_E_clISt17integral_constantIbLb1EES1A_EEDaS15_S16_EUlS15_E_NS1_11comp_targetILNS1_3genE2ELNS1_11target_archE906ELNS1_3gpuE6ELNS1_3repE0EEENS1_30default_config_static_selectorELNS0_4arch9wavefront6targetE1EEEvT1_, .Lfunc_end25-_ZN7rocprim17ROCPRIM_400000_NS6detail17trampoline_kernelINS0_14default_configENS1_25partition_config_selectorILNS1_17partition_subalgoE8EdNS0_10empty_typeEbEEZZNS1_14partition_implILS5_8ELb0ES3_jN6thrust23THRUST_200600_302600_NS6detail15normal_iteratorINSA_10device_ptrIdEEEEPS6_PKS6_NS0_5tupleIJSF_S6_EEENSJ_IJSG_SG_EEENS0_18inequality_wrapperINSA_8equal_toIdEEEEPmJS6_EEE10hipError_tPvRmT3_T4_T5_T6_T7_T9_mT8_P12ihipStream_tbDpT10_ENKUlT_T0_E_clISt17integral_constantIbLb1EES1A_EEDaS15_S16_EUlS15_E_NS1_11comp_targetILNS1_3genE2ELNS1_11target_archE906ELNS1_3gpuE6ELNS1_3repE0EEENS1_30default_config_static_selectorELNS0_4arch9wavefront6targetE1EEEvT1_
                                        ; -- End function
	.set _ZN7rocprim17ROCPRIM_400000_NS6detail17trampoline_kernelINS0_14default_configENS1_25partition_config_selectorILNS1_17partition_subalgoE8EdNS0_10empty_typeEbEEZZNS1_14partition_implILS5_8ELb0ES3_jN6thrust23THRUST_200600_302600_NS6detail15normal_iteratorINSA_10device_ptrIdEEEEPS6_PKS6_NS0_5tupleIJSF_S6_EEENSJ_IJSG_SG_EEENS0_18inequality_wrapperINSA_8equal_toIdEEEEPmJS6_EEE10hipError_tPvRmT3_T4_T5_T6_T7_T9_mT8_P12ihipStream_tbDpT10_ENKUlT_T0_E_clISt17integral_constantIbLb1EES1A_EEDaS15_S16_EUlS15_E_NS1_11comp_targetILNS1_3genE2ELNS1_11target_archE906ELNS1_3gpuE6ELNS1_3repE0EEENS1_30default_config_static_selectorELNS0_4arch9wavefront6targetE1EEEvT1_.num_vgpr, 0
	.set _ZN7rocprim17ROCPRIM_400000_NS6detail17trampoline_kernelINS0_14default_configENS1_25partition_config_selectorILNS1_17partition_subalgoE8EdNS0_10empty_typeEbEEZZNS1_14partition_implILS5_8ELb0ES3_jN6thrust23THRUST_200600_302600_NS6detail15normal_iteratorINSA_10device_ptrIdEEEEPS6_PKS6_NS0_5tupleIJSF_S6_EEENSJ_IJSG_SG_EEENS0_18inequality_wrapperINSA_8equal_toIdEEEEPmJS6_EEE10hipError_tPvRmT3_T4_T5_T6_T7_T9_mT8_P12ihipStream_tbDpT10_ENKUlT_T0_E_clISt17integral_constantIbLb1EES1A_EEDaS15_S16_EUlS15_E_NS1_11comp_targetILNS1_3genE2ELNS1_11target_archE906ELNS1_3gpuE6ELNS1_3repE0EEENS1_30default_config_static_selectorELNS0_4arch9wavefront6targetE1EEEvT1_.num_agpr, 0
	.set _ZN7rocprim17ROCPRIM_400000_NS6detail17trampoline_kernelINS0_14default_configENS1_25partition_config_selectorILNS1_17partition_subalgoE8EdNS0_10empty_typeEbEEZZNS1_14partition_implILS5_8ELb0ES3_jN6thrust23THRUST_200600_302600_NS6detail15normal_iteratorINSA_10device_ptrIdEEEEPS6_PKS6_NS0_5tupleIJSF_S6_EEENSJ_IJSG_SG_EEENS0_18inequality_wrapperINSA_8equal_toIdEEEEPmJS6_EEE10hipError_tPvRmT3_T4_T5_T6_T7_T9_mT8_P12ihipStream_tbDpT10_ENKUlT_T0_E_clISt17integral_constantIbLb1EES1A_EEDaS15_S16_EUlS15_E_NS1_11comp_targetILNS1_3genE2ELNS1_11target_archE906ELNS1_3gpuE6ELNS1_3repE0EEENS1_30default_config_static_selectorELNS0_4arch9wavefront6targetE1EEEvT1_.numbered_sgpr, 0
	.set _ZN7rocprim17ROCPRIM_400000_NS6detail17trampoline_kernelINS0_14default_configENS1_25partition_config_selectorILNS1_17partition_subalgoE8EdNS0_10empty_typeEbEEZZNS1_14partition_implILS5_8ELb0ES3_jN6thrust23THRUST_200600_302600_NS6detail15normal_iteratorINSA_10device_ptrIdEEEEPS6_PKS6_NS0_5tupleIJSF_S6_EEENSJ_IJSG_SG_EEENS0_18inequality_wrapperINSA_8equal_toIdEEEEPmJS6_EEE10hipError_tPvRmT3_T4_T5_T6_T7_T9_mT8_P12ihipStream_tbDpT10_ENKUlT_T0_E_clISt17integral_constantIbLb1EES1A_EEDaS15_S16_EUlS15_E_NS1_11comp_targetILNS1_3genE2ELNS1_11target_archE906ELNS1_3gpuE6ELNS1_3repE0EEENS1_30default_config_static_selectorELNS0_4arch9wavefront6targetE1EEEvT1_.num_named_barrier, 0
	.set _ZN7rocprim17ROCPRIM_400000_NS6detail17trampoline_kernelINS0_14default_configENS1_25partition_config_selectorILNS1_17partition_subalgoE8EdNS0_10empty_typeEbEEZZNS1_14partition_implILS5_8ELb0ES3_jN6thrust23THRUST_200600_302600_NS6detail15normal_iteratorINSA_10device_ptrIdEEEEPS6_PKS6_NS0_5tupleIJSF_S6_EEENSJ_IJSG_SG_EEENS0_18inequality_wrapperINSA_8equal_toIdEEEEPmJS6_EEE10hipError_tPvRmT3_T4_T5_T6_T7_T9_mT8_P12ihipStream_tbDpT10_ENKUlT_T0_E_clISt17integral_constantIbLb1EES1A_EEDaS15_S16_EUlS15_E_NS1_11comp_targetILNS1_3genE2ELNS1_11target_archE906ELNS1_3gpuE6ELNS1_3repE0EEENS1_30default_config_static_selectorELNS0_4arch9wavefront6targetE1EEEvT1_.private_seg_size, 0
	.set _ZN7rocprim17ROCPRIM_400000_NS6detail17trampoline_kernelINS0_14default_configENS1_25partition_config_selectorILNS1_17partition_subalgoE8EdNS0_10empty_typeEbEEZZNS1_14partition_implILS5_8ELb0ES3_jN6thrust23THRUST_200600_302600_NS6detail15normal_iteratorINSA_10device_ptrIdEEEEPS6_PKS6_NS0_5tupleIJSF_S6_EEENSJ_IJSG_SG_EEENS0_18inequality_wrapperINSA_8equal_toIdEEEEPmJS6_EEE10hipError_tPvRmT3_T4_T5_T6_T7_T9_mT8_P12ihipStream_tbDpT10_ENKUlT_T0_E_clISt17integral_constantIbLb1EES1A_EEDaS15_S16_EUlS15_E_NS1_11comp_targetILNS1_3genE2ELNS1_11target_archE906ELNS1_3gpuE6ELNS1_3repE0EEENS1_30default_config_static_selectorELNS0_4arch9wavefront6targetE1EEEvT1_.uses_vcc, 0
	.set _ZN7rocprim17ROCPRIM_400000_NS6detail17trampoline_kernelINS0_14default_configENS1_25partition_config_selectorILNS1_17partition_subalgoE8EdNS0_10empty_typeEbEEZZNS1_14partition_implILS5_8ELb0ES3_jN6thrust23THRUST_200600_302600_NS6detail15normal_iteratorINSA_10device_ptrIdEEEEPS6_PKS6_NS0_5tupleIJSF_S6_EEENSJ_IJSG_SG_EEENS0_18inequality_wrapperINSA_8equal_toIdEEEEPmJS6_EEE10hipError_tPvRmT3_T4_T5_T6_T7_T9_mT8_P12ihipStream_tbDpT10_ENKUlT_T0_E_clISt17integral_constantIbLb1EES1A_EEDaS15_S16_EUlS15_E_NS1_11comp_targetILNS1_3genE2ELNS1_11target_archE906ELNS1_3gpuE6ELNS1_3repE0EEENS1_30default_config_static_selectorELNS0_4arch9wavefront6targetE1EEEvT1_.uses_flat_scratch, 0
	.set _ZN7rocprim17ROCPRIM_400000_NS6detail17trampoline_kernelINS0_14default_configENS1_25partition_config_selectorILNS1_17partition_subalgoE8EdNS0_10empty_typeEbEEZZNS1_14partition_implILS5_8ELb0ES3_jN6thrust23THRUST_200600_302600_NS6detail15normal_iteratorINSA_10device_ptrIdEEEEPS6_PKS6_NS0_5tupleIJSF_S6_EEENSJ_IJSG_SG_EEENS0_18inequality_wrapperINSA_8equal_toIdEEEEPmJS6_EEE10hipError_tPvRmT3_T4_T5_T6_T7_T9_mT8_P12ihipStream_tbDpT10_ENKUlT_T0_E_clISt17integral_constantIbLb1EES1A_EEDaS15_S16_EUlS15_E_NS1_11comp_targetILNS1_3genE2ELNS1_11target_archE906ELNS1_3gpuE6ELNS1_3repE0EEENS1_30default_config_static_selectorELNS0_4arch9wavefront6targetE1EEEvT1_.has_dyn_sized_stack, 0
	.set _ZN7rocprim17ROCPRIM_400000_NS6detail17trampoline_kernelINS0_14default_configENS1_25partition_config_selectorILNS1_17partition_subalgoE8EdNS0_10empty_typeEbEEZZNS1_14partition_implILS5_8ELb0ES3_jN6thrust23THRUST_200600_302600_NS6detail15normal_iteratorINSA_10device_ptrIdEEEEPS6_PKS6_NS0_5tupleIJSF_S6_EEENSJ_IJSG_SG_EEENS0_18inequality_wrapperINSA_8equal_toIdEEEEPmJS6_EEE10hipError_tPvRmT3_T4_T5_T6_T7_T9_mT8_P12ihipStream_tbDpT10_ENKUlT_T0_E_clISt17integral_constantIbLb1EES1A_EEDaS15_S16_EUlS15_E_NS1_11comp_targetILNS1_3genE2ELNS1_11target_archE906ELNS1_3gpuE6ELNS1_3repE0EEENS1_30default_config_static_selectorELNS0_4arch9wavefront6targetE1EEEvT1_.has_recursion, 0
	.set _ZN7rocprim17ROCPRIM_400000_NS6detail17trampoline_kernelINS0_14default_configENS1_25partition_config_selectorILNS1_17partition_subalgoE8EdNS0_10empty_typeEbEEZZNS1_14partition_implILS5_8ELb0ES3_jN6thrust23THRUST_200600_302600_NS6detail15normal_iteratorINSA_10device_ptrIdEEEEPS6_PKS6_NS0_5tupleIJSF_S6_EEENSJ_IJSG_SG_EEENS0_18inequality_wrapperINSA_8equal_toIdEEEEPmJS6_EEE10hipError_tPvRmT3_T4_T5_T6_T7_T9_mT8_P12ihipStream_tbDpT10_ENKUlT_T0_E_clISt17integral_constantIbLb1EES1A_EEDaS15_S16_EUlS15_E_NS1_11comp_targetILNS1_3genE2ELNS1_11target_archE906ELNS1_3gpuE6ELNS1_3repE0EEENS1_30default_config_static_selectorELNS0_4arch9wavefront6targetE1EEEvT1_.has_indirect_call, 0
	.section	.AMDGPU.csdata,"",@progbits
; Kernel info:
; codeLenInByte = 4
; TotalNumSgprs: 4
; NumVgprs: 0
; ScratchSize: 0
; MemoryBound: 0
; FloatMode: 240
; IeeeMode: 1
; LDSByteSize: 0 bytes/workgroup (compile time only)
; SGPRBlocks: 0
; VGPRBlocks: 0
; NumSGPRsForWavesPerEU: 4
; NumVGPRsForWavesPerEU: 1
; Occupancy: 10
; WaveLimiterHint : 0
; COMPUTE_PGM_RSRC2:SCRATCH_EN: 0
; COMPUTE_PGM_RSRC2:USER_SGPR: 6
; COMPUTE_PGM_RSRC2:TRAP_HANDLER: 0
; COMPUTE_PGM_RSRC2:TGID_X_EN: 1
; COMPUTE_PGM_RSRC2:TGID_Y_EN: 0
; COMPUTE_PGM_RSRC2:TGID_Z_EN: 0
; COMPUTE_PGM_RSRC2:TIDIG_COMP_CNT: 0
	.section	.text._ZN7rocprim17ROCPRIM_400000_NS6detail17trampoline_kernelINS0_14default_configENS1_25partition_config_selectorILNS1_17partition_subalgoE8EdNS0_10empty_typeEbEEZZNS1_14partition_implILS5_8ELb0ES3_jN6thrust23THRUST_200600_302600_NS6detail15normal_iteratorINSA_10device_ptrIdEEEEPS6_PKS6_NS0_5tupleIJSF_S6_EEENSJ_IJSG_SG_EEENS0_18inequality_wrapperINSA_8equal_toIdEEEEPmJS6_EEE10hipError_tPvRmT3_T4_T5_T6_T7_T9_mT8_P12ihipStream_tbDpT10_ENKUlT_T0_E_clISt17integral_constantIbLb1EES1A_EEDaS15_S16_EUlS15_E_NS1_11comp_targetILNS1_3genE10ELNS1_11target_archE1200ELNS1_3gpuE4ELNS1_3repE0EEENS1_30default_config_static_selectorELNS0_4arch9wavefront6targetE1EEEvT1_,"axG",@progbits,_ZN7rocprim17ROCPRIM_400000_NS6detail17trampoline_kernelINS0_14default_configENS1_25partition_config_selectorILNS1_17partition_subalgoE8EdNS0_10empty_typeEbEEZZNS1_14partition_implILS5_8ELb0ES3_jN6thrust23THRUST_200600_302600_NS6detail15normal_iteratorINSA_10device_ptrIdEEEEPS6_PKS6_NS0_5tupleIJSF_S6_EEENSJ_IJSG_SG_EEENS0_18inequality_wrapperINSA_8equal_toIdEEEEPmJS6_EEE10hipError_tPvRmT3_T4_T5_T6_T7_T9_mT8_P12ihipStream_tbDpT10_ENKUlT_T0_E_clISt17integral_constantIbLb1EES1A_EEDaS15_S16_EUlS15_E_NS1_11comp_targetILNS1_3genE10ELNS1_11target_archE1200ELNS1_3gpuE4ELNS1_3repE0EEENS1_30default_config_static_selectorELNS0_4arch9wavefront6targetE1EEEvT1_,comdat
	.protected	_ZN7rocprim17ROCPRIM_400000_NS6detail17trampoline_kernelINS0_14default_configENS1_25partition_config_selectorILNS1_17partition_subalgoE8EdNS0_10empty_typeEbEEZZNS1_14partition_implILS5_8ELb0ES3_jN6thrust23THRUST_200600_302600_NS6detail15normal_iteratorINSA_10device_ptrIdEEEEPS6_PKS6_NS0_5tupleIJSF_S6_EEENSJ_IJSG_SG_EEENS0_18inequality_wrapperINSA_8equal_toIdEEEEPmJS6_EEE10hipError_tPvRmT3_T4_T5_T6_T7_T9_mT8_P12ihipStream_tbDpT10_ENKUlT_T0_E_clISt17integral_constantIbLb1EES1A_EEDaS15_S16_EUlS15_E_NS1_11comp_targetILNS1_3genE10ELNS1_11target_archE1200ELNS1_3gpuE4ELNS1_3repE0EEENS1_30default_config_static_selectorELNS0_4arch9wavefront6targetE1EEEvT1_ ; -- Begin function _ZN7rocprim17ROCPRIM_400000_NS6detail17trampoline_kernelINS0_14default_configENS1_25partition_config_selectorILNS1_17partition_subalgoE8EdNS0_10empty_typeEbEEZZNS1_14partition_implILS5_8ELb0ES3_jN6thrust23THRUST_200600_302600_NS6detail15normal_iteratorINSA_10device_ptrIdEEEEPS6_PKS6_NS0_5tupleIJSF_S6_EEENSJ_IJSG_SG_EEENS0_18inequality_wrapperINSA_8equal_toIdEEEEPmJS6_EEE10hipError_tPvRmT3_T4_T5_T6_T7_T9_mT8_P12ihipStream_tbDpT10_ENKUlT_T0_E_clISt17integral_constantIbLb1EES1A_EEDaS15_S16_EUlS15_E_NS1_11comp_targetILNS1_3genE10ELNS1_11target_archE1200ELNS1_3gpuE4ELNS1_3repE0EEENS1_30default_config_static_selectorELNS0_4arch9wavefront6targetE1EEEvT1_
	.globl	_ZN7rocprim17ROCPRIM_400000_NS6detail17trampoline_kernelINS0_14default_configENS1_25partition_config_selectorILNS1_17partition_subalgoE8EdNS0_10empty_typeEbEEZZNS1_14partition_implILS5_8ELb0ES3_jN6thrust23THRUST_200600_302600_NS6detail15normal_iteratorINSA_10device_ptrIdEEEEPS6_PKS6_NS0_5tupleIJSF_S6_EEENSJ_IJSG_SG_EEENS0_18inequality_wrapperINSA_8equal_toIdEEEEPmJS6_EEE10hipError_tPvRmT3_T4_T5_T6_T7_T9_mT8_P12ihipStream_tbDpT10_ENKUlT_T0_E_clISt17integral_constantIbLb1EES1A_EEDaS15_S16_EUlS15_E_NS1_11comp_targetILNS1_3genE10ELNS1_11target_archE1200ELNS1_3gpuE4ELNS1_3repE0EEENS1_30default_config_static_selectorELNS0_4arch9wavefront6targetE1EEEvT1_
	.p2align	8
	.type	_ZN7rocprim17ROCPRIM_400000_NS6detail17trampoline_kernelINS0_14default_configENS1_25partition_config_selectorILNS1_17partition_subalgoE8EdNS0_10empty_typeEbEEZZNS1_14partition_implILS5_8ELb0ES3_jN6thrust23THRUST_200600_302600_NS6detail15normal_iteratorINSA_10device_ptrIdEEEEPS6_PKS6_NS0_5tupleIJSF_S6_EEENSJ_IJSG_SG_EEENS0_18inequality_wrapperINSA_8equal_toIdEEEEPmJS6_EEE10hipError_tPvRmT3_T4_T5_T6_T7_T9_mT8_P12ihipStream_tbDpT10_ENKUlT_T0_E_clISt17integral_constantIbLb1EES1A_EEDaS15_S16_EUlS15_E_NS1_11comp_targetILNS1_3genE10ELNS1_11target_archE1200ELNS1_3gpuE4ELNS1_3repE0EEENS1_30default_config_static_selectorELNS0_4arch9wavefront6targetE1EEEvT1_,@function
_ZN7rocprim17ROCPRIM_400000_NS6detail17trampoline_kernelINS0_14default_configENS1_25partition_config_selectorILNS1_17partition_subalgoE8EdNS0_10empty_typeEbEEZZNS1_14partition_implILS5_8ELb0ES3_jN6thrust23THRUST_200600_302600_NS6detail15normal_iteratorINSA_10device_ptrIdEEEEPS6_PKS6_NS0_5tupleIJSF_S6_EEENSJ_IJSG_SG_EEENS0_18inequality_wrapperINSA_8equal_toIdEEEEPmJS6_EEE10hipError_tPvRmT3_T4_T5_T6_T7_T9_mT8_P12ihipStream_tbDpT10_ENKUlT_T0_E_clISt17integral_constantIbLb1EES1A_EEDaS15_S16_EUlS15_E_NS1_11comp_targetILNS1_3genE10ELNS1_11target_archE1200ELNS1_3gpuE4ELNS1_3repE0EEENS1_30default_config_static_selectorELNS0_4arch9wavefront6targetE1EEEvT1_: ; @_ZN7rocprim17ROCPRIM_400000_NS6detail17trampoline_kernelINS0_14default_configENS1_25partition_config_selectorILNS1_17partition_subalgoE8EdNS0_10empty_typeEbEEZZNS1_14partition_implILS5_8ELb0ES3_jN6thrust23THRUST_200600_302600_NS6detail15normal_iteratorINSA_10device_ptrIdEEEEPS6_PKS6_NS0_5tupleIJSF_S6_EEENSJ_IJSG_SG_EEENS0_18inequality_wrapperINSA_8equal_toIdEEEEPmJS6_EEE10hipError_tPvRmT3_T4_T5_T6_T7_T9_mT8_P12ihipStream_tbDpT10_ENKUlT_T0_E_clISt17integral_constantIbLb1EES1A_EEDaS15_S16_EUlS15_E_NS1_11comp_targetILNS1_3genE10ELNS1_11target_archE1200ELNS1_3gpuE4ELNS1_3repE0EEENS1_30default_config_static_selectorELNS0_4arch9wavefront6targetE1EEEvT1_
; %bb.0:
	.section	.rodata,"a",@progbits
	.p2align	6, 0x0
	.amdhsa_kernel _ZN7rocprim17ROCPRIM_400000_NS6detail17trampoline_kernelINS0_14default_configENS1_25partition_config_selectorILNS1_17partition_subalgoE8EdNS0_10empty_typeEbEEZZNS1_14partition_implILS5_8ELb0ES3_jN6thrust23THRUST_200600_302600_NS6detail15normal_iteratorINSA_10device_ptrIdEEEEPS6_PKS6_NS0_5tupleIJSF_S6_EEENSJ_IJSG_SG_EEENS0_18inequality_wrapperINSA_8equal_toIdEEEEPmJS6_EEE10hipError_tPvRmT3_T4_T5_T6_T7_T9_mT8_P12ihipStream_tbDpT10_ENKUlT_T0_E_clISt17integral_constantIbLb1EES1A_EEDaS15_S16_EUlS15_E_NS1_11comp_targetILNS1_3genE10ELNS1_11target_archE1200ELNS1_3gpuE4ELNS1_3repE0EEENS1_30default_config_static_selectorELNS0_4arch9wavefront6targetE1EEEvT1_
		.amdhsa_group_segment_fixed_size 0
		.amdhsa_private_segment_fixed_size 0
		.amdhsa_kernarg_size 128
		.amdhsa_user_sgpr_count 6
		.amdhsa_user_sgpr_private_segment_buffer 1
		.amdhsa_user_sgpr_dispatch_ptr 0
		.amdhsa_user_sgpr_queue_ptr 0
		.amdhsa_user_sgpr_kernarg_segment_ptr 1
		.amdhsa_user_sgpr_dispatch_id 0
		.amdhsa_user_sgpr_flat_scratch_init 0
		.amdhsa_user_sgpr_private_segment_size 0
		.amdhsa_uses_dynamic_stack 0
		.amdhsa_system_sgpr_private_segment_wavefront_offset 0
		.amdhsa_system_sgpr_workgroup_id_x 1
		.amdhsa_system_sgpr_workgroup_id_y 0
		.amdhsa_system_sgpr_workgroup_id_z 0
		.amdhsa_system_sgpr_workgroup_info 0
		.amdhsa_system_vgpr_workitem_id 0
		.amdhsa_next_free_vgpr 1
		.amdhsa_next_free_sgpr 0
		.amdhsa_reserve_vcc 0
		.amdhsa_reserve_flat_scratch 0
		.amdhsa_float_round_mode_32 0
		.amdhsa_float_round_mode_16_64 0
		.amdhsa_float_denorm_mode_32 3
		.amdhsa_float_denorm_mode_16_64 3
		.amdhsa_dx10_clamp 1
		.amdhsa_ieee_mode 1
		.amdhsa_fp16_overflow 0
		.amdhsa_exception_fp_ieee_invalid_op 0
		.amdhsa_exception_fp_denorm_src 0
		.amdhsa_exception_fp_ieee_div_zero 0
		.amdhsa_exception_fp_ieee_overflow 0
		.amdhsa_exception_fp_ieee_underflow 0
		.amdhsa_exception_fp_ieee_inexact 0
		.amdhsa_exception_int_div_zero 0
	.end_amdhsa_kernel
	.section	.text._ZN7rocprim17ROCPRIM_400000_NS6detail17trampoline_kernelINS0_14default_configENS1_25partition_config_selectorILNS1_17partition_subalgoE8EdNS0_10empty_typeEbEEZZNS1_14partition_implILS5_8ELb0ES3_jN6thrust23THRUST_200600_302600_NS6detail15normal_iteratorINSA_10device_ptrIdEEEEPS6_PKS6_NS0_5tupleIJSF_S6_EEENSJ_IJSG_SG_EEENS0_18inequality_wrapperINSA_8equal_toIdEEEEPmJS6_EEE10hipError_tPvRmT3_T4_T5_T6_T7_T9_mT8_P12ihipStream_tbDpT10_ENKUlT_T0_E_clISt17integral_constantIbLb1EES1A_EEDaS15_S16_EUlS15_E_NS1_11comp_targetILNS1_3genE10ELNS1_11target_archE1200ELNS1_3gpuE4ELNS1_3repE0EEENS1_30default_config_static_selectorELNS0_4arch9wavefront6targetE1EEEvT1_,"axG",@progbits,_ZN7rocprim17ROCPRIM_400000_NS6detail17trampoline_kernelINS0_14default_configENS1_25partition_config_selectorILNS1_17partition_subalgoE8EdNS0_10empty_typeEbEEZZNS1_14partition_implILS5_8ELb0ES3_jN6thrust23THRUST_200600_302600_NS6detail15normal_iteratorINSA_10device_ptrIdEEEEPS6_PKS6_NS0_5tupleIJSF_S6_EEENSJ_IJSG_SG_EEENS0_18inequality_wrapperINSA_8equal_toIdEEEEPmJS6_EEE10hipError_tPvRmT3_T4_T5_T6_T7_T9_mT8_P12ihipStream_tbDpT10_ENKUlT_T0_E_clISt17integral_constantIbLb1EES1A_EEDaS15_S16_EUlS15_E_NS1_11comp_targetILNS1_3genE10ELNS1_11target_archE1200ELNS1_3gpuE4ELNS1_3repE0EEENS1_30default_config_static_selectorELNS0_4arch9wavefront6targetE1EEEvT1_,comdat
.Lfunc_end26:
	.size	_ZN7rocprim17ROCPRIM_400000_NS6detail17trampoline_kernelINS0_14default_configENS1_25partition_config_selectorILNS1_17partition_subalgoE8EdNS0_10empty_typeEbEEZZNS1_14partition_implILS5_8ELb0ES3_jN6thrust23THRUST_200600_302600_NS6detail15normal_iteratorINSA_10device_ptrIdEEEEPS6_PKS6_NS0_5tupleIJSF_S6_EEENSJ_IJSG_SG_EEENS0_18inequality_wrapperINSA_8equal_toIdEEEEPmJS6_EEE10hipError_tPvRmT3_T4_T5_T6_T7_T9_mT8_P12ihipStream_tbDpT10_ENKUlT_T0_E_clISt17integral_constantIbLb1EES1A_EEDaS15_S16_EUlS15_E_NS1_11comp_targetILNS1_3genE10ELNS1_11target_archE1200ELNS1_3gpuE4ELNS1_3repE0EEENS1_30default_config_static_selectorELNS0_4arch9wavefront6targetE1EEEvT1_, .Lfunc_end26-_ZN7rocprim17ROCPRIM_400000_NS6detail17trampoline_kernelINS0_14default_configENS1_25partition_config_selectorILNS1_17partition_subalgoE8EdNS0_10empty_typeEbEEZZNS1_14partition_implILS5_8ELb0ES3_jN6thrust23THRUST_200600_302600_NS6detail15normal_iteratorINSA_10device_ptrIdEEEEPS6_PKS6_NS0_5tupleIJSF_S6_EEENSJ_IJSG_SG_EEENS0_18inequality_wrapperINSA_8equal_toIdEEEEPmJS6_EEE10hipError_tPvRmT3_T4_T5_T6_T7_T9_mT8_P12ihipStream_tbDpT10_ENKUlT_T0_E_clISt17integral_constantIbLb1EES1A_EEDaS15_S16_EUlS15_E_NS1_11comp_targetILNS1_3genE10ELNS1_11target_archE1200ELNS1_3gpuE4ELNS1_3repE0EEENS1_30default_config_static_selectorELNS0_4arch9wavefront6targetE1EEEvT1_
                                        ; -- End function
	.set _ZN7rocprim17ROCPRIM_400000_NS6detail17trampoline_kernelINS0_14default_configENS1_25partition_config_selectorILNS1_17partition_subalgoE8EdNS0_10empty_typeEbEEZZNS1_14partition_implILS5_8ELb0ES3_jN6thrust23THRUST_200600_302600_NS6detail15normal_iteratorINSA_10device_ptrIdEEEEPS6_PKS6_NS0_5tupleIJSF_S6_EEENSJ_IJSG_SG_EEENS0_18inequality_wrapperINSA_8equal_toIdEEEEPmJS6_EEE10hipError_tPvRmT3_T4_T5_T6_T7_T9_mT8_P12ihipStream_tbDpT10_ENKUlT_T0_E_clISt17integral_constantIbLb1EES1A_EEDaS15_S16_EUlS15_E_NS1_11comp_targetILNS1_3genE10ELNS1_11target_archE1200ELNS1_3gpuE4ELNS1_3repE0EEENS1_30default_config_static_selectorELNS0_4arch9wavefront6targetE1EEEvT1_.num_vgpr, 0
	.set _ZN7rocprim17ROCPRIM_400000_NS6detail17trampoline_kernelINS0_14default_configENS1_25partition_config_selectorILNS1_17partition_subalgoE8EdNS0_10empty_typeEbEEZZNS1_14partition_implILS5_8ELb0ES3_jN6thrust23THRUST_200600_302600_NS6detail15normal_iteratorINSA_10device_ptrIdEEEEPS6_PKS6_NS0_5tupleIJSF_S6_EEENSJ_IJSG_SG_EEENS0_18inequality_wrapperINSA_8equal_toIdEEEEPmJS6_EEE10hipError_tPvRmT3_T4_T5_T6_T7_T9_mT8_P12ihipStream_tbDpT10_ENKUlT_T0_E_clISt17integral_constantIbLb1EES1A_EEDaS15_S16_EUlS15_E_NS1_11comp_targetILNS1_3genE10ELNS1_11target_archE1200ELNS1_3gpuE4ELNS1_3repE0EEENS1_30default_config_static_selectorELNS0_4arch9wavefront6targetE1EEEvT1_.num_agpr, 0
	.set _ZN7rocprim17ROCPRIM_400000_NS6detail17trampoline_kernelINS0_14default_configENS1_25partition_config_selectorILNS1_17partition_subalgoE8EdNS0_10empty_typeEbEEZZNS1_14partition_implILS5_8ELb0ES3_jN6thrust23THRUST_200600_302600_NS6detail15normal_iteratorINSA_10device_ptrIdEEEEPS6_PKS6_NS0_5tupleIJSF_S6_EEENSJ_IJSG_SG_EEENS0_18inequality_wrapperINSA_8equal_toIdEEEEPmJS6_EEE10hipError_tPvRmT3_T4_T5_T6_T7_T9_mT8_P12ihipStream_tbDpT10_ENKUlT_T0_E_clISt17integral_constantIbLb1EES1A_EEDaS15_S16_EUlS15_E_NS1_11comp_targetILNS1_3genE10ELNS1_11target_archE1200ELNS1_3gpuE4ELNS1_3repE0EEENS1_30default_config_static_selectorELNS0_4arch9wavefront6targetE1EEEvT1_.numbered_sgpr, 0
	.set _ZN7rocprim17ROCPRIM_400000_NS6detail17trampoline_kernelINS0_14default_configENS1_25partition_config_selectorILNS1_17partition_subalgoE8EdNS0_10empty_typeEbEEZZNS1_14partition_implILS5_8ELb0ES3_jN6thrust23THRUST_200600_302600_NS6detail15normal_iteratorINSA_10device_ptrIdEEEEPS6_PKS6_NS0_5tupleIJSF_S6_EEENSJ_IJSG_SG_EEENS0_18inequality_wrapperINSA_8equal_toIdEEEEPmJS6_EEE10hipError_tPvRmT3_T4_T5_T6_T7_T9_mT8_P12ihipStream_tbDpT10_ENKUlT_T0_E_clISt17integral_constantIbLb1EES1A_EEDaS15_S16_EUlS15_E_NS1_11comp_targetILNS1_3genE10ELNS1_11target_archE1200ELNS1_3gpuE4ELNS1_3repE0EEENS1_30default_config_static_selectorELNS0_4arch9wavefront6targetE1EEEvT1_.num_named_barrier, 0
	.set _ZN7rocprim17ROCPRIM_400000_NS6detail17trampoline_kernelINS0_14default_configENS1_25partition_config_selectorILNS1_17partition_subalgoE8EdNS0_10empty_typeEbEEZZNS1_14partition_implILS5_8ELb0ES3_jN6thrust23THRUST_200600_302600_NS6detail15normal_iteratorINSA_10device_ptrIdEEEEPS6_PKS6_NS0_5tupleIJSF_S6_EEENSJ_IJSG_SG_EEENS0_18inequality_wrapperINSA_8equal_toIdEEEEPmJS6_EEE10hipError_tPvRmT3_T4_T5_T6_T7_T9_mT8_P12ihipStream_tbDpT10_ENKUlT_T0_E_clISt17integral_constantIbLb1EES1A_EEDaS15_S16_EUlS15_E_NS1_11comp_targetILNS1_3genE10ELNS1_11target_archE1200ELNS1_3gpuE4ELNS1_3repE0EEENS1_30default_config_static_selectorELNS0_4arch9wavefront6targetE1EEEvT1_.private_seg_size, 0
	.set _ZN7rocprim17ROCPRIM_400000_NS6detail17trampoline_kernelINS0_14default_configENS1_25partition_config_selectorILNS1_17partition_subalgoE8EdNS0_10empty_typeEbEEZZNS1_14partition_implILS5_8ELb0ES3_jN6thrust23THRUST_200600_302600_NS6detail15normal_iteratorINSA_10device_ptrIdEEEEPS6_PKS6_NS0_5tupleIJSF_S6_EEENSJ_IJSG_SG_EEENS0_18inequality_wrapperINSA_8equal_toIdEEEEPmJS6_EEE10hipError_tPvRmT3_T4_T5_T6_T7_T9_mT8_P12ihipStream_tbDpT10_ENKUlT_T0_E_clISt17integral_constantIbLb1EES1A_EEDaS15_S16_EUlS15_E_NS1_11comp_targetILNS1_3genE10ELNS1_11target_archE1200ELNS1_3gpuE4ELNS1_3repE0EEENS1_30default_config_static_selectorELNS0_4arch9wavefront6targetE1EEEvT1_.uses_vcc, 0
	.set _ZN7rocprim17ROCPRIM_400000_NS6detail17trampoline_kernelINS0_14default_configENS1_25partition_config_selectorILNS1_17partition_subalgoE8EdNS0_10empty_typeEbEEZZNS1_14partition_implILS5_8ELb0ES3_jN6thrust23THRUST_200600_302600_NS6detail15normal_iteratorINSA_10device_ptrIdEEEEPS6_PKS6_NS0_5tupleIJSF_S6_EEENSJ_IJSG_SG_EEENS0_18inequality_wrapperINSA_8equal_toIdEEEEPmJS6_EEE10hipError_tPvRmT3_T4_T5_T6_T7_T9_mT8_P12ihipStream_tbDpT10_ENKUlT_T0_E_clISt17integral_constantIbLb1EES1A_EEDaS15_S16_EUlS15_E_NS1_11comp_targetILNS1_3genE10ELNS1_11target_archE1200ELNS1_3gpuE4ELNS1_3repE0EEENS1_30default_config_static_selectorELNS0_4arch9wavefront6targetE1EEEvT1_.uses_flat_scratch, 0
	.set _ZN7rocprim17ROCPRIM_400000_NS6detail17trampoline_kernelINS0_14default_configENS1_25partition_config_selectorILNS1_17partition_subalgoE8EdNS0_10empty_typeEbEEZZNS1_14partition_implILS5_8ELb0ES3_jN6thrust23THRUST_200600_302600_NS6detail15normal_iteratorINSA_10device_ptrIdEEEEPS6_PKS6_NS0_5tupleIJSF_S6_EEENSJ_IJSG_SG_EEENS0_18inequality_wrapperINSA_8equal_toIdEEEEPmJS6_EEE10hipError_tPvRmT3_T4_T5_T6_T7_T9_mT8_P12ihipStream_tbDpT10_ENKUlT_T0_E_clISt17integral_constantIbLb1EES1A_EEDaS15_S16_EUlS15_E_NS1_11comp_targetILNS1_3genE10ELNS1_11target_archE1200ELNS1_3gpuE4ELNS1_3repE0EEENS1_30default_config_static_selectorELNS0_4arch9wavefront6targetE1EEEvT1_.has_dyn_sized_stack, 0
	.set _ZN7rocprim17ROCPRIM_400000_NS6detail17trampoline_kernelINS0_14default_configENS1_25partition_config_selectorILNS1_17partition_subalgoE8EdNS0_10empty_typeEbEEZZNS1_14partition_implILS5_8ELb0ES3_jN6thrust23THRUST_200600_302600_NS6detail15normal_iteratorINSA_10device_ptrIdEEEEPS6_PKS6_NS0_5tupleIJSF_S6_EEENSJ_IJSG_SG_EEENS0_18inequality_wrapperINSA_8equal_toIdEEEEPmJS6_EEE10hipError_tPvRmT3_T4_T5_T6_T7_T9_mT8_P12ihipStream_tbDpT10_ENKUlT_T0_E_clISt17integral_constantIbLb1EES1A_EEDaS15_S16_EUlS15_E_NS1_11comp_targetILNS1_3genE10ELNS1_11target_archE1200ELNS1_3gpuE4ELNS1_3repE0EEENS1_30default_config_static_selectorELNS0_4arch9wavefront6targetE1EEEvT1_.has_recursion, 0
	.set _ZN7rocprim17ROCPRIM_400000_NS6detail17trampoline_kernelINS0_14default_configENS1_25partition_config_selectorILNS1_17partition_subalgoE8EdNS0_10empty_typeEbEEZZNS1_14partition_implILS5_8ELb0ES3_jN6thrust23THRUST_200600_302600_NS6detail15normal_iteratorINSA_10device_ptrIdEEEEPS6_PKS6_NS0_5tupleIJSF_S6_EEENSJ_IJSG_SG_EEENS0_18inequality_wrapperINSA_8equal_toIdEEEEPmJS6_EEE10hipError_tPvRmT3_T4_T5_T6_T7_T9_mT8_P12ihipStream_tbDpT10_ENKUlT_T0_E_clISt17integral_constantIbLb1EES1A_EEDaS15_S16_EUlS15_E_NS1_11comp_targetILNS1_3genE10ELNS1_11target_archE1200ELNS1_3gpuE4ELNS1_3repE0EEENS1_30default_config_static_selectorELNS0_4arch9wavefront6targetE1EEEvT1_.has_indirect_call, 0
	.section	.AMDGPU.csdata,"",@progbits
; Kernel info:
; codeLenInByte = 0
; TotalNumSgprs: 4
; NumVgprs: 0
; ScratchSize: 0
; MemoryBound: 0
; FloatMode: 240
; IeeeMode: 1
; LDSByteSize: 0 bytes/workgroup (compile time only)
; SGPRBlocks: 0
; VGPRBlocks: 0
; NumSGPRsForWavesPerEU: 4
; NumVGPRsForWavesPerEU: 1
; Occupancy: 10
; WaveLimiterHint : 0
; COMPUTE_PGM_RSRC2:SCRATCH_EN: 0
; COMPUTE_PGM_RSRC2:USER_SGPR: 6
; COMPUTE_PGM_RSRC2:TRAP_HANDLER: 0
; COMPUTE_PGM_RSRC2:TGID_X_EN: 1
; COMPUTE_PGM_RSRC2:TGID_Y_EN: 0
; COMPUTE_PGM_RSRC2:TGID_Z_EN: 0
; COMPUTE_PGM_RSRC2:TIDIG_COMP_CNT: 0
	.section	.text._ZN7rocprim17ROCPRIM_400000_NS6detail17trampoline_kernelINS0_14default_configENS1_25partition_config_selectorILNS1_17partition_subalgoE8EdNS0_10empty_typeEbEEZZNS1_14partition_implILS5_8ELb0ES3_jN6thrust23THRUST_200600_302600_NS6detail15normal_iteratorINSA_10device_ptrIdEEEEPS6_PKS6_NS0_5tupleIJSF_S6_EEENSJ_IJSG_SG_EEENS0_18inequality_wrapperINSA_8equal_toIdEEEEPmJS6_EEE10hipError_tPvRmT3_T4_T5_T6_T7_T9_mT8_P12ihipStream_tbDpT10_ENKUlT_T0_E_clISt17integral_constantIbLb1EES1A_EEDaS15_S16_EUlS15_E_NS1_11comp_targetILNS1_3genE9ELNS1_11target_archE1100ELNS1_3gpuE3ELNS1_3repE0EEENS1_30default_config_static_selectorELNS0_4arch9wavefront6targetE1EEEvT1_,"axG",@progbits,_ZN7rocprim17ROCPRIM_400000_NS6detail17trampoline_kernelINS0_14default_configENS1_25partition_config_selectorILNS1_17partition_subalgoE8EdNS0_10empty_typeEbEEZZNS1_14partition_implILS5_8ELb0ES3_jN6thrust23THRUST_200600_302600_NS6detail15normal_iteratorINSA_10device_ptrIdEEEEPS6_PKS6_NS0_5tupleIJSF_S6_EEENSJ_IJSG_SG_EEENS0_18inequality_wrapperINSA_8equal_toIdEEEEPmJS6_EEE10hipError_tPvRmT3_T4_T5_T6_T7_T9_mT8_P12ihipStream_tbDpT10_ENKUlT_T0_E_clISt17integral_constantIbLb1EES1A_EEDaS15_S16_EUlS15_E_NS1_11comp_targetILNS1_3genE9ELNS1_11target_archE1100ELNS1_3gpuE3ELNS1_3repE0EEENS1_30default_config_static_selectorELNS0_4arch9wavefront6targetE1EEEvT1_,comdat
	.protected	_ZN7rocprim17ROCPRIM_400000_NS6detail17trampoline_kernelINS0_14default_configENS1_25partition_config_selectorILNS1_17partition_subalgoE8EdNS0_10empty_typeEbEEZZNS1_14partition_implILS5_8ELb0ES3_jN6thrust23THRUST_200600_302600_NS6detail15normal_iteratorINSA_10device_ptrIdEEEEPS6_PKS6_NS0_5tupleIJSF_S6_EEENSJ_IJSG_SG_EEENS0_18inequality_wrapperINSA_8equal_toIdEEEEPmJS6_EEE10hipError_tPvRmT3_T4_T5_T6_T7_T9_mT8_P12ihipStream_tbDpT10_ENKUlT_T0_E_clISt17integral_constantIbLb1EES1A_EEDaS15_S16_EUlS15_E_NS1_11comp_targetILNS1_3genE9ELNS1_11target_archE1100ELNS1_3gpuE3ELNS1_3repE0EEENS1_30default_config_static_selectorELNS0_4arch9wavefront6targetE1EEEvT1_ ; -- Begin function _ZN7rocprim17ROCPRIM_400000_NS6detail17trampoline_kernelINS0_14default_configENS1_25partition_config_selectorILNS1_17partition_subalgoE8EdNS0_10empty_typeEbEEZZNS1_14partition_implILS5_8ELb0ES3_jN6thrust23THRUST_200600_302600_NS6detail15normal_iteratorINSA_10device_ptrIdEEEEPS6_PKS6_NS0_5tupleIJSF_S6_EEENSJ_IJSG_SG_EEENS0_18inequality_wrapperINSA_8equal_toIdEEEEPmJS6_EEE10hipError_tPvRmT3_T4_T5_T6_T7_T9_mT8_P12ihipStream_tbDpT10_ENKUlT_T0_E_clISt17integral_constantIbLb1EES1A_EEDaS15_S16_EUlS15_E_NS1_11comp_targetILNS1_3genE9ELNS1_11target_archE1100ELNS1_3gpuE3ELNS1_3repE0EEENS1_30default_config_static_selectorELNS0_4arch9wavefront6targetE1EEEvT1_
	.globl	_ZN7rocprim17ROCPRIM_400000_NS6detail17trampoline_kernelINS0_14default_configENS1_25partition_config_selectorILNS1_17partition_subalgoE8EdNS0_10empty_typeEbEEZZNS1_14partition_implILS5_8ELb0ES3_jN6thrust23THRUST_200600_302600_NS6detail15normal_iteratorINSA_10device_ptrIdEEEEPS6_PKS6_NS0_5tupleIJSF_S6_EEENSJ_IJSG_SG_EEENS0_18inequality_wrapperINSA_8equal_toIdEEEEPmJS6_EEE10hipError_tPvRmT3_T4_T5_T6_T7_T9_mT8_P12ihipStream_tbDpT10_ENKUlT_T0_E_clISt17integral_constantIbLb1EES1A_EEDaS15_S16_EUlS15_E_NS1_11comp_targetILNS1_3genE9ELNS1_11target_archE1100ELNS1_3gpuE3ELNS1_3repE0EEENS1_30default_config_static_selectorELNS0_4arch9wavefront6targetE1EEEvT1_
	.p2align	8
	.type	_ZN7rocprim17ROCPRIM_400000_NS6detail17trampoline_kernelINS0_14default_configENS1_25partition_config_selectorILNS1_17partition_subalgoE8EdNS0_10empty_typeEbEEZZNS1_14partition_implILS5_8ELb0ES3_jN6thrust23THRUST_200600_302600_NS6detail15normal_iteratorINSA_10device_ptrIdEEEEPS6_PKS6_NS0_5tupleIJSF_S6_EEENSJ_IJSG_SG_EEENS0_18inequality_wrapperINSA_8equal_toIdEEEEPmJS6_EEE10hipError_tPvRmT3_T4_T5_T6_T7_T9_mT8_P12ihipStream_tbDpT10_ENKUlT_T0_E_clISt17integral_constantIbLb1EES1A_EEDaS15_S16_EUlS15_E_NS1_11comp_targetILNS1_3genE9ELNS1_11target_archE1100ELNS1_3gpuE3ELNS1_3repE0EEENS1_30default_config_static_selectorELNS0_4arch9wavefront6targetE1EEEvT1_,@function
_ZN7rocprim17ROCPRIM_400000_NS6detail17trampoline_kernelINS0_14default_configENS1_25partition_config_selectorILNS1_17partition_subalgoE8EdNS0_10empty_typeEbEEZZNS1_14partition_implILS5_8ELb0ES3_jN6thrust23THRUST_200600_302600_NS6detail15normal_iteratorINSA_10device_ptrIdEEEEPS6_PKS6_NS0_5tupleIJSF_S6_EEENSJ_IJSG_SG_EEENS0_18inequality_wrapperINSA_8equal_toIdEEEEPmJS6_EEE10hipError_tPvRmT3_T4_T5_T6_T7_T9_mT8_P12ihipStream_tbDpT10_ENKUlT_T0_E_clISt17integral_constantIbLb1EES1A_EEDaS15_S16_EUlS15_E_NS1_11comp_targetILNS1_3genE9ELNS1_11target_archE1100ELNS1_3gpuE3ELNS1_3repE0EEENS1_30default_config_static_selectorELNS0_4arch9wavefront6targetE1EEEvT1_: ; @_ZN7rocprim17ROCPRIM_400000_NS6detail17trampoline_kernelINS0_14default_configENS1_25partition_config_selectorILNS1_17partition_subalgoE8EdNS0_10empty_typeEbEEZZNS1_14partition_implILS5_8ELb0ES3_jN6thrust23THRUST_200600_302600_NS6detail15normal_iteratorINSA_10device_ptrIdEEEEPS6_PKS6_NS0_5tupleIJSF_S6_EEENSJ_IJSG_SG_EEENS0_18inequality_wrapperINSA_8equal_toIdEEEEPmJS6_EEE10hipError_tPvRmT3_T4_T5_T6_T7_T9_mT8_P12ihipStream_tbDpT10_ENKUlT_T0_E_clISt17integral_constantIbLb1EES1A_EEDaS15_S16_EUlS15_E_NS1_11comp_targetILNS1_3genE9ELNS1_11target_archE1100ELNS1_3gpuE3ELNS1_3repE0EEENS1_30default_config_static_selectorELNS0_4arch9wavefront6targetE1EEEvT1_
; %bb.0:
	.section	.rodata,"a",@progbits
	.p2align	6, 0x0
	.amdhsa_kernel _ZN7rocprim17ROCPRIM_400000_NS6detail17trampoline_kernelINS0_14default_configENS1_25partition_config_selectorILNS1_17partition_subalgoE8EdNS0_10empty_typeEbEEZZNS1_14partition_implILS5_8ELb0ES3_jN6thrust23THRUST_200600_302600_NS6detail15normal_iteratorINSA_10device_ptrIdEEEEPS6_PKS6_NS0_5tupleIJSF_S6_EEENSJ_IJSG_SG_EEENS0_18inequality_wrapperINSA_8equal_toIdEEEEPmJS6_EEE10hipError_tPvRmT3_T4_T5_T6_T7_T9_mT8_P12ihipStream_tbDpT10_ENKUlT_T0_E_clISt17integral_constantIbLb1EES1A_EEDaS15_S16_EUlS15_E_NS1_11comp_targetILNS1_3genE9ELNS1_11target_archE1100ELNS1_3gpuE3ELNS1_3repE0EEENS1_30default_config_static_selectorELNS0_4arch9wavefront6targetE1EEEvT1_
		.amdhsa_group_segment_fixed_size 0
		.amdhsa_private_segment_fixed_size 0
		.amdhsa_kernarg_size 128
		.amdhsa_user_sgpr_count 6
		.amdhsa_user_sgpr_private_segment_buffer 1
		.amdhsa_user_sgpr_dispatch_ptr 0
		.amdhsa_user_sgpr_queue_ptr 0
		.amdhsa_user_sgpr_kernarg_segment_ptr 1
		.amdhsa_user_sgpr_dispatch_id 0
		.amdhsa_user_sgpr_flat_scratch_init 0
		.amdhsa_user_sgpr_private_segment_size 0
		.amdhsa_uses_dynamic_stack 0
		.amdhsa_system_sgpr_private_segment_wavefront_offset 0
		.amdhsa_system_sgpr_workgroup_id_x 1
		.amdhsa_system_sgpr_workgroup_id_y 0
		.amdhsa_system_sgpr_workgroup_id_z 0
		.amdhsa_system_sgpr_workgroup_info 0
		.amdhsa_system_vgpr_workitem_id 0
		.amdhsa_next_free_vgpr 1
		.amdhsa_next_free_sgpr 0
		.amdhsa_reserve_vcc 0
		.amdhsa_reserve_flat_scratch 0
		.amdhsa_float_round_mode_32 0
		.amdhsa_float_round_mode_16_64 0
		.amdhsa_float_denorm_mode_32 3
		.amdhsa_float_denorm_mode_16_64 3
		.amdhsa_dx10_clamp 1
		.amdhsa_ieee_mode 1
		.amdhsa_fp16_overflow 0
		.amdhsa_exception_fp_ieee_invalid_op 0
		.amdhsa_exception_fp_denorm_src 0
		.amdhsa_exception_fp_ieee_div_zero 0
		.amdhsa_exception_fp_ieee_overflow 0
		.amdhsa_exception_fp_ieee_underflow 0
		.amdhsa_exception_fp_ieee_inexact 0
		.amdhsa_exception_int_div_zero 0
	.end_amdhsa_kernel
	.section	.text._ZN7rocprim17ROCPRIM_400000_NS6detail17trampoline_kernelINS0_14default_configENS1_25partition_config_selectorILNS1_17partition_subalgoE8EdNS0_10empty_typeEbEEZZNS1_14partition_implILS5_8ELb0ES3_jN6thrust23THRUST_200600_302600_NS6detail15normal_iteratorINSA_10device_ptrIdEEEEPS6_PKS6_NS0_5tupleIJSF_S6_EEENSJ_IJSG_SG_EEENS0_18inequality_wrapperINSA_8equal_toIdEEEEPmJS6_EEE10hipError_tPvRmT3_T4_T5_T6_T7_T9_mT8_P12ihipStream_tbDpT10_ENKUlT_T0_E_clISt17integral_constantIbLb1EES1A_EEDaS15_S16_EUlS15_E_NS1_11comp_targetILNS1_3genE9ELNS1_11target_archE1100ELNS1_3gpuE3ELNS1_3repE0EEENS1_30default_config_static_selectorELNS0_4arch9wavefront6targetE1EEEvT1_,"axG",@progbits,_ZN7rocprim17ROCPRIM_400000_NS6detail17trampoline_kernelINS0_14default_configENS1_25partition_config_selectorILNS1_17partition_subalgoE8EdNS0_10empty_typeEbEEZZNS1_14partition_implILS5_8ELb0ES3_jN6thrust23THRUST_200600_302600_NS6detail15normal_iteratorINSA_10device_ptrIdEEEEPS6_PKS6_NS0_5tupleIJSF_S6_EEENSJ_IJSG_SG_EEENS0_18inequality_wrapperINSA_8equal_toIdEEEEPmJS6_EEE10hipError_tPvRmT3_T4_T5_T6_T7_T9_mT8_P12ihipStream_tbDpT10_ENKUlT_T0_E_clISt17integral_constantIbLb1EES1A_EEDaS15_S16_EUlS15_E_NS1_11comp_targetILNS1_3genE9ELNS1_11target_archE1100ELNS1_3gpuE3ELNS1_3repE0EEENS1_30default_config_static_selectorELNS0_4arch9wavefront6targetE1EEEvT1_,comdat
.Lfunc_end27:
	.size	_ZN7rocprim17ROCPRIM_400000_NS6detail17trampoline_kernelINS0_14default_configENS1_25partition_config_selectorILNS1_17partition_subalgoE8EdNS0_10empty_typeEbEEZZNS1_14partition_implILS5_8ELb0ES3_jN6thrust23THRUST_200600_302600_NS6detail15normal_iteratorINSA_10device_ptrIdEEEEPS6_PKS6_NS0_5tupleIJSF_S6_EEENSJ_IJSG_SG_EEENS0_18inequality_wrapperINSA_8equal_toIdEEEEPmJS6_EEE10hipError_tPvRmT3_T4_T5_T6_T7_T9_mT8_P12ihipStream_tbDpT10_ENKUlT_T0_E_clISt17integral_constantIbLb1EES1A_EEDaS15_S16_EUlS15_E_NS1_11comp_targetILNS1_3genE9ELNS1_11target_archE1100ELNS1_3gpuE3ELNS1_3repE0EEENS1_30default_config_static_selectorELNS0_4arch9wavefront6targetE1EEEvT1_, .Lfunc_end27-_ZN7rocprim17ROCPRIM_400000_NS6detail17trampoline_kernelINS0_14default_configENS1_25partition_config_selectorILNS1_17partition_subalgoE8EdNS0_10empty_typeEbEEZZNS1_14partition_implILS5_8ELb0ES3_jN6thrust23THRUST_200600_302600_NS6detail15normal_iteratorINSA_10device_ptrIdEEEEPS6_PKS6_NS0_5tupleIJSF_S6_EEENSJ_IJSG_SG_EEENS0_18inequality_wrapperINSA_8equal_toIdEEEEPmJS6_EEE10hipError_tPvRmT3_T4_T5_T6_T7_T9_mT8_P12ihipStream_tbDpT10_ENKUlT_T0_E_clISt17integral_constantIbLb1EES1A_EEDaS15_S16_EUlS15_E_NS1_11comp_targetILNS1_3genE9ELNS1_11target_archE1100ELNS1_3gpuE3ELNS1_3repE0EEENS1_30default_config_static_selectorELNS0_4arch9wavefront6targetE1EEEvT1_
                                        ; -- End function
	.set _ZN7rocprim17ROCPRIM_400000_NS6detail17trampoline_kernelINS0_14default_configENS1_25partition_config_selectorILNS1_17partition_subalgoE8EdNS0_10empty_typeEbEEZZNS1_14partition_implILS5_8ELb0ES3_jN6thrust23THRUST_200600_302600_NS6detail15normal_iteratorINSA_10device_ptrIdEEEEPS6_PKS6_NS0_5tupleIJSF_S6_EEENSJ_IJSG_SG_EEENS0_18inequality_wrapperINSA_8equal_toIdEEEEPmJS6_EEE10hipError_tPvRmT3_T4_T5_T6_T7_T9_mT8_P12ihipStream_tbDpT10_ENKUlT_T0_E_clISt17integral_constantIbLb1EES1A_EEDaS15_S16_EUlS15_E_NS1_11comp_targetILNS1_3genE9ELNS1_11target_archE1100ELNS1_3gpuE3ELNS1_3repE0EEENS1_30default_config_static_selectorELNS0_4arch9wavefront6targetE1EEEvT1_.num_vgpr, 0
	.set _ZN7rocprim17ROCPRIM_400000_NS6detail17trampoline_kernelINS0_14default_configENS1_25partition_config_selectorILNS1_17partition_subalgoE8EdNS0_10empty_typeEbEEZZNS1_14partition_implILS5_8ELb0ES3_jN6thrust23THRUST_200600_302600_NS6detail15normal_iteratorINSA_10device_ptrIdEEEEPS6_PKS6_NS0_5tupleIJSF_S6_EEENSJ_IJSG_SG_EEENS0_18inequality_wrapperINSA_8equal_toIdEEEEPmJS6_EEE10hipError_tPvRmT3_T4_T5_T6_T7_T9_mT8_P12ihipStream_tbDpT10_ENKUlT_T0_E_clISt17integral_constantIbLb1EES1A_EEDaS15_S16_EUlS15_E_NS1_11comp_targetILNS1_3genE9ELNS1_11target_archE1100ELNS1_3gpuE3ELNS1_3repE0EEENS1_30default_config_static_selectorELNS0_4arch9wavefront6targetE1EEEvT1_.num_agpr, 0
	.set _ZN7rocprim17ROCPRIM_400000_NS6detail17trampoline_kernelINS0_14default_configENS1_25partition_config_selectorILNS1_17partition_subalgoE8EdNS0_10empty_typeEbEEZZNS1_14partition_implILS5_8ELb0ES3_jN6thrust23THRUST_200600_302600_NS6detail15normal_iteratorINSA_10device_ptrIdEEEEPS6_PKS6_NS0_5tupleIJSF_S6_EEENSJ_IJSG_SG_EEENS0_18inequality_wrapperINSA_8equal_toIdEEEEPmJS6_EEE10hipError_tPvRmT3_T4_T5_T6_T7_T9_mT8_P12ihipStream_tbDpT10_ENKUlT_T0_E_clISt17integral_constantIbLb1EES1A_EEDaS15_S16_EUlS15_E_NS1_11comp_targetILNS1_3genE9ELNS1_11target_archE1100ELNS1_3gpuE3ELNS1_3repE0EEENS1_30default_config_static_selectorELNS0_4arch9wavefront6targetE1EEEvT1_.numbered_sgpr, 0
	.set _ZN7rocprim17ROCPRIM_400000_NS6detail17trampoline_kernelINS0_14default_configENS1_25partition_config_selectorILNS1_17partition_subalgoE8EdNS0_10empty_typeEbEEZZNS1_14partition_implILS5_8ELb0ES3_jN6thrust23THRUST_200600_302600_NS6detail15normal_iteratorINSA_10device_ptrIdEEEEPS6_PKS6_NS0_5tupleIJSF_S6_EEENSJ_IJSG_SG_EEENS0_18inequality_wrapperINSA_8equal_toIdEEEEPmJS6_EEE10hipError_tPvRmT3_T4_T5_T6_T7_T9_mT8_P12ihipStream_tbDpT10_ENKUlT_T0_E_clISt17integral_constantIbLb1EES1A_EEDaS15_S16_EUlS15_E_NS1_11comp_targetILNS1_3genE9ELNS1_11target_archE1100ELNS1_3gpuE3ELNS1_3repE0EEENS1_30default_config_static_selectorELNS0_4arch9wavefront6targetE1EEEvT1_.num_named_barrier, 0
	.set _ZN7rocprim17ROCPRIM_400000_NS6detail17trampoline_kernelINS0_14default_configENS1_25partition_config_selectorILNS1_17partition_subalgoE8EdNS0_10empty_typeEbEEZZNS1_14partition_implILS5_8ELb0ES3_jN6thrust23THRUST_200600_302600_NS6detail15normal_iteratorINSA_10device_ptrIdEEEEPS6_PKS6_NS0_5tupleIJSF_S6_EEENSJ_IJSG_SG_EEENS0_18inequality_wrapperINSA_8equal_toIdEEEEPmJS6_EEE10hipError_tPvRmT3_T4_T5_T6_T7_T9_mT8_P12ihipStream_tbDpT10_ENKUlT_T0_E_clISt17integral_constantIbLb1EES1A_EEDaS15_S16_EUlS15_E_NS1_11comp_targetILNS1_3genE9ELNS1_11target_archE1100ELNS1_3gpuE3ELNS1_3repE0EEENS1_30default_config_static_selectorELNS0_4arch9wavefront6targetE1EEEvT1_.private_seg_size, 0
	.set _ZN7rocprim17ROCPRIM_400000_NS6detail17trampoline_kernelINS0_14default_configENS1_25partition_config_selectorILNS1_17partition_subalgoE8EdNS0_10empty_typeEbEEZZNS1_14partition_implILS5_8ELb0ES3_jN6thrust23THRUST_200600_302600_NS6detail15normal_iteratorINSA_10device_ptrIdEEEEPS6_PKS6_NS0_5tupleIJSF_S6_EEENSJ_IJSG_SG_EEENS0_18inequality_wrapperINSA_8equal_toIdEEEEPmJS6_EEE10hipError_tPvRmT3_T4_T5_T6_T7_T9_mT8_P12ihipStream_tbDpT10_ENKUlT_T0_E_clISt17integral_constantIbLb1EES1A_EEDaS15_S16_EUlS15_E_NS1_11comp_targetILNS1_3genE9ELNS1_11target_archE1100ELNS1_3gpuE3ELNS1_3repE0EEENS1_30default_config_static_selectorELNS0_4arch9wavefront6targetE1EEEvT1_.uses_vcc, 0
	.set _ZN7rocprim17ROCPRIM_400000_NS6detail17trampoline_kernelINS0_14default_configENS1_25partition_config_selectorILNS1_17partition_subalgoE8EdNS0_10empty_typeEbEEZZNS1_14partition_implILS5_8ELb0ES3_jN6thrust23THRUST_200600_302600_NS6detail15normal_iteratorINSA_10device_ptrIdEEEEPS6_PKS6_NS0_5tupleIJSF_S6_EEENSJ_IJSG_SG_EEENS0_18inequality_wrapperINSA_8equal_toIdEEEEPmJS6_EEE10hipError_tPvRmT3_T4_T5_T6_T7_T9_mT8_P12ihipStream_tbDpT10_ENKUlT_T0_E_clISt17integral_constantIbLb1EES1A_EEDaS15_S16_EUlS15_E_NS1_11comp_targetILNS1_3genE9ELNS1_11target_archE1100ELNS1_3gpuE3ELNS1_3repE0EEENS1_30default_config_static_selectorELNS0_4arch9wavefront6targetE1EEEvT1_.uses_flat_scratch, 0
	.set _ZN7rocprim17ROCPRIM_400000_NS6detail17trampoline_kernelINS0_14default_configENS1_25partition_config_selectorILNS1_17partition_subalgoE8EdNS0_10empty_typeEbEEZZNS1_14partition_implILS5_8ELb0ES3_jN6thrust23THRUST_200600_302600_NS6detail15normal_iteratorINSA_10device_ptrIdEEEEPS6_PKS6_NS0_5tupleIJSF_S6_EEENSJ_IJSG_SG_EEENS0_18inequality_wrapperINSA_8equal_toIdEEEEPmJS6_EEE10hipError_tPvRmT3_T4_T5_T6_T7_T9_mT8_P12ihipStream_tbDpT10_ENKUlT_T0_E_clISt17integral_constantIbLb1EES1A_EEDaS15_S16_EUlS15_E_NS1_11comp_targetILNS1_3genE9ELNS1_11target_archE1100ELNS1_3gpuE3ELNS1_3repE0EEENS1_30default_config_static_selectorELNS0_4arch9wavefront6targetE1EEEvT1_.has_dyn_sized_stack, 0
	.set _ZN7rocprim17ROCPRIM_400000_NS6detail17trampoline_kernelINS0_14default_configENS1_25partition_config_selectorILNS1_17partition_subalgoE8EdNS0_10empty_typeEbEEZZNS1_14partition_implILS5_8ELb0ES3_jN6thrust23THRUST_200600_302600_NS6detail15normal_iteratorINSA_10device_ptrIdEEEEPS6_PKS6_NS0_5tupleIJSF_S6_EEENSJ_IJSG_SG_EEENS0_18inequality_wrapperINSA_8equal_toIdEEEEPmJS6_EEE10hipError_tPvRmT3_T4_T5_T6_T7_T9_mT8_P12ihipStream_tbDpT10_ENKUlT_T0_E_clISt17integral_constantIbLb1EES1A_EEDaS15_S16_EUlS15_E_NS1_11comp_targetILNS1_3genE9ELNS1_11target_archE1100ELNS1_3gpuE3ELNS1_3repE0EEENS1_30default_config_static_selectorELNS0_4arch9wavefront6targetE1EEEvT1_.has_recursion, 0
	.set _ZN7rocprim17ROCPRIM_400000_NS6detail17trampoline_kernelINS0_14default_configENS1_25partition_config_selectorILNS1_17partition_subalgoE8EdNS0_10empty_typeEbEEZZNS1_14partition_implILS5_8ELb0ES3_jN6thrust23THRUST_200600_302600_NS6detail15normal_iteratorINSA_10device_ptrIdEEEEPS6_PKS6_NS0_5tupleIJSF_S6_EEENSJ_IJSG_SG_EEENS0_18inequality_wrapperINSA_8equal_toIdEEEEPmJS6_EEE10hipError_tPvRmT3_T4_T5_T6_T7_T9_mT8_P12ihipStream_tbDpT10_ENKUlT_T0_E_clISt17integral_constantIbLb1EES1A_EEDaS15_S16_EUlS15_E_NS1_11comp_targetILNS1_3genE9ELNS1_11target_archE1100ELNS1_3gpuE3ELNS1_3repE0EEENS1_30default_config_static_selectorELNS0_4arch9wavefront6targetE1EEEvT1_.has_indirect_call, 0
	.section	.AMDGPU.csdata,"",@progbits
; Kernel info:
; codeLenInByte = 0
; TotalNumSgprs: 4
; NumVgprs: 0
; ScratchSize: 0
; MemoryBound: 0
; FloatMode: 240
; IeeeMode: 1
; LDSByteSize: 0 bytes/workgroup (compile time only)
; SGPRBlocks: 0
; VGPRBlocks: 0
; NumSGPRsForWavesPerEU: 4
; NumVGPRsForWavesPerEU: 1
; Occupancy: 10
; WaveLimiterHint : 0
; COMPUTE_PGM_RSRC2:SCRATCH_EN: 0
; COMPUTE_PGM_RSRC2:USER_SGPR: 6
; COMPUTE_PGM_RSRC2:TRAP_HANDLER: 0
; COMPUTE_PGM_RSRC2:TGID_X_EN: 1
; COMPUTE_PGM_RSRC2:TGID_Y_EN: 0
; COMPUTE_PGM_RSRC2:TGID_Z_EN: 0
; COMPUTE_PGM_RSRC2:TIDIG_COMP_CNT: 0
	.section	.text._ZN7rocprim17ROCPRIM_400000_NS6detail17trampoline_kernelINS0_14default_configENS1_25partition_config_selectorILNS1_17partition_subalgoE8EdNS0_10empty_typeEbEEZZNS1_14partition_implILS5_8ELb0ES3_jN6thrust23THRUST_200600_302600_NS6detail15normal_iteratorINSA_10device_ptrIdEEEEPS6_PKS6_NS0_5tupleIJSF_S6_EEENSJ_IJSG_SG_EEENS0_18inequality_wrapperINSA_8equal_toIdEEEEPmJS6_EEE10hipError_tPvRmT3_T4_T5_T6_T7_T9_mT8_P12ihipStream_tbDpT10_ENKUlT_T0_E_clISt17integral_constantIbLb1EES1A_EEDaS15_S16_EUlS15_E_NS1_11comp_targetILNS1_3genE8ELNS1_11target_archE1030ELNS1_3gpuE2ELNS1_3repE0EEENS1_30default_config_static_selectorELNS0_4arch9wavefront6targetE1EEEvT1_,"axG",@progbits,_ZN7rocprim17ROCPRIM_400000_NS6detail17trampoline_kernelINS0_14default_configENS1_25partition_config_selectorILNS1_17partition_subalgoE8EdNS0_10empty_typeEbEEZZNS1_14partition_implILS5_8ELb0ES3_jN6thrust23THRUST_200600_302600_NS6detail15normal_iteratorINSA_10device_ptrIdEEEEPS6_PKS6_NS0_5tupleIJSF_S6_EEENSJ_IJSG_SG_EEENS0_18inequality_wrapperINSA_8equal_toIdEEEEPmJS6_EEE10hipError_tPvRmT3_T4_T5_T6_T7_T9_mT8_P12ihipStream_tbDpT10_ENKUlT_T0_E_clISt17integral_constantIbLb1EES1A_EEDaS15_S16_EUlS15_E_NS1_11comp_targetILNS1_3genE8ELNS1_11target_archE1030ELNS1_3gpuE2ELNS1_3repE0EEENS1_30default_config_static_selectorELNS0_4arch9wavefront6targetE1EEEvT1_,comdat
	.protected	_ZN7rocprim17ROCPRIM_400000_NS6detail17trampoline_kernelINS0_14default_configENS1_25partition_config_selectorILNS1_17partition_subalgoE8EdNS0_10empty_typeEbEEZZNS1_14partition_implILS5_8ELb0ES3_jN6thrust23THRUST_200600_302600_NS6detail15normal_iteratorINSA_10device_ptrIdEEEEPS6_PKS6_NS0_5tupleIJSF_S6_EEENSJ_IJSG_SG_EEENS0_18inequality_wrapperINSA_8equal_toIdEEEEPmJS6_EEE10hipError_tPvRmT3_T4_T5_T6_T7_T9_mT8_P12ihipStream_tbDpT10_ENKUlT_T0_E_clISt17integral_constantIbLb1EES1A_EEDaS15_S16_EUlS15_E_NS1_11comp_targetILNS1_3genE8ELNS1_11target_archE1030ELNS1_3gpuE2ELNS1_3repE0EEENS1_30default_config_static_selectorELNS0_4arch9wavefront6targetE1EEEvT1_ ; -- Begin function _ZN7rocprim17ROCPRIM_400000_NS6detail17trampoline_kernelINS0_14default_configENS1_25partition_config_selectorILNS1_17partition_subalgoE8EdNS0_10empty_typeEbEEZZNS1_14partition_implILS5_8ELb0ES3_jN6thrust23THRUST_200600_302600_NS6detail15normal_iteratorINSA_10device_ptrIdEEEEPS6_PKS6_NS0_5tupleIJSF_S6_EEENSJ_IJSG_SG_EEENS0_18inequality_wrapperINSA_8equal_toIdEEEEPmJS6_EEE10hipError_tPvRmT3_T4_T5_T6_T7_T9_mT8_P12ihipStream_tbDpT10_ENKUlT_T0_E_clISt17integral_constantIbLb1EES1A_EEDaS15_S16_EUlS15_E_NS1_11comp_targetILNS1_3genE8ELNS1_11target_archE1030ELNS1_3gpuE2ELNS1_3repE0EEENS1_30default_config_static_selectorELNS0_4arch9wavefront6targetE1EEEvT1_
	.globl	_ZN7rocprim17ROCPRIM_400000_NS6detail17trampoline_kernelINS0_14default_configENS1_25partition_config_selectorILNS1_17partition_subalgoE8EdNS0_10empty_typeEbEEZZNS1_14partition_implILS5_8ELb0ES3_jN6thrust23THRUST_200600_302600_NS6detail15normal_iteratorINSA_10device_ptrIdEEEEPS6_PKS6_NS0_5tupleIJSF_S6_EEENSJ_IJSG_SG_EEENS0_18inequality_wrapperINSA_8equal_toIdEEEEPmJS6_EEE10hipError_tPvRmT3_T4_T5_T6_T7_T9_mT8_P12ihipStream_tbDpT10_ENKUlT_T0_E_clISt17integral_constantIbLb1EES1A_EEDaS15_S16_EUlS15_E_NS1_11comp_targetILNS1_3genE8ELNS1_11target_archE1030ELNS1_3gpuE2ELNS1_3repE0EEENS1_30default_config_static_selectorELNS0_4arch9wavefront6targetE1EEEvT1_
	.p2align	8
	.type	_ZN7rocprim17ROCPRIM_400000_NS6detail17trampoline_kernelINS0_14default_configENS1_25partition_config_selectorILNS1_17partition_subalgoE8EdNS0_10empty_typeEbEEZZNS1_14partition_implILS5_8ELb0ES3_jN6thrust23THRUST_200600_302600_NS6detail15normal_iteratorINSA_10device_ptrIdEEEEPS6_PKS6_NS0_5tupleIJSF_S6_EEENSJ_IJSG_SG_EEENS0_18inequality_wrapperINSA_8equal_toIdEEEEPmJS6_EEE10hipError_tPvRmT3_T4_T5_T6_T7_T9_mT8_P12ihipStream_tbDpT10_ENKUlT_T0_E_clISt17integral_constantIbLb1EES1A_EEDaS15_S16_EUlS15_E_NS1_11comp_targetILNS1_3genE8ELNS1_11target_archE1030ELNS1_3gpuE2ELNS1_3repE0EEENS1_30default_config_static_selectorELNS0_4arch9wavefront6targetE1EEEvT1_,@function
_ZN7rocprim17ROCPRIM_400000_NS6detail17trampoline_kernelINS0_14default_configENS1_25partition_config_selectorILNS1_17partition_subalgoE8EdNS0_10empty_typeEbEEZZNS1_14partition_implILS5_8ELb0ES3_jN6thrust23THRUST_200600_302600_NS6detail15normal_iteratorINSA_10device_ptrIdEEEEPS6_PKS6_NS0_5tupleIJSF_S6_EEENSJ_IJSG_SG_EEENS0_18inequality_wrapperINSA_8equal_toIdEEEEPmJS6_EEE10hipError_tPvRmT3_T4_T5_T6_T7_T9_mT8_P12ihipStream_tbDpT10_ENKUlT_T0_E_clISt17integral_constantIbLb1EES1A_EEDaS15_S16_EUlS15_E_NS1_11comp_targetILNS1_3genE8ELNS1_11target_archE1030ELNS1_3gpuE2ELNS1_3repE0EEENS1_30default_config_static_selectorELNS0_4arch9wavefront6targetE1EEEvT1_: ; @_ZN7rocprim17ROCPRIM_400000_NS6detail17trampoline_kernelINS0_14default_configENS1_25partition_config_selectorILNS1_17partition_subalgoE8EdNS0_10empty_typeEbEEZZNS1_14partition_implILS5_8ELb0ES3_jN6thrust23THRUST_200600_302600_NS6detail15normal_iteratorINSA_10device_ptrIdEEEEPS6_PKS6_NS0_5tupleIJSF_S6_EEENSJ_IJSG_SG_EEENS0_18inequality_wrapperINSA_8equal_toIdEEEEPmJS6_EEE10hipError_tPvRmT3_T4_T5_T6_T7_T9_mT8_P12ihipStream_tbDpT10_ENKUlT_T0_E_clISt17integral_constantIbLb1EES1A_EEDaS15_S16_EUlS15_E_NS1_11comp_targetILNS1_3genE8ELNS1_11target_archE1030ELNS1_3gpuE2ELNS1_3repE0EEENS1_30default_config_static_selectorELNS0_4arch9wavefront6targetE1EEEvT1_
; %bb.0:
	.section	.rodata,"a",@progbits
	.p2align	6, 0x0
	.amdhsa_kernel _ZN7rocprim17ROCPRIM_400000_NS6detail17trampoline_kernelINS0_14default_configENS1_25partition_config_selectorILNS1_17partition_subalgoE8EdNS0_10empty_typeEbEEZZNS1_14partition_implILS5_8ELb0ES3_jN6thrust23THRUST_200600_302600_NS6detail15normal_iteratorINSA_10device_ptrIdEEEEPS6_PKS6_NS0_5tupleIJSF_S6_EEENSJ_IJSG_SG_EEENS0_18inequality_wrapperINSA_8equal_toIdEEEEPmJS6_EEE10hipError_tPvRmT3_T4_T5_T6_T7_T9_mT8_P12ihipStream_tbDpT10_ENKUlT_T0_E_clISt17integral_constantIbLb1EES1A_EEDaS15_S16_EUlS15_E_NS1_11comp_targetILNS1_3genE8ELNS1_11target_archE1030ELNS1_3gpuE2ELNS1_3repE0EEENS1_30default_config_static_selectorELNS0_4arch9wavefront6targetE1EEEvT1_
		.amdhsa_group_segment_fixed_size 0
		.amdhsa_private_segment_fixed_size 0
		.amdhsa_kernarg_size 128
		.amdhsa_user_sgpr_count 6
		.amdhsa_user_sgpr_private_segment_buffer 1
		.amdhsa_user_sgpr_dispatch_ptr 0
		.amdhsa_user_sgpr_queue_ptr 0
		.amdhsa_user_sgpr_kernarg_segment_ptr 1
		.amdhsa_user_sgpr_dispatch_id 0
		.amdhsa_user_sgpr_flat_scratch_init 0
		.amdhsa_user_sgpr_private_segment_size 0
		.amdhsa_uses_dynamic_stack 0
		.amdhsa_system_sgpr_private_segment_wavefront_offset 0
		.amdhsa_system_sgpr_workgroup_id_x 1
		.amdhsa_system_sgpr_workgroup_id_y 0
		.amdhsa_system_sgpr_workgroup_id_z 0
		.amdhsa_system_sgpr_workgroup_info 0
		.amdhsa_system_vgpr_workitem_id 0
		.amdhsa_next_free_vgpr 1
		.amdhsa_next_free_sgpr 0
		.amdhsa_reserve_vcc 0
		.amdhsa_reserve_flat_scratch 0
		.amdhsa_float_round_mode_32 0
		.amdhsa_float_round_mode_16_64 0
		.amdhsa_float_denorm_mode_32 3
		.amdhsa_float_denorm_mode_16_64 3
		.amdhsa_dx10_clamp 1
		.amdhsa_ieee_mode 1
		.amdhsa_fp16_overflow 0
		.amdhsa_exception_fp_ieee_invalid_op 0
		.amdhsa_exception_fp_denorm_src 0
		.amdhsa_exception_fp_ieee_div_zero 0
		.amdhsa_exception_fp_ieee_overflow 0
		.amdhsa_exception_fp_ieee_underflow 0
		.amdhsa_exception_fp_ieee_inexact 0
		.amdhsa_exception_int_div_zero 0
	.end_amdhsa_kernel
	.section	.text._ZN7rocprim17ROCPRIM_400000_NS6detail17trampoline_kernelINS0_14default_configENS1_25partition_config_selectorILNS1_17partition_subalgoE8EdNS0_10empty_typeEbEEZZNS1_14partition_implILS5_8ELb0ES3_jN6thrust23THRUST_200600_302600_NS6detail15normal_iteratorINSA_10device_ptrIdEEEEPS6_PKS6_NS0_5tupleIJSF_S6_EEENSJ_IJSG_SG_EEENS0_18inequality_wrapperINSA_8equal_toIdEEEEPmJS6_EEE10hipError_tPvRmT3_T4_T5_T6_T7_T9_mT8_P12ihipStream_tbDpT10_ENKUlT_T0_E_clISt17integral_constantIbLb1EES1A_EEDaS15_S16_EUlS15_E_NS1_11comp_targetILNS1_3genE8ELNS1_11target_archE1030ELNS1_3gpuE2ELNS1_3repE0EEENS1_30default_config_static_selectorELNS0_4arch9wavefront6targetE1EEEvT1_,"axG",@progbits,_ZN7rocprim17ROCPRIM_400000_NS6detail17trampoline_kernelINS0_14default_configENS1_25partition_config_selectorILNS1_17partition_subalgoE8EdNS0_10empty_typeEbEEZZNS1_14partition_implILS5_8ELb0ES3_jN6thrust23THRUST_200600_302600_NS6detail15normal_iteratorINSA_10device_ptrIdEEEEPS6_PKS6_NS0_5tupleIJSF_S6_EEENSJ_IJSG_SG_EEENS0_18inequality_wrapperINSA_8equal_toIdEEEEPmJS6_EEE10hipError_tPvRmT3_T4_T5_T6_T7_T9_mT8_P12ihipStream_tbDpT10_ENKUlT_T0_E_clISt17integral_constantIbLb1EES1A_EEDaS15_S16_EUlS15_E_NS1_11comp_targetILNS1_3genE8ELNS1_11target_archE1030ELNS1_3gpuE2ELNS1_3repE0EEENS1_30default_config_static_selectorELNS0_4arch9wavefront6targetE1EEEvT1_,comdat
.Lfunc_end28:
	.size	_ZN7rocprim17ROCPRIM_400000_NS6detail17trampoline_kernelINS0_14default_configENS1_25partition_config_selectorILNS1_17partition_subalgoE8EdNS0_10empty_typeEbEEZZNS1_14partition_implILS5_8ELb0ES3_jN6thrust23THRUST_200600_302600_NS6detail15normal_iteratorINSA_10device_ptrIdEEEEPS6_PKS6_NS0_5tupleIJSF_S6_EEENSJ_IJSG_SG_EEENS0_18inequality_wrapperINSA_8equal_toIdEEEEPmJS6_EEE10hipError_tPvRmT3_T4_T5_T6_T7_T9_mT8_P12ihipStream_tbDpT10_ENKUlT_T0_E_clISt17integral_constantIbLb1EES1A_EEDaS15_S16_EUlS15_E_NS1_11comp_targetILNS1_3genE8ELNS1_11target_archE1030ELNS1_3gpuE2ELNS1_3repE0EEENS1_30default_config_static_selectorELNS0_4arch9wavefront6targetE1EEEvT1_, .Lfunc_end28-_ZN7rocprim17ROCPRIM_400000_NS6detail17trampoline_kernelINS0_14default_configENS1_25partition_config_selectorILNS1_17partition_subalgoE8EdNS0_10empty_typeEbEEZZNS1_14partition_implILS5_8ELb0ES3_jN6thrust23THRUST_200600_302600_NS6detail15normal_iteratorINSA_10device_ptrIdEEEEPS6_PKS6_NS0_5tupleIJSF_S6_EEENSJ_IJSG_SG_EEENS0_18inequality_wrapperINSA_8equal_toIdEEEEPmJS6_EEE10hipError_tPvRmT3_T4_T5_T6_T7_T9_mT8_P12ihipStream_tbDpT10_ENKUlT_T0_E_clISt17integral_constantIbLb1EES1A_EEDaS15_S16_EUlS15_E_NS1_11comp_targetILNS1_3genE8ELNS1_11target_archE1030ELNS1_3gpuE2ELNS1_3repE0EEENS1_30default_config_static_selectorELNS0_4arch9wavefront6targetE1EEEvT1_
                                        ; -- End function
	.set _ZN7rocprim17ROCPRIM_400000_NS6detail17trampoline_kernelINS0_14default_configENS1_25partition_config_selectorILNS1_17partition_subalgoE8EdNS0_10empty_typeEbEEZZNS1_14partition_implILS5_8ELb0ES3_jN6thrust23THRUST_200600_302600_NS6detail15normal_iteratorINSA_10device_ptrIdEEEEPS6_PKS6_NS0_5tupleIJSF_S6_EEENSJ_IJSG_SG_EEENS0_18inequality_wrapperINSA_8equal_toIdEEEEPmJS6_EEE10hipError_tPvRmT3_T4_T5_T6_T7_T9_mT8_P12ihipStream_tbDpT10_ENKUlT_T0_E_clISt17integral_constantIbLb1EES1A_EEDaS15_S16_EUlS15_E_NS1_11comp_targetILNS1_3genE8ELNS1_11target_archE1030ELNS1_3gpuE2ELNS1_3repE0EEENS1_30default_config_static_selectorELNS0_4arch9wavefront6targetE1EEEvT1_.num_vgpr, 0
	.set _ZN7rocprim17ROCPRIM_400000_NS6detail17trampoline_kernelINS0_14default_configENS1_25partition_config_selectorILNS1_17partition_subalgoE8EdNS0_10empty_typeEbEEZZNS1_14partition_implILS5_8ELb0ES3_jN6thrust23THRUST_200600_302600_NS6detail15normal_iteratorINSA_10device_ptrIdEEEEPS6_PKS6_NS0_5tupleIJSF_S6_EEENSJ_IJSG_SG_EEENS0_18inequality_wrapperINSA_8equal_toIdEEEEPmJS6_EEE10hipError_tPvRmT3_T4_T5_T6_T7_T9_mT8_P12ihipStream_tbDpT10_ENKUlT_T0_E_clISt17integral_constantIbLb1EES1A_EEDaS15_S16_EUlS15_E_NS1_11comp_targetILNS1_3genE8ELNS1_11target_archE1030ELNS1_3gpuE2ELNS1_3repE0EEENS1_30default_config_static_selectorELNS0_4arch9wavefront6targetE1EEEvT1_.num_agpr, 0
	.set _ZN7rocprim17ROCPRIM_400000_NS6detail17trampoline_kernelINS0_14default_configENS1_25partition_config_selectorILNS1_17partition_subalgoE8EdNS0_10empty_typeEbEEZZNS1_14partition_implILS5_8ELb0ES3_jN6thrust23THRUST_200600_302600_NS6detail15normal_iteratorINSA_10device_ptrIdEEEEPS6_PKS6_NS0_5tupleIJSF_S6_EEENSJ_IJSG_SG_EEENS0_18inequality_wrapperINSA_8equal_toIdEEEEPmJS6_EEE10hipError_tPvRmT3_T4_T5_T6_T7_T9_mT8_P12ihipStream_tbDpT10_ENKUlT_T0_E_clISt17integral_constantIbLb1EES1A_EEDaS15_S16_EUlS15_E_NS1_11comp_targetILNS1_3genE8ELNS1_11target_archE1030ELNS1_3gpuE2ELNS1_3repE0EEENS1_30default_config_static_selectorELNS0_4arch9wavefront6targetE1EEEvT1_.numbered_sgpr, 0
	.set _ZN7rocprim17ROCPRIM_400000_NS6detail17trampoline_kernelINS0_14default_configENS1_25partition_config_selectorILNS1_17partition_subalgoE8EdNS0_10empty_typeEbEEZZNS1_14partition_implILS5_8ELb0ES3_jN6thrust23THRUST_200600_302600_NS6detail15normal_iteratorINSA_10device_ptrIdEEEEPS6_PKS6_NS0_5tupleIJSF_S6_EEENSJ_IJSG_SG_EEENS0_18inequality_wrapperINSA_8equal_toIdEEEEPmJS6_EEE10hipError_tPvRmT3_T4_T5_T6_T7_T9_mT8_P12ihipStream_tbDpT10_ENKUlT_T0_E_clISt17integral_constantIbLb1EES1A_EEDaS15_S16_EUlS15_E_NS1_11comp_targetILNS1_3genE8ELNS1_11target_archE1030ELNS1_3gpuE2ELNS1_3repE0EEENS1_30default_config_static_selectorELNS0_4arch9wavefront6targetE1EEEvT1_.num_named_barrier, 0
	.set _ZN7rocprim17ROCPRIM_400000_NS6detail17trampoline_kernelINS0_14default_configENS1_25partition_config_selectorILNS1_17partition_subalgoE8EdNS0_10empty_typeEbEEZZNS1_14partition_implILS5_8ELb0ES3_jN6thrust23THRUST_200600_302600_NS6detail15normal_iteratorINSA_10device_ptrIdEEEEPS6_PKS6_NS0_5tupleIJSF_S6_EEENSJ_IJSG_SG_EEENS0_18inequality_wrapperINSA_8equal_toIdEEEEPmJS6_EEE10hipError_tPvRmT3_T4_T5_T6_T7_T9_mT8_P12ihipStream_tbDpT10_ENKUlT_T0_E_clISt17integral_constantIbLb1EES1A_EEDaS15_S16_EUlS15_E_NS1_11comp_targetILNS1_3genE8ELNS1_11target_archE1030ELNS1_3gpuE2ELNS1_3repE0EEENS1_30default_config_static_selectorELNS0_4arch9wavefront6targetE1EEEvT1_.private_seg_size, 0
	.set _ZN7rocprim17ROCPRIM_400000_NS6detail17trampoline_kernelINS0_14default_configENS1_25partition_config_selectorILNS1_17partition_subalgoE8EdNS0_10empty_typeEbEEZZNS1_14partition_implILS5_8ELb0ES3_jN6thrust23THRUST_200600_302600_NS6detail15normal_iteratorINSA_10device_ptrIdEEEEPS6_PKS6_NS0_5tupleIJSF_S6_EEENSJ_IJSG_SG_EEENS0_18inequality_wrapperINSA_8equal_toIdEEEEPmJS6_EEE10hipError_tPvRmT3_T4_T5_T6_T7_T9_mT8_P12ihipStream_tbDpT10_ENKUlT_T0_E_clISt17integral_constantIbLb1EES1A_EEDaS15_S16_EUlS15_E_NS1_11comp_targetILNS1_3genE8ELNS1_11target_archE1030ELNS1_3gpuE2ELNS1_3repE0EEENS1_30default_config_static_selectorELNS0_4arch9wavefront6targetE1EEEvT1_.uses_vcc, 0
	.set _ZN7rocprim17ROCPRIM_400000_NS6detail17trampoline_kernelINS0_14default_configENS1_25partition_config_selectorILNS1_17partition_subalgoE8EdNS0_10empty_typeEbEEZZNS1_14partition_implILS5_8ELb0ES3_jN6thrust23THRUST_200600_302600_NS6detail15normal_iteratorINSA_10device_ptrIdEEEEPS6_PKS6_NS0_5tupleIJSF_S6_EEENSJ_IJSG_SG_EEENS0_18inequality_wrapperINSA_8equal_toIdEEEEPmJS6_EEE10hipError_tPvRmT3_T4_T5_T6_T7_T9_mT8_P12ihipStream_tbDpT10_ENKUlT_T0_E_clISt17integral_constantIbLb1EES1A_EEDaS15_S16_EUlS15_E_NS1_11comp_targetILNS1_3genE8ELNS1_11target_archE1030ELNS1_3gpuE2ELNS1_3repE0EEENS1_30default_config_static_selectorELNS0_4arch9wavefront6targetE1EEEvT1_.uses_flat_scratch, 0
	.set _ZN7rocprim17ROCPRIM_400000_NS6detail17trampoline_kernelINS0_14default_configENS1_25partition_config_selectorILNS1_17partition_subalgoE8EdNS0_10empty_typeEbEEZZNS1_14partition_implILS5_8ELb0ES3_jN6thrust23THRUST_200600_302600_NS6detail15normal_iteratorINSA_10device_ptrIdEEEEPS6_PKS6_NS0_5tupleIJSF_S6_EEENSJ_IJSG_SG_EEENS0_18inequality_wrapperINSA_8equal_toIdEEEEPmJS6_EEE10hipError_tPvRmT3_T4_T5_T6_T7_T9_mT8_P12ihipStream_tbDpT10_ENKUlT_T0_E_clISt17integral_constantIbLb1EES1A_EEDaS15_S16_EUlS15_E_NS1_11comp_targetILNS1_3genE8ELNS1_11target_archE1030ELNS1_3gpuE2ELNS1_3repE0EEENS1_30default_config_static_selectorELNS0_4arch9wavefront6targetE1EEEvT1_.has_dyn_sized_stack, 0
	.set _ZN7rocprim17ROCPRIM_400000_NS6detail17trampoline_kernelINS0_14default_configENS1_25partition_config_selectorILNS1_17partition_subalgoE8EdNS0_10empty_typeEbEEZZNS1_14partition_implILS5_8ELb0ES3_jN6thrust23THRUST_200600_302600_NS6detail15normal_iteratorINSA_10device_ptrIdEEEEPS6_PKS6_NS0_5tupleIJSF_S6_EEENSJ_IJSG_SG_EEENS0_18inequality_wrapperINSA_8equal_toIdEEEEPmJS6_EEE10hipError_tPvRmT3_T4_T5_T6_T7_T9_mT8_P12ihipStream_tbDpT10_ENKUlT_T0_E_clISt17integral_constantIbLb1EES1A_EEDaS15_S16_EUlS15_E_NS1_11comp_targetILNS1_3genE8ELNS1_11target_archE1030ELNS1_3gpuE2ELNS1_3repE0EEENS1_30default_config_static_selectorELNS0_4arch9wavefront6targetE1EEEvT1_.has_recursion, 0
	.set _ZN7rocprim17ROCPRIM_400000_NS6detail17trampoline_kernelINS0_14default_configENS1_25partition_config_selectorILNS1_17partition_subalgoE8EdNS0_10empty_typeEbEEZZNS1_14partition_implILS5_8ELb0ES3_jN6thrust23THRUST_200600_302600_NS6detail15normal_iteratorINSA_10device_ptrIdEEEEPS6_PKS6_NS0_5tupleIJSF_S6_EEENSJ_IJSG_SG_EEENS0_18inequality_wrapperINSA_8equal_toIdEEEEPmJS6_EEE10hipError_tPvRmT3_T4_T5_T6_T7_T9_mT8_P12ihipStream_tbDpT10_ENKUlT_T0_E_clISt17integral_constantIbLb1EES1A_EEDaS15_S16_EUlS15_E_NS1_11comp_targetILNS1_3genE8ELNS1_11target_archE1030ELNS1_3gpuE2ELNS1_3repE0EEENS1_30default_config_static_selectorELNS0_4arch9wavefront6targetE1EEEvT1_.has_indirect_call, 0
	.section	.AMDGPU.csdata,"",@progbits
; Kernel info:
; codeLenInByte = 0
; TotalNumSgprs: 4
; NumVgprs: 0
; ScratchSize: 0
; MemoryBound: 0
; FloatMode: 240
; IeeeMode: 1
; LDSByteSize: 0 bytes/workgroup (compile time only)
; SGPRBlocks: 0
; VGPRBlocks: 0
; NumSGPRsForWavesPerEU: 4
; NumVGPRsForWavesPerEU: 1
; Occupancy: 10
; WaveLimiterHint : 0
; COMPUTE_PGM_RSRC2:SCRATCH_EN: 0
; COMPUTE_PGM_RSRC2:USER_SGPR: 6
; COMPUTE_PGM_RSRC2:TRAP_HANDLER: 0
; COMPUTE_PGM_RSRC2:TGID_X_EN: 1
; COMPUTE_PGM_RSRC2:TGID_Y_EN: 0
; COMPUTE_PGM_RSRC2:TGID_Z_EN: 0
; COMPUTE_PGM_RSRC2:TIDIG_COMP_CNT: 0
	.section	.text._ZN7rocprim17ROCPRIM_400000_NS6detail31init_lookback_scan_state_kernelINS1_19lookback_scan_stateIjLb1ELb1EEENS1_16block_id_wrapperIjLb0EEEEEvT_jT0_jPNS7_10value_typeE,"axG",@progbits,_ZN7rocprim17ROCPRIM_400000_NS6detail31init_lookback_scan_state_kernelINS1_19lookback_scan_stateIjLb1ELb1EEENS1_16block_id_wrapperIjLb0EEEEEvT_jT0_jPNS7_10value_typeE,comdat
	.protected	_ZN7rocprim17ROCPRIM_400000_NS6detail31init_lookback_scan_state_kernelINS1_19lookback_scan_stateIjLb1ELb1EEENS1_16block_id_wrapperIjLb0EEEEEvT_jT0_jPNS7_10value_typeE ; -- Begin function _ZN7rocprim17ROCPRIM_400000_NS6detail31init_lookback_scan_state_kernelINS1_19lookback_scan_stateIjLb1ELb1EEENS1_16block_id_wrapperIjLb0EEEEEvT_jT0_jPNS7_10value_typeE
	.globl	_ZN7rocprim17ROCPRIM_400000_NS6detail31init_lookback_scan_state_kernelINS1_19lookback_scan_stateIjLb1ELb1EEENS1_16block_id_wrapperIjLb0EEEEEvT_jT0_jPNS7_10value_typeE
	.p2align	8
	.type	_ZN7rocprim17ROCPRIM_400000_NS6detail31init_lookback_scan_state_kernelINS1_19lookback_scan_stateIjLb1ELb1EEENS1_16block_id_wrapperIjLb0EEEEEvT_jT0_jPNS7_10value_typeE,@function
_ZN7rocprim17ROCPRIM_400000_NS6detail31init_lookback_scan_state_kernelINS1_19lookback_scan_stateIjLb1ELb1EEENS1_16block_id_wrapperIjLb0EEEEEvT_jT0_jPNS7_10value_typeE: ; @_ZN7rocprim17ROCPRIM_400000_NS6detail31init_lookback_scan_state_kernelINS1_19lookback_scan_stateIjLb1ELb1EEENS1_16block_id_wrapperIjLb0EEEEEvT_jT0_jPNS7_10value_typeE
; %bb.0:
	s_load_dword s7, s[4:5], 0x2c
	s_load_dwordx2 s[2:3], s[4:5], 0x18
	s_load_dwordx2 s[0:1], s[4:5], 0x0
	s_load_dword s8, s[4:5], 0x8
	s_waitcnt lgkmcnt(0)
	s_and_b32 s7, s7, 0xffff
	s_mul_i32 s6, s6, s7
	s_cmp_eq_u64 s[2:3], 0
	v_add_u32_e32 v0, s6, v0
	s_cbranch_scc1 .LBB29_9
; %bb.1:
	s_load_dword s6, s[4:5], 0x10
	s_mov_b32 s7, 0
	s_waitcnt lgkmcnt(0)
	s_cmp_lt_u32 s6, s8
	s_cselect_b32 s4, s6, 0
	v_cmp_eq_u32_e32 vcc, s4, v0
	s_and_saveexec_b64 s[4:5], vcc
	s_cbranch_execz .LBB29_8
; %bb.2:
	s_add_i32 s6, s6, 64
	s_lshl_b64 s[6:7], s[6:7], 3
	s_add_u32 s6, s0, s6
	s_addc_u32 s7, s1, s7
	v_mov_b32_e32 v1, 0
	global_load_dwordx2 v[3:4], v1, s[6:7] glc
	s_waitcnt vmcnt(0)
	v_and_b32_e32 v2, 0xff, v4
	v_cmp_ne_u64_e32 vcc, 0, v[1:2]
	s_cbranch_vccnz .LBB29_7
; %bb.3:
	s_mov_b32 s9, 1
.LBB29_4:                               ; =>This Loop Header: Depth=1
                                        ;     Child Loop BB29_5 Depth 2
	s_mov_b32 s10, s9
.LBB29_5:                               ;   Parent Loop BB29_4 Depth=1
                                        ; =>  This Inner Loop Header: Depth=2
	s_add_i32 s10, s10, -1
	s_cmp_eq_u32 s10, 0
	s_sleep 1
	s_cbranch_scc0 .LBB29_5
; %bb.6:                                ;   in Loop: Header=BB29_4 Depth=1
	global_load_dwordx2 v[3:4], v1, s[6:7] glc
	s_cmp_lt_u32 s9, 32
	s_cselect_b64 s[10:11], -1, 0
	s_cmp_lg_u64 s[10:11], 0
	s_addc_u32 s9, s9, 0
	s_waitcnt vmcnt(0)
	v_and_b32_e32 v2, 0xff, v4
	v_cmp_ne_u64_e32 vcc, 0, v[1:2]
	s_cbranch_vccz .LBB29_4
.LBB29_7:
	v_mov_b32_e32 v1, 0
	global_store_dword v1, v3, s[2:3]
.LBB29_8:
	s_or_b64 exec, exec, s[4:5]
.LBB29_9:
	v_cmp_gt_u32_e32 vcc, s8, v0
	s_and_saveexec_b64 s[2:3], vcc
	s_cbranch_execnz .LBB29_12
; %bb.10:
	s_or_b64 exec, exec, s[2:3]
	v_cmp_gt_u32_e32 vcc, 64, v0
	s_and_saveexec_b64 s[2:3], vcc
	s_cbranch_execnz .LBB29_13
.LBB29_11:
	s_endpgm
.LBB29_12:
	v_add_u32_e32 v1, 64, v0
	v_mov_b32_e32 v2, 0
	v_lshlrev_b64 v[3:4], 3, v[1:2]
	v_mov_b32_e32 v1, s1
	v_add_co_u32_e32 v3, vcc, s0, v3
	v_addc_co_u32_e32 v4, vcc, v1, v4, vcc
	v_mov_b32_e32 v1, v2
	global_store_dwordx2 v[3:4], v[1:2], off
	s_or_b64 exec, exec, s[2:3]
	v_cmp_gt_u32_e32 vcc, 64, v0
	s_and_saveexec_b64 s[2:3], vcc
	s_cbranch_execz .LBB29_11
.LBB29_13:
	v_mov_b32_e32 v1, 0
	v_lshlrev_b64 v[2:3], 3, v[0:1]
	v_mov_b32_e32 v0, s1
	v_add_co_u32_e32 v2, vcc, s0, v2
	v_addc_co_u32_e32 v3, vcc, v0, v3, vcc
	v_mov_b32_e32 v5, 0xff
	v_mov_b32_e32 v4, v1
	global_store_dwordx2 v[2:3], v[4:5], off
	s_endpgm
	.section	.rodata,"a",@progbits
	.p2align	6, 0x0
	.amdhsa_kernel _ZN7rocprim17ROCPRIM_400000_NS6detail31init_lookback_scan_state_kernelINS1_19lookback_scan_stateIjLb1ELb1EEENS1_16block_id_wrapperIjLb0EEEEEvT_jT0_jPNS7_10value_typeE
		.amdhsa_group_segment_fixed_size 0
		.amdhsa_private_segment_fixed_size 0
		.amdhsa_kernarg_size 288
		.amdhsa_user_sgpr_count 6
		.amdhsa_user_sgpr_private_segment_buffer 1
		.amdhsa_user_sgpr_dispatch_ptr 0
		.amdhsa_user_sgpr_queue_ptr 0
		.amdhsa_user_sgpr_kernarg_segment_ptr 1
		.amdhsa_user_sgpr_dispatch_id 0
		.amdhsa_user_sgpr_flat_scratch_init 0
		.amdhsa_user_sgpr_private_segment_size 0
		.amdhsa_uses_dynamic_stack 0
		.amdhsa_system_sgpr_private_segment_wavefront_offset 0
		.amdhsa_system_sgpr_workgroup_id_x 1
		.amdhsa_system_sgpr_workgroup_id_y 0
		.amdhsa_system_sgpr_workgroup_id_z 0
		.amdhsa_system_sgpr_workgroup_info 0
		.amdhsa_system_vgpr_workitem_id 0
		.amdhsa_next_free_vgpr 6
		.amdhsa_next_free_sgpr 12
		.amdhsa_reserve_vcc 1
		.amdhsa_reserve_flat_scratch 0
		.amdhsa_float_round_mode_32 0
		.amdhsa_float_round_mode_16_64 0
		.amdhsa_float_denorm_mode_32 3
		.amdhsa_float_denorm_mode_16_64 3
		.amdhsa_dx10_clamp 1
		.amdhsa_ieee_mode 1
		.amdhsa_fp16_overflow 0
		.amdhsa_exception_fp_ieee_invalid_op 0
		.amdhsa_exception_fp_denorm_src 0
		.amdhsa_exception_fp_ieee_div_zero 0
		.amdhsa_exception_fp_ieee_overflow 0
		.amdhsa_exception_fp_ieee_underflow 0
		.amdhsa_exception_fp_ieee_inexact 0
		.amdhsa_exception_int_div_zero 0
	.end_amdhsa_kernel
	.section	.text._ZN7rocprim17ROCPRIM_400000_NS6detail31init_lookback_scan_state_kernelINS1_19lookback_scan_stateIjLb1ELb1EEENS1_16block_id_wrapperIjLb0EEEEEvT_jT0_jPNS7_10value_typeE,"axG",@progbits,_ZN7rocprim17ROCPRIM_400000_NS6detail31init_lookback_scan_state_kernelINS1_19lookback_scan_stateIjLb1ELb1EEENS1_16block_id_wrapperIjLb0EEEEEvT_jT0_jPNS7_10value_typeE,comdat
.Lfunc_end29:
	.size	_ZN7rocprim17ROCPRIM_400000_NS6detail31init_lookback_scan_state_kernelINS1_19lookback_scan_stateIjLb1ELb1EEENS1_16block_id_wrapperIjLb0EEEEEvT_jT0_jPNS7_10value_typeE, .Lfunc_end29-_ZN7rocprim17ROCPRIM_400000_NS6detail31init_lookback_scan_state_kernelINS1_19lookback_scan_stateIjLb1ELb1EEENS1_16block_id_wrapperIjLb0EEEEEvT_jT0_jPNS7_10value_typeE
                                        ; -- End function
	.set _ZN7rocprim17ROCPRIM_400000_NS6detail31init_lookback_scan_state_kernelINS1_19lookback_scan_stateIjLb1ELb1EEENS1_16block_id_wrapperIjLb0EEEEEvT_jT0_jPNS7_10value_typeE.num_vgpr, 6
	.set _ZN7rocprim17ROCPRIM_400000_NS6detail31init_lookback_scan_state_kernelINS1_19lookback_scan_stateIjLb1ELb1EEENS1_16block_id_wrapperIjLb0EEEEEvT_jT0_jPNS7_10value_typeE.num_agpr, 0
	.set _ZN7rocprim17ROCPRIM_400000_NS6detail31init_lookback_scan_state_kernelINS1_19lookback_scan_stateIjLb1ELb1EEENS1_16block_id_wrapperIjLb0EEEEEvT_jT0_jPNS7_10value_typeE.numbered_sgpr, 12
	.set _ZN7rocprim17ROCPRIM_400000_NS6detail31init_lookback_scan_state_kernelINS1_19lookback_scan_stateIjLb1ELb1EEENS1_16block_id_wrapperIjLb0EEEEEvT_jT0_jPNS7_10value_typeE.num_named_barrier, 0
	.set _ZN7rocprim17ROCPRIM_400000_NS6detail31init_lookback_scan_state_kernelINS1_19lookback_scan_stateIjLb1ELb1EEENS1_16block_id_wrapperIjLb0EEEEEvT_jT0_jPNS7_10value_typeE.private_seg_size, 0
	.set _ZN7rocprim17ROCPRIM_400000_NS6detail31init_lookback_scan_state_kernelINS1_19lookback_scan_stateIjLb1ELb1EEENS1_16block_id_wrapperIjLb0EEEEEvT_jT0_jPNS7_10value_typeE.uses_vcc, 1
	.set _ZN7rocprim17ROCPRIM_400000_NS6detail31init_lookback_scan_state_kernelINS1_19lookback_scan_stateIjLb1ELb1EEENS1_16block_id_wrapperIjLb0EEEEEvT_jT0_jPNS7_10value_typeE.uses_flat_scratch, 0
	.set _ZN7rocprim17ROCPRIM_400000_NS6detail31init_lookback_scan_state_kernelINS1_19lookback_scan_stateIjLb1ELb1EEENS1_16block_id_wrapperIjLb0EEEEEvT_jT0_jPNS7_10value_typeE.has_dyn_sized_stack, 0
	.set _ZN7rocprim17ROCPRIM_400000_NS6detail31init_lookback_scan_state_kernelINS1_19lookback_scan_stateIjLb1ELb1EEENS1_16block_id_wrapperIjLb0EEEEEvT_jT0_jPNS7_10value_typeE.has_recursion, 0
	.set _ZN7rocprim17ROCPRIM_400000_NS6detail31init_lookback_scan_state_kernelINS1_19lookback_scan_stateIjLb1ELb1EEENS1_16block_id_wrapperIjLb0EEEEEvT_jT0_jPNS7_10value_typeE.has_indirect_call, 0
	.section	.AMDGPU.csdata,"",@progbits
; Kernel info:
; codeLenInByte = 364
; TotalNumSgprs: 16
; NumVgprs: 6
; ScratchSize: 0
; MemoryBound: 0
; FloatMode: 240
; IeeeMode: 1
; LDSByteSize: 0 bytes/workgroup (compile time only)
; SGPRBlocks: 1
; VGPRBlocks: 1
; NumSGPRsForWavesPerEU: 16
; NumVGPRsForWavesPerEU: 6
; Occupancy: 10
; WaveLimiterHint : 0
; COMPUTE_PGM_RSRC2:SCRATCH_EN: 0
; COMPUTE_PGM_RSRC2:USER_SGPR: 6
; COMPUTE_PGM_RSRC2:TRAP_HANDLER: 0
; COMPUTE_PGM_RSRC2:TGID_X_EN: 1
; COMPUTE_PGM_RSRC2:TGID_Y_EN: 0
; COMPUTE_PGM_RSRC2:TGID_Z_EN: 0
; COMPUTE_PGM_RSRC2:TIDIG_COMP_CNT: 0
	.section	.text._ZN7rocprim17ROCPRIM_400000_NS6detail17trampoline_kernelINS0_14default_configENS1_25partition_config_selectorILNS1_17partition_subalgoE8EdNS0_10empty_typeEbEEZZNS1_14partition_implILS5_8ELb0ES3_jN6thrust23THRUST_200600_302600_NS6detail15normal_iteratorINSA_10device_ptrIdEEEEPS6_PKS6_NS0_5tupleIJSF_S6_EEENSJ_IJSG_SG_EEENS0_18inequality_wrapperINSA_8equal_toIdEEEEPmJS6_EEE10hipError_tPvRmT3_T4_T5_T6_T7_T9_mT8_P12ihipStream_tbDpT10_ENKUlT_T0_E_clISt17integral_constantIbLb1EES19_IbLb0EEEEDaS15_S16_EUlS15_E_NS1_11comp_targetILNS1_3genE0ELNS1_11target_archE4294967295ELNS1_3gpuE0ELNS1_3repE0EEENS1_30default_config_static_selectorELNS0_4arch9wavefront6targetE1EEEvT1_,"axG",@progbits,_ZN7rocprim17ROCPRIM_400000_NS6detail17trampoline_kernelINS0_14default_configENS1_25partition_config_selectorILNS1_17partition_subalgoE8EdNS0_10empty_typeEbEEZZNS1_14partition_implILS5_8ELb0ES3_jN6thrust23THRUST_200600_302600_NS6detail15normal_iteratorINSA_10device_ptrIdEEEEPS6_PKS6_NS0_5tupleIJSF_S6_EEENSJ_IJSG_SG_EEENS0_18inequality_wrapperINSA_8equal_toIdEEEEPmJS6_EEE10hipError_tPvRmT3_T4_T5_T6_T7_T9_mT8_P12ihipStream_tbDpT10_ENKUlT_T0_E_clISt17integral_constantIbLb1EES19_IbLb0EEEEDaS15_S16_EUlS15_E_NS1_11comp_targetILNS1_3genE0ELNS1_11target_archE4294967295ELNS1_3gpuE0ELNS1_3repE0EEENS1_30default_config_static_selectorELNS0_4arch9wavefront6targetE1EEEvT1_,comdat
	.protected	_ZN7rocprim17ROCPRIM_400000_NS6detail17trampoline_kernelINS0_14default_configENS1_25partition_config_selectorILNS1_17partition_subalgoE8EdNS0_10empty_typeEbEEZZNS1_14partition_implILS5_8ELb0ES3_jN6thrust23THRUST_200600_302600_NS6detail15normal_iteratorINSA_10device_ptrIdEEEEPS6_PKS6_NS0_5tupleIJSF_S6_EEENSJ_IJSG_SG_EEENS0_18inequality_wrapperINSA_8equal_toIdEEEEPmJS6_EEE10hipError_tPvRmT3_T4_T5_T6_T7_T9_mT8_P12ihipStream_tbDpT10_ENKUlT_T0_E_clISt17integral_constantIbLb1EES19_IbLb0EEEEDaS15_S16_EUlS15_E_NS1_11comp_targetILNS1_3genE0ELNS1_11target_archE4294967295ELNS1_3gpuE0ELNS1_3repE0EEENS1_30default_config_static_selectorELNS0_4arch9wavefront6targetE1EEEvT1_ ; -- Begin function _ZN7rocprim17ROCPRIM_400000_NS6detail17trampoline_kernelINS0_14default_configENS1_25partition_config_selectorILNS1_17partition_subalgoE8EdNS0_10empty_typeEbEEZZNS1_14partition_implILS5_8ELb0ES3_jN6thrust23THRUST_200600_302600_NS6detail15normal_iteratorINSA_10device_ptrIdEEEEPS6_PKS6_NS0_5tupleIJSF_S6_EEENSJ_IJSG_SG_EEENS0_18inequality_wrapperINSA_8equal_toIdEEEEPmJS6_EEE10hipError_tPvRmT3_T4_T5_T6_T7_T9_mT8_P12ihipStream_tbDpT10_ENKUlT_T0_E_clISt17integral_constantIbLb1EES19_IbLb0EEEEDaS15_S16_EUlS15_E_NS1_11comp_targetILNS1_3genE0ELNS1_11target_archE4294967295ELNS1_3gpuE0ELNS1_3repE0EEENS1_30default_config_static_selectorELNS0_4arch9wavefront6targetE1EEEvT1_
	.globl	_ZN7rocprim17ROCPRIM_400000_NS6detail17trampoline_kernelINS0_14default_configENS1_25partition_config_selectorILNS1_17partition_subalgoE8EdNS0_10empty_typeEbEEZZNS1_14partition_implILS5_8ELb0ES3_jN6thrust23THRUST_200600_302600_NS6detail15normal_iteratorINSA_10device_ptrIdEEEEPS6_PKS6_NS0_5tupleIJSF_S6_EEENSJ_IJSG_SG_EEENS0_18inequality_wrapperINSA_8equal_toIdEEEEPmJS6_EEE10hipError_tPvRmT3_T4_T5_T6_T7_T9_mT8_P12ihipStream_tbDpT10_ENKUlT_T0_E_clISt17integral_constantIbLb1EES19_IbLb0EEEEDaS15_S16_EUlS15_E_NS1_11comp_targetILNS1_3genE0ELNS1_11target_archE4294967295ELNS1_3gpuE0ELNS1_3repE0EEENS1_30default_config_static_selectorELNS0_4arch9wavefront6targetE1EEEvT1_
	.p2align	8
	.type	_ZN7rocprim17ROCPRIM_400000_NS6detail17trampoline_kernelINS0_14default_configENS1_25partition_config_selectorILNS1_17partition_subalgoE8EdNS0_10empty_typeEbEEZZNS1_14partition_implILS5_8ELb0ES3_jN6thrust23THRUST_200600_302600_NS6detail15normal_iteratorINSA_10device_ptrIdEEEEPS6_PKS6_NS0_5tupleIJSF_S6_EEENSJ_IJSG_SG_EEENS0_18inequality_wrapperINSA_8equal_toIdEEEEPmJS6_EEE10hipError_tPvRmT3_T4_T5_T6_T7_T9_mT8_P12ihipStream_tbDpT10_ENKUlT_T0_E_clISt17integral_constantIbLb1EES19_IbLb0EEEEDaS15_S16_EUlS15_E_NS1_11comp_targetILNS1_3genE0ELNS1_11target_archE4294967295ELNS1_3gpuE0ELNS1_3repE0EEENS1_30default_config_static_selectorELNS0_4arch9wavefront6targetE1EEEvT1_,@function
_ZN7rocprim17ROCPRIM_400000_NS6detail17trampoline_kernelINS0_14default_configENS1_25partition_config_selectorILNS1_17partition_subalgoE8EdNS0_10empty_typeEbEEZZNS1_14partition_implILS5_8ELb0ES3_jN6thrust23THRUST_200600_302600_NS6detail15normal_iteratorINSA_10device_ptrIdEEEEPS6_PKS6_NS0_5tupleIJSF_S6_EEENSJ_IJSG_SG_EEENS0_18inequality_wrapperINSA_8equal_toIdEEEEPmJS6_EEE10hipError_tPvRmT3_T4_T5_T6_T7_T9_mT8_P12ihipStream_tbDpT10_ENKUlT_T0_E_clISt17integral_constantIbLb1EES19_IbLb0EEEEDaS15_S16_EUlS15_E_NS1_11comp_targetILNS1_3genE0ELNS1_11target_archE4294967295ELNS1_3gpuE0ELNS1_3repE0EEENS1_30default_config_static_selectorELNS0_4arch9wavefront6targetE1EEEvT1_: ; @_ZN7rocprim17ROCPRIM_400000_NS6detail17trampoline_kernelINS0_14default_configENS1_25partition_config_selectorILNS1_17partition_subalgoE8EdNS0_10empty_typeEbEEZZNS1_14partition_implILS5_8ELb0ES3_jN6thrust23THRUST_200600_302600_NS6detail15normal_iteratorINSA_10device_ptrIdEEEEPS6_PKS6_NS0_5tupleIJSF_S6_EEENSJ_IJSG_SG_EEENS0_18inequality_wrapperINSA_8equal_toIdEEEEPmJS6_EEE10hipError_tPvRmT3_T4_T5_T6_T7_T9_mT8_P12ihipStream_tbDpT10_ENKUlT_T0_E_clISt17integral_constantIbLb1EES19_IbLb0EEEEDaS15_S16_EUlS15_E_NS1_11comp_targetILNS1_3genE0ELNS1_11target_archE4294967295ELNS1_3gpuE0ELNS1_3repE0EEENS1_30default_config_static_selectorELNS0_4arch9wavefront6targetE1EEEvT1_
; %bb.0:
	.section	.rodata,"a",@progbits
	.p2align	6, 0x0
	.amdhsa_kernel _ZN7rocprim17ROCPRIM_400000_NS6detail17trampoline_kernelINS0_14default_configENS1_25partition_config_selectorILNS1_17partition_subalgoE8EdNS0_10empty_typeEbEEZZNS1_14partition_implILS5_8ELb0ES3_jN6thrust23THRUST_200600_302600_NS6detail15normal_iteratorINSA_10device_ptrIdEEEEPS6_PKS6_NS0_5tupleIJSF_S6_EEENSJ_IJSG_SG_EEENS0_18inequality_wrapperINSA_8equal_toIdEEEEPmJS6_EEE10hipError_tPvRmT3_T4_T5_T6_T7_T9_mT8_P12ihipStream_tbDpT10_ENKUlT_T0_E_clISt17integral_constantIbLb1EES19_IbLb0EEEEDaS15_S16_EUlS15_E_NS1_11comp_targetILNS1_3genE0ELNS1_11target_archE4294967295ELNS1_3gpuE0ELNS1_3repE0EEENS1_30default_config_static_selectorELNS0_4arch9wavefront6targetE1EEEvT1_
		.amdhsa_group_segment_fixed_size 0
		.amdhsa_private_segment_fixed_size 0
		.amdhsa_kernarg_size 112
		.amdhsa_user_sgpr_count 6
		.amdhsa_user_sgpr_private_segment_buffer 1
		.amdhsa_user_sgpr_dispatch_ptr 0
		.amdhsa_user_sgpr_queue_ptr 0
		.amdhsa_user_sgpr_kernarg_segment_ptr 1
		.amdhsa_user_sgpr_dispatch_id 0
		.amdhsa_user_sgpr_flat_scratch_init 0
		.amdhsa_user_sgpr_private_segment_size 0
		.amdhsa_uses_dynamic_stack 0
		.amdhsa_system_sgpr_private_segment_wavefront_offset 0
		.amdhsa_system_sgpr_workgroup_id_x 1
		.amdhsa_system_sgpr_workgroup_id_y 0
		.amdhsa_system_sgpr_workgroup_id_z 0
		.amdhsa_system_sgpr_workgroup_info 0
		.amdhsa_system_vgpr_workitem_id 0
		.amdhsa_next_free_vgpr 1
		.amdhsa_next_free_sgpr 0
		.amdhsa_reserve_vcc 0
		.amdhsa_reserve_flat_scratch 0
		.amdhsa_float_round_mode_32 0
		.amdhsa_float_round_mode_16_64 0
		.amdhsa_float_denorm_mode_32 3
		.amdhsa_float_denorm_mode_16_64 3
		.amdhsa_dx10_clamp 1
		.amdhsa_ieee_mode 1
		.amdhsa_fp16_overflow 0
		.amdhsa_exception_fp_ieee_invalid_op 0
		.amdhsa_exception_fp_denorm_src 0
		.amdhsa_exception_fp_ieee_div_zero 0
		.amdhsa_exception_fp_ieee_overflow 0
		.amdhsa_exception_fp_ieee_underflow 0
		.amdhsa_exception_fp_ieee_inexact 0
		.amdhsa_exception_int_div_zero 0
	.end_amdhsa_kernel
	.section	.text._ZN7rocprim17ROCPRIM_400000_NS6detail17trampoline_kernelINS0_14default_configENS1_25partition_config_selectorILNS1_17partition_subalgoE8EdNS0_10empty_typeEbEEZZNS1_14partition_implILS5_8ELb0ES3_jN6thrust23THRUST_200600_302600_NS6detail15normal_iteratorINSA_10device_ptrIdEEEEPS6_PKS6_NS0_5tupleIJSF_S6_EEENSJ_IJSG_SG_EEENS0_18inequality_wrapperINSA_8equal_toIdEEEEPmJS6_EEE10hipError_tPvRmT3_T4_T5_T6_T7_T9_mT8_P12ihipStream_tbDpT10_ENKUlT_T0_E_clISt17integral_constantIbLb1EES19_IbLb0EEEEDaS15_S16_EUlS15_E_NS1_11comp_targetILNS1_3genE0ELNS1_11target_archE4294967295ELNS1_3gpuE0ELNS1_3repE0EEENS1_30default_config_static_selectorELNS0_4arch9wavefront6targetE1EEEvT1_,"axG",@progbits,_ZN7rocprim17ROCPRIM_400000_NS6detail17trampoline_kernelINS0_14default_configENS1_25partition_config_selectorILNS1_17partition_subalgoE8EdNS0_10empty_typeEbEEZZNS1_14partition_implILS5_8ELb0ES3_jN6thrust23THRUST_200600_302600_NS6detail15normal_iteratorINSA_10device_ptrIdEEEEPS6_PKS6_NS0_5tupleIJSF_S6_EEENSJ_IJSG_SG_EEENS0_18inequality_wrapperINSA_8equal_toIdEEEEPmJS6_EEE10hipError_tPvRmT3_T4_T5_T6_T7_T9_mT8_P12ihipStream_tbDpT10_ENKUlT_T0_E_clISt17integral_constantIbLb1EES19_IbLb0EEEEDaS15_S16_EUlS15_E_NS1_11comp_targetILNS1_3genE0ELNS1_11target_archE4294967295ELNS1_3gpuE0ELNS1_3repE0EEENS1_30default_config_static_selectorELNS0_4arch9wavefront6targetE1EEEvT1_,comdat
.Lfunc_end30:
	.size	_ZN7rocprim17ROCPRIM_400000_NS6detail17trampoline_kernelINS0_14default_configENS1_25partition_config_selectorILNS1_17partition_subalgoE8EdNS0_10empty_typeEbEEZZNS1_14partition_implILS5_8ELb0ES3_jN6thrust23THRUST_200600_302600_NS6detail15normal_iteratorINSA_10device_ptrIdEEEEPS6_PKS6_NS0_5tupleIJSF_S6_EEENSJ_IJSG_SG_EEENS0_18inequality_wrapperINSA_8equal_toIdEEEEPmJS6_EEE10hipError_tPvRmT3_T4_T5_T6_T7_T9_mT8_P12ihipStream_tbDpT10_ENKUlT_T0_E_clISt17integral_constantIbLb1EES19_IbLb0EEEEDaS15_S16_EUlS15_E_NS1_11comp_targetILNS1_3genE0ELNS1_11target_archE4294967295ELNS1_3gpuE0ELNS1_3repE0EEENS1_30default_config_static_selectorELNS0_4arch9wavefront6targetE1EEEvT1_, .Lfunc_end30-_ZN7rocprim17ROCPRIM_400000_NS6detail17trampoline_kernelINS0_14default_configENS1_25partition_config_selectorILNS1_17partition_subalgoE8EdNS0_10empty_typeEbEEZZNS1_14partition_implILS5_8ELb0ES3_jN6thrust23THRUST_200600_302600_NS6detail15normal_iteratorINSA_10device_ptrIdEEEEPS6_PKS6_NS0_5tupleIJSF_S6_EEENSJ_IJSG_SG_EEENS0_18inequality_wrapperINSA_8equal_toIdEEEEPmJS6_EEE10hipError_tPvRmT3_T4_T5_T6_T7_T9_mT8_P12ihipStream_tbDpT10_ENKUlT_T0_E_clISt17integral_constantIbLb1EES19_IbLb0EEEEDaS15_S16_EUlS15_E_NS1_11comp_targetILNS1_3genE0ELNS1_11target_archE4294967295ELNS1_3gpuE0ELNS1_3repE0EEENS1_30default_config_static_selectorELNS0_4arch9wavefront6targetE1EEEvT1_
                                        ; -- End function
	.set _ZN7rocprim17ROCPRIM_400000_NS6detail17trampoline_kernelINS0_14default_configENS1_25partition_config_selectorILNS1_17partition_subalgoE8EdNS0_10empty_typeEbEEZZNS1_14partition_implILS5_8ELb0ES3_jN6thrust23THRUST_200600_302600_NS6detail15normal_iteratorINSA_10device_ptrIdEEEEPS6_PKS6_NS0_5tupleIJSF_S6_EEENSJ_IJSG_SG_EEENS0_18inequality_wrapperINSA_8equal_toIdEEEEPmJS6_EEE10hipError_tPvRmT3_T4_T5_T6_T7_T9_mT8_P12ihipStream_tbDpT10_ENKUlT_T0_E_clISt17integral_constantIbLb1EES19_IbLb0EEEEDaS15_S16_EUlS15_E_NS1_11comp_targetILNS1_3genE0ELNS1_11target_archE4294967295ELNS1_3gpuE0ELNS1_3repE0EEENS1_30default_config_static_selectorELNS0_4arch9wavefront6targetE1EEEvT1_.num_vgpr, 0
	.set _ZN7rocprim17ROCPRIM_400000_NS6detail17trampoline_kernelINS0_14default_configENS1_25partition_config_selectorILNS1_17partition_subalgoE8EdNS0_10empty_typeEbEEZZNS1_14partition_implILS5_8ELb0ES3_jN6thrust23THRUST_200600_302600_NS6detail15normal_iteratorINSA_10device_ptrIdEEEEPS6_PKS6_NS0_5tupleIJSF_S6_EEENSJ_IJSG_SG_EEENS0_18inequality_wrapperINSA_8equal_toIdEEEEPmJS6_EEE10hipError_tPvRmT3_T4_T5_T6_T7_T9_mT8_P12ihipStream_tbDpT10_ENKUlT_T0_E_clISt17integral_constantIbLb1EES19_IbLb0EEEEDaS15_S16_EUlS15_E_NS1_11comp_targetILNS1_3genE0ELNS1_11target_archE4294967295ELNS1_3gpuE0ELNS1_3repE0EEENS1_30default_config_static_selectorELNS0_4arch9wavefront6targetE1EEEvT1_.num_agpr, 0
	.set _ZN7rocprim17ROCPRIM_400000_NS6detail17trampoline_kernelINS0_14default_configENS1_25partition_config_selectorILNS1_17partition_subalgoE8EdNS0_10empty_typeEbEEZZNS1_14partition_implILS5_8ELb0ES3_jN6thrust23THRUST_200600_302600_NS6detail15normal_iteratorINSA_10device_ptrIdEEEEPS6_PKS6_NS0_5tupleIJSF_S6_EEENSJ_IJSG_SG_EEENS0_18inequality_wrapperINSA_8equal_toIdEEEEPmJS6_EEE10hipError_tPvRmT3_T4_T5_T6_T7_T9_mT8_P12ihipStream_tbDpT10_ENKUlT_T0_E_clISt17integral_constantIbLb1EES19_IbLb0EEEEDaS15_S16_EUlS15_E_NS1_11comp_targetILNS1_3genE0ELNS1_11target_archE4294967295ELNS1_3gpuE0ELNS1_3repE0EEENS1_30default_config_static_selectorELNS0_4arch9wavefront6targetE1EEEvT1_.numbered_sgpr, 0
	.set _ZN7rocprim17ROCPRIM_400000_NS6detail17trampoline_kernelINS0_14default_configENS1_25partition_config_selectorILNS1_17partition_subalgoE8EdNS0_10empty_typeEbEEZZNS1_14partition_implILS5_8ELb0ES3_jN6thrust23THRUST_200600_302600_NS6detail15normal_iteratorINSA_10device_ptrIdEEEEPS6_PKS6_NS0_5tupleIJSF_S6_EEENSJ_IJSG_SG_EEENS0_18inequality_wrapperINSA_8equal_toIdEEEEPmJS6_EEE10hipError_tPvRmT3_T4_T5_T6_T7_T9_mT8_P12ihipStream_tbDpT10_ENKUlT_T0_E_clISt17integral_constantIbLb1EES19_IbLb0EEEEDaS15_S16_EUlS15_E_NS1_11comp_targetILNS1_3genE0ELNS1_11target_archE4294967295ELNS1_3gpuE0ELNS1_3repE0EEENS1_30default_config_static_selectorELNS0_4arch9wavefront6targetE1EEEvT1_.num_named_barrier, 0
	.set _ZN7rocprim17ROCPRIM_400000_NS6detail17trampoline_kernelINS0_14default_configENS1_25partition_config_selectorILNS1_17partition_subalgoE8EdNS0_10empty_typeEbEEZZNS1_14partition_implILS5_8ELb0ES3_jN6thrust23THRUST_200600_302600_NS6detail15normal_iteratorINSA_10device_ptrIdEEEEPS6_PKS6_NS0_5tupleIJSF_S6_EEENSJ_IJSG_SG_EEENS0_18inequality_wrapperINSA_8equal_toIdEEEEPmJS6_EEE10hipError_tPvRmT3_T4_T5_T6_T7_T9_mT8_P12ihipStream_tbDpT10_ENKUlT_T0_E_clISt17integral_constantIbLb1EES19_IbLb0EEEEDaS15_S16_EUlS15_E_NS1_11comp_targetILNS1_3genE0ELNS1_11target_archE4294967295ELNS1_3gpuE0ELNS1_3repE0EEENS1_30default_config_static_selectorELNS0_4arch9wavefront6targetE1EEEvT1_.private_seg_size, 0
	.set _ZN7rocprim17ROCPRIM_400000_NS6detail17trampoline_kernelINS0_14default_configENS1_25partition_config_selectorILNS1_17partition_subalgoE8EdNS0_10empty_typeEbEEZZNS1_14partition_implILS5_8ELb0ES3_jN6thrust23THRUST_200600_302600_NS6detail15normal_iteratorINSA_10device_ptrIdEEEEPS6_PKS6_NS0_5tupleIJSF_S6_EEENSJ_IJSG_SG_EEENS0_18inequality_wrapperINSA_8equal_toIdEEEEPmJS6_EEE10hipError_tPvRmT3_T4_T5_T6_T7_T9_mT8_P12ihipStream_tbDpT10_ENKUlT_T0_E_clISt17integral_constantIbLb1EES19_IbLb0EEEEDaS15_S16_EUlS15_E_NS1_11comp_targetILNS1_3genE0ELNS1_11target_archE4294967295ELNS1_3gpuE0ELNS1_3repE0EEENS1_30default_config_static_selectorELNS0_4arch9wavefront6targetE1EEEvT1_.uses_vcc, 0
	.set _ZN7rocprim17ROCPRIM_400000_NS6detail17trampoline_kernelINS0_14default_configENS1_25partition_config_selectorILNS1_17partition_subalgoE8EdNS0_10empty_typeEbEEZZNS1_14partition_implILS5_8ELb0ES3_jN6thrust23THRUST_200600_302600_NS6detail15normal_iteratorINSA_10device_ptrIdEEEEPS6_PKS6_NS0_5tupleIJSF_S6_EEENSJ_IJSG_SG_EEENS0_18inequality_wrapperINSA_8equal_toIdEEEEPmJS6_EEE10hipError_tPvRmT3_T4_T5_T6_T7_T9_mT8_P12ihipStream_tbDpT10_ENKUlT_T0_E_clISt17integral_constantIbLb1EES19_IbLb0EEEEDaS15_S16_EUlS15_E_NS1_11comp_targetILNS1_3genE0ELNS1_11target_archE4294967295ELNS1_3gpuE0ELNS1_3repE0EEENS1_30default_config_static_selectorELNS0_4arch9wavefront6targetE1EEEvT1_.uses_flat_scratch, 0
	.set _ZN7rocprim17ROCPRIM_400000_NS6detail17trampoline_kernelINS0_14default_configENS1_25partition_config_selectorILNS1_17partition_subalgoE8EdNS0_10empty_typeEbEEZZNS1_14partition_implILS5_8ELb0ES3_jN6thrust23THRUST_200600_302600_NS6detail15normal_iteratorINSA_10device_ptrIdEEEEPS6_PKS6_NS0_5tupleIJSF_S6_EEENSJ_IJSG_SG_EEENS0_18inequality_wrapperINSA_8equal_toIdEEEEPmJS6_EEE10hipError_tPvRmT3_T4_T5_T6_T7_T9_mT8_P12ihipStream_tbDpT10_ENKUlT_T0_E_clISt17integral_constantIbLb1EES19_IbLb0EEEEDaS15_S16_EUlS15_E_NS1_11comp_targetILNS1_3genE0ELNS1_11target_archE4294967295ELNS1_3gpuE0ELNS1_3repE0EEENS1_30default_config_static_selectorELNS0_4arch9wavefront6targetE1EEEvT1_.has_dyn_sized_stack, 0
	.set _ZN7rocprim17ROCPRIM_400000_NS6detail17trampoline_kernelINS0_14default_configENS1_25partition_config_selectorILNS1_17partition_subalgoE8EdNS0_10empty_typeEbEEZZNS1_14partition_implILS5_8ELb0ES3_jN6thrust23THRUST_200600_302600_NS6detail15normal_iteratorINSA_10device_ptrIdEEEEPS6_PKS6_NS0_5tupleIJSF_S6_EEENSJ_IJSG_SG_EEENS0_18inequality_wrapperINSA_8equal_toIdEEEEPmJS6_EEE10hipError_tPvRmT3_T4_T5_T6_T7_T9_mT8_P12ihipStream_tbDpT10_ENKUlT_T0_E_clISt17integral_constantIbLb1EES19_IbLb0EEEEDaS15_S16_EUlS15_E_NS1_11comp_targetILNS1_3genE0ELNS1_11target_archE4294967295ELNS1_3gpuE0ELNS1_3repE0EEENS1_30default_config_static_selectorELNS0_4arch9wavefront6targetE1EEEvT1_.has_recursion, 0
	.set _ZN7rocprim17ROCPRIM_400000_NS6detail17trampoline_kernelINS0_14default_configENS1_25partition_config_selectorILNS1_17partition_subalgoE8EdNS0_10empty_typeEbEEZZNS1_14partition_implILS5_8ELb0ES3_jN6thrust23THRUST_200600_302600_NS6detail15normal_iteratorINSA_10device_ptrIdEEEEPS6_PKS6_NS0_5tupleIJSF_S6_EEENSJ_IJSG_SG_EEENS0_18inequality_wrapperINSA_8equal_toIdEEEEPmJS6_EEE10hipError_tPvRmT3_T4_T5_T6_T7_T9_mT8_P12ihipStream_tbDpT10_ENKUlT_T0_E_clISt17integral_constantIbLb1EES19_IbLb0EEEEDaS15_S16_EUlS15_E_NS1_11comp_targetILNS1_3genE0ELNS1_11target_archE4294967295ELNS1_3gpuE0ELNS1_3repE0EEENS1_30default_config_static_selectorELNS0_4arch9wavefront6targetE1EEEvT1_.has_indirect_call, 0
	.section	.AMDGPU.csdata,"",@progbits
; Kernel info:
; codeLenInByte = 0
; TotalNumSgprs: 4
; NumVgprs: 0
; ScratchSize: 0
; MemoryBound: 0
; FloatMode: 240
; IeeeMode: 1
; LDSByteSize: 0 bytes/workgroup (compile time only)
; SGPRBlocks: 0
; VGPRBlocks: 0
; NumSGPRsForWavesPerEU: 4
; NumVGPRsForWavesPerEU: 1
; Occupancy: 10
; WaveLimiterHint : 0
; COMPUTE_PGM_RSRC2:SCRATCH_EN: 0
; COMPUTE_PGM_RSRC2:USER_SGPR: 6
; COMPUTE_PGM_RSRC2:TRAP_HANDLER: 0
; COMPUTE_PGM_RSRC2:TGID_X_EN: 1
; COMPUTE_PGM_RSRC2:TGID_Y_EN: 0
; COMPUTE_PGM_RSRC2:TGID_Z_EN: 0
; COMPUTE_PGM_RSRC2:TIDIG_COMP_CNT: 0
	.section	.text._ZN7rocprim17ROCPRIM_400000_NS6detail17trampoline_kernelINS0_14default_configENS1_25partition_config_selectorILNS1_17partition_subalgoE8EdNS0_10empty_typeEbEEZZNS1_14partition_implILS5_8ELb0ES3_jN6thrust23THRUST_200600_302600_NS6detail15normal_iteratorINSA_10device_ptrIdEEEEPS6_PKS6_NS0_5tupleIJSF_S6_EEENSJ_IJSG_SG_EEENS0_18inequality_wrapperINSA_8equal_toIdEEEEPmJS6_EEE10hipError_tPvRmT3_T4_T5_T6_T7_T9_mT8_P12ihipStream_tbDpT10_ENKUlT_T0_E_clISt17integral_constantIbLb1EES19_IbLb0EEEEDaS15_S16_EUlS15_E_NS1_11comp_targetILNS1_3genE5ELNS1_11target_archE942ELNS1_3gpuE9ELNS1_3repE0EEENS1_30default_config_static_selectorELNS0_4arch9wavefront6targetE1EEEvT1_,"axG",@progbits,_ZN7rocprim17ROCPRIM_400000_NS6detail17trampoline_kernelINS0_14default_configENS1_25partition_config_selectorILNS1_17partition_subalgoE8EdNS0_10empty_typeEbEEZZNS1_14partition_implILS5_8ELb0ES3_jN6thrust23THRUST_200600_302600_NS6detail15normal_iteratorINSA_10device_ptrIdEEEEPS6_PKS6_NS0_5tupleIJSF_S6_EEENSJ_IJSG_SG_EEENS0_18inequality_wrapperINSA_8equal_toIdEEEEPmJS6_EEE10hipError_tPvRmT3_T4_T5_T6_T7_T9_mT8_P12ihipStream_tbDpT10_ENKUlT_T0_E_clISt17integral_constantIbLb1EES19_IbLb0EEEEDaS15_S16_EUlS15_E_NS1_11comp_targetILNS1_3genE5ELNS1_11target_archE942ELNS1_3gpuE9ELNS1_3repE0EEENS1_30default_config_static_selectorELNS0_4arch9wavefront6targetE1EEEvT1_,comdat
	.protected	_ZN7rocprim17ROCPRIM_400000_NS6detail17trampoline_kernelINS0_14default_configENS1_25partition_config_selectorILNS1_17partition_subalgoE8EdNS0_10empty_typeEbEEZZNS1_14partition_implILS5_8ELb0ES3_jN6thrust23THRUST_200600_302600_NS6detail15normal_iteratorINSA_10device_ptrIdEEEEPS6_PKS6_NS0_5tupleIJSF_S6_EEENSJ_IJSG_SG_EEENS0_18inequality_wrapperINSA_8equal_toIdEEEEPmJS6_EEE10hipError_tPvRmT3_T4_T5_T6_T7_T9_mT8_P12ihipStream_tbDpT10_ENKUlT_T0_E_clISt17integral_constantIbLb1EES19_IbLb0EEEEDaS15_S16_EUlS15_E_NS1_11comp_targetILNS1_3genE5ELNS1_11target_archE942ELNS1_3gpuE9ELNS1_3repE0EEENS1_30default_config_static_selectorELNS0_4arch9wavefront6targetE1EEEvT1_ ; -- Begin function _ZN7rocprim17ROCPRIM_400000_NS6detail17trampoline_kernelINS0_14default_configENS1_25partition_config_selectorILNS1_17partition_subalgoE8EdNS0_10empty_typeEbEEZZNS1_14partition_implILS5_8ELb0ES3_jN6thrust23THRUST_200600_302600_NS6detail15normal_iteratorINSA_10device_ptrIdEEEEPS6_PKS6_NS0_5tupleIJSF_S6_EEENSJ_IJSG_SG_EEENS0_18inequality_wrapperINSA_8equal_toIdEEEEPmJS6_EEE10hipError_tPvRmT3_T4_T5_T6_T7_T9_mT8_P12ihipStream_tbDpT10_ENKUlT_T0_E_clISt17integral_constantIbLb1EES19_IbLb0EEEEDaS15_S16_EUlS15_E_NS1_11comp_targetILNS1_3genE5ELNS1_11target_archE942ELNS1_3gpuE9ELNS1_3repE0EEENS1_30default_config_static_selectorELNS0_4arch9wavefront6targetE1EEEvT1_
	.globl	_ZN7rocprim17ROCPRIM_400000_NS6detail17trampoline_kernelINS0_14default_configENS1_25partition_config_selectorILNS1_17partition_subalgoE8EdNS0_10empty_typeEbEEZZNS1_14partition_implILS5_8ELb0ES3_jN6thrust23THRUST_200600_302600_NS6detail15normal_iteratorINSA_10device_ptrIdEEEEPS6_PKS6_NS0_5tupleIJSF_S6_EEENSJ_IJSG_SG_EEENS0_18inequality_wrapperINSA_8equal_toIdEEEEPmJS6_EEE10hipError_tPvRmT3_T4_T5_T6_T7_T9_mT8_P12ihipStream_tbDpT10_ENKUlT_T0_E_clISt17integral_constantIbLb1EES19_IbLb0EEEEDaS15_S16_EUlS15_E_NS1_11comp_targetILNS1_3genE5ELNS1_11target_archE942ELNS1_3gpuE9ELNS1_3repE0EEENS1_30default_config_static_selectorELNS0_4arch9wavefront6targetE1EEEvT1_
	.p2align	8
	.type	_ZN7rocprim17ROCPRIM_400000_NS6detail17trampoline_kernelINS0_14default_configENS1_25partition_config_selectorILNS1_17partition_subalgoE8EdNS0_10empty_typeEbEEZZNS1_14partition_implILS5_8ELb0ES3_jN6thrust23THRUST_200600_302600_NS6detail15normal_iteratorINSA_10device_ptrIdEEEEPS6_PKS6_NS0_5tupleIJSF_S6_EEENSJ_IJSG_SG_EEENS0_18inequality_wrapperINSA_8equal_toIdEEEEPmJS6_EEE10hipError_tPvRmT3_T4_T5_T6_T7_T9_mT8_P12ihipStream_tbDpT10_ENKUlT_T0_E_clISt17integral_constantIbLb1EES19_IbLb0EEEEDaS15_S16_EUlS15_E_NS1_11comp_targetILNS1_3genE5ELNS1_11target_archE942ELNS1_3gpuE9ELNS1_3repE0EEENS1_30default_config_static_selectorELNS0_4arch9wavefront6targetE1EEEvT1_,@function
_ZN7rocprim17ROCPRIM_400000_NS6detail17trampoline_kernelINS0_14default_configENS1_25partition_config_selectorILNS1_17partition_subalgoE8EdNS0_10empty_typeEbEEZZNS1_14partition_implILS5_8ELb0ES3_jN6thrust23THRUST_200600_302600_NS6detail15normal_iteratorINSA_10device_ptrIdEEEEPS6_PKS6_NS0_5tupleIJSF_S6_EEENSJ_IJSG_SG_EEENS0_18inequality_wrapperINSA_8equal_toIdEEEEPmJS6_EEE10hipError_tPvRmT3_T4_T5_T6_T7_T9_mT8_P12ihipStream_tbDpT10_ENKUlT_T0_E_clISt17integral_constantIbLb1EES19_IbLb0EEEEDaS15_S16_EUlS15_E_NS1_11comp_targetILNS1_3genE5ELNS1_11target_archE942ELNS1_3gpuE9ELNS1_3repE0EEENS1_30default_config_static_selectorELNS0_4arch9wavefront6targetE1EEEvT1_: ; @_ZN7rocprim17ROCPRIM_400000_NS6detail17trampoline_kernelINS0_14default_configENS1_25partition_config_selectorILNS1_17partition_subalgoE8EdNS0_10empty_typeEbEEZZNS1_14partition_implILS5_8ELb0ES3_jN6thrust23THRUST_200600_302600_NS6detail15normal_iteratorINSA_10device_ptrIdEEEEPS6_PKS6_NS0_5tupleIJSF_S6_EEENSJ_IJSG_SG_EEENS0_18inequality_wrapperINSA_8equal_toIdEEEEPmJS6_EEE10hipError_tPvRmT3_T4_T5_T6_T7_T9_mT8_P12ihipStream_tbDpT10_ENKUlT_T0_E_clISt17integral_constantIbLb1EES19_IbLb0EEEEDaS15_S16_EUlS15_E_NS1_11comp_targetILNS1_3genE5ELNS1_11target_archE942ELNS1_3gpuE9ELNS1_3repE0EEENS1_30default_config_static_selectorELNS0_4arch9wavefront6targetE1EEEvT1_
; %bb.0:
	.section	.rodata,"a",@progbits
	.p2align	6, 0x0
	.amdhsa_kernel _ZN7rocprim17ROCPRIM_400000_NS6detail17trampoline_kernelINS0_14default_configENS1_25partition_config_selectorILNS1_17partition_subalgoE8EdNS0_10empty_typeEbEEZZNS1_14partition_implILS5_8ELb0ES3_jN6thrust23THRUST_200600_302600_NS6detail15normal_iteratorINSA_10device_ptrIdEEEEPS6_PKS6_NS0_5tupleIJSF_S6_EEENSJ_IJSG_SG_EEENS0_18inequality_wrapperINSA_8equal_toIdEEEEPmJS6_EEE10hipError_tPvRmT3_T4_T5_T6_T7_T9_mT8_P12ihipStream_tbDpT10_ENKUlT_T0_E_clISt17integral_constantIbLb1EES19_IbLb0EEEEDaS15_S16_EUlS15_E_NS1_11comp_targetILNS1_3genE5ELNS1_11target_archE942ELNS1_3gpuE9ELNS1_3repE0EEENS1_30default_config_static_selectorELNS0_4arch9wavefront6targetE1EEEvT1_
		.amdhsa_group_segment_fixed_size 0
		.amdhsa_private_segment_fixed_size 0
		.amdhsa_kernarg_size 112
		.amdhsa_user_sgpr_count 6
		.amdhsa_user_sgpr_private_segment_buffer 1
		.amdhsa_user_sgpr_dispatch_ptr 0
		.amdhsa_user_sgpr_queue_ptr 0
		.amdhsa_user_sgpr_kernarg_segment_ptr 1
		.amdhsa_user_sgpr_dispatch_id 0
		.amdhsa_user_sgpr_flat_scratch_init 0
		.amdhsa_user_sgpr_private_segment_size 0
		.amdhsa_uses_dynamic_stack 0
		.amdhsa_system_sgpr_private_segment_wavefront_offset 0
		.amdhsa_system_sgpr_workgroup_id_x 1
		.amdhsa_system_sgpr_workgroup_id_y 0
		.amdhsa_system_sgpr_workgroup_id_z 0
		.amdhsa_system_sgpr_workgroup_info 0
		.amdhsa_system_vgpr_workitem_id 0
		.amdhsa_next_free_vgpr 1
		.amdhsa_next_free_sgpr 0
		.amdhsa_reserve_vcc 0
		.amdhsa_reserve_flat_scratch 0
		.amdhsa_float_round_mode_32 0
		.amdhsa_float_round_mode_16_64 0
		.amdhsa_float_denorm_mode_32 3
		.amdhsa_float_denorm_mode_16_64 3
		.amdhsa_dx10_clamp 1
		.amdhsa_ieee_mode 1
		.amdhsa_fp16_overflow 0
		.amdhsa_exception_fp_ieee_invalid_op 0
		.amdhsa_exception_fp_denorm_src 0
		.amdhsa_exception_fp_ieee_div_zero 0
		.amdhsa_exception_fp_ieee_overflow 0
		.amdhsa_exception_fp_ieee_underflow 0
		.amdhsa_exception_fp_ieee_inexact 0
		.amdhsa_exception_int_div_zero 0
	.end_amdhsa_kernel
	.section	.text._ZN7rocprim17ROCPRIM_400000_NS6detail17trampoline_kernelINS0_14default_configENS1_25partition_config_selectorILNS1_17partition_subalgoE8EdNS0_10empty_typeEbEEZZNS1_14partition_implILS5_8ELb0ES3_jN6thrust23THRUST_200600_302600_NS6detail15normal_iteratorINSA_10device_ptrIdEEEEPS6_PKS6_NS0_5tupleIJSF_S6_EEENSJ_IJSG_SG_EEENS0_18inequality_wrapperINSA_8equal_toIdEEEEPmJS6_EEE10hipError_tPvRmT3_T4_T5_T6_T7_T9_mT8_P12ihipStream_tbDpT10_ENKUlT_T0_E_clISt17integral_constantIbLb1EES19_IbLb0EEEEDaS15_S16_EUlS15_E_NS1_11comp_targetILNS1_3genE5ELNS1_11target_archE942ELNS1_3gpuE9ELNS1_3repE0EEENS1_30default_config_static_selectorELNS0_4arch9wavefront6targetE1EEEvT1_,"axG",@progbits,_ZN7rocprim17ROCPRIM_400000_NS6detail17trampoline_kernelINS0_14default_configENS1_25partition_config_selectorILNS1_17partition_subalgoE8EdNS0_10empty_typeEbEEZZNS1_14partition_implILS5_8ELb0ES3_jN6thrust23THRUST_200600_302600_NS6detail15normal_iteratorINSA_10device_ptrIdEEEEPS6_PKS6_NS0_5tupleIJSF_S6_EEENSJ_IJSG_SG_EEENS0_18inequality_wrapperINSA_8equal_toIdEEEEPmJS6_EEE10hipError_tPvRmT3_T4_T5_T6_T7_T9_mT8_P12ihipStream_tbDpT10_ENKUlT_T0_E_clISt17integral_constantIbLb1EES19_IbLb0EEEEDaS15_S16_EUlS15_E_NS1_11comp_targetILNS1_3genE5ELNS1_11target_archE942ELNS1_3gpuE9ELNS1_3repE0EEENS1_30default_config_static_selectorELNS0_4arch9wavefront6targetE1EEEvT1_,comdat
.Lfunc_end31:
	.size	_ZN7rocprim17ROCPRIM_400000_NS6detail17trampoline_kernelINS0_14default_configENS1_25partition_config_selectorILNS1_17partition_subalgoE8EdNS0_10empty_typeEbEEZZNS1_14partition_implILS5_8ELb0ES3_jN6thrust23THRUST_200600_302600_NS6detail15normal_iteratorINSA_10device_ptrIdEEEEPS6_PKS6_NS0_5tupleIJSF_S6_EEENSJ_IJSG_SG_EEENS0_18inequality_wrapperINSA_8equal_toIdEEEEPmJS6_EEE10hipError_tPvRmT3_T4_T5_T6_T7_T9_mT8_P12ihipStream_tbDpT10_ENKUlT_T0_E_clISt17integral_constantIbLb1EES19_IbLb0EEEEDaS15_S16_EUlS15_E_NS1_11comp_targetILNS1_3genE5ELNS1_11target_archE942ELNS1_3gpuE9ELNS1_3repE0EEENS1_30default_config_static_selectorELNS0_4arch9wavefront6targetE1EEEvT1_, .Lfunc_end31-_ZN7rocprim17ROCPRIM_400000_NS6detail17trampoline_kernelINS0_14default_configENS1_25partition_config_selectorILNS1_17partition_subalgoE8EdNS0_10empty_typeEbEEZZNS1_14partition_implILS5_8ELb0ES3_jN6thrust23THRUST_200600_302600_NS6detail15normal_iteratorINSA_10device_ptrIdEEEEPS6_PKS6_NS0_5tupleIJSF_S6_EEENSJ_IJSG_SG_EEENS0_18inequality_wrapperINSA_8equal_toIdEEEEPmJS6_EEE10hipError_tPvRmT3_T4_T5_T6_T7_T9_mT8_P12ihipStream_tbDpT10_ENKUlT_T0_E_clISt17integral_constantIbLb1EES19_IbLb0EEEEDaS15_S16_EUlS15_E_NS1_11comp_targetILNS1_3genE5ELNS1_11target_archE942ELNS1_3gpuE9ELNS1_3repE0EEENS1_30default_config_static_selectorELNS0_4arch9wavefront6targetE1EEEvT1_
                                        ; -- End function
	.set _ZN7rocprim17ROCPRIM_400000_NS6detail17trampoline_kernelINS0_14default_configENS1_25partition_config_selectorILNS1_17partition_subalgoE8EdNS0_10empty_typeEbEEZZNS1_14partition_implILS5_8ELb0ES3_jN6thrust23THRUST_200600_302600_NS6detail15normal_iteratorINSA_10device_ptrIdEEEEPS6_PKS6_NS0_5tupleIJSF_S6_EEENSJ_IJSG_SG_EEENS0_18inequality_wrapperINSA_8equal_toIdEEEEPmJS6_EEE10hipError_tPvRmT3_T4_T5_T6_T7_T9_mT8_P12ihipStream_tbDpT10_ENKUlT_T0_E_clISt17integral_constantIbLb1EES19_IbLb0EEEEDaS15_S16_EUlS15_E_NS1_11comp_targetILNS1_3genE5ELNS1_11target_archE942ELNS1_3gpuE9ELNS1_3repE0EEENS1_30default_config_static_selectorELNS0_4arch9wavefront6targetE1EEEvT1_.num_vgpr, 0
	.set _ZN7rocprim17ROCPRIM_400000_NS6detail17trampoline_kernelINS0_14default_configENS1_25partition_config_selectorILNS1_17partition_subalgoE8EdNS0_10empty_typeEbEEZZNS1_14partition_implILS5_8ELb0ES3_jN6thrust23THRUST_200600_302600_NS6detail15normal_iteratorINSA_10device_ptrIdEEEEPS6_PKS6_NS0_5tupleIJSF_S6_EEENSJ_IJSG_SG_EEENS0_18inequality_wrapperINSA_8equal_toIdEEEEPmJS6_EEE10hipError_tPvRmT3_T4_T5_T6_T7_T9_mT8_P12ihipStream_tbDpT10_ENKUlT_T0_E_clISt17integral_constantIbLb1EES19_IbLb0EEEEDaS15_S16_EUlS15_E_NS1_11comp_targetILNS1_3genE5ELNS1_11target_archE942ELNS1_3gpuE9ELNS1_3repE0EEENS1_30default_config_static_selectorELNS0_4arch9wavefront6targetE1EEEvT1_.num_agpr, 0
	.set _ZN7rocprim17ROCPRIM_400000_NS6detail17trampoline_kernelINS0_14default_configENS1_25partition_config_selectorILNS1_17partition_subalgoE8EdNS0_10empty_typeEbEEZZNS1_14partition_implILS5_8ELb0ES3_jN6thrust23THRUST_200600_302600_NS6detail15normal_iteratorINSA_10device_ptrIdEEEEPS6_PKS6_NS0_5tupleIJSF_S6_EEENSJ_IJSG_SG_EEENS0_18inequality_wrapperINSA_8equal_toIdEEEEPmJS6_EEE10hipError_tPvRmT3_T4_T5_T6_T7_T9_mT8_P12ihipStream_tbDpT10_ENKUlT_T0_E_clISt17integral_constantIbLb1EES19_IbLb0EEEEDaS15_S16_EUlS15_E_NS1_11comp_targetILNS1_3genE5ELNS1_11target_archE942ELNS1_3gpuE9ELNS1_3repE0EEENS1_30default_config_static_selectorELNS0_4arch9wavefront6targetE1EEEvT1_.numbered_sgpr, 0
	.set _ZN7rocprim17ROCPRIM_400000_NS6detail17trampoline_kernelINS0_14default_configENS1_25partition_config_selectorILNS1_17partition_subalgoE8EdNS0_10empty_typeEbEEZZNS1_14partition_implILS5_8ELb0ES3_jN6thrust23THRUST_200600_302600_NS6detail15normal_iteratorINSA_10device_ptrIdEEEEPS6_PKS6_NS0_5tupleIJSF_S6_EEENSJ_IJSG_SG_EEENS0_18inequality_wrapperINSA_8equal_toIdEEEEPmJS6_EEE10hipError_tPvRmT3_T4_T5_T6_T7_T9_mT8_P12ihipStream_tbDpT10_ENKUlT_T0_E_clISt17integral_constantIbLb1EES19_IbLb0EEEEDaS15_S16_EUlS15_E_NS1_11comp_targetILNS1_3genE5ELNS1_11target_archE942ELNS1_3gpuE9ELNS1_3repE0EEENS1_30default_config_static_selectorELNS0_4arch9wavefront6targetE1EEEvT1_.num_named_barrier, 0
	.set _ZN7rocprim17ROCPRIM_400000_NS6detail17trampoline_kernelINS0_14default_configENS1_25partition_config_selectorILNS1_17partition_subalgoE8EdNS0_10empty_typeEbEEZZNS1_14partition_implILS5_8ELb0ES3_jN6thrust23THRUST_200600_302600_NS6detail15normal_iteratorINSA_10device_ptrIdEEEEPS6_PKS6_NS0_5tupleIJSF_S6_EEENSJ_IJSG_SG_EEENS0_18inequality_wrapperINSA_8equal_toIdEEEEPmJS6_EEE10hipError_tPvRmT3_T4_T5_T6_T7_T9_mT8_P12ihipStream_tbDpT10_ENKUlT_T0_E_clISt17integral_constantIbLb1EES19_IbLb0EEEEDaS15_S16_EUlS15_E_NS1_11comp_targetILNS1_3genE5ELNS1_11target_archE942ELNS1_3gpuE9ELNS1_3repE0EEENS1_30default_config_static_selectorELNS0_4arch9wavefront6targetE1EEEvT1_.private_seg_size, 0
	.set _ZN7rocprim17ROCPRIM_400000_NS6detail17trampoline_kernelINS0_14default_configENS1_25partition_config_selectorILNS1_17partition_subalgoE8EdNS0_10empty_typeEbEEZZNS1_14partition_implILS5_8ELb0ES3_jN6thrust23THRUST_200600_302600_NS6detail15normal_iteratorINSA_10device_ptrIdEEEEPS6_PKS6_NS0_5tupleIJSF_S6_EEENSJ_IJSG_SG_EEENS0_18inequality_wrapperINSA_8equal_toIdEEEEPmJS6_EEE10hipError_tPvRmT3_T4_T5_T6_T7_T9_mT8_P12ihipStream_tbDpT10_ENKUlT_T0_E_clISt17integral_constantIbLb1EES19_IbLb0EEEEDaS15_S16_EUlS15_E_NS1_11comp_targetILNS1_3genE5ELNS1_11target_archE942ELNS1_3gpuE9ELNS1_3repE0EEENS1_30default_config_static_selectorELNS0_4arch9wavefront6targetE1EEEvT1_.uses_vcc, 0
	.set _ZN7rocprim17ROCPRIM_400000_NS6detail17trampoline_kernelINS0_14default_configENS1_25partition_config_selectorILNS1_17partition_subalgoE8EdNS0_10empty_typeEbEEZZNS1_14partition_implILS5_8ELb0ES3_jN6thrust23THRUST_200600_302600_NS6detail15normal_iteratorINSA_10device_ptrIdEEEEPS6_PKS6_NS0_5tupleIJSF_S6_EEENSJ_IJSG_SG_EEENS0_18inequality_wrapperINSA_8equal_toIdEEEEPmJS6_EEE10hipError_tPvRmT3_T4_T5_T6_T7_T9_mT8_P12ihipStream_tbDpT10_ENKUlT_T0_E_clISt17integral_constantIbLb1EES19_IbLb0EEEEDaS15_S16_EUlS15_E_NS1_11comp_targetILNS1_3genE5ELNS1_11target_archE942ELNS1_3gpuE9ELNS1_3repE0EEENS1_30default_config_static_selectorELNS0_4arch9wavefront6targetE1EEEvT1_.uses_flat_scratch, 0
	.set _ZN7rocprim17ROCPRIM_400000_NS6detail17trampoline_kernelINS0_14default_configENS1_25partition_config_selectorILNS1_17partition_subalgoE8EdNS0_10empty_typeEbEEZZNS1_14partition_implILS5_8ELb0ES3_jN6thrust23THRUST_200600_302600_NS6detail15normal_iteratorINSA_10device_ptrIdEEEEPS6_PKS6_NS0_5tupleIJSF_S6_EEENSJ_IJSG_SG_EEENS0_18inequality_wrapperINSA_8equal_toIdEEEEPmJS6_EEE10hipError_tPvRmT3_T4_T5_T6_T7_T9_mT8_P12ihipStream_tbDpT10_ENKUlT_T0_E_clISt17integral_constantIbLb1EES19_IbLb0EEEEDaS15_S16_EUlS15_E_NS1_11comp_targetILNS1_3genE5ELNS1_11target_archE942ELNS1_3gpuE9ELNS1_3repE0EEENS1_30default_config_static_selectorELNS0_4arch9wavefront6targetE1EEEvT1_.has_dyn_sized_stack, 0
	.set _ZN7rocprim17ROCPRIM_400000_NS6detail17trampoline_kernelINS0_14default_configENS1_25partition_config_selectorILNS1_17partition_subalgoE8EdNS0_10empty_typeEbEEZZNS1_14partition_implILS5_8ELb0ES3_jN6thrust23THRUST_200600_302600_NS6detail15normal_iteratorINSA_10device_ptrIdEEEEPS6_PKS6_NS0_5tupleIJSF_S6_EEENSJ_IJSG_SG_EEENS0_18inequality_wrapperINSA_8equal_toIdEEEEPmJS6_EEE10hipError_tPvRmT3_T4_T5_T6_T7_T9_mT8_P12ihipStream_tbDpT10_ENKUlT_T0_E_clISt17integral_constantIbLb1EES19_IbLb0EEEEDaS15_S16_EUlS15_E_NS1_11comp_targetILNS1_3genE5ELNS1_11target_archE942ELNS1_3gpuE9ELNS1_3repE0EEENS1_30default_config_static_selectorELNS0_4arch9wavefront6targetE1EEEvT1_.has_recursion, 0
	.set _ZN7rocprim17ROCPRIM_400000_NS6detail17trampoline_kernelINS0_14default_configENS1_25partition_config_selectorILNS1_17partition_subalgoE8EdNS0_10empty_typeEbEEZZNS1_14partition_implILS5_8ELb0ES3_jN6thrust23THRUST_200600_302600_NS6detail15normal_iteratorINSA_10device_ptrIdEEEEPS6_PKS6_NS0_5tupleIJSF_S6_EEENSJ_IJSG_SG_EEENS0_18inequality_wrapperINSA_8equal_toIdEEEEPmJS6_EEE10hipError_tPvRmT3_T4_T5_T6_T7_T9_mT8_P12ihipStream_tbDpT10_ENKUlT_T0_E_clISt17integral_constantIbLb1EES19_IbLb0EEEEDaS15_S16_EUlS15_E_NS1_11comp_targetILNS1_3genE5ELNS1_11target_archE942ELNS1_3gpuE9ELNS1_3repE0EEENS1_30default_config_static_selectorELNS0_4arch9wavefront6targetE1EEEvT1_.has_indirect_call, 0
	.section	.AMDGPU.csdata,"",@progbits
; Kernel info:
; codeLenInByte = 0
; TotalNumSgprs: 4
; NumVgprs: 0
; ScratchSize: 0
; MemoryBound: 0
; FloatMode: 240
; IeeeMode: 1
; LDSByteSize: 0 bytes/workgroup (compile time only)
; SGPRBlocks: 0
; VGPRBlocks: 0
; NumSGPRsForWavesPerEU: 4
; NumVGPRsForWavesPerEU: 1
; Occupancy: 10
; WaveLimiterHint : 0
; COMPUTE_PGM_RSRC2:SCRATCH_EN: 0
; COMPUTE_PGM_RSRC2:USER_SGPR: 6
; COMPUTE_PGM_RSRC2:TRAP_HANDLER: 0
; COMPUTE_PGM_RSRC2:TGID_X_EN: 1
; COMPUTE_PGM_RSRC2:TGID_Y_EN: 0
; COMPUTE_PGM_RSRC2:TGID_Z_EN: 0
; COMPUTE_PGM_RSRC2:TIDIG_COMP_CNT: 0
	.section	.text._ZN7rocprim17ROCPRIM_400000_NS6detail17trampoline_kernelINS0_14default_configENS1_25partition_config_selectorILNS1_17partition_subalgoE8EdNS0_10empty_typeEbEEZZNS1_14partition_implILS5_8ELb0ES3_jN6thrust23THRUST_200600_302600_NS6detail15normal_iteratorINSA_10device_ptrIdEEEEPS6_PKS6_NS0_5tupleIJSF_S6_EEENSJ_IJSG_SG_EEENS0_18inequality_wrapperINSA_8equal_toIdEEEEPmJS6_EEE10hipError_tPvRmT3_T4_T5_T6_T7_T9_mT8_P12ihipStream_tbDpT10_ENKUlT_T0_E_clISt17integral_constantIbLb1EES19_IbLb0EEEEDaS15_S16_EUlS15_E_NS1_11comp_targetILNS1_3genE4ELNS1_11target_archE910ELNS1_3gpuE8ELNS1_3repE0EEENS1_30default_config_static_selectorELNS0_4arch9wavefront6targetE1EEEvT1_,"axG",@progbits,_ZN7rocprim17ROCPRIM_400000_NS6detail17trampoline_kernelINS0_14default_configENS1_25partition_config_selectorILNS1_17partition_subalgoE8EdNS0_10empty_typeEbEEZZNS1_14partition_implILS5_8ELb0ES3_jN6thrust23THRUST_200600_302600_NS6detail15normal_iteratorINSA_10device_ptrIdEEEEPS6_PKS6_NS0_5tupleIJSF_S6_EEENSJ_IJSG_SG_EEENS0_18inequality_wrapperINSA_8equal_toIdEEEEPmJS6_EEE10hipError_tPvRmT3_T4_T5_T6_T7_T9_mT8_P12ihipStream_tbDpT10_ENKUlT_T0_E_clISt17integral_constantIbLb1EES19_IbLb0EEEEDaS15_S16_EUlS15_E_NS1_11comp_targetILNS1_3genE4ELNS1_11target_archE910ELNS1_3gpuE8ELNS1_3repE0EEENS1_30default_config_static_selectorELNS0_4arch9wavefront6targetE1EEEvT1_,comdat
	.protected	_ZN7rocprim17ROCPRIM_400000_NS6detail17trampoline_kernelINS0_14default_configENS1_25partition_config_selectorILNS1_17partition_subalgoE8EdNS0_10empty_typeEbEEZZNS1_14partition_implILS5_8ELb0ES3_jN6thrust23THRUST_200600_302600_NS6detail15normal_iteratorINSA_10device_ptrIdEEEEPS6_PKS6_NS0_5tupleIJSF_S6_EEENSJ_IJSG_SG_EEENS0_18inequality_wrapperINSA_8equal_toIdEEEEPmJS6_EEE10hipError_tPvRmT3_T4_T5_T6_T7_T9_mT8_P12ihipStream_tbDpT10_ENKUlT_T0_E_clISt17integral_constantIbLb1EES19_IbLb0EEEEDaS15_S16_EUlS15_E_NS1_11comp_targetILNS1_3genE4ELNS1_11target_archE910ELNS1_3gpuE8ELNS1_3repE0EEENS1_30default_config_static_selectorELNS0_4arch9wavefront6targetE1EEEvT1_ ; -- Begin function _ZN7rocprim17ROCPRIM_400000_NS6detail17trampoline_kernelINS0_14default_configENS1_25partition_config_selectorILNS1_17partition_subalgoE8EdNS0_10empty_typeEbEEZZNS1_14partition_implILS5_8ELb0ES3_jN6thrust23THRUST_200600_302600_NS6detail15normal_iteratorINSA_10device_ptrIdEEEEPS6_PKS6_NS0_5tupleIJSF_S6_EEENSJ_IJSG_SG_EEENS0_18inequality_wrapperINSA_8equal_toIdEEEEPmJS6_EEE10hipError_tPvRmT3_T4_T5_T6_T7_T9_mT8_P12ihipStream_tbDpT10_ENKUlT_T0_E_clISt17integral_constantIbLb1EES19_IbLb0EEEEDaS15_S16_EUlS15_E_NS1_11comp_targetILNS1_3genE4ELNS1_11target_archE910ELNS1_3gpuE8ELNS1_3repE0EEENS1_30default_config_static_selectorELNS0_4arch9wavefront6targetE1EEEvT1_
	.globl	_ZN7rocprim17ROCPRIM_400000_NS6detail17trampoline_kernelINS0_14default_configENS1_25partition_config_selectorILNS1_17partition_subalgoE8EdNS0_10empty_typeEbEEZZNS1_14partition_implILS5_8ELb0ES3_jN6thrust23THRUST_200600_302600_NS6detail15normal_iteratorINSA_10device_ptrIdEEEEPS6_PKS6_NS0_5tupleIJSF_S6_EEENSJ_IJSG_SG_EEENS0_18inequality_wrapperINSA_8equal_toIdEEEEPmJS6_EEE10hipError_tPvRmT3_T4_T5_T6_T7_T9_mT8_P12ihipStream_tbDpT10_ENKUlT_T0_E_clISt17integral_constantIbLb1EES19_IbLb0EEEEDaS15_S16_EUlS15_E_NS1_11comp_targetILNS1_3genE4ELNS1_11target_archE910ELNS1_3gpuE8ELNS1_3repE0EEENS1_30default_config_static_selectorELNS0_4arch9wavefront6targetE1EEEvT1_
	.p2align	8
	.type	_ZN7rocprim17ROCPRIM_400000_NS6detail17trampoline_kernelINS0_14default_configENS1_25partition_config_selectorILNS1_17partition_subalgoE8EdNS0_10empty_typeEbEEZZNS1_14partition_implILS5_8ELb0ES3_jN6thrust23THRUST_200600_302600_NS6detail15normal_iteratorINSA_10device_ptrIdEEEEPS6_PKS6_NS0_5tupleIJSF_S6_EEENSJ_IJSG_SG_EEENS0_18inequality_wrapperINSA_8equal_toIdEEEEPmJS6_EEE10hipError_tPvRmT3_T4_T5_T6_T7_T9_mT8_P12ihipStream_tbDpT10_ENKUlT_T0_E_clISt17integral_constantIbLb1EES19_IbLb0EEEEDaS15_S16_EUlS15_E_NS1_11comp_targetILNS1_3genE4ELNS1_11target_archE910ELNS1_3gpuE8ELNS1_3repE0EEENS1_30default_config_static_selectorELNS0_4arch9wavefront6targetE1EEEvT1_,@function
_ZN7rocprim17ROCPRIM_400000_NS6detail17trampoline_kernelINS0_14default_configENS1_25partition_config_selectorILNS1_17partition_subalgoE8EdNS0_10empty_typeEbEEZZNS1_14partition_implILS5_8ELb0ES3_jN6thrust23THRUST_200600_302600_NS6detail15normal_iteratorINSA_10device_ptrIdEEEEPS6_PKS6_NS0_5tupleIJSF_S6_EEENSJ_IJSG_SG_EEENS0_18inequality_wrapperINSA_8equal_toIdEEEEPmJS6_EEE10hipError_tPvRmT3_T4_T5_T6_T7_T9_mT8_P12ihipStream_tbDpT10_ENKUlT_T0_E_clISt17integral_constantIbLb1EES19_IbLb0EEEEDaS15_S16_EUlS15_E_NS1_11comp_targetILNS1_3genE4ELNS1_11target_archE910ELNS1_3gpuE8ELNS1_3repE0EEENS1_30default_config_static_selectorELNS0_4arch9wavefront6targetE1EEEvT1_: ; @_ZN7rocprim17ROCPRIM_400000_NS6detail17trampoline_kernelINS0_14default_configENS1_25partition_config_selectorILNS1_17partition_subalgoE8EdNS0_10empty_typeEbEEZZNS1_14partition_implILS5_8ELb0ES3_jN6thrust23THRUST_200600_302600_NS6detail15normal_iteratorINSA_10device_ptrIdEEEEPS6_PKS6_NS0_5tupleIJSF_S6_EEENSJ_IJSG_SG_EEENS0_18inequality_wrapperINSA_8equal_toIdEEEEPmJS6_EEE10hipError_tPvRmT3_T4_T5_T6_T7_T9_mT8_P12ihipStream_tbDpT10_ENKUlT_T0_E_clISt17integral_constantIbLb1EES19_IbLb0EEEEDaS15_S16_EUlS15_E_NS1_11comp_targetILNS1_3genE4ELNS1_11target_archE910ELNS1_3gpuE8ELNS1_3repE0EEENS1_30default_config_static_selectorELNS0_4arch9wavefront6targetE1EEEvT1_
; %bb.0:
	.section	.rodata,"a",@progbits
	.p2align	6, 0x0
	.amdhsa_kernel _ZN7rocprim17ROCPRIM_400000_NS6detail17trampoline_kernelINS0_14default_configENS1_25partition_config_selectorILNS1_17partition_subalgoE8EdNS0_10empty_typeEbEEZZNS1_14partition_implILS5_8ELb0ES3_jN6thrust23THRUST_200600_302600_NS6detail15normal_iteratorINSA_10device_ptrIdEEEEPS6_PKS6_NS0_5tupleIJSF_S6_EEENSJ_IJSG_SG_EEENS0_18inequality_wrapperINSA_8equal_toIdEEEEPmJS6_EEE10hipError_tPvRmT3_T4_T5_T6_T7_T9_mT8_P12ihipStream_tbDpT10_ENKUlT_T0_E_clISt17integral_constantIbLb1EES19_IbLb0EEEEDaS15_S16_EUlS15_E_NS1_11comp_targetILNS1_3genE4ELNS1_11target_archE910ELNS1_3gpuE8ELNS1_3repE0EEENS1_30default_config_static_selectorELNS0_4arch9wavefront6targetE1EEEvT1_
		.amdhsa_group_segment_fixed_size 0
		.amdhsa_private_segment_fixed_size 0
		.amdhsa_kernarg_size 112
		.amdhsa_user_sgpr_count 6
		.amdhsa_user_sgpr_private_segment_buffer 1
		.amdhsa_user_sgpr_dispatch_ptr 0
		.amdhsa_user_sgpr_queue_ptr 0
		.amdhsa_user_sgpr_kernarg_segment_ptr 1
		.amdhsa_user_sgpr_dispatch_id 0
		.amdhsa_user_sgpr_flat_scratch_init 0
		.amdhsa_user_sgpr_private_segment_size 0
		.amdhsa_uses_dynamic_stack 0
		.amdhsa_system_sgpr_private_segment_wavefront_offset 0
		.amdhsa_system_sgpr_workgroup_id_x 1
		.amdhsa_system_sgpr_workgroup_id_y 0
		.amdhsa_system_sgpr_workgroup_id_z 0
		.amdhsa_system_sgpr_workgroup_info 0
		.amdhsa_system_vgpr_workitem_id 0
		.amdhsa_next_free_vgpr 1
		.amdhsa_next_free_sgpr 0
		.amdhsa_reserve_vcc 0
		.amdhsa_reserve_flat_scratch 0
		.amdhsa_float_round_mode_32 0
		.amdhsa_float_round_mode_16_64 0
		.amdhsa_float_denorm_mode_32 3
		.amdhsa_float_denorm_mode_16_64 3
		.amdhsa_dx10_clamp 1
		.amdhsa_ieee_mode 1
		.amdhsa_fp16_overflow 0
		.amdhsa_exception_fp_ieee_invalid_op 0
		.amdhsa_exception_fp_denorm_src 0
		.amdhsa_exception_fp_ieee_div_zero 0
		.amdhsa_exception_fp_ieee_overflow 0
		.amdhsa_exception_fp_ieee_underflow 0
		.amdhsa_exception_fp_ieee_inexact 0
		.amdhsa_exception_int_div_zero 0
	.end_amdhsa_kernel
	.section	.text._ZN7rocprim17ROCPRIM_400000_NS6detail17trampoline_kernelINS0_14default_configENS1_25partition_config_selectorILNS1_17partition_subalgoE8EdNS0_10empty_typeEbEEZZNS1_14partition_implILS5_8ELb0ES3_jN6thrust23THRUST_200600_302600_NS6detail15normal_iteratorINSA_10device_ptrIdEEEEPS6_PKS6_NS0_5tupleIJSF_S6_EEENSJ_IJSG_SG_EEENS0_18inequality_wrapperINSA_8equal_toIdEEEEPmJS6_EEE10hipError_tPvRmT3_T4_T5_T6_T7_T9_mT8_P12ihipStream_tbDpT10_ENKUlT_T0_E_clISt17integral_constantIbLb1EES19_IbLb0EEEEDaS15_S16_EUlS15_E_NS1_11comp_targetILNS1_3genE4ELNS1_11target_archE910ELNS1_3gpuE8ELNS1_3repE0EEENS1_30default_config_static_selectorELNS0_4arch9wavefront6targetE1EEEvT1_,"axG",@progbits,_ZN7rocprim17ROCPRIM_400000_NS6detail17trampoline_kernelINS0_14default_configENS1_25partition_config_selectorILNS1_17partition_subalgoE8EdNS0_10empty_typeEbEEZZNS1_14partition_implILS5_8ELb0ES3_jN6thrust23THRUST_200600_302600_NS6detail15normal_iteratorINSA_10device_ptrIdEEEEPS6_PKS6_NS0_5tupleIJSF_S6_EEENSJ_IJSG_SG_EEENS0_18inequality_wrapperINSA_8equal_toIdEEEEPmJS6_EEE10hipError_tPvRmT3_T4_T5_T6_T7_T9_mT8_P12ihipStream_tbDpT10_ENKUlT_T0_E_clISt17integral_constantIbLb1EES19_IbLb0EEEEDaS15_S16_EUlS15_E_NS1_11comp_targetILNS1_3genE4ELNS1_11target_archE910ELNS1_3gpuE8ELNS1_3repE0EEENS1_30default_config_static_selectorELNS0_4arch9wavefront6targetE1EEEvT1_,comdat
.Lfunc_end32:
	.size	_ZN7rocprim17ROCPRIM_400000_NS6detail17trampoline_kernelINS0_14default_configENS1_25partition_config_selectorILNS1_17partition_subalgoE8EdNS0_10empty_typeEbEEZZNS1_14partition_implILS5_8ELb0ES3_jN6thrust23THRUST_200600_302600_NS6detail15normal_iteratorINSA_10device_ptrIdEEEEPS6_PKS6_NS0_5tupleIJSF_S6_EEENSJ_IJSG_SG_EEENS0_18inequality_wrapperINSA_8equal_toIdEEEEPmJS6_EEE10hipError_tPvRmT3_T4_T5_T6_T7_T9_mT8_P12ihipStream_tbDpT10_ENKUlT_T0_E_clISt17integral_constantIbLb1EES19_IbLb0EEEEDaS15_S16_EUlS15_E_NS1_11comp_targetILNS1_3genE4ELNS1_11target_archE910ELNS1_3gpuE8ELNS1_3repE0EEENS1_30default_config_static_selectorELNS0_4arch9wavefront6targetE1EEEvT1_, .Lfunc_end32-_ZN7rocprim17ROCPRIM_400000_NS6detail17trampoline_kernelINS0_14default_configENS1_25partition_config_selectorILNS1_17partition_subalgoE8EdNS0_10empty_typeEbEEZZNS1_14partition_implILS5_8ELb0ES3_jN6thrust23THRUST_200600_302600_NS6detail15normal_iteratorINSA_10device_ptrIdEEEEPS6_PKS6_NS0_5tupleIJSF_S6_EEENSJ_IJSG_SG_EEENS0_18inequality_wrapperINSA_8equal_toIdEEEEPmJS6_EEE10hipError_tPvRmT3_T4_T5_T6_T7_T9_mT8_P12ihipStream_tbDpT10_ENKUlT_T0_E_clISt17integral_constantIbLb1EES19_IbLb0EEEEDaS15_S16_EUlS15_E_NS1_11comp_targetILNS1_3genE4ELNS1_11target_archE910ELNS1_3gpuE8ELNS1_3repE0EEENS1_30default_config_static_selectorELNS0_4arch9wavefront6targetE1EEEvT1_
                                        ; -- End function
	.set _ZN7rocprim17ROCPRIM_400000_NS6detail17trampoline_kernelINS0_14default_configENS1_25partition_config_selectorILNS1_17partition_subalgoE8EdNS0_10empty_typeEbEEZZNS1_14partition_implILS5_8ELb0ES3_jN6thrust23THRUST_200600_302600_NS6detail15normal_iteratorINSA_10device_ptrIdEEEEPS6_PKS6_NS0_5tupleIJSF_S6_EEENSJ_IJSG_SG_EEENS0_18inequality_wrapperINSA_8equal_toIdEEEEPmJS6_EEE10hipError_tPvRmT3_T4_T5_T6_T7_T9_mT8_P12ihipStream_tbDpT10_ENKUlT_T0_E_clISt17integral_constantIbLb1EES19_IbLb0EEEEDaS15_S16_EUlS15_E_NS1_11comp_targetILNS1_3genE4ELNS1_11target_archE910ELNS1_3gpuE8ELNS1_3repE0EEENS1_30default_config_static_selectorELNS0_4arch9wavefront6targetE1EEEvT1_.num_vgpr, 0
	.set _ZN7rocprim17ROCPRIM_400000_NS6detail17trampoline_kernelINS0_14default_configENS1_25partition_config_selectorILNS1_17partition_subalgoE8EdNS0_10empty_typeEbEEZZNS1_14partition_implILS5_8ELb0ES3_jN6thrust23THRUST_200600_302600_NS6detail15normal_iteratorINSA_10device_ptrIdEEEEPS6_PKS6_NS0_5tupleIJSF_S6_EEENSJ_IJSG_SG_EEENS0_18inequality_wrapperINSA_8equal_toIdEEEEPmJS6_EEE10hipError_tPvRmT3_T4_T5_T6_T7_T9_mT8_P12ihipStream_tbDpT10_ENKUlT_T0_E_clISt17integral_constantIbLb1EES19_IbLb0EEEEDaS15_S16_EUlS15_E_NS1_11comp_targetILNS1_3genE4ELNS1_11target_archE910ELNS1_3gpuE8ELNS1_3repE0EEENS1_30default_config_static_selectorELNS0_4arch9wavefront6targetE1EEEvT1_.num_agpr, 0
	.set _ZN7rocprim17ROCPRIM_400000_NS6detail17trampoline_kernelINS0_14default_configENS1_25partition_config_selectorILNS1_17partition_subalgoE8EdNS0_10empty_typeEbEEZZNS1_14partition_implILS5_8ELb0ES3_jN6thrust23THRUST_200600_302600_NS6detail15normal_iteratorINSA_10device_ptrIdEEEEPS6_PKS6_NS0_5tupleIJSF_S6_EEENSJ_IJSG_SG_EEENS0_18inequality_wrapperINSA_8equal_toIdEEEEPmJS6_EEE10hipError_tPvRmT3_T4_T5_T6_T7_T9_mT8_P12ihipStream_tbDpT10_ENKUlT_T0_E_clISt17integral_constantIbLb1EES19_IbLb0EEEEDaS15_S16_EUlS15_E_NS1_11comp_targetILNS1_3genE4ELNS1_11target_archE910ELNS1_3gpuE8ELNS1_3repE0EEENS1_30default_config_static_selectorELNS0_4arch9wavefront6targetE1EEEvT1_.numbered_sgpr, 0
	.set _ZN7rocprim17ROCPRIM_400000_NS6detail17trampoline_kernelINS0_14default_configENS1_25partition_config_selectorILNS1_17partition_subalgoE8EdNS0_10empty_typeEbEEZZNS1_14partition_implILS5_8ELb0ES3_jN6thrust23THRUST_200600_302600_NS6detail15normal_iteratorINSA_10device_ptrIdEEEEPS6_PKS6_NS0_5tupleIJSF_S6_EEENSJ_IJSG_SG_EEENS0_18inequality_wrapperINSA_8equal_toIdEEEEPmJS6_EEE10hipError_tPvRmT3_T4_T5_T6_T7_T9_mT8_P12ihipStream_tbDpT10_ENKUlT_T0_E_clISt17integral_constantIbLb1EES19_IbLb0EEEEDaS15_S16_EUlS15_E_NS1_11comp_targetILNS1_3genE4ELNS1_11target_archE910ELNS1_3gpuE8ELNS1_3repE0EEENS1_30default_config_static_selectorELNS0_4arch9wavefront6targetE1EEEvT1_.num_named_barrier, 0
	.set _ZN7rocprim17ROCPRIM_400000_NS6detail17trampoline_kernelINS0_14default_configENS1_25partition_config_selectorILNS1_17partition_subalgoE8EdNS0_10empty_typeEbEEZZNS1_14partition_implILS5_8ELb0ES3_jN6thrust23THRUST_200600_302600_NS6detail15normal_iteratorINSA_10device_ptrIdEEEEPS6_PKS6_NS0_5tupleIJSF_S6_EEENSJ_IJSG_SG_EEENS0_18inequality_wrapperINSA_8equal_toIdEEEEPmJS6_EEE10hipError_tPvRmT3_T4_T5_T6_T7_T9_mT8_P12ihipStream_tbDpT10_ENKUlT_T0_E_clISt17integral_constantIbLb1EES19_IbLb0EEEEDaS15_S16_EUlS15_E_NS1_11comp_targetILNS1_3genE4ELNS1_11target_archE910ELNS1_3gpuE8ELNS1_3repE0EEENS1_30default_config_static_selectorELNS0_4arch9wavefront6targetE1EEEvT1_.private_seg_size, 0
	.set _ZN7rocprim17ROCPRIM_400000_NS6detail17trampoline_kernelINS0_14default_configENS1_25partition_config_selectorILNS1_17partition_subalgoE8EdNS0_10empty_typeEbEEZZNS1_14partition_implILS5_8ELb0ES3_jN6thrust23THRUST_200600_302600_NS6detail15normal_iteratorINSA_10device_ptrIdEEEEPS6_PKS6_NS0_5tupleIJSF_S6_EEENSJ_IJSG_SG_EEENS0_18inequality_wrapperINSA_8equal_toIdEEEEPmJS6_EEE10hipError_tPvRmT3_T4_T5_T6_T7_T9_mT8_P12ihipStream_tbDpT10_ENKUlT_T0_E_clISt17integral_constantIbLb1EES19_IbLb0EEEEDaS15_S16_EUlS15_E_NS1_11comp_targetILNS1_3genE4ELNS1_11target_archE910ELNS1_3gpuE8ELNS1_3repE0EEENS1_30default_config_static_selectorELNS0_4arch9wavefront6targetE1EEEvT1_.uses_vcc, 0
	.set _ZN7rocprim17ROCPRIM_400000_NS6detail17trampoline_kernelINS0_14default_configENS1_25partition_config_selectorILNS1_17partition_subalgoE8EdNS0_10empty_typeEbEEZZNS1_14partition_implILS5_8ELb0ES3_jN6thrust23THRUST_200600_302600_NS6detail15normal_iteratorINSA_10device_ptrIdEEEEPS6_PKS6_NS0_5tupleIJSF_S6_EEENSJ_IJSG_SG_EEENS0_18inequality_wrapperINSA_8equal_toIdEEEEPmJS6_EEE10hipError_tPvRmT3_T4_T5_T6_T7_T9_mT8_P12ihipStream_tbDpT10_ENKUlT_T0_E_clISt17integral_constantIbLb1EES19_IbLb0EEEEDaS15_S16_EUlS15_E_NS1_11comp_targetILNS1_3genE4ELNS1_11target_archE910ELNS1_3gpuE8ELNS1_3repE0EEENS1_30default_config_static_selectorELNS0_4arch9wavefront6targetE1EEEvT1_.uses_flat_scratch, 0
	.set _ZN7rocprim17ROCPRIM_400000_NS6detail17trampoline_kernelINS0_14default_configENS1_25partition_config_selectorILNS1_17partition_subalgoE8EdNS0_10empty_typeEbEEZZNS1_14partition_implILS5_8ELb0ES3_jN6thrust23THRUST_200600_302600_NS6detail15normal_iteratorINSA_10device_ptrIdEEEEPS6_PKS6_NS0_5tupleIJSF_S6_EEENSJ_IJSG_SG_EEENS0_18inequality_wrapperINSA_8equal_toIdEEEEPmJS6_EEE10hipError_tPvRmT3_T4_T5_T6_T7_T9_mT8_P12ihipStream_tbDpT10_ENKUlT_T0_E_clISt17integral_constantIbLb1EES19_IbLb0EEEEDaS15_S16_EUlS15_E_NS1_11comp_targetILNS1_3genE4ELNS1_11target_archE910ELNS1_3gpuE8ELNS1_3repE0EEENS1_30default_config_static_selectorELNS0_4arch9wavefront6targetE1EEEvT1_.has_dyn_sized_stack, 0
	.set _ZN7rocprim17ROCPRIM_400000_NS6detail17trampoline_kernelINS0_14default_configENS1_25partition_config_selectorILNS1_17partition_subalgoE8EdNS0_10empty_typeEbEEZZNS1_14partition_implILS5_8ELb0ES3_jN6thrust23THRUST_200600_302600_NS6detail15normal_iteratorINSA_10device_ptrIdEEEEPS6_PKS6_NS0_5tupleIJSF_S6_EEENSJ_IJSG_SG_EEENS0_18inequality_wrapperINSA_8equal_toIdEEEEPmJS6_EEE10hipError_tPvRmT3_T4_T5_T6_T7_T9_mT8_P12ihipStream_tbDpT10_ENKUlT_T0_E_clISt17integral_constantIbLb1EES19_IbLb0EEEEDaS15_S16_EUlS15_E_NS1_11comp_targetILNS1_3genE4ELNS1_11target_archE910ELNS1_3gpuE8ELNS1_3repE0EEENS1_30default_config_static_selectorELNS0_4arch9wavefront6targetE1EEEvT1_.has_recursion, 0
	.set _ZN7rocprim17ROCPRIM_400000_NS6detail17trampoline_kernelINS0_14default_configENS1_25partition_config_selectorILNS1_17partition_subalgoE8EdNS0_10empty_typeEbEEZZNS1_14partition_implILS5_8ELb0ES3_jN6thrust23THRUST_200600_302600_NS6detail15normal_iteratorINSA_10device_ptrIdEEEEPS6_PKS6_NS0_5tupleIJSF_S6_EEENSJ_IJSG_SG_EEENS0_18inequality_wrapperINSA_8equal_toIdEEEEPmJS6_EEE10hipError_tPvRmT3_T4_T5_T6_T7_T9_mT8_P12ihipStream_tbDpT10_ENKUlT_T0_E_clISt17integral_constantIbLb1EES19_IbLb0EEEEDaS15_S16_EUlS15_E_NS1_11comp_targetILNS1_3genE4ELNS1_11target_archE910ELNS1_3gpuE8ELNS1_3repE0EEENS1_30default_config_static_selectorELNS0_4arch9wavefront6targetE1EEEvT1_.has_indirect_call, 0
	.section	.AMDGPU.csdata,"",@progbits
; Kernel info:
; codeLenInByte = 0
; TotalNumSgprs: 4
; NumVgprs: 0
; ScratchSize: 0
; MemoryBound: 0
; FloatMode: 240
; IeeeMode: 1
; LDSByteSize: 0 bytes/workgroup (compile time only)
; SGPRBlocks: 0
; VGPRBlocks: 0
; NumSGPRsForWavesPerEU: 4
; NumVGPRsForWavesPerEU: 1
; Occupancy: 10
; WaveLimiterHint : 0
; COMPUTE_PGM_RSRC2:SCRATCH_EN: 0
; COMPUTE_PGM_RSRC2:USER_SGPR: 6
; COMPUTE_PGM_RSRC2:TRAP_HANDLER: 0
; COMPUTE_PGM_RSRC2:TGID_X_EN: 1
; COMPUTE_PGM_RSRC2:TGID_Y_EN: 0
; COMPUTE_PGM_RSRC2:TGID_Z_EN: 0
; COMPUTE_PGM_RSRC2:TIDIG_COMP_CNT: 0
	.section	.text._ZN7rocprim17ROCPRIM_400000_NS6detail17trampoline_kernelINS0_14default_configENS1_25partition_config_selectorILNS1_17partition_subalgoE8EdNS0_10empty_typeEbEEZZNS1_14partition_implILS5_8ELb0ES3_jN6thrust23THRUST_200600_302600_NS6detail15normal_iteratorINSA_10device_ptrIdEEEEPS6_PKS6_NS0_5tupleIJSF_S6_EEENSJ_IJSG_SG_EEENS0_18inequality_wrapperINSA_8equal_toIdEEEEPmJS6_EEE10hipError_tPvRmT3_T4_T5_T6_T7_T9_mT8_P12ihipStream_tbDpT10_ENKUlT_T0_E_clISt17integral_constantIbLb1EES19_IbLb0EEEEDaS15_S16_EUlS15_E_NS1_11comp_targetILNS1_3genE3ELNS1_11target_archE908ELNS1_3gpuE7ELNS1_3repE0EEENS1_30default_config_static_selectorELNS0_4arch9wavefront6targetE1EEEvT1_,"axG",@progbits,_ZN7rocprim17ROCPRIM_400000_NS6detail17trampoline_kernelINS0_14default_configENS1_25partition_config_selectorILNS1_17partition_subalgoE8EdNS0_10empty_typeEbEEZZNS1_14partition_implILS5_8ELb0ES3_jN6thrust23THRUST_200600_302600_NS6detail15normal_iteratorINSA_10device_ptrIdEEEEPS6_PKS6_NS0_5tupleIJSF_S6_EEENSJ_IJSG_SG_EEENS0_18inequality_wrapperINSA_8equal_toIdEEEEPmJS6_EEE10hipError_tPvRmT3_T4_T5_T6_T7_T9_mT8_P12ihipStream_tbDpT10_ENKUlT_T0_E_clISt17integral_constantIbLb1EES19_IbLb0EEEEDaS15_S16_EUlS15_E_NS1_11comp_targetILNS1_3genE3ELNS1_11target_archE908ELNS1_3gpuE7ELNS1_3repE0EEENS1_30default_config_static_selectorELNS0_4arch9wavefront6targetE1EEEvT1_,comdat
	.protected	_ZN7rocprim17ROCPRIM_400000_NS6detail17trampoline_kernelINS0_14default_configENS1_25partition_config_selectorILNS1_17partition_subalgoE8EdNS0_10empty_typeEbEEZZNS1_14partition_implILS5_8ELb0ES3_jN6thrust23THRUST_200600_302600_NS6detail15normal_iteratorINSA_10device_ptrIdEEEEPS6_PKS6_NS0_5tupleIJSF_S6_EEENSJ_IJSG_SG_EEENS0_18inequality_wrapperINSA_8equal_toIdEEEEPmJS6_EEE10hipError_tPvRmT3_T4_T5_T6_T7_T9_mT8_P12ihipStream_tbDpT10_ENKUlT_T0_E_clISt17integral_constantIbLb1EES19_IbLb0EEEEDaS15_S16_EUlS15_E_NS1_11comp_targetILNS1_3genE3ELNS1_11target_archE908ELNS1_3gpuE7ELNS1_3repE0EEENS1_30default_config_static_selectorELNS0_4arch9wavefront6targetE1EEEvT1_ ; -- Begin function _ZN7rocprim17ROCPRIM_400000_NS6detail17trampoline_kernelINS0_14default_configENS1_25partition_config_selectorILNS1_17partition_subalgoE8EdNS0_10empty_typeEbEEZZNS1_14partition_implILS5_8ELb0ES3_jN6thrust23THRUST_200600_302600_NS6detail15normal_iteratorINSA_10device_ptrIdEEEEPS6_PKS6_NS0_5tupleIJSF_S6_EEENSJ_IJSG_SG_EEENS0_18inequality_wrapperINSA_8equal_toIdEEEEPmJS6_EEE10hipError_tPvRmT3_T4_T5_T6_T7_T9_mT8_P12ihipStream_tbDpT10_ENKUlT_T0_E_clISt17integral_constantIbLb1EES19_IbLb0EEEEDaS15_S16_EUlS15_E_NS1_11comp_targetILNS1_3genE3ELNS1_11target_archE908ELNS1_3gpuE7ELNS1_3repE0EEENS1_30default_config_static_selectorELNS0_4arch9wavefront6targetE1EEEvT1_
	.globl	_ZN7rocprim17ROCPRIM_400000_NS6detail17trampoline_kernelINS0_14default_configENS1_25partition_config_selectorILNS1_17partition_subalgoE8EdNS0_10empty_typeEbEEZZNS1_14partition_implILS5_8ELb0ES3_jN6thrust23THRUST_200600_302600_NS6detail15normal_iteratorINSA_10device_ptrIdEEEEPS6_PKS6_NS0_5tupleIJSF_S6_EEENSJ_IJSG_SG_EEENS0_18inequality_wrapperINSA_8equal_toIdEEEEPmJS6_EEE10hipError_tPvRmT3_T4_T5_T6_T7_T9_mT8_P12ihipStream_tbDpT10_ENKUlT_T0_E_clISt17integral_constantIbLb1EES19_IbLb0EEEEDaS15_S16_EUlS15_E_NS1_11comp_targetILNS1_3genE3ELNS1_11target_archE908ELNS1_3gpuE7ELNS1_3repE0EEENS1_30default_config_static_selectorELNS0_4arch9wavefront6targetE1EEEvT1_
	.p2align	8
	.type	_ZN7rocprim17ROCPRIM_400000_NS6detail17trampoline_kernelINS0_14default_configENS1_25partition_config_selectorILNS1_17partition_subalgoE8EdNS0_10empty_typeEbEEZZNS1_14partition_implILS5_8ELb0ES3_jN6thrust23THRUST_200600_302600_NS6detail15normal_iteratorINSA_10device_ptrIdEEEEPS6_PKS6_NS0_5tupleIJSF_S6_EEENSJ_IJSG_SG_EEENS0_18inequality_wrapperINSA_8equal_toIdEEEEPmJS6_EEE10hipError_tPvRmT3_T4_T5_T6_T7_T9_mT8_P12ihipStream_tbDpT10_ENKUlT_T0_E_clISt17integral_constantIbLb1EES19_IbLb0EEEEDaS15_S16_EUlS15_E_NS1_11comp_targetILNS1_3genE3ELNS1_11target_archE908ELNS1_3gpuE7ELNS1_3repE0EEENS1_30default_config_static_selectorELNS0_4arch9wavefront6targetE1EEEvT1_,@function
_ZN7rocprim17ROCPRIM_400000_NS6detail17trampoline_kernelINS0_14default_configENS1_25partition_config_selectorILNS1_17partition_subalgoE8EdNS0_10empty_typeEbEEZZNS1_14partition_implILS5_8ELb0ES3_jN6thrust23THRUST_200600_302600_NS6detail15normal_iteratorINSA_10device_ptrIdEEEEPS6_PKS6_NS0_5tupleIJSF_S6_EEENSJ_IJSG_SG_EEENS0_18inequality_wrapperINSA_8equal_toIdEEEEPmJS6_EEE10hipError_tPvRmT3_T4_T5_T6_T7_T9_mT8_P12ihipStream_tbDpT10_ENKUlT_T0_E_clISt17integral_constantIbLb1EES19_IbLb0EEEEDaS15_S16_EUlS15_E_NS1_11comp_targetILNS1_3genE3ELNS1_11target_archE908ELNS1_3gpuE7ELNS1_3repE0EEENS1_30default_config_static_selectorELNS0_4arch9wavefront6targetE1EEEvT1_: ; @_ZN7rocprim17ROCPRIM_400000_NS6detail17trampoline_kernelINS0_14default_configENS1_25partition_config_selectorILNS1_17partition_subalgoE8EdNS0_10empty_typeEbEEZZNS1_14partition_implILS5_8ELb0ES3_jN6thrust23THRUST_200600_302600_NS6detail15normal_iteratorINSA_10device_ptrIdEEEEPS6_PKS6_NS0_5tupleIJSF_S6_EEENSJ_IJSG_SG_EEENS0_18inequality_wrapperINSA_8equal_toIdEEEEPmJS6_EEE10hipError_tPvRmT3_T4_T5_T6_T7_T9_mT8_P12ihipStream_tbDpT10_ENKUlT_T0_E_clISt17integral_constantIbLb1EES19_IbLb0EEEEDaS15_S16_EUlS15_E_NS1_11comp_targetILNS1_3genE3ELNS1_11target_archE908ELNS1_3gpuE7ELNS1_3repE0EEENS1_30default_config_static_selectorELNS0_4arch9wavefront6targetE1EEEvT1_
; %bb.0:
	.section	.rodata,"a",@progbits
	.p2align	6, 0x0
	.amdhsa_kernel _ZN7rocprim17ROCPRIM_400000_NS6detail17trampoline_kernelINS0_14default_configENS1_25partition_config_selectorILNS1_17partition_subalgoE8EdNS0_10empty_typeEbEEZZNS1_14partition_implILS5_8ELb0ES3_jN6thrust23THRUST_200600_302600_NS6detail15normal_iteratorINSA_10device_ptrIdEEEEPS6_PKS6_NS0_5tupleIJSF_S6_EEENSJ_IJSG_SG_EEENS0_18inequality_wrapperINSA_8equal_toIdEEEEPmJS6_EEE10hipError_tPvRmT3_T4_T5_T6_T7_T9_mT8_P12ihipStream_tbDpT10_ENKUlT_T0_E_clISt17integral_constantIbLb1EES19_IbLb0EEEEDaS15_S16_EUlS15_E_NS1_11comp_targetILNS1_3genE3ELNS1_11target_archE908ELNS1_3gpuE7ELNS1_3repE0EEENS1_30default_config_static_selectorELNS0_4arch9wavefront6targetE1EEEvT1_
		.amdhsa_group_segment_fixed_size 0
		.amdhsa_private_segment_fixed_size 0
		.amdhsa_kernarg_size 112
		.amdhsa_user_sgpr_count 6
		.amdhsa_user_sgpr_private_segment_buffer 1
		.amdhsa_user_sgpr_dispatch_ptr 0
		.amdhsa_user_sgpr_queue_ptr 0
		.amdhsa_user_sgpr_kernarg_segment_ptr 1
		.amdhsa_user_sgpr_dispatch_id 0
		.amdhsa_user_sgpr_flat_scratch_init 0
		.amdhsa_user_sgpr_private_segment_size 0
		.amdhsa_uses_dynamic_stack 0
		.amdhsa_system_sgpr_private_segment_wavefront_offset 0
		.amdhsa_system_sgpr_workgroup_id_x 1
		.amdhsa_system_sgpr_workgroup_id_y 0
		.amdhsa_system_sgpr_workgroup_id_z 0
		.amdhsa_system_sgpr_workgroup_info 0
		.amdhsa_system_vgpr_workitem_id 0
		.amdhsa_next_free_vgpr 1
		.amdhsa_next_free_sgpr 0
		.amdhsa_reserve_vcc 0
		.amdhsa_reserve_flat_scratch 0
		.amdhsa_float_round_mode_32 0
		.amdhsa_float_round_mode_16_64 0
		.amdhsa_float_denorm_mode_32 3
		.amdhsa_float_denorm_mode_16_64 3
		.amdhsa_dx10_clamp 1
		.amdhsa_ieee_mode 1
		.amdhsa_fp16_overflow 0
		.amdhsa_exception_fp_ieee_invalid_op 0
		.amdhsa_exception_fp_denorm_src 0
		.amdhsa_exception_fp_ieee_div_zero 0
		.amdhsa_exception_fp_ieee_overflow 0
		.amdhsa_exception_fp_ieee_underflow 0
		.amdhsa_exception_fp_ieee_inexact 0
		.amdhsa_exception_int_div_zero 0
	.end_amdhsa_kernel
	.section	.text._ZN7rocprim17ROCPRIM_400000_NS6detail17trampoline_kernelINS0_14default_configENS1_25partition_config_selectorILNS1_17partition_subalgoE8EdNS0_10empty_typeEbEEZZNS1_14partition_implILS5_8ELb0ES3_jN6thrust23THRUST_200600_302600_NS6detail15normal_iteratorINSA_10device_ptrIdEEEEPS6_PKS6_NS0_5tupleIJSF_S6_EEENSJ_IJSG_SG_EEENS0_18inequality_wrapperINSA_8equal_toIdEEEEPmJS6_EEE10hipError_tPvRmT3_T4_T5_T6_T7_T9_mT8_P12ihipStream_tbDpT10_ENKUlT_T0_E_clISt17integral_constantIbLb1EES19_IbLb0EEEEDaS15_S16_EUlS15_E_NS1_11comp_targetILNS1_3genE3ELNS1_11target_archE908ELNS1_3gpuE7ELNS1_3repE0EEENS1_30default_config_static_selectorELNS0_4arch9wavefront6targetE1EEEvT1_,"axG",@progbits,_ZN7rocprim17ROCPRIM_400000_NS6detail17trampoline_kernelINS0_14default_configENS1_25partition_config_selectorILNS1_17partition_subalgoE8EdNS0_10empty_typeEbEEZZNS1_14partition_implILS5_8ELb0ES3_jN6thrust23THRUST_200600_302600_NS6detail15normal_iteratorINSA_10device_ptrIdEEEEPS6_PKS6_NS0_5tupleIJSF_S6_EEENSJ_IJSG_SG_EEENS0_18inequality_wrapperINSA_8equal_toIdEEEEPmJS6_EEE10hipError_tPvRmT3_T4_T5_T6_T7_T9_mT8_P12ihipStream_tbDpT10_ENKUlT_T0_E_clISt17integral_constantIbLb1EES19_IbLb0EEEEDaS15_S16_EUlS15_E_NS1_11comp_targetILNS1_3genE3ELNS1_11target_archE908ELNS1_3gpuE7ELNS1_3repE0EEENS1_30default_config_static_selectorELNS0_4arch9wavefront6targetE1EEEvT1_,comdat
.Lfunc_end33:
	.size	_ZN7rocprim17ROCPRIM_400000_NS6detail17trampoline_kernelINS0_14default_configENS1_25partition_config_selectorILNS1_17partition_subalgoE8EdNS0_10empty_typeEbEEZZNS1_14partition_implILS5_8ELb0ES3_jN6thrust23THRUST_200600_302600_NS6detail15normal_iteratorINSA_10device_ptrIdEEEEPS6_PKS6_NS0_5tupleIJSF_S6_EEENSJ_IJSG_SG_EEENS0_18inequality_wrapperINSA_8equal_toIdEEEEPmJS6_EEE10hipError_tPvRmT3_T4_T5_T6_T7_T9_mT8_P12ihipStream_tbDpT10_ENKUlT_T0_E_clISt17integral_constantIbLb1EES19_IbLb0EEEEDaS15_S16_EUlS15_E_NS1_11comp_targetILNS1_3genE3ELNS1_11target_archE908ELNS1_3gpuE7ELNS1_3repE0EEENS1_30default_config_static_selectorELNS0_4arch9wavefront6targetE1EEEvT1_, .Lfunc_end33-_ZN7rocprim17ROCPRIM_400000_NS6detail17trampoline_kernelINS0_14default_configENS1_25partition_config_selectorILNS1_17partition_subalgoE8EdNS0_10empty_typeEbEEZZNS1_14partition_implILS5_8ELb0ES3_jN6thrust23THRUST_200600_302600_NS6detail15normal_iteratorINSA_10device_ptrIdEEEEPS6_PKS6_NS0_5tupleIJSF_S6_EEENSJ_IJSG_SG_EEENS0_18inequality_wrapperINSA_8equal_toIdEEEEPmJS6_EEE10hipError_tPvRmT3_T4_T5_T6_T7_T9_mT8_P12ihipStream_tbDpT10_ENKUlT_T0_E_clISt17integral_constantIbLb1EES19_IbLb0EEEEDaS15_S16_EUlS15_E_NS1_11comp_targetILNS1_3genE3ELNS1_11target_archE908ELNS1_3gpuE7ELNS1_3repE0EEENS1_30default_config_static_selectorELNS0_4arch9wavefront6targetE1EEEvT1_
                                        ; -- End function
	.set _ZN7rocprim17ROCPRIM_400000_NS6detail17trampoline_kernelINS0_14default_configENS1_25partition_config_selectorILNS1_17partition_subalgoE8EdNS0_10empty_typeEbEEZZNS1_14partition_implILS5_8ELb0ES3_jN6thrust23THRUST_200600_302600_NS6detail15normal_iteratorINSA_10device_ptrIdEEEEPS6_PKS6_NS0_5tupleIJSF_S6_EEENSJ_IJSG_SG_EEENS0_18inequality_wrapperINSA_8equal_toIdEEEEPmJS6_EEE10hipError_tPvRmT3_T4_T5_T6_T7_T9_mT8_P12ihipStream_tbDpT10_ENKUlT_T0_E_clISt17integral_constantIbLb1EES19_IbLb0EEEEDaS15_S16_EUlS15_E_NS1_11comp_targetILNS1_3genE3ELNS1_11target_archE908ELNS1_3gpuE7ELNS1_3repE0EEENS1_30default_config_static_selectorELNS0_4arch9wavefront6targetE1EEEvT1_.num_vgpr, 0
	.set _ZN7rocprim17ROCPRIM_400000_NS6detail17trampoline_kernelINS0_14default_configENS1_25partition_config_selectorILNS1_17partition_subalgoE8EdNS0_10empty_typeEbEEZZNS1_14partition_implILS5_8ELb0ES3_jN6thrust23THRUST_200600_302600_NS6detail15normal_iteratorINSA_10device_ptrIdEEEEPS6_PKS6_NS0_5tupleIJSF_S6_EEENSJ_IJSG_SG_EEENS0_18inequality_wrapperINSA_8equal_toIdEEEEPmJS6_EEE10hipError_tPvRmT3_T4_T5_T6_T7_T9_mT8_P12ihipStream_tbDpT10_ENKUlT_T0_E_clISt17integral_constantIbLb1EES19_IbLb0EEEEDaS15_S16_EUlS15_E_NS1_11comp_targetILNS1_3genE3ELNS1_11target_archE908ELNS1_3gpuE7ELNS1_3repE0EEENS1_30default_config_static_selectorELNS0_4arch9wavefront6targetE1EEEvT1_.num_agpr, 0
	.set _ZN7rocprim17ROCPRIM_400000_NS6detail17trampoline_kernelINS0_14default_configENS1_25partition_config_selectorILNS1_17partition_subalgoE8EdNS0_10empty_typeEbEEZZNS1_14partition_implILS5_8ELb0ES3_jN6thrust23THRUST_200600_302600_NS6detail15normal_iteratorINSA_10device_ptrIdEEEEPS6_PKS6_NS0_5tupleIJSF_S6_EEENSJ_IJSG_SG_EEENS0_18inequality_wrapperINSA_8equal_toIdEEEEPmJS6_EEE10hipError_tPvRmT3_T4_T5_T6_T7_T9_mT8_P12ihipStream_tbDpT10_ENKUlT_T0_E_clISt17integral_constantIbLb1EES19_IbLb0EEEEDaS15_S16_EUlS15_E_NS1_11comp_targetILNS1_3genE3ELNS1_11target_archE908ELNS1_3gpuE7ELNS1_3repE0EEENS1_30default_config_static_selectorELNS0_4arch9wavefront6targetE1EEEvT1_.numbered_sgpr, 0
	.set _ZN7rocprim17ROCPRIM_400000_NS6detail17trampoline_kernelINS0_14default_configENS1_25partition_config_selectorILNS1_17partition_subalgoE8EdNS0_10empty_typeEbEEZZNS1_14partition_implILS5_8ELb0ES3_jN6thrust23THRUST_200600_302600_NS6detail15normal_iteratorINSA_10device_ptrIdEEEEPS6_PKS6_NS0_5tupleIJSF_S6_EEENSJ_IJSG_SG_EEENS0_18inequality_wrapperINSA_8equal_toIdEEEEPmJS6_EEE10hipError_tPvRmT3_T4_T5_T6_T7_T9_mT8_P12ihipStream_tbDpT10_ENKUlT_T0_E_clISt17integral_constantIbLb1EES19_IbLb0EEEEDaS15_S16_EUlS15_E_NS1_11comp_targetILNS1_3genE3ELNS1_11target_archE908ELNS1_3gpuE7ELNS1_3repE0EEENS1_30default_config_static_selectorELNS0_4arch9wavefront6targetE1EEEvT1_.num_named_barrier, 0
	.set _ZN7rocprim17ROCPRIM_400000_NS6detail17trampoline_kernelINS0_14default_configENS1_25partition_config_selectorILNS1_17partition_subalgoE8EdNS0_10empty_typeEbEEZZNS1_14partition_implILS5_8ELb0ES3_jN6thrust23THRUST_200600_302600_NS6detail15normal_iteratorINSA_10device_ptrIdEEEEPS6_PKS6_NS0_5tupleIJSF_S6_EEENSJ_IJSG_SG_EEENS0_18inequality_wrapperINSA_8equal_toIdEEEEPmJS6_EEE10hipError_tPvRmT3_T4_T5_T6_T7_T9_mT8_P12ihipStream_tbDpT10_ENKUlT_T0_E_clISt17integral_constantIbLb1EES19_IbLb0EEEEDaS15_S16_EUlS15_E_NS1_11comp_targetILNS1_3genE3ELNS1_11target_archE908ELNS1_3gpuE7ELNS1_3repE0EEENS1_30default_config_static_selectorELNS0_4arch9wavefront6targetE1EEEvT1_.private_seg_size, 0
	.set _ZN7rocprim17ROCPRIM_400000_NS6detail17trampoline_kernelINS0_14default_configENS1_25partition_config_selectorILNS1_17partition_subalgoE8EdNS0_10empty_typeEbEEZZNS1_14partition_implILS5_8ELb0ES3_jN6thrust23THRUST_200600_302600_NS6detail15normal_iteratorINSA_10device_ptrIdEEEEPS6_PKS6_NS0_5tupleIJSF_S6_EEENSJ_IJSG_SG_EEENS0_18inequality_wrapperINSA_8equal_toIdEEEEPmJS6_EEE10hipError_tPvRmT3_T4_T5_T6_T7_T9_mT8_P12ihipStream_tbDpT10_ENKUlT_T0_E_clISt17integral_constantIbLb1EES19_IbLb0EEEEDaS15_S16_EUlS15_E_NS1_11comp_targetILNS1_3genE3ELNS1_11target_archE908ELNS1_3gpuE7ELNS1_3repE0EEENS1_30default_config_static_selectorELNS0_4arch9wavefront6targetE1EEEvT1_.uses_vcc, 0
	.set _ZN7rocprim17ROCPRIM_400000_NS6detail17trampoline_kernelINS0_14default_configENS1_25partition_config_selectorILNS1_17partition_subalgoE8EdNS0_10empty_typeEbEEZZNS1_14partition_implILS5_8ELb0ES3_jN6thrust23THRUST_200600_302600_NS6detail15normal_iteratorINSA_10device_ptrIdEEEEPS6_PKS6_NS0_5tupleIJSF_S6_EEENSJ_IJSG_SG_EEENS0_18inequality_wrapperINSA_8equal_toIdEEEEPmJS6_EEE10hipError_tPvRmT3_T4_T5_T6_T7_T9_mT8_P12ihipStream_tbDpT10_ENKUlT_T0_E_clISt17integral_constantIbLb1EES19_IbLb0EEEEDaS15_S16_EUlS15_E_NS1_11comp_targetILNS1_3genE3ELNS1_11target_archE908ELNS1_3gpuE7ELNS1_3repE0EEENS1_30default_config_static_selectorELNS0_4arch9wavefront6targetE1EEEvT1_.uses_flat_scratch, 0
	.set _ZN7rocprim17ROCPRIM_400000_NS6detail17trampoline_kernelINS0_14default_configENS1_25partition_config_selectorILNS1_17partition_subalgoE8EdNS0_10empty_typeEbEEZZNS1_14partition_implILS5_8ELb0ES3_jN6thrust23THRUST_200600_302600_NS6detail15normal_iteratorINSA_10device_ptrIdEEEEPS6_PKS6_NS0_5tupleIJSF_S6_EEENSJ_IJSG_SG_EEENS0_18inequality_wrapperINSA_8equal_toIdEEEEPmJS6_EEE10hipError_tPvRmT3_T4_T5_T6_T7_T9_mT8_P12ihipStream_tbDpT10_ENKUlT_T0_E_clISt17integral_constantIbLb1EES19_IbLb0EEEEDaS15_S16_EUlS15_E_NS1_11comp_targetILNS1_3genE3ELNS1_11target_archE908ELNS1_3gpuE7ELNS1_3repE0EEENS1_30default_config_static_selectorELNS0_4arch9wavefront6targetE1EEEvT1_.has_dyn_sized_stack, 0
	.set _ZN7rocprim17ROCPRIM_400000_NS6detail17trampoline_kernelINS0_14default_configENS1_25partition_config_selectorILNS1_17partition_subalgoE8EdNS0_10empty_typeEbEEZZNS1_14partition_implILS5_8ELb0ES3_jN6thrust23THRUST_200600_302600_NS6detail15normal_iteratorINSA_10device_ptrIdEEEEPS6_PKS6_NS0_5tupleIJSF_S6_EEENSJ_IJSG_SG_EEENS0_18inequality_wrapperINSA_8equal_toIdEEEEPmJS6_EEE10hipError_tPvRmT3_T4_T5_T6_T7_T9_mT8_P12ihipStream_tbDpT10_ENKUlT_T0_E_clISt17integral_constantIbLb1EES19_IbLb0EEEEDaS15_S16_EUlS15_E_NS1_11comp_targetILNS1_3genE3ELNS1_11target_archE908ELNS1_3gpuE7ELNS1_3repE0EEENS1_30default_config_static_selectorELNS0_4arch9wavefront6targetE1EEEvT1_.has_recursion, 0
	.set _ZN7rocprim17ROCPRIM_400000_NS6detail17trampoline_kernelINS0_14default_configENS1_25partition_config_selectorILNS1_17partition_subalgoE8EdNS0_10empty_typeEbEEZZNS1_14partition_implILS5_8ELb0ES3_jN6thrust23THRUST_200600_302600_NS6detail15normal_iteratorINSA_10device_ptrIdEEEEPS6_PKS6_NS0_5tupleIJSF_S6_EEENSJ_IJSG_SG_EEENS0_18inequality_wrapperINSA_8equal_toIdEEEEPmJS6_EEE10hipError_tPvRmT3_T4_T5_T6_T7_T9_mT8_P12ihipStream_tbDpT10_ENKUlT_T0_E_clISt17integral_constantIbLb1EES19_IbLb0EEEEDaS15_S16_EUlS15_E_NS1_11comp_targetILNS1_3genE3ELNS1_11target_archE908ELNS1_3gpuE7ELNS1_3repE0EEENS1_30default_config_static_selectorELNS0_4arch9wavefront6targetE1EEEvT1_.has_indirect_call, 0
	.section	.AMDGPU.csdata,"",@progbits
; Kernel info:
; codeLenInByte = 0
; TotalNumSgprs: 4
; NumVgprs: 0
; ScratchSize: 0
; MemoryBound: 0
; FloatMode: 240
; IeeeMode: 1
; LDSByteSize: 0 bytes/workgroup (compile time only)
; SGPRBlocks: 0
; VGPRBlocks: 0
; NumSGPRsForWavesPerEU: 4
; NumVGPRsForWavesPerEU: 1
; Occupancy: 10
; WaveLimiterHint : 0
; COMPUTE_PGM_RSRC2:SCRATCH_EN: 0
; COMPUTE_PGM_RSRC2:USER_SGPR: 6
; COMPUTE_PGM_RSRC2:TRAP_HANDLER: 0
; COMPUTE_PGM_RSRC2:TGID_X_EN: 1
; COMPUTE_PGM_RSRC2:TGID_Y_EN: 0
; COMPUTE_PGM_RSRC2:TGID_Z_EN: 0
; COMPUTE_PGM_RSRC2:TIDIG_COMP_CNT: 0
	.section	.text._ZN7rocprim17ROCPRIM_400000_NS6detail17trampoline_kernelINS0_14default_configENS1_25partition_config_selectorILNS1_17partition_subalgoE8EdNS0_10empty_typeEbEEZZNS1_14partition_implILS5_8ELb0ES3_jN6thrust23THRUST_200600_302600_NS6detail15normal_iteratorINSA_10device_ptrIdEEEEPS6_PKS6_NS0_5tupleIJSF_S6_EEENSJ_IJSG_SG_EEENS0_18inequality_wrapperINSA_8equal_toIdEEEEPmJS6_EEE10hipError_tPvRmT3_T4_T5_T6_T7_T9_mT8_P12ihipStream_tbDpT10_ENKUlT_T0_E_clISt17integral_constantIbLb1EES19_IbLb0EEEEDaS15_S16_EUlS15_E_NS1_11comp_targetILNS1_3genE2ELNS1_11target_archE906ELNS1_3gpuE6ELNS1_3repE0EEENS1_30default_config_static_selectorELNS0_4arch9wavefront6targetE1EEEvT1_,"axG",@progbits,_ZN7rocprim17ROCPRIM_400000_NS6detail17trampoline_kernelINS0_14default_configENS1_25partition_config_selectorILNS1_17partition_subalgoE8EdNS0_10empty_typeEbEEZZNS1_14partition_implILS5_8ELb0ES3_jN6thrust23THRUST_200600_302600_NS6detail15normal_iteratorINSA_10device_ptrIdEEEEPS6_PKS6_NS0_5tupleIJSF_S6_EEENSJ_IJSG_SG_EEENS0_18inequality_wrapperINSA_8equal_toIdEEEEPmJS6_EEE10hipError_tPvRmT3_T4_T5_T6_T7_T9_mT8_P12ihipStream_tbDpT10_ENKUlT_T0_E_clISt17integral_constantIbLb1EES19_IbLb0EEEEDaS15_S16_EUlS15_E_NS1_11comp_targetILNS1_3genE2ELNS1_11target_archE906ELNS1_3gpuE6ELNS1_3repE0EEENS1_30default_config_static_selectorELNS0_4arch9wavefront6targetE1EEEvT1_,comdat
	.protected	_ZN7rocprim17ROCPRIM_400000_NS6detail17trampoline_kernelINS0_14default_configENS1_25partition_config_selectorILNS1_17partition_subalgoE8EdNS0_10empty_typeEbEEZZNS1_14partition_implILS5_8ELb0ES3_jN6thrust23THRUST_200600_302600_NS6detail15normal_iteratorINSA_10device_ptrIdEEEEPS6_PKS6_NS0_5tupleIJSF_S6_EEENSJ_IJSG_SG_EEENS0_18inequality_wrapperINSA_8equal_toIdEEEEPmJS6_EEE10hipError_tPvRmT3_T4_T5_T6_T7_T9_mT8_P12ihipStream_tbDpT10_ENKUlT_T0_E_clISt17integral_constantIbLb1EES19_IbLb0EEEEDaS15_S16_EUlS15_E_NS1_11comp_targetILNS1_3genE2ELNS1_11target_archE906ELNS1_3gpuE6ELNS1_3repE0EEENS1_30default_config_static_selectorELNS0_4arch9wavefront6targetE1EEEvT1_ ; -- Begin function _ZN7rocprim17ROCPRIM_400000_NS6detail17trampoline_kernelINS0_14default_configENS1_25partition_config_selectorILNS1_17partition_subalgoE8EdNS0_10empty_typeEbEEZZNS1_14partition_implILS5_8ELb0ES3_jN6thrust23THRUST_200600_302600_NS6detail15normal_iteratorINSA_10device_ptrIdEEEEPS6_PKS6_NS0_5tupleIJSF_S6_EEENSJ_IJSG_SG_EEENS0_18inequality_wrapperINSA_8equal_toIdEEEEPmJS6_EEE10hipError_tPvRmT3_T4_T5_T6_T7_T9_mT8_P12ihipStream_tbDpT10_ENKUlT_T0_E_clISt17integral_constantIbLb1EES19_IbLb0EEEEDaS15_S16_EUlS15_E_NS1_11comp_targetILNS1_3genE2ELNS1_11target_archE906ELNS1_3gpuE6ELNS1_3repE0EEENS1_30default_config_static_selectorELNS0_4arch9wavefront6targetE1EEEvT1_
	.globl	_ZN7rocprim17ROCPRIM_400000_NS6detail17trampoline_kernelINS0_14default_configENS1_25partition_config_selectorILNS1_17partition_subalgoE8EdNS0_10empty_typeEbEEZZNS1_14partition_implILS5_8ELb0ES3_jN6thrust23THRUST_200600_302600_NS6detail15normal_iteratorINSA_10device_ptrIdEEEEPS6_PKS6_NS0_5tupleIJSF_S6_EEENSJ_IJSG_SG_EEENS0_18inequality_wrapperINSA_8equal_toIdEEEEPmJS6_EEE10hipError_tPvRmT3_T4_T5_T6_T7_T9_mT8_P12ihipStream_tbDpT10_ENKUlT_T0_E_clISt17integral_constantIbLb1EES19_IbLb0EEEEDaS15_S16_EUlS15_E_NS1_11comp_targetILNS1_3genE2ELNS1_11target_archE906ELNS1_3gpuE6ELNS1_3repE0EEENS1_30default_config_static_selectorELNS0_4arch9wavefront6targetE1EEEvT1_
	.p2align	8
	.type	_ZN7rocprim17ROCPRIM_400000_NS6detail17trampoline_kernelINS0_14default_configENS1_25partition_config_selectorILNS1_17partition_subalgoE8EdNS0_10empty_typeEbEEZZNS1_14partition_implILS5_8ELb0ES3_jN6thrust23THRUST_200600_302600_NS6detail15normal_iteratorINSA_10device_ptrIdEEEEPS6_PKS6_NS0_5tupleIJSF_S6_EEENSJ_IJSG_SG_EEENS0_18inequality_wrapperINSA_8equal_toIdEEEEPmJS6_EEE10hipError_tPvRmT3_T4_T5_T6_T7_T9_mT8_P12ihipStream_tbDpT10_ENKUlT_T0_E_clISt17integral_constantIbLb1EES19_IbLb0EEEEDaS15_S16_EUlS15_E_NS1_11comp_targetILNS1_3genE2ELNS1_11target_archE906ELNS1_3gpuE6ELNS1_3repE0EEENS1_30default_config_static_selectorELNS0_4arch9wavefront6targetE1EEEvT1_,@function
_ZN7rocprim17ROCPRIM_400000_NS6detail17trampoline_kernelINS0_14default_configENS1_25partition_config_selectorILNS1_17partition_subalgoE8EdNS0_10empty_typeEbEEZZNS1_14partition_implILS5_8ELb0ES3_jN6thrust23THRUST_200600_302600_NS6detail15normal_iteratorINSA_10device_ptrIdEEEEPS6_PKS6_NS0_5tupleIJSF_S6_EEENSJ_IJSG_SG_EEENS0_18inequality_wrapperINSA_8equal_toIdEEEEPmJS6_EEE10hipError_tPvRmT3_T4_T5_T6_T7_T9_mT8_P12ihipStream_tbDpT10_ENKUlT_T0_E_clISt17integral_constantIbLb1EES19_IbLb0EEEEDaS15_S16_EUlS15_E_NS1_11comp_targetILNS1_3genE2ELNS1_11target_archE906ELNS1_3gpuE6ELNS1_3repE0EEENS1_30default_config_static_selectorELNS0_4arch9wavefront6targetE1EEEvT1_: ; @_ZN7rocprim17ROCPRIM_400000_NS6detail17trampoline_kernelINS0_14default_configENS1_25partition_config_selectorILNS1_17partition_subalgoE8EdNS0_10empty_typeEbEEZZNS1_14partition_implILS5_8ELb0ES3_jN6thrust23THRUST_200600_302600_NS6detail15normal_iteratorINSA_10device_ptrIdEEEEPS6_PKS6_NS0_5tupleIJSF_S6_EEENSJ_IJSG_SG_EEENS0_18inequality_wrapperINSA_8equal_toIdEEEEPmJS6_EEE10hipError_tPvRmT3_T4_T5_T6_T7_T9_mT8_P12ihipStream_tbDpT10_ENKUlT_T0_E_clISt17integral_constantIbLb1EES19_IbLb0EEEEDaS15_S16_EUlS15_E_NS1_11comp_targetILNS1_3genE2ELNS1_11target_archE906ELNS1_3gpuE6ELNS1_3repE0EEENS1_30default_config_static_selectorELNS0_4arch9wavefront6targetE1EEEvT1_
; %bb.0:
	s_endpgm
	.section	.rodata,"a",@progbits
	.p2align	6, 0x0
	.amdhsa_kernel _ZN7rocprim17ROCPRIM_400000_NS6detail17trampoline_kernelINS0_14default_configENS1_25partition_config_selectorILNS1_17partition_subalgoE8EdNS0_10empty_typeEbEEZZNS1_14partition_implILS5_8ELb0ES3_jN6thrust23THRUST_200600_302600_NS6detail15normal_iteratorINSA_10device_ptrIdEEEEPS6_PKS6_NS0_5tupleIJSF_S6_EEENSJ_IJSG_SG_EEENS0_18inequality_wrapperINSA_8equal_toIdEEEEPmJS6_EEE10hipError_tPvRmT3_T4_T5_T6_T7_T9_mT8_P12ihipStream_tbDpT10_ENKUlT_T0_E_clISt17integral_constantIbLb1EES19_IbLb0EEEEDaS15_S16_EUlS15_E_NS1_11comp_targetILNS1_3genE2ELNS1_11target_archE906ELNS1_3gpuE6ELNS1_3repE0EEENS1_30default_config_static_selectorELNS0_4arch9wavefront6targetE1EEEvT1_
		.amdhsa_group_segment_fixed_size 0
		.amdhsa_private_segment_fixed_size 0
		.amdhsa_kernarg_size 112
		.amdhsa_user_sgpr_count 6
		.amdhsa_user_sgpr_private_segment_buffer 1
		.amdhsa_user_sgpr_dispatch_ptr 0
		.amdhsa_user_sgpr_queue_ptr 0
		.amdhsa_user_sgpr_kernarg_segment_ptr 1
		.amdhsa_user_sgpr_dispatch_id 0
		.amdhsa_user_sgpr_flat_scratch_init 0
		.amdhsa_user_sgpr_private_segment_size 0
		.amdhsa_uses_dynamic_stack 0
		.amdhsa_system_sgpr_private_segment_wavefront_offset 0
		.amdhsa_system_sgpr_workgroup_id_x 1
		.amdhsa_system_sgpr_workgroup_id_y 0
		.amdhsa_system_sgpr_workgroup_id_z 0
		.amdhsa_system_sgpr_workgroup_info 0
		.amdhsa_system_vgpr_workitem_id 0
		.amdhsa_next_free_vgpr 1
		.amdhsa_next_free_sgpr 0
		.amdhsa_reserve_vcc 0
		.amdhsa_reserve_flat_scratch 0
		.amdhsa_float_round_mode_32 0
		.amdhsa_float_round_mode_16_64 0
		.amdhsa_float_denorm_mode_32 3
		.amdhsa_float_denorm_mode_16_64 3
		.amdhsa_dx10_clamp 1
		.amdhsa_ieee_mode 1
		.amdhsa_fp16_overflow 0
		.amdhsa_exception_fp_ieee_invalid_op 0
		.amdhsa_exception_fp_denorm_src 0
		.amdhsa_exception_fp_ieee_div_zero 0
		.amdhsa_exception_fp_ieee_overflow 0
		.amdhsa_exception_fp_ieee_underflow 0
		.amdhsa_exception_fp_ieee_inexact 0
		.amdhsa_exception_int_div_zero 0
	.end_amdhsa_kernel
	.section	.text._ZN7rocprim17ROCPRIM_400000_NS6detail17trampoline_kernelINS0_14default_configENS1_25partition_config_selectorILNS1_17partition_subalgoE8EdNS0_10empty_typeEbEEZZNS1_14partition_implILS5_8ELb0ES3_jN6thrust23THRUST_200600_302600_NS6detail15normal_iteratorINSA_10device_ptrIdEEEEPS6_PKS6_NS0_5tupleIJSF_S6_EEENSJ_IJSG_SG_EEENS0_18inequality_wrapperINSA_8equal_toIdEEEEPmJS6_EEE10hipError_tPvRmT3_T4_T5_T6_T7_T9_mT8_P12ihipStream_tbDpT10_ENKUlT_T0_E_clISt17integral_constantIbLb1EES19_IbLb0EEEEDaS15_S16_EUlS15_E_NS1_11comp_targetILNS1_3genE2ELNS1_11target_archE906ELNS1_3gpuE6ELNS1_3repE0EEENS1_30default_config_static_selectorELNS0_4arch9wavefront6targetE1EEEvT1_,"axG",@progbits,_ZN7rocprim17ROCPRIM_400000_NS6detail17trampoline_kernelINS0_14default_configENS1_25partition_config_selectorILNS1_17partition_subalgoE8EdNS0_10empty_typeEbEEZZNS1_14partition_implILS5_8ELb0ES3_jN6thrust23THRUST_200600_302600_NS6detail15normal_iteratorINSA_10device_ptrIdEEEEPS6_PKS6_NS0_5tupleIJSF_S6_EEENSJ_IJSG_SG_EEENS0_18inequality_wrapperINSA_8equal_toIdEEEEPmJS6_EEE10hipError_tPvRmT3_T4_T5_T6_T7_T9_mT8_P12ihipStream_tbDpT10_ENKUlT_T0_E_clISt17integral_constantIbLb1EES19_IbLb0EEEEDaS15_S16_EUlS15_E_NS1_11comp_targetILNS1_3genE2ELNS1_11target_archE906ELNS1_3gpuE6ELNS1_3repE0EEENS1_30default_config_static_selectorELNS0_4arch9wavefront6targetE1EEEvT1_,comdat
.Lfunc_end34:
	.size	_ZN7rocprim17ROCPRIM_400000_NS6detail17trampoline_kernelINS0_14default_configENS1_25partition_config_selectorILNS1_17partition_subalgoE8EdNS0_10empty_typeEbEEZZNS1_14partition_implILS5_8ELb0ES3_jN6thrust23THRUST_200600_302600_NS6detail15normal_iteratorINSA_10device_ptrIdEEEEPS6_PKS6_NS0_5tupleIJSF_S6_EEENSJ_IJSG_SG_EEENS0_18inequality_wrapperINSA_8equal_toIdEEEEPmJS6_EEE10hipError_tPvRmT3_T4_T5_T6_T7_T9_mT8_P12ihipStream_tbDpT10_ENKUlT_T0_E_clISt17integral_constantIbLb1EES19_IbLb0EEEEDaS15_S16_EUlS15_E_NS1_11comp_targetILNS1_3genE2ELNS1_11target_archE906ELNS1_3gpuE6ELNS1_3repE0EEENS1_30default_config_static_selectorELNS0_4arch9wavefront6targetE1EEEvT1_, .Lfunc_end34-_ZN7rocprim17ROCPRIM_400000_NS6detail17trampoline_kernelINS0_14default_configENS1_25partition_config_selectorILNS1_17partition_subalgoE8EdNS0_10empty_typeEbEEZZNS1_14partition_implILS5_8ELb0ES3_jN6thrust23THRUST_200600_302600_NS6detail15normal_iteratorINSA_10device_ptrIdEEEEPS6_PKS6_NS0_5tupleIJSF_S6_EEENSJ_IJSG_SG_EEENS0_18inequality_wrapperINSA_8equal_toIdEEEEPmJS6_EEE10hipError_tPvRmT3_T4_T5_T6_T7_T9_mT8_P12ihipStream_tbDpT10_ENKUlT_T0_E_clISt17integral_constantIbLb1EES19_IbLb0EEEEDaS15_S16_EUlS15_E_NS1_11comp_targetILNS1_3genE2ELNS1_11target_archE906ELNS1_3gpuE6ELNS1_3repE0EEENS1_30default_config_static_selectorELNS0_4arch9wavefront6targetE1EEEvT1_
                                        ; -- End function
	.set _ZN7rocprim17ROCPRIM_400000_NS6detail17trampoline_kernelINS0_14default_configENS1_25partition_config_selectorILNS1_17partition_subalgoE8EdNS0_10empty_typeEbEEZZNS1_14partition_implILS5_8ELb0ES3_jN6thrust23THRUST_200600_302600_NS6detail15normal_iteratorINSA_10device_ptrIdEEEEPS6_PKS6_NS0_5tupleIJSF_S6_EEENSJ_IJSG_SG_EEENS0_18inequality_wrapperINSA_8equal_toIdEEEEPmJS6_EEE10hipError_tPvRmT3_T4_T5_T6_T7_T9_mT8_P12ihipStream_tbDpT10_ENKUlT_T0_E_clISt17integral_constantIbLb1EES19_IbLb0EEEEDaS15_S16_EUlS15_E_NS1_11comp_targetILNS1_3genE2ELNS1_11target_archE906ELNS1_3gpuE6ELNS1_3repE0EEENS1_30default_config_static_selectorELNS0_4arch9wavefront6targetE1EEEvT1_.num_vgpr, 0
	.set _ZN7rocprim17ROCPRIM_400000_NS6detail17trampoline_kernelINS0_14default_configENS1_25partition_config_selectorILNS1_17partition_subalgoE8EdNS0_10empty_typeEbEEZZNS1_14partition_implILS5_8ELb0ES3_jN6thrust23THRUST_200600_302600_NS6detail15normal_iteratorINSA_10device_ptrIdEEEEPS6_PKS6_NS0_5tupleIJSF_S6_EEENSJ_IJSG_SG_EEENS0_18inequality_wrapperINSA_8equal_toIdEEEEPmJS6_EEE10hipError_tPvRmT3_T4_T5_T6_T7_T9_mT8_P12ihipStream_tbDpT10_ENKUlT_T0_E_clISt17integral_constantIbLb1EES19_IbLb0EEEEDaS15_S16_EUlS15_E_NS1_11comp_targetILNS1_3genE2ELNS1_11target_archE906ELNS1_3gpuE6ELNS1_3repE0EEENS1_30default_config_static_selectorELNS0_4arch9wavefront6targetE1EEEvT1_.num_agpr, 0
	.set _ZN7rocprim17ROCPRIM_400000_NS6detail17trampoline_kernelINS0_14default_configENS1_25partition_config_selectorILNS1_17partition_subalgoE8EdNS0_10empty_typeEbEEZZNS1_14partition_implILS5_8ELb0ES3_jN6thrust23THRUST_200600_302600_NS6detail15normal_iteratorINSA_10device_ptrIdEEEEPS6_PKS6_NS0_5tupleIJSF_S6_EEENSJ_IJSG_SG_EEENS0_18inequality_wrapperINSA_8equal_toIdEEEEPmJS6_EEE10hipError_tPvRmT3_T4_T5_T6_T7_T9_mT8_P12ihipStream_tbDpT10_ENKUlT_T0_E_clISt17integral_constantIbLb1EES19_IbLb0EEEEDaS15_S16_EUlS15_E_NS1_11comp_targetILNS1_3genE2ELNS1_11target_archE906ELNS1_3gpuE6ELNS1_3repE0EEENS1_30default_config_static_selectorELNS0_4arch9wavefront6targetE1EEEvT1_.numbered_sgpr, 0
	.set _ZN7rocprim17ROCPRIM_400000_NS6detail17trampoline_kernelINS0_14default_configENS1_25partition_config_selectorILNS1_17partition_subalgoE8EdNS0_10empty_typeEbEEZZNS1_14partition_implILS5_8ELb0ES3_jN6thrust23THRUST_200600_302600_NS6detail15normal_iteratorINSA_10device_ptrIdEEEEPS6_PKS6_NS0_5tupleIJSF_S6_EEENSJ_IJSG_SG_EEENS0_18inequality_wrapperINSA_8equal_toIdEEEEPmJS6_EEE10hipError_tPvRmT3_T4_T5_T6_T7_T9_mT8_P12ihipStream_tbDpT10_ENKUlT_T0_E_clISt17integral_constantIbLb1EES19_IbLb0EEEEDaS15_S16_EUlS15_E_NS1_11comp_targetILNS1_3genE2ELNS1_11target_archE906ELNS1_3gpuE6ELNS1_3repE0EEENS1_30default_config_static_selectorELNS0_4arch9wavefront6targetE1EEEvT1_.num_named_barrier, 0
	.set _ZN7rocprim17ROCPRIM_400000_NS6detail17trampoline_kernelINS0_14default_configENS1_25partition_config_selectorILNS1_17partition_subalgoE8EdNS0_10empty_typeEbEEZZNS1_14partition_implILS5_8ELb0ES3_jN6thrust23THRUST_200600_302600_NS6detail15normal_iteratorINSA_10device_ptrIdEEEEPS6_PKS6_NS0_5tupleIJSF_S6_EEENSJ_IJSG_SG_EEENS0_18inequality_wrapperINSA_8equal_toIdEEEEPmJS6_EEE10hipError_tPvRmT3_T4_T5_T6_T7_T9_mT8_P12ihipStream_tbDpT10_ENKUlT_T0_E_clISt17integral_constantIbLb1EES19_IbLb0EEEEDaS15_S16_EUlS15_E_NS1_11comp_targetILNS1_3genE2ELNS1_11target_archE906ELNS1_3gpuE6ELNS1_3repE0EEENS1_30default_config_static_selectorELNS0_4arch9wavefront6targetE1EEEvT1_.private_seg_size, 0
	.set _ZN7rocprim17ROCPRIM_400000_NS6detail17trampoline_kernelINS0_14default_configENS1_25partition_config_selectorILNS1_17partition_subalgoE8EdNS0_10empty_typeEbEEZZNS1_14partition_implILS5_8ELb0ES3_jN6thrust23THRUST_200600_302600_NS6detail15normal_iteratorINSA_10device_ptrIdEEEEPS6_PKS6_NS0_5tupleIJSF_S6_EEENSJ_IJSG_SG_EEENS0_18inequality_wrapperINSA_8equal_toIdEEEEPmJS6_EEE10hipError_tPvRmT3_T4_T5_T6_T7_T9_mT8_P12ihipStream_tbDpT10_ENKUlT_T0_E_clISt17integral_constantIbLb1EES19_IbLb0EEEEDaS15_S16_EUlS15_E_NS1_11comp_targetILNS1_3genE2ELNS1_11target_archE906ELNS1_3gpuE6ELNS1_3repE0EEENS1_30default_config_static_selectorELNS0_4arch9wavefront6targetE1EEEvT1_.uses_vcc, 0
	.set _ZN7rocprim17ROCPRIM_400000_NS6detail17trampoline_kernelINS0_14default_configENS1_25partition_config_selectorILNS1_17partition_subalgoE8EdNS0_10empty_typeEbEEZZNS1_14partition_implILS5_8ELb0ES3_jN6thrust23THRUST_200600_302600_NS6detail15normal_iteratorINSA_10device_ptrIdEEEEPS6_PKS6_NS0_5tupleIJSF_S6_EEENSJ_IJSG_SG_EEENS0_18inequality_wrapperINSA_8equal_toIdEEEEPmJS6_EEE10hipError_tPvRmT3_T4_T5_T6_T7_T9_mT8_P12ihipStream_tbDpT10_ENKUlT_T0_E_clISt17integral_constantIbLb1EES19_IbLb0EEEEDaS15_S16_EUlS15_E_NS1_11comp_targetILNS1_3genE2ELNS1_11target_archE906ELNS1_3gpuE6ELNS1_3repE0EEENS1_30default_config_static_selectorELNS0_4arch9wavefront6targetE1EEEvT1_.uses_flat_scratch, 0
	.set _ZN7rocprim17ROCPRIM_400000_NS6detail17trampoline_kernelINS0_14default_configENS1_25partition_config_selectorILNS1_17partition_subalgoE8EdNS0_10empty_typeEbEEZZNS1_14partition_implILS5_8ELb0ES3_jN6thrust23THRUST_200600_302600_NS6detail15normal_iteratorINSA_10device_ptrIdEEEEPS6_PKS6_NS0_5tupleIJSF_S6_EEENSJ_IJSG_SG_EEENS0_18inequality_wrapperINSA_8equal_toIdEEEEPmJS6_EEE10hipError_tPvRmT3_T4_T5_T6_T7_T9_mT8_P12ihipStream_tbDpT10_ENKUlT_T0_E_clISt17integral_constantIbLb1EES19_IbLb0EEEEDaS15_S16_EUlS15_E_NS1_11comp_targetILNS1_3genE2ELNS1_11target_archE906ELNS1_3gpuE6ELNS1_3repE0EEENS1_30default_config_static_selectorELNS0_4arch9wavefront6targetE1EEEvT1_.has_dyn_sized_stack, 0
	.set _ZN7rocprim17ROCPRIM_400000_NS6detail17trampoline_kernelINS0_14default_configENS1_25partition_config_selectorILNS1_17partition_subalgoE8EdNS0_10empty_typeEbEEZZNS1_14partition_implILS5_8ELb0ES3_jN6thrust23THRUST_200600_302600_NS6detail15normal_iteratorINSA_10device_ptrIdEEEEPS6_PKS6_NS0_5tupleIJSF_S6_EEENSJ_IJSG_SG_EEENS0_18inequality_wrapperINSA_8equal_toIdEEEEPmJS6_EEE10hipError_tPvRmT3_T4_T5_T6_T7_T9_mT8_P12ihipStream_tbDpT10_ENKUlT_T0_E_clISt17integral_constantIbLb1EES19_IbLb0EEEEDaS15_S16_EUlS15_E_NS1_11comp_targetILNS1_3genE2ELNS1_11target_archE906ELNS1_3gpuE6ELNS1_3repE0EEENS1_30default_config_static_selectorELNS0_4arch9wavefront6targetE1EEEvT1_.has_recursion, 0
	.set _ZN7rocprim17ROCPRIM_400000_NS6detail17trampoline_kernelINS0_14default_configENS1_25partition_config_selectorILNS1_17partition_subalgoE8EdNS0_10empty_typeEbEEZZNS1_14partition_implILS5_8ELb0ES3_jN6thrust23THRUST_200600_302600_NS6detail15normal_iteratorINSA_10device_ptrIdEEEEPS6_PKS6_NS0_5tupleIJSF_S6_EEENSJ_IJSG_SG_EEENS0_18inequality_wrapperINSA_8equal_toIdEEEEPmJS6_EEE10hipError_tPvRmT3_T4_T5_T6_T7_T9_mT8_P12ihipStream_tbDpT10_ENKUlT_T0_E_clISt17integral_constantIbLb1EES19_IbLb0EEEEDaS15_S16_EUlS15_E_NS1_11comp_targetILNS1_3genE2ELNS1_11target_archE906ELNS1_3gpuE6ELNS1_3repE0EEENS1_30default_config_static_selectorELNS0_4arch9wavefront6targetE1EEEvT1_.has_indirect_call, 0
	.section	.AMDGPU.csdata,"",@progbits
; Kernel info:
; codeLenInByte = 4
; TotalNumSgprs: 4
; NumVgprs: 0
; ScratchSize: 0
; MemoryBound: 0
; FloatMode: 240
; IeeeMode: 1
; LDSByteSize: 0 bytes/workgroup (compile time only)
; SGPRBlocks: 0
; VGPRBlocks: 0
; NumSGPRsForWavesPerEU: 4
; NumVGPRsForWavesPerEU: 1
; Occupancy: 10
; WaveLimiterHint : 0
; COMPUTE_PGM_RSRC2:SCRATCH_EN: 0
; COMPUTE_PGM_RSRC2:USER_SGPR: 6
; COMPUTE_PGM_RSRC2:TRAP_HANDLER: 0
; COMPUTE_PGM_RSRC2:TGID_X_EN: 1
; COMPUTE_PGM_RSRC2:TGID_Y_EN: 0
; COMPUTE_PGM_RSRC2:TGID_Z_EN: 0
; COMPUTE_PGM_RSRC2:TIDIG_COMP_CNT: 0
	.section	.text._ZN7rocprim17ROCPRIM_400000_NS6detail17trampoline_kernelINS0_14default_configENS1_25partition_config_selectorILNS1_17partition_subalgoE8EdNS0_10empty_typeEbEEZZNS1_14partition_implILS5_8ELb0ES3_jN6thrust23THRUST_200600_302600_NS6detail15normal_iteratorINSA_10device_ptrIdEEEEPS6_PKS6_NS0_5tupleIJSF_S6_EEENSJ_IJSG_SG_EEENS0_18inequality_wrapperINSA_8equal_toIdEEEEPmJS6_EEE10hipError_tPvRmT3_T4_T5_T6_T7_T9_mT8_P12ihipStream_tbDpT10_ENKUlT_T0_E_clISt17integral_constantIbLb1EES19_IbLb0EEEEDaS15_S16_EUlS15_E_NS1_11comp_targetILNS1_3genE10ELNS1_11target_archE1200ELNS1_3gpuE4ELNS1_3repE0EEENS1_30default_config_static_selectorELNS0_4arch9wavefront6targetE1EEEvT1_,"axG",@progbits,_ZN7rocprim17ROCPRIM_400000_NS6detail17trampoline_kernelINS0_14default_configENS1_25partition_config_selectorILNS1_17partition_subalgoE8EdNS0_10empty_typeEbEEZZNS1_14partition_implILS5_8ELb0ES3_jN6thrust23THRUST_200600_302600_NS6detail15normal_iteratorINSA_10device_ptrIdEEEEPS6_PKS6_NS0_5tupleIJSF_S6_EEENSJ_IJSG_SG_EEENS0_18inequality_wrapperINSA_8equal_toIdEEEEPmJS6_EEE10hipError_tPvRmT3_T4_T5_T6_T7_T9_mT8_P12ihipStream_tbDpT10_ENKUlT_T0_E_clISt17integral_constantIbLb1EES19_IbLb0EEEEDaS15_S16_EUlS15_E_NS1_11comp_targetILNS1_3genE10ELNS1_11target_archE1200ELNS1_3gpuE4ELNS1_3repE0EEENS1_30default_config_static_selectorELNS0_4arch9wavefront6targetE1EEEvT1_,comdat
	.protected	_ZN7rocprim17ROCPRIM_400000_NS6detail17trampoline_kernelINS0_14default_configENS1_25partition_config_selectorILNS1_17partition_subalgoE8EdNS0_10empty_typeEbEEZZNS1_14partition_implILS5_8ELb0ES3_jN6thrust23THRUST_200600_302600_NS6detail15normal_iteratorINSA_10device_ptrIdEEEEPS6_PKS6_NS0_5tupleIJSF_S6_EEENSJ_IJSG_SG_EEENS0_18inequality_wrapperINSA_8equal_toIdEEEEPmJS6_EEE10hipError_tPvRmT3_T4_T5_T6_T7_T9_mT8_P12ihipStream_tbDpT10_ENKUlT_T0_E_clISt17integral_constantIbLb1EES19_IbLb0EEEEDaS15_S16_EUlS15_E_NS1_11comp_targetILNS1_3genE10ELNS1_11target_archE1200ELNS1_3gpuE4ELNS1_3repE0EEENS1_30default_config_static_selectorELNS0_4arch9wavefront6targetE1EEEvT1_ ; -- Begin function _ZN7rocprim17ROCPRIM_400000_NS6detail17trampoline_kernelINS0_14default_configENS1_25partition_config_selectorILNS1_17partition_subalgoE8EdNS0_10empty_typeEbEEZZNS1_14partition_implILS5_8ELb0ES3_jN6thrust23THRUST_200600_302600_NS6detail15normal_iteratorINSA_10device_ptrIdEEEEPS6_PKS6_NS0_5tupleIJSF_S6_EEENSJ_IJSG_SG_EEENS0_18inequality_wrapperINSA_8equal_toIdEEEEPmJS6_EEE10hipError_tPvRmT3_T4_T5_T6_T7_T9_mT8_P12ihipStream_tbDpT10_ENKUlT_T0_E_clISt17integral_constantIbLb1EES19_IbLb0EEEEDaS15_S16_EUlS15_E_NS1_11comp_targetILNS1_3genE10ELNS1_11target_archE1200ELNS1_3gpuE4ELNS1_3repE0EEENS1_30default_config_static_selectorELNS0_4arch9wavefront6targetE1EEEvT1_
	.globl	_ZN7rocprim17ROCPRIM_400000_NS6detail17trampoline_kernelINS0_14default_configENS1_25partition_config_selectorILNS1_17partition_subalgoE8EdNS0_10empty_typeEbEEZZNS1_14partition_implILS5_8ELb0ES3_jN6thrust23THRUST_200600_302600_NS6detail15normal_iteratorINSA_10device_ptrIdEEEEPS6_PKS6_NS0_5tupleIJSF_S6_EEENSJ_IJSG_SG_EEENS0_18inequality_wrapperINSA_8equal_toIdEEEEPmJS6_EEE10hipError_tPvRmT3_T4_T5_T6_T7_T9_mT8_P12ihipStream_tbDpT10_ENKUlT_T0_E_clISt17integral_constantIbLb1EES19_IbLb0EEEEDaS15_S16_EUlS15_E_NS1_11comp_targetILNS1_3genE10ELNS1_11target_archE1200ELNS1_3gpuE4ELNS1_3repE0EEENS1_30default_config_static_selectorELNS0_4arch9wavefront6targetE1EEEvT1_
	.p2align	8
	.type	_ZN7rocprim17ROCPRIM_400000_NS6detail17trampoline_kernelINS0_14default_configENS1_25partition_config_selectorILNS1_17partition_subalgoE8EdNS0_10empty_typeEbEEZZNS1_14partition_implILS5_8ELb0ES3_jN6thrust23THRUST_200600_302600_NS6detail15normal_iteratorINSA_10device_ptrIdEEEEPS6_PKS6_NS0_5tupleIJSF_S6_EEENSJ_IJSG_SG_EEENS0_18inequality_wrapperINSA_8equal_toIdEEEEPmJS6_EEE10hipError_tPvRmT3_T4_T5_T6_T7_T9_mT8_P12ihipStream_tbDpT10_ENKUlT_T0_E_clISt17integral_constantIbLb1EES19_IbLb0EEEEDaS15_S16_EUlS15_E_NS1_11comp_targetILNS1_3genE10ELNS1_11target_archE1200ELNS1_3gpuE4ELNS1_3repE0EEENS1_30default_config_static_selectorELNS0_4arch9wavefront6targetE1EEEvT1_,@function
_ZN7rocprim17ROCPRIM_400000_NS6detail17trampoline_kernelINS0_14default_configENS1_25partition_config_selectorILNS1_17partition_subalgoE8EdNS0_10empty_typeEbEEZZNS1_14partition_implILS5_8ELb0ES3_jN6thrust23THRUST_200600_302600_NS6detail15normal_iteratorINSA_10device_ptrIdEEEEPS6_PKS6_NS0_5tupleIJSF_S6_EEENSJ_IJSG_SG_EEENS0_18inequality_wrapperINSA_8equal_toIdEEEEPmJS6_EEE10hipError_tPvRmT3_T4_T5_T6_T7_T9_mT8_P12ihipStream_tbDpT10_ENKUlT_T0_E_clISt17integral_constantIbLb1EES19_IbLb0EEEEDaS15_S16_EUlS15_E_NS1_11comp_targetILNS1_3genE10ELNS1_11target_archE1200ELNS1_3gpuE4ELNS1_3repE0EEENS1_30default_config_static_selectorELNS0_4arch9wavefront6targetE1EEEvT1_: ; @_ZN7rocprim17ROCPRIM_400000_NS6detail17trampoline_kernelINS0_14default_configENS1_25partition_config_selectorILNS1_17partition_subalgoE8EdNS0_10empty_typeEbEEZZNS1_14partition_implILS5_8ELb0ES3_jN6thrust23THRUST_200600_302600_NS6detail15normal_iteratorINSA_10device_ptrIdEEEEPS6_PKS6_NS0_5tupleIJSF_S6_EEENSJ_IJSG_SG_EEENS0_18inequality_wrapperINSA_8equal_toIdEEEEPmJS6_EEE10hipError_tPvRmT3_T4_T5_T6_T7_T9_mT8_P12ihipStream_tbDpT10_ENKUlT_T0_E_clISt17integral_constantIbLb1EES19_IbLb0EEEEDaS15_S16_EUlS15_E_NS1_11comp_targetILNS1_3genE10ELNS1_11target_archE1200ELNS1_3gpuE4ELNS1_3repE0EEENS1_30default_config_static_selectorELNS0_4arch9wavefront6targetE1EEEvT1_
; %bb.0:
	.section	.rodata,"a",@progbits
	.p2align	6, 0x0
	.amdhsa_kernel _ZN7rocprim17ROCPRIM_400000_NS6detail17trampoline_kernelINS0_14default_configENS1_25partition_config_selectorILNS1_17partition_subalgoE8EdNS0_10empty_typeEbEEZZNS1_14partition_implILS5_8ELb0ES3_jN6thrust23THRUST_200600_302600_NS6detail15normal_iteratorINSA_10device_ptrIdEEEEPS6_PKS6_NS0_5tupleIJSF_S6_EEENSJ_IJSG_SG_EEENS0_18inequality_wrapperINSA_8equal_toIdEEEEPmJS6_EEE10hipError_tPvRmT3_T4_T5_T6_T7_T9_mT8_P12ihipStream_tbDpT10_ENKUlT_T0_E_clISt17integral_constantIbLb1EES19_IbLb0EEEEDaS15_S16_EUlS15_E_NS1_11comp_targetILNS1_3genE10ELNS1_11target_archE1200ELNS1_3gpuE4ELNS1_3repE0EEENS1_30default_config_static_selectorELNS0_4arch9wavefront6targetE1EEEvT1_
		.amdhsa_group_segment_fixed_size 0
		.amdhsa_private_segment_fixed_size 0
		.amdhsa_kernarg_size 112
		.amdhsa_user_sgpr_count 6
		.amdhsa_user_sgpr_private_segment_buffer 1
		.amdhsa_user_sgpr_dispatch_ptr 0
		.amdhsa_user_sgpr_queue_ptr 0
		.amdhsa_user_sgpr_kernarg_segment_ptr 1
		.amdhsa_user_sgpr_dispatch_id 0
		.amdhsa_user_sgpr_flat_scratch_init 0
		.amdhsa_user_sgpr_private_segment_size 0
		.amdhsa_uses_dynamic_stack 0
		.amdhsa_system_sgpr_private_segment_wavefront_offset 0
		.amdhsa_system_sgpr_workgroup_id_x 1
		.amdhsa_system_sgpr_workgroup_id_y 0
		.amdhsa_system_sgpr_workgroup_id_z 0
		.amdhsa_system_sgpr_workgroup_info 0
		.amdhsa_system_vgpr_workitem_id 0
		.amdhsa_next_free_vgpr 1
		.amdhsa_next_free_sgpr 0
		.amdhsa_reserve_vcc 0
		.amdhsa_reserve_flat_scratch 0
		.amdhsa_float_round_mode_32 0
		.amdhsa_float_round_mode_16_64 0
		.amdhsa_float_denorm_mode_32 3
		.amdhsa_float_denorm_mode_16_64 3
		.amdhsa_dx10_clamp 1
		.amdhsa_ieee_mode 1
		.amdhsa_fp16_overflow 0
		.amdhsa_exception_fp_ieee_invalid_op 0
		.amdhsa_exception_fp_denorm_src 0
		.amdhsa_exception_fp_ieee_div_zero 0
		.amdhsa_exception_fp_ieee_overflow 0
		.amdhsa_exception_fp_ieee_underflow 0
		.amdhsa_exception_fp_ieee_inexact 0
		.amdhsa_exception_int_div_zero 0
	.end_amdhsa_kernel
	.section	.text._ZN7rocprim17ROCPRIM_400000_NS6detail17trampoline_kernelINS0_14default_configENS1_25partition_config_selectorILNS1_17partition_subalgoE8EdNS0_10empty_typeEbEEZZNS1_14partition_implILS5_8ELb0ES3_jN6thrust23THRUST_200600_302600_NS6detail15normal_iteratorINSA_10device_ptrIdEEEEPS6_PKS6_NS0_5tupleIJSF_S6_EEENSJ_IJSG_SG_EEENS0_18inequality_wrapperINSA_8equal_toIdEEEEPmJS6_EEE10hipError_tPvRmT3_T4_T5_T6_T7_T9_mT8_P12ihipStream_tbDpT10_ENKUlT_T0_E_clISt17integral_constantIbLb1EES19_IbLb0EEEEDaS15_S16_EUlS15_E_NS1_11comp_targetILNS1_3genE10ELNS1_11target_archE1200ELNS1_3gpuE4ELNS1_3repE0EEENS1_30default_config_static_selectorELNS0_4arch9wavefront6targetE1EEEvT1_,"axG",@progbits,_ZN7rocprim17ROCPRIM_400000_NS6detail17trampoline_kernelINS0_14default_configENS1_25partition_config_selectorILNS1_17partition_subalgoE8EdNS0_10empty_typeEbEEZZNS1_14partition_implILS5_8ELb0ES3_jN6thrust23THRUST_200600_302600_NS6detail15normal_iteratorINSA_10device_ptrIdEEEEPS6_PKS6_NS0_5tupleIJSF_S6_EEENSJ_IJSG_SG_EEENS0_18inequality_wrapperINSA_8equal_toIdEEEEPmJS6_EEE10hipError_tPvRmT3_T4_T5_T6_T7_T9_mT8_P12ihipStream_tbDpT10_ENKUlT_T0_E_clISt17integral_constantIbLb1EES19_IbLb0EEEEDaS15_S16_EUlS15_E_NS1_11comp_targetILNS1_3genE10ELNS1_11target_archE1200ELNS1_3gpuE4ELNS1_3repE0EEENS1_30default_config_static_selectorELNS0_4arch9wavefront6targetE1EEEvT1_,comdat
.Lfunc_end35:
	.size	_ZN7rocprim17ROCPRIM_400000_NS6detail17trampoline_kernelINS0_14default_configENS1_25partition_config_selectorILNS1_17partition_subalgoE8EdNS0_10empty_typeEbEEZZNS1_14partition_implILS5_8ELb0ES3_jN6thrust23THRUST_200600_302600_NS6detail15normal_iteratorINSA_10device_ptrIdEEEEPS6_PKS6_NS0_5tupleIJSF_S6_EEENSJ_IJSG_SG_EEENS0_18inequality_wrapperINSA_8equal_toIdEEEEPmJS6_EEE10hipError_tPvRmT3_T4_T5_T6_T7_T9_mT8_P12ihipStream_tbDpT10_ENKUlT_T0_E_clISt17integral_constantIbLb1EES19_IbLb0EEEEDaS15_S16_EUlS15_E_NS1_11comp_targetILNS1_3genE10ELNS1_11target_archE1200ELNS1_3gpuE4ELNS1_3repE0EEENS1_30default_config_static_selectorELNS0_4arch9wavefront6targetE1EEEvT1_, .Lfunc_end35-_ZN7rocprim17ROCPRIM_400000_NS6detail17trampoline_kernelINS0_14default_configENS1_25partition_config_selectorILNS1_17partition_subalgoE8EdNS0_10empty_typeEbEEZZNS1_14partition_implILS5_8ELb0ES3_jN6thrust23THRUST_200600_302600_NS6detail15normal_iteratorINSA_10device_ptrIdEEEEPS6_PKS6_NS0_5tupleIJSF_S6_EEENSJ_IJSG_SG_EEENS0_18inequality_wrapperINSA_8equal_toIdEEEEPmJS6_EEE10hipError_tPvRmT3_T4_T5_T6_T7_T9_mT8_P12ihipStream_tbDpT10_ENKUlT_T0_E_clISt17integral_constantIbLb1EES19_IbLb0EEEEDaS15_S16_EUlS15_E_NS1_11comp_targetILNS1_3genE10ELNS1_11target_archE1200ELNS1_3gpuE4ELNS1_3repE0EEENS1_30default_config_static_selectorELNS0_4arch9wavefront6targetE1EEEvT1_
                                        ; -- End function
	.set _ZN7rocprim17ROCPRIM_400000_NS6detail17trampoline_kernelINS0_14default_configENS1_25partition_config_selectorILNS1_17partition_subalgoE8EdNS0_10empty_typeEbEEZZNS1_14partition_implILS5_8ELb0ES3_jN6thrust23THRUST_200600_302600_NS6detail15normal_iteratorINSA_10device_ptrIdEEEEPS6_PKS6_NS0_5tupleIJSF_S6_EEENSJ_IJSG_SG_EEENS0_18inequality_wrapperINSA_8equal_toIdEEEEPmJS6_EEE10hipError_tPvRmT3_T4_T5_T6_T7_T9_mT8_P12ihipStream_tbDpT10_ENKUlT_T0_E_clISt17integral_constantIbLb1EES19_IbLb0EEEEDaS15_S16_EUlS15_E_NS1_11comp_targetILNS1_3genE10ELNS1_11target_archE1200ELNS1_3gpuE4ELNS1_3repE0EEENS1_30default_config_static_selectorELNS0_4arch9wavefront6targetE1EEEvT1_.num_vgpr, 0
	.set _ZN7rocprim17ROCPRIM_400000_NS6detail17trampoline_kernelINS0_14default_configENS1_25partition_config_selectorILNS1_17partition_subalgoE8EdNS0_10empty_typeEbEEZZNS1_14partition_implILS5_8ELb0ES3_jN6thrust23THRUST_200600_302600_NS6detail15normal_iteratorINSA_10device_ptrIdEEEEPS6_PKS6_NS0_5tupleIJSF_S6_EEENSJ_IJSG_SG_EEENS0_18inequality_wrapperINSA_8equal_toIdEEEEPmJS6_EEE10hipError_tPvRmT3_T4_T5_T6_T7_T9_mT8_P12ihipStream_tbDpT10_ENKUlT_T0_E_clISt17integral_constantIbLb1EES19_IbLb0EEEEDaS15_S16_EUlS15_E_NS1_11comp_targetILNS1_3genE10ELNS1_11target_archE1200ELNS1_3gpuE4ELNS1_3repE0EEENS1_30default_config_static_selectorELNS0_4arch9wavefront6targetE1EEEvT1_.num_agpr, 0
	.set _ZN7rocprim17ROCPRIM_400000_NS6detail17trampoline_kernelINS0_14default_configENS1_25partition_config_selectorILNS1_17partition_subalgoE8EdNS0_10empty_typeEbEEZZNS1_14partition_implILS5_8ELb0ES3_jN6thrust23THRUST_200600_302600_NS6detail15normal_iteratorINSA_10device_ptrIdEEEEPS6_PKS6_NS0_5tupleIJSF_S6_EEENSJ_IJSG_SG_EEENS0_18inequality_wrapperINSA_8equal_toIdEEEEPmJS6_EEE10hipError_tPvRmT3_T4_T5_T6_T7_T9_mT8_P12ihipStream_tbDpT10_ENKUlT_T0_E_clISt17integral_constantIbLb1EES19_IbLb0EEEEDaS15_S16_EUlS15_E_NS1_11comp_targetILNS1_3genE10ELNS1_11target_archE1200ELNS1_3gpuE4ELNS1_3repE0EEENS1_30default_config_static_selectorELNS0_4arch9wavefront6targetE1EEEvT1_.numbered_sgpr, 0
	.set _ZN7rocprim17ROCPRIM_400000_NS6detail17trampoline_kernelINS0_14default_configENS1_25partition_config_selectorILNS1_17partition_subalgoE8EdNS0_10empty_typeEbEEZZNS1_14partition_implILS5_8ELb0ES3_jN6thrust23THRUST_200600_302600_NS6detail15normal_iteratorINSA_10device_ptrIdEEEEPS6_PKS6_NS0_5tupleIJSF_S6_EEENSJ_IJSG_SG_EEENS0_18inequality_wrapperINSA_8equal_toIdEEEEPmJS6_EEE10hipError_tPvRmT3_T4_T5_T6_T7_T9_mT8_P12ihipStream_tbDpT10_ENKUlT_T0_E_clISt17integral_constantIbLb1EES19_IbLb0EEEEDaS15_S16_EUlS15_E_NS1_11comp_targetILNS1_3genE10ELNS1_11target_archE1200ELNS1_3gpuE4ELNS1_3repE0EEENS1_30default_config_static_selectorELNS0_4arch9wavefront6targetE1EEEvT1_.num_named_barrier, 0
	.set _ZN7rocprim17ROCPRIM_400000_NS6detail17trampoline_kernelINS0_14default_configENS1_25partition_config_selectorILNS1_17partition_subalgoE8EdNS0_10empty_typeEbEEZZNS1_14partition_implILS5_8ELb0ES3_jN6thrust23THRUST_200600_302600_NS6detail15normal_iteratorINSA_10device_ptrIdEEEEPS6_PKS6_NS0_5tupleIJSF_S6_EEENSJ_IJSG_SG_EEENS0_18inequality_wrapperINSA_8equal_toIdEEEEPmJS6_EEE10hipError_tPvRmT3_T4_T5_T6_T7_T9_mT8_P12ihipStream_tbDpT10_ENKUlT_T0_E_clISt17integral_constantIbLb1EES19_IbLb0EEEEDaS15_S16_EUlS15_E_NS1_11comp_targetILNS1_3genE10ELNS1_11target_archE1200ELNS1_3gpuE4ELNS1_3repE0EEENS1_30default_config_static_selectorELNS0_4arch9wavefront6targetE1EEEvT1_.private_seg_size, 0
	.set _ZN7rocprim17ROCPRIM_400000_NS6detail17trampoline_kernelINS0_14default_configENS1_25partition_config_selectorILNS1_17partition_subalgoE8EdNS0_10empty_typeEbEEZZNS1_14partition_implILS5_8ELb0ES3_jN6thrust23THRUST_200600_302600_NS6detail15normal_iteratorINSA_10device_ptrIdEEEEPS6_PKS6_NS0_5tupleIJSF_S6_EEENSJ_IJSG_SG_EEENS0_18inequality_wrapperINSA_8equal_toIdEEEEPmJS6_EEE10hipError_tPvRmT3_T4_T5_T6_T7_T9_mT8_P12ihipStream_tbDpT10_ENKUlT_T0_E_clISt17integral_constantIbLb1EES19_IbLb0EEEEDaS15_S16_EUlS15_E_NS1_11comp_targetILNS1_3genE10ELNS1_11target_archE1200ELNS1_3gpuE4ELNS1_3repE0EEENS1_30default_config_static_selectorELNS0_4arch9wavefront6targetE1EEEvT1_.uses_vcc, 0
	.set _ZN7rocprim17ROCPRIM_400000_NS6detail17trampoline_kernelINS0_14default_configENS1_25partition_config_selectorILNS1_17partition_subalgoE8EdNS0_10empty_typeEbEEZZNS1_14partition_implILS5_8ELb0ES3_jN6thrust23THRUST_200600_302600_NS6detail15normal_iteratorINSA_10device_ptrIdEEEEPS6_PKS6_NS0_5tupleIJSF_S6_EEENSJ_IJSG_SG_EEENS0_18inequality_wrapperINSA_8equal_toIdEEEEPmJS6_EEE10hipError_tPvRmT3_T4_T5_T6_T7_T9_mT8_P12ihipStream_tbDpT10_ENKUlT_T0_E_clISt17integral_constantIbLb1EES19_IbLb0EEEEDaS15_S16_EUlS15_E_NS1_11comp_targetILNS1_3genE10ELNS1_11target_archE1200ELNS1_3gpuE4ELNS1_3repE0EEENS1_30default_config_static_selectorELNS0_4arch9wavefront6targetE1EEEvT1_.uses_flat_scratch, 0
	.set _ZN7rocprim17ROCPRIM_400000_NS6detail17trampoline_kernelINS0_14default_configENS1_25partition_config_selectorILNS1_17partition_subalgoE8EdNS0_10empty_typeEbEEZZNS1_14partition_implILS5_8ELb0ES3_jN6thrust23THRUST_200600_302600_NS6detail15normal_iteratorINSA_10device_ptrIdEEEEPS6_PKS6_NS0_5tupleIJSF_S6_EEENSJ_IJSG_SG_EEENS0_18inequality_wrapperINSA_8equal_toIdEEEEPmJS6_EEE10hipError_tPvRmT3_T4_T5_T6_T7_T9_mT8_P12ihipStream_tbDpT10_ENKUlT_T0_E_clISt17integral_constantIbLb1EES19_IbLb0EEEEDaS15_S16_EUlS15_E_NS1_11comp_targetILNS1_3genE10ELNS1_11target_archE1200ELNS1_3gpuE4ELNS1_3repE0EEENS1_30default_config_static_selectorELNS0_4arch9wavefront6targetE1EEEvT1_.has_dyn_sized_stack, 0
	.set _ZN7rocprim17ROCPRIM_400000_NS6detail17trampoline_kernelINS0_14default_configENS1_25partition_config_selectorILNS1_17partition_subalgoE8EdNS0_10empty_typeEbEEZZNS1_14partition_implILS5_8ELb0ES3_jN6thrust23THRUST_200600_302600_NS6detail15normal_iteratorINSA_10device_ptrIdEEEEPS6_PKS6_NS0_5tupleIJSF_S6_EEENSJ_IJSG_SG_EEENS0_18inequality_wrapperINSA_8equal_toIdEEEEPmJS6_EEE10hipError_tPvRmT3_T4_T5_T6_T7_T9_mT8_P12ihipStream_tbDpT10_ENKUlT_T0_E_clISt17integral_constantIbLb1EES19_IbLb0EEEEDaS15_S16_EUlS15_E_NS1_11comp_targetILNS1_3genE10ELNS1_11target_archE1200ELNS1_3gpuE4ELNS1_3repE0EEENS1_30default_config_static_selectorELNS0_4arch9wavefront6targetE1EEEvT1_.has_recursion, 0
	.set _ZN7rocprim17ROCPRIM_400000_NS6detail17trampoline_kernelINS0_14default_configENS1_25partition_config_selectorILNS1_17partition_subalgoE8EdNS0_10empty_typeEbEEZZNS1_14partition_implILS5_8ELb0ES3_jN6thrust23THRUST_200600_302600_NS6detail15normal_iteratorINSA_10device_ptrIdEEEEPS6_PKS6_NS0_5tupleIJSF_S6_EEENSJ_IJSG_SG_EEENS0_18inequality_wrapperINSA_8equal_toIdEEEEPmJS6_EEE10hipError_tPvRmT3_T4_T5_T6_T7_T9_mT8_P12ihipStream_tbDpT10_ENKUlT_T0_E_clISt17integral_constantIbLb1EES19_IbLb0EEEEDaS15_S16_EUlS15_E_NS1_11comp_targetILNS1_3genE10ELNS1_11target_archE1200ELNS1_3gpuE4ELNS1_3repE0EEENS1_30default_config_static_selectorELNS0_4arch9wavefront6targetE1EEEvT1_.has_indirect_call, 0
	.section	.AMDGPU.csdata,"",@progbits
; Kernel info:
; codeLenInByte = 0
; TotalNumSgprs: 4
; NumVgprs: 0
; ScratchSize: 0
; MemoryBound: 0
; FloatMode: 240
; IeeeMode: 1
; LDSByteSize: 0 bytes/workgroup (compile time only)
; SGPRBlocks: 0
; VGPRBlocks: 0
; NumSGPRsForWavesPerEU: 4
; NumVGPRsForWavesPerEU: 1
; Occupancy: 10
; WaveLimiterHint : 0
; COMPUTE_PGM_RSRC2:SCRATCH_EN: 0
; COMPUTE_PGM_RSRC2:USER_SGPR: 6
; COMPUTE_PGM_RSRC2:TRAP_HANDLER: 0
; COMPUTE_PGM_RSRC2:TGID_X_EN: 1
; COMPUTE_PGM_RSRC2:TGID_Y_EN: 0
; COMPUTE_PGM_RSRC2:TGID_Z_EN: 0
; COMPUTE_PGM_RSRC2:TIDIG_COMP_CNT: 0
	.section	.text._ZN7rocprim17ROCPRIM_400000_NS6detail17trampoline_kernelINS0_14default_configENS1_25partition_config_selectorILNS1_17partition_subalgoE8EdNS0_10empty_typeEbEEZZNS1_14partition_implILS5_8ELb0ES3_jN6thrust23THRUST_200600_302600_NS6detail15normal_iteratorINSA_10device_ptrIdEEEEPS6_PKS6_NS0_5tupleIJSF_S6_EEENSJ_IJSG_SG_EEENS0_18inequality_wrapperINSA_8equal_toIdEEEEPmJS6_EEE10hipError_tPvRmT3_T4_T5_T6_T7_T9_mT8_P12ihipStream_tbDpT10_ENKUlT_T0_E_clISt17integral_constantIbLb1EES19_IbLb0EEEEDaS15_S16_EUlS15_E_NS1_11comp_targetILNS1_3genE9ELNS1_11target_archE1100ELNS1_3gpuE3ELNS1_3repE0EEENS1_30default_config_static_selectorELNS0_4arch9wavefront6targetE1EEEvT1_,"axG",@progbits,_ZN7rocprim17ROCPRIM_400000_NS6detail17trampoline_kernelINS0_14default_configENS1_25partition_config_selectorILNS1_17partition_subalgoE8EdNS0_10empty_typeEbEEZZNS1_14partition_implILS5_8ELb0ES3_jN6thrust23THRUST_200600_302600_NS6detail15normal_iteratorINSA_10device_ptrIdEEEEPS6_PKS6_NS0_5tupleIJSF_S6_EEENSJ_IJSG_SG_EEENS0_18inequality_wrapperINSA_8equal_toIdEEEEPmJS6_EEE10hipError_tPvRmT3_T4_T5_T6_T7_T9_mT8_P12ihipStream_tbDpT10_ENKUlT_T0_E_clISt17integral_constantIbLb1EES19_IbLb0EEEEDaS15_S16_EUlS15_E_NS1_11comp_targetILNS1_3genE9ELNS1_11target_archE1100ELNS1_3gpuE3ELNS1_3repE0EEENS1_30default_config_static_selectorELNS0_4arch9wavefront6targetE1EEEvT1_,comdat
	.protected	_ZN7rocprim17ROCPRIM_400000_NS6detail17trampoline_kernelINS0_14default_configENS1_25partition_config_selectorILNS1_17partition_subalgoE8EdNS0_10empty_typeEbEEZZNS1_14partition_implILS5_8ELb0ES3_jN6thrust23THRUST_200600_302600_NS6detail15normal_iteratorINSA_10device_ptrIdEEEEPS6_PKS6_NS0_5tupleIJSF_S6_EEENSJ_IJSG_SG_EEENS0_18inequality_wrapperINSA_8equal_toIdEEEEPmJS6_EEE10hipError_tPvRmT3_T4_T5_T6_T7_T9_mT8_P12ihipStream_tbDpT10_ENKUlT_T0_E_clISt17integral_constantIbLb1EES19_IbLb0EEEEDaS15_S16_EUlS15_E_NS1_11comp_targetILNS1_3genE9ELNS1_11target_archE1100ELNS1_3gpuE3ELNS1_3repE0EEENS1_30default_config_static_selectorELNS0_4arch9wavefront6targetE1EEEvT1_ ; -- Begin function _ZN7rocprim17ROCPRIM_400000_NS6detail17trampoline_kernelINS0_14default_configENS1_25partition_config_selectorILNS1_17partition_subalgoE8EdNS0_10empty_typeEbEEZZNS1_14partition_implILS5_8ELb0ES3_jN6thrust23THRUST_200600_302600_NS6detail15normal_iteratorINSA_10device_ptrIdEEEEPS6_PKS6_NS0_5tupleIJSF_S6_EEENSJ_IJSG_SG_EEENS0_18inequality_wrapperINSA_8equal_toIdEEEEPmJS6_EEE10hipError_tPvRmT3_T4_T5_T6_T7_T9_mT8_P12ihipStream_tbDpT10_ENKUlT_T0_E_clISt17integral_constantIbLb1EES19_IbLb0EEEEDaS15_S16_EUlS15_E_NS1_11comp_targetILNS1_3genE9ELNS1_11target_archE1100ELNS1_3gpuE3ELNS1_3repE0EEENS1_30default_config_static_selectorELNS0_4arch9wavefront6targetE1EEEvT1_
	.globl	_ZN7rocprim17ROCPRIM_400000_NS6detail17trampoline_kernelINS0_14default_configENS1_25partition_config_selectorILNS1_17partition_subalgoE8EdNS0_10empty_typeEbEEZZNS1_14partition_implILS5_8ELb0ES3_jN6thrust23THRUST_200600_302600_NS6detail15normal_iteratorINSA_10device_ptrIdEEEEPS6_PKS6_NS0_5tupleIJSF_S6_EEENSJ_IJSG_SG_EEENS0_18inequality_wrapperINSA_8equal_toIdEEEEPmJS6_EEE10hipError_tPvRmT3_T4_T5_T6_T7_T9_mT8_P12ihipStream_tbDpT10_ENKUlT_T0_E_clISt17integral_constantIbLb1EES19_IbLb0EEEEDaS15_S16_EUlS15_E_NS1_11comp_targetILNS1_3genE9ELNS1_11target_archE1100ELNS1_3gpuE3ELNS1_3repE0EEENS1_30default_config_static_selectorELNS0_4arch9wavefront6targetE1EEEvT1_
	.p2align	8
	.type	_ZN7rocprim17ROCPRIM_400000_NS6detail17trampoline_kernelINS0_14default_configENS1_25partition_config_selectorILNS1_17partition_subalgoE8EdNS0_10empty_typeEbEEZZNS1_14partition_implILS5_8ELb0ES3_jN6thrust23THRUST_200600_302600_NS6detail15normal_iteratorINSA_10device_ptrIdEEEEPS6_PKS6_NS0_5tupleIJSF_S6_EEENSJ_IJSG_SG_EEENS0_18inequality_wrapperINSA_8equal_toIdEEEEPmJS6_EEE10hipError_tPvRmT3_T4_T5_T6_T7_T9_mT8_P12ihipStream_tbDpT10_ENKUlT_T0_E_clISt17integral_constantIbLb1EES19_IbLb0EEEEDaS15_S16_EUlS15_E_NS1_11comp_targetILNS1_3genE9ELNS1_11target_archE1100ELNS1_3gpuE3ELNS1_3repE0EEENS1_30default_config_static_selectorELNS0_4arch9wavefront6targetE1EEEvT1_,@function
_ZN7rocprim17ROCPRIM_400000_NS6detail17trampoline_kernelINS0_14default_configENS1_25partition_config_selectorILNS1_17partition_subalgoE8EdNS0_10empty_typeEbEEZZNS1_14partition_implILS5_8ELb0ES3_jN6thrust23THRUST_200600_302600_NS6detail15normal_iteratorINSA_10device_ptrIdEEEEPS6_PKS6_NS0_5tupleIJSF_S6_EEENSJ_IJSG_SG_EEENS0_18inequality_wrapperINSA_8equal_toIdEEEEPmJS6_EEE10hipError_tPvRmT3_T4_T5_T6_T7_T9_mT8_P12ihipStream_tbDpT10_ENKUlT_T0_E_clISt17integral_constantIbLb1EES19_IbLb0EEEEDaS15_S16_EUlS15_E_NS1_11comp_targetILNS1_3genE9ELNS1_11target_archE1100ELNS1_3gpuE3ELNS1_3repE0EEENS1_30default_config_static_selectorELNS0_4arch9wavefront6targetE1EEEvT1_: ; @_ZN7rocprim17ROCPRIM_400000_NS6detail17trampoline_kernelINS0_14default_configENS1_25partition_config_selectorILNS1_17partition_subalgoE8EdNS0_10empty_typeEbEEZZNS1_14partition_implILS5_8ELb0ES3_jN6thrust23THRUST_200600_302600_NS6detail15normal_iteratorINSA_10device_ptrIdEEEEPS6_PKS6_NS0_5tupleIJSF_S6_EEENSJ_IJSG_SG_EEENS0_18inequality_wrapperINSA_8equal_toIdEEEEPmJS6_EEE10hipError_tPvRmT3_T4_T5_T6_T7_T9_mT8_P12ihipStream_tbDpT10_ENKUlT_T0_E_clISt17integral_constantIbLb1EES19_IbLb0EEEEDaS15_S16_EUlS15_E_NS1_11comp_targetILNS1_3genE9ELNS1_11target_archE1100ELNS1_3gpuE3ELNS1_3repE0EEENS1_30default_config_static_selectorELNS0_4arch9wavefront6targetE1EEEvT1_
; %bb.0:
	.section	.rodata,"a",@progbits
	.p2align	6, 0x0
	.amdhsa_kernel _ZN7rocprim17ROCPRIM_400000_NS6detail17trampoline_kernelINS0_14default_configENS1_25partition_config_selectorILNS1_17partition_subalgoE8EdNS0_10empty_typeEbEEZZNS1_14partition_implILS5_8ELb0ES3_jN6thrust23THRUST_200600_302600_NS6detail15normal_iteratorINSA_10device_ptrIdEEEEPS6_PKS6_NS0_5tupleIJSF_S6_EEENSJ_IJSG_SG_EEENS0_18inequality_wrapperINSA_8equal_toIdEEEEPmJS6_EEE10hipError_tPvRmT3_T4_T5_T6_T7_T9_mT8_P12ihipStream_tbDpT10_ENKUlT_T0_E_clISt17integral_constantIbLb1EES19_IbLb0EEEEDaS15_S16_EUlS15_E_NS1_11comp_targetILNS1_3genE9ELNS1_11target_archE1100ELNS1_3gpuE3ELNS1_3repE0EEENS1_30default_config_static_selectorELNS0_4arch9wavefront6targetE1EEEvT1_
		.amdhsa_group_segment_fixed_size 0
		.amdhsa_private_segment_fixed_size 0
		.amdhsa_kernarg_size 112
		.amdhsa_user_sgpr_count 6
		.amdhsa_user_sgpr_private_segment_buffer 1
		.amdhsa_user_sgpr_dispatch_ptr 0
		.amdhsa_user_sgpr_queue_ptr 0
		.amdhsa_user_sgpr_kernarg_segment_ptr 1
		.amdhsa_user_sgpr_dispatch_id 0
		.amdhsa_user_sgpr_flat_scratch_init 0
		.amdhsa_user_sgpr_private_segment_size 0
		.amdhsa_uses_dynamic_stack 0
		.amdhsa_system_sgpr_private_segment_wavefront_offset 0
		.amdhsa_system_sgpr_workgroup_id_x 1
		.amdhsa_system_sgpr_workgroup_id_y 0
		.amdhsa_system_sgpr_workgroup_id_z 0
		.amdhsa_system_sgpr_workgroup_info 0
		.amdhsa_system_vgpr_workitem_id 0
		.amdhsa_next_free_vgpr 1
		.amdhsa_next_free_sgpr 0
		.amdhsa_reserve_vcc 0
		.amdhsa_reserve_flat_scratch 0
		.amdhsa_float_round_mode_32 0
		.amdhsa_float_round_mode_16_64 0
		.amdhsa_float_denorm_mode_32 3
		.amdhsa_float_denorm_mode_16_64 3
		.amdhsa_dx10_clamp 1
		.amdhsa_ieee_mode 1
		.amdhsa_fp16_overflow 0
		.amdhsa_exception_fp_ieee_invalid_op 0
		.amdhsa_exception_fp_denorm_src 0
		.amdhsa_exception_fp_ieee_div_zero 0
		.amdhsa_exception_fp_ieee_overflow 0
		.amdhsa_exception_fp_ieee_underflow 0
		.amdhsa_exception_fp_ieee_inexact 0
		.amdhsa_exception_int_div_zero 0
	.end_amdhsa_kernel
	.section	.text._ZN7rocprim17ROCPRIM_400000_NS6detail17trampoline_kernelINS0_14default_configENS1_25partition_config_selectorILNS1_17partition_subalgoE8EdNS0_10empty_typeEbEEZZNS1_14partition_implILS5_8ELb0ES3_jN6thrust23THRUST_200600_302600_NS6detail15normal_iteratorINSA_10device_ptrIdEEEEPS6_PKS6_NS0_5tupleIJSF_S6_EEENSJ_IJSG_SG_EEENS0_18inequality_wrapperINSA_8equal_toIdEEEEPmJS6_EEE10hipError_tPvRmT3_T4_T5_T6_T7_T9_mT8_P12ihipStream_tbDpT10_ENKUlT_T0_E_clISt17integral_constantIbLb1EES19_IbLb0EEEEDaS15_S16_EUlS15_E_NS1_11comp_targetILNS1_3genE9ELNS1_11target_archE1100ELNS1_3gpuE3ELNS1_3repE0EEENS1_30default_config_static_selectorELNS0_4arch9wavefront6targetE1EEEvT1_,"axG",@progbits,_ZN7rocprim17ROCPRIM_400000_NS6detail17trampoline_kernelINS0_14default_configENS1_25partition_config_selectorILNS1_17partition_subalgoE8EdNS0_10empty_typeEbEEZZNS1_14partition_implILS5_8ELb0ES3_jN6thrust23THRUST_200600_302600_NS6detail15normal_iteratorINSA_10device_ptrIdEEEEPS6_PKS6_NS0_5tupleIJSF_S6_EEENSJ_IJSG_SG_EEENS0_18inequality_wrapperINSA_8equal_toIdEEEEPmJS6_EEE10hipError_tPvRmT3_T4_T5_T6_T7_T9_mT8_P12ihipStream_tbDpT10_ENKUlT_T0_E_clISt17integral_constantIbLb1EES19_IbLb0EEEEDaS15_S16_EUlS15_E_NS1_11comp_targetILNS1_3genE9ELNS1_11target_archE1100ELNS1_3gpuE3ELNS1_3repE0EEENS1_30default_config_static_selectorELNS0_4arch9wavefront6targetE1EEEvT1_,comdat
.Lfunc_end36:
	.size	_ZN7rocprim17ROCPRIM_400000_NS6detail17trampoline_kernelINS0_14default_configENS1_25partition_config_selectorILNS1_17partition_subalgoE8EdNS0_10empty_typeEbEEZZNS1_14partition_implILS5_8ELb0ES3_jN6thrust23THRUST_200600_302600_NS6detail15normal_iteratorINSA_10device_ptrIdEEEEPS6_PKS6_NS0_5tupleIJSF_S6_EEENSJ_IJSG_SG_EEENS0_18inequality_wrapperINSA_8equal_toIdEEEEPmJS6_EEE10hipError_tPvRmT3_T4_T5_T6_T7_T9_mT8_P12ihipStream_tbDpT10_ENKUlT_T0_E_clISt17integral_constantIbLb1EES19_IbLb0EEEEDaS15_S16_EUlS15_E_NS1_11comp_targetILNS1_3genE9ELNS1_11target_archE1100ELNS1_3gpuE3ELNS1_3repE0EEENS1_30default_config_static_selectorELNS0_4arch9wavefront6targetE1EEEvT1_, .Lfunc_end36-_ZN7rocprim17ROCPRIM_400000_NS6detail17trampoline_kernelINS0_14default_configENS1_25partition_config_selectorILNS1_17partition_subalgoE8EdNS0_10empty_typeEbEEZZNS1_14partition_implILS5_8ELb0ES3_jN6thrust23THRUST_200600_302600_NS6detail15normal_iteratorINSA_10device_ptrIdEEEEPS6_PKS6_NS0_5tupleIJSF_S6_EEENSJ_IJSG_SG_EEENS0_18inequality_wrapperINSA_8equal_toIdEEEEPmJS6_EEE10hipError_tPvRmT3_T4_T5_T6_T7_T9_mT8_P12ihipStream_tbDpT10_ENKUlT_T0_E_clISt17integral_constantIbLb1EES19_IbLb0EEEEDaS15_S16_EUlS15_E_NS1_11comp_targetILNS1_3genE9ELNS1_11target_archE1100ELNS1_3gpuE3ELNS1_3repE0EEENS1_30default_config_static_selectorELNS0_4arch9wavefront6targetE1EEEvT1_
                                        ; -- End function
	.set _ZN7rocprim17ROCPRIM_400000_NS6detail17trampoline_kernelINS0_14default_configENS1_25partition_config_selectorILNS1_17partition_subalgoE8EdNS0_10empty_typeEbEEZZNS1_14partition_implILS5_8ELb0ES3_jN6thrust23THRUST_200600_302600_NS6detail15normal_iteratorINSA_10device_ptrIdEEEEPS6_PKS6_NS0_5tupleIJSF_S6_EEENSJ_IJSG_SG_EEENS0_18inequality_wrapperINSA_8equal_toIdEEEEPmJS6_EEE10hipError_tPvRmT3_T4_T5_T6_T7_T9_mT8_P12ihipStream_tbDpT10_ENKUlT_T0_E_clISt17integral_constantIbLb1EES19_IbLb0EEEEDaS15_S16_EUlS15_E_NS1_11comp_targetILNS1_3genE9ELNS1_11target_archE1100ELNS1_3gpuE3ELNS1_3repE0EEENS1_30default_config_static_selectorELNS0_4arch9wavefront6targetE1EEEvT1_.num_vgpr, 0
	.set _ZN7rocprim17ROCPRIM_400000_NS6detail17trampoline_kernelINS0_14default_configENS1_25partition_config_selectorILNS1_17partition_subalgoE8EdNS0_10empty_typeEbEEZZNS1_14partition_implILS5_8ELb0ES3_jN6thrust23THRUST_200600_302600_NS6detail15normal_iteratorINSA_10device_ptrIdEEEEPS6_PKS6_NS0_5tupleIJSF_S6_EEENSJ_IJSG_SG_EEENS0_18inequality_wrapperINSA_8equal_toIdEEEEPmJS6_EEE10hipError_tPvRmT3_T4_T5_T6_T7_T9_mT8_P12ihipStream_tbDpT10_ENKUlT_T0_E_clISt17integral_constantIbLb1EES19_IbLb0EEEEDaS15_S16_EUlS15_E_NS1_11comp_targetILNS1_3genE9ELNS1_11target_archE1100ELNS1_3gpuE3ELNS1_3repE0EEENS1_30default_config_static_selectorELNS0_4arch9wavefront6targetE1EEEvT1_.num_agpr, 0
	.set _ZN7rocprim17ROCPRIM_400000_NS6detail17trampoline_kernelINS0_14default_configENS1_25partition_config_selectorILNS1_17partition_subalgoE8EdNS0_10empty_typeEbEEZZNS1_14partition_implILS5_8ELb0ES3_jN6thrust23THRUST_200600_302600_NS6detail15normal_iteratorINSA_10device_ptrIdEEEEPS6_PKS6_NS0_5tupleIJSF_S6_EEENSJ_IJSG_SG_EEENS0_18inequality_wrapperINSA_8equal_toIdEEEEPmJS6_EEE10hipError_tPvRmT3_T4_T5_T6_T7_T9_mT8_P12ihipStream_tbDpT10_ENKUlT_T0_E_clISt17integral_constantIbLb1EES19_IbLb0EEEEDaS15_S16_EUlS15_E_NS1_11comp_targetILNS1_3genE9ELNS1_11target_archE1100ELNS1_3gpuE3ELNS1_3repE0EEENS1_30default_config_static_selectorELNS0_4arch9wavefront6targetE1EEEvT1_.numbered_sgpr, 0
	.set _ZN7rocprim17ROCPRIM_400000_NS6detail17trampoline_kernelINS0_14default_configENS1_25partition_config_selectorILNS1_17partition_subalgoE8EdNS0_10empty_typeEbEEZZNS1_14partition_implILS5_8ELb0ES3_jN6thrust23THRUST_200600_302600_NS6detail15normal_iteratorINSA_10device_ptrIdEEEEPS6_PKS6_NS0_5tupleIJSF_S6_EEENSJ_IJSG_SG_EEENS0_18inequality_wrapperINSA_8equal_toIdEEEEPmJS6_EEE10hipError_tPvRmT3_T4_T5_T6_T7_T9_mT8_P12ihipStream_tbDpT10_ENKUlT_T0_E_clISt17integral_constantIbLb1EES19_IbLb0EEEEDaS15_S16_EUlS15_E_NS1_11comp_targetILNS1_3genE9ELNS1_11target_archE1100ELNS1_3gpuE3ELNS1_3repE0EEENS1_30default_config_static_selectorELNS0_4arch9wavefront6targetE1EEEvT1_.num_named_barrier, 0
	.set _ZN7rocprim17ROCPRIM_400000_NS6detail17trampoline_kernelINS0_14default_configENS1_25partition_config_selectorILNS1_17partition_subalgoE8EdNS0_10empty_typeEbEEZZNS1_14partition_implILS5_8ELb0ES3_jN6thrust23THRUST_200600_302600_NS6detail15normal_iteratorINSA_10device_ptrIdEEEEPS6_PKS6_NS0_5tupleIJSF_S6_EEENSJ_IJSG_SG_EEENS0_18inequality_wrapperINSA_8equal_toIdEEEEPmJS6_EEE10hipError_tPvRmT3_T4_T5_T6_T7_T9_mT8_P12ihipStream_tbDpT10_ENKUlT_T0_E_clISt17integral_constantIbLb1EES19_IbLb0EEEEDaS15_S16_EUlS15_E_NS1_11comp_targetILNS1_3genE9ELNS1_11target_archE1100ELNS1_3gpuE3ELNS1_3repE0EEENS1_30default_config_static_selectorELNS0_4arch9wavefront6targetE1EEEvT1_.private_seg_size, 0
	.set _ZN7rocprim17ROCPRIM_400000_NS6detail17trampoline_kernelINS0_14default_configENS1_25partition_config_selectorILNS1_17partition_subalgoE8EdNS0_10empty_typeEbEEZZNS1_14partition_implILS5_8ELb0ES3_jN6thrust23THRUST_200600_302600_NS6detail15normal_iteratorINSA_10device_ptrIdEEEEPS6_PKS6_NS0_5tupleIJSF_S6_EEENSJ_IJSG_SG_EEENS0_18inequality_wrapperINSA_8equal_toIdEEEEPmJS6_EEE10hipError_tPvRmT3_T4_T5_T6_T7_T9_mT8_P12ihipStream_tbDpT10_ENKUlT_T0_E_clISt17integral_constantIbLb1EES19_IbLb0EEEEDaS15_S16_EUlS15_E_NS1_11comp_targetILNS1_3genE9ELNS1_11target_archE1100ELNS1_3gpuE3ELNS1_3repE0EEENS1_30default_config_static_selectorELNS0_4arch9wavefront6targetE1EEEvT1_.uses_vcc, 0
	.set _ZN7rocprim17ROCPRIM_400000_NS6detail17trampoline_kernelINS0_14default_configENS1_25partition_config_selectorILNS1_17partition_subalgoE8EdNS0_10empty_typeEbEEZZNS1_14partition_implILS5_8ELb0ES3_jN6thrust23THRUST_200600_302600_NS6detail15normal_iteratorINSA_10device_ptrIdEEEEPS6_PKS6_NS0_5tupleIJSF_S6_EEENSJ_IJSG_SG_EEENS0_18inequality_wrapperINSA_8equal_toIdEEEEPmJS6_EEE10hipError_tPvRmT3_T4_T5_T6_T7_T9_mT8_P12ihipStream_tbDpT10_ENKUlT_T0_E_clISt17integral_constantIbLb1EES19_IbLb0EEEEDaS15_S16_EUlS15_E_NS1_11comp_targetILNS1_3genE9ELNS1_11target_archE1100ELNS1_3gpuE3ELNS1_3repE0EEENS1_30default_config_static_selectorELNS0_4arch9wavefront6targetE1EEEvT1_.uses_flat_scratch, 0
	.set _ZN7rocprim17ROCPRIM_400000_NS6detail17trampoline_kernelINS0_14default_configENS1_25partition_config_selectorILNS1_17partition_subalgoE8EdNS0_10empty_typeEbEEZZNS1_14partition_implILS5_8ELb0ES3_jN6thrust23THRUST_200600_302600_NS6detail15normal_iteratorINSA_10device_ptrIdEEEEPS6_PKS6_NS0_5tupleIJSF_S6_EEENSJ_IJSG_SG_EEENS0_18inequality_wrapperINSA_8equal_toIdEEEEPmJS6_EEE10hipError_tPvRmT3_T4_T5_T6_T7_T9_mT8_P12ihipStream_tbDpT10_ENKUlT_T0_E_clISt17integral_constantIbLb1EES19_IbLb0EEEEDaS15_S16_EUlS15_E_NS1_11comp_targetILNS1_3genE9ELNS1_11target_archE1100ELNS1_3gpuE3ELNS1_3repE0EEENS1_30default_config_static_selectorELNS0_4arch9wavefront6targetE1EEEvT1_.has_dyn_sized_stack, 0
	.set _ZN7rocprim17ROCPRIM_400000_NS6detail17trampoline_kernelINS0_14default_configENS1_25partition_config_selectorILNS1_17partition_subalgoE8EdNS0_10empty_typeEbEEZZNS1_14partition_implILS5_8ELb0ES3_jN6thrust23THRUST_200600_302600_NS6detail15normal_iteratorINSA_10device_ptrIdEEEEPS6_PKS6_NS0_5tupleIJSF_S6_EEENSJ_IJSG_SG_EEENS0_18inequality_wrapperINSA_8equal_toIdEEEEPmJS6_EEE10hipError_tPvRmT3_T4_T5_T6_T7_T9_mT8_P12ihipStream_tbDpT10_ENKUlT_T0_E_clISt17integral_constantIbLb1EES19_IbLb0EEEEDaS15_S16_EUlS15_E_NS1_11comp_targetILNS1_3genE9ELNS1_11target_archE1100ELNS1_3gpuE3ELNS1_3repE0EEENS1_30default_config_static_selectorELNS0_4arch9wavefront6targetE1EEEvT1_.has_recursion, 0
	.set _ZN7rocprim17ROCPRIM_400000_NS6detail17trampoline_kernelINS0_14default_configENS1_25partition_config_selectorILNS1_17partition_subalgoE8EdNS0_10empty_typeEbEEZZNS1_14partition_implILS5_8ELb0ES3_jN6thrust23THRUST_200600_302600_NS6detail15normal_iteratorINSA_10device_ptrIdEEEEPS6_PKS6_NS0_5tupleIJSF_S6_EEENSJ_IJSG_SG_EEENS0_18inequality_wrapperINSA_8equal_toIdEEEEPmJS6_EEE10hipError_tPvRmT3_T4_T5_T6_T7_T9_mT8_P12ihipStream_tbDpT10_ENKUlT_T0_E_clISt17integral_constantIbLb1EES19_IbLb0EEEEDaS15_S16_EUlS15_E_NS1_11comp_targetILNS1_3genE9ELNS1_11target_archE1100ELNS1_3gpuE3ELNS1_3repE0EEENS1_30default_config_static_selectorELNS0_4arch9wavefront6targetE1EEEvT1_.has_indirect_call, 0
	.section	.AMDGPU.csdata,"",@progbits
; Kernel info:
; codeLenInByte = 0
; TotalNumSgprs: 4
; NumVgprs: 0
; ScratchSize: 0
; MemoryBound: 0
; FloatMode: 240
; IeeeMode: 1
; LDSByteSize: 0 bytes/workgroup (compile time only)
; SGPRBlocks: 0
; VGPRBlocks: 0
; NumSGPRsForWavesPerEU: 4
; NumVGPRsForWavesPerEU: 1
; Occupancy: 10
; WaveLimiterHint : 0
; COMPUTE_PGM_RSRC2:SCRATCH_EN: 0
; COMPUTE_PGM_RSRC2:USER_SGPR: 6
; COMPUTE_PGM_RSRC2:TRAP_HANDLER: 0
; COMPUTE_PGM_RSRC2:TGID_X_EN: 1
; COMPUTE_PGM_RSRC2:TGID_Y_EN: 0
; COMPUTE_PGM_RSRC2:TGID_Z_EN: 0
; COMPUTE_PGM_RSRC2:TIDIG_COMP_CNT: 0
	.section	.text._ZN7rocprim17ROCPRIM_400000_NS6detail17trampoline_kernelINS0_14default_configENS1_25partition_config_selectorILNS1_17partition_subalgoE8EdNS0_10empty_typeEbEEZZNS1_14partition_implILS5_8ELb0ES3_jN6thrust23THRUST_200600_302600_NS6detail15normal_iteratorINSA_10device_ptrIdEEEEPS6_PKS6_NS0_5tupleIJSF_S6_EEENSJ_IJSG_SG_EEENS0_18inequality_wrapperINSA_8equal_toIdEEEEPmJS6_EEE10hipError_tPvRmT3_T4_T5_T6_T7_T9_mT8_P12ihipStream_tbDpT10_ENKUlT_T0_E_clISt17integral_constantIbLb1EES19_IbLb0EEEEDaS15_S16_EUlS15_E_NS1_11comp_targetILNS1_3genE8ELNS1_11target_archE1030ELNS1_3gpuE2ELNS1_3repE0EEENS1_30default_config_static_selectorELNS0_4arch9wavefront6targetE1EEEvT1_,"axG",@progbits,_ZN7rocprim17ROCPRIM_400000_NS6detail17trampoline_kernelINS0_14default_configENS1_25partition_config_selectorILNS1_17partition_subalgoE8EdNS0_10empty_typeEbEEZZNS1_14partition_implILS5_8ELb0ES3_jN6thrust23THRUST_200600_302600_NS6detail15normal_iteratorINSA_10device_ptrIdEEEEPS6_PKS6_NS0_5tupleIJSF_S6_EEENSJ_IJSG_SG_EEENS0_18inequality_wrapperINSA_8equal_toIdEEEEPmJS6_EEE10hipError_tPvRmT3_T4_T5_T6_T7_T9_mT8_P12ihipStream_tbDpT10_ENKUlT_T0_E_clISt17integral_constantIbLb1EES19_IbLb0EEEEDaS15_S16_EUlS15_E_NS1_11comp_targetILNS1_3genE8ELNS1_11target_archE1030ELNS1_3gpuE2ELNS1_3repE0EEENS1_30default_config_static_selectorELNS0_4arch9wavefront6targetE1EEEvT1_,comdat
	.protected	_ZN7rocprim17ROCPRIM_400000_NS6detail17trampoline_kernelINS0_14default_configENS1_25partition_config_selectorILNS1_17partition_subalgoE8EdNS0_10empty_typeEbEEZZNS1_14partition_implILS5_8ELb0ES3_jN6thrust23THRUST_200600_302600_NS6detail15normal_iteratorINSA_10device_ptrIdEEEEPS6_PKS6_NS0_5tupleIJSF_S6_EEENSJ_IJSG_SG_EEENS0_18inequality_wrapperINSA_8equal_toIdEEEEPmJS6_EEE10hipError_tPvRmT3_T4_T5_T6_T7_T9_mT8_P12ihipStream_tbDpT10_ENKUlT_T0_E_clISt17integral_constantIbLb1EES19_IbLb0EEEEDaS15_S16_EUlS15_E_NS1_11comp_targetILNS1_3genE8ELNS1_11target_archE1030ELNS1_3gpuE2ELNS1_3repE0EEENS1_30default_config_static_selectorELNS0_4arch9wavefront6targetE1EEEvT1_ ; -- Begin function _ZN7rocprim17ROCPRIM_400000_NS6detail17trampoline_kernelINS0_14default_configENS1_25partition_config_selectorILNS1_17partition_subalgoE8EdNS0_10empty_typeEbEEZZNS1_14partition_implILS5_8ELb0ES3_jN6thrust23THRUST_200600_302600_NS6detail15normal_iteratorINSA_10device_ptrIdEEEEPS6_PKS6_NS0_5tupleIJSF_S6_EEENSJ_IJSG_SG_EEENS0_18inequality_wrapperINSA_8equal_toIdEEEEPmJS6_EEE10hipError_tPvRmT3_T4_T5_T6_T7_T9_mT8_P12ihipStream_tbDpT10_ENKUlT_T0_E_clISt17integral_constantIbLb1EES19_IbLb0EEEEDaS15_S16_EUlS15_E_NS1_11comp_targetILNS1_3genE8ELNS1_11target_archE1030ELNS1_3gpuE2ELNS1_3repE0EEENS1_30default_config_static_selectorELNS0_4arch9wavefront6targetE1EEEvT1_
	.globl	_ZN7rocprim17ROCPRIM_400000_NS6detail17trampoline_kernelINS0_14default_configENS1_25partition_config_selectorILNS1_17partition_subalgoE8EdNS0_10empty_typeEbEEZZNS1_14partition_implILS5_8ELb0ES3_jN6thrust23THRUST_200600_302600_NS6detail15normal_iteratorINSA_10device_ptrIdEEEEPS6_PKS6_NS0_5tupleIJSF_S6_EEENSJ_IJSG_SG_EEENS0_18inequality_wrapperINSA_8equal_toIdEEEEPmJS6_EEE10hipError_tPvRmT3_T4_T5_T6_T7_T9_mT8_P12ihipStream_tbDpT10_ENKUlT_T0_E_clISt17integral_constantIbLb1EES19_IbLb0EEEEDaS15_S16_EUlS15_E_NS1_11comp_targetILNS1_3genE8ELNS1_11target_archE1030ELNS1_3gpuE2ELNS1_3repE0EEENS1_30default_config_static_selectorELNS0_4arch9wavefront6targetE1EEEvT1_
	.p2align	8
	.type	_ZN7rocprim17ROCPRIM_400000_NS6detail17trampoline_kernelINS0_14default_configENS1_25partition_config_selectorILNS1_17partition_subalgoE8EdNS0_10empty_typeEbEEZZNS1_14partition_implILS5_8ELb0ES3_jN6thrust23THRUST_200600_302600_NS6detail15normal_iteratorINSA_10device_ptrIdEEEEPS6_PKS6_NS0_5tupleIJSF_S6_EEENSJ_IJSG_SG_EEENS0_18inequality_wrapperINSA_8equal_toIdEEEEPmJS6_EEE10hipError_tPvRmT3_T4_T5_T6_T7_T9_mT8_P12ihipStream_tbDpT10_ENKUlT_T0_E_clISt17integral_constantIbLb1EES19_IbLb0EEEEDaS15_S16_EUlS15_E_NS1_11comp_targetILNS1_3genE8ELNS1_11target_archE1030ELNS1_3gpuE2ELNS1_3repE0EEENS1_30default_config_static_selectorELNS0_4arch9wavefront6targetE1EEEvT1_,@function
_ZN7rocprim17ROCPRIM_400000_NS6detail17trampoline_kernelINS0_14default_configENS1_25partition_config_selectorILNS1_17partition_subalgoE8EdNS0_10empty_typeEbEEZZNS1_14partition_implILS5_8ELb0ES3_jN6thrust23THRUST_200600_302600_NS6detail15normal_iteratorINSA_10device_ptrIdEEEEPS6_PKS6_NS0_5tupleIJSF_S6_EEENSJ_IJSG_SG_EEENS0_18inequality_wrapperINSA_8equal_toIdEEEEPmJS6_EEE10hipError_tPvRmT3_T4_T5_T6_T7_T9_mT8_P12ihipStream_tbDpT10_ENKUlT_T0_E_clISt17integral_constantIbLb1EES19_IbLb0EEEEDaS15_S16_EUlS15_E_NS1_11comp_targetILNS1_3genE8ELNS1_11target_archE1030ELNS1_3gpuE2ELNS1_3repE0EEENS1_30default_config_static_selectorELNS0_4arch9wavefront6targetE1EEEvT1_: ; @_ZN7rocprim17ROCPRIM_400000_NS6detail17trampoline_kernelINS0_14default_configENS1_25partition_config_selectorILNS1_17partition_subalgoE8EdNS0_10empty_typeEbEEZZNS1_14partition_implILS5_8ELb0ES3_jN6thrust23THRUST_200600_302600_NS6detail15normal_iteratorINSA_10device_ptrIdEEEEPS6_PKS6_NS0_5tupleIJSF_S6_EEENSJ_IJSG_SG_EEENS0_18inequality_wrapperINSA_8equal_toIdEEEEPmJS6_EEE10hipError_tPvRmT3_T4_T5_T6_T7_T9_mT8_P12ihipStream_tbDpT10_ENKUlT_T0_E_clISt17integral_constantIbLb1EES19_IbLb0EEEEDaS15_S16_EUlS15_E_NS1_11comp_targetILNS1_3genE8ELNS1_11target_archE1030ELNS1_3gpuE2ELNS1_3repE0EEENS1_30default_config_static_selectorELNS0_4arch9wavefront6targetE1EEEvT1_
; %bb.0:
	.section	.rodata,"a",@progbits
	.p2align	6, 0x0
	.amdhsa_kernel _ZN7rocprim17ROCPRIM_400000_NS6detail17trampoline_kernelINS0_14default_configENS1_25partition_config_selectorILNS1_17partition_subalgoE8EdNS0_10empty_typeEbEEZZNS1_14partition_implILS5_8ELb0ES3_jN6thrust23THRUST_200600_302600_NS6detail15normal_iteratorINSA_10device_ptrIdEEEEPS6_PKS6_NS0_5tupleIJSF_S6_EEENSJ_IJSG_SG_EEENS0_18inequality_wrapperINSA_8equal_toIdEEEEPmJS6_EEE10hipError_tPvRmT3_T4_T5_T6_T7_T9_mT8_P12ihipStream_tbDpT10_ENKUlT_T0_E_clISt17integral_constantIbLb1EES19_IbLb0EEEEDaS15_S16_EUlS15_E_NS1_11comp_targetILNS1_3genE8ELNS1_11target_archE1030ELNS1_3gpuE2ELNS1_3repE0EEENS1_30default_config_static_selectorELNS0_4arch9wavefront6targetE1EEEvT1_
		.amdhsa_group_segment_fixed_size 0
		.amdhsa_private_segment_fixed_size 0
		.amdhsa_kernarg_size 112
		.amdhsa_user_sgpr_count 6
		.amdhsa_user_sgpr_private_segment_buffer 1
		.amdhsa_user_sgpr_dispatch_ptr 0
		.amdhsa_user_sgpr_queue_ptr 0
		.amdhsa_user_sgpr_kernarg_segment_ptr 1
		.amdhsa_user_sgpr_dispatch_id 0
		.amdhsa_user_sgpr_flat_scratch_init 0
		.amdhsa_user_sgpr_private_segment_size 0
		.amdhsa_uses_dynamic_stack 0
		.amdhsa_system_sgpr_private_segment_wavefront_offset 0
		.amdhsa_system_sgpr_workgroup_id_x 1
		.amdhsa_system_sgpr_workgroup_id_y 0
		.amdhsa_system_sgpr_workgroup_id_z 0
		.amdhsa_system_sgpr_workgroup_info 0
		.amdhsa_system_vgpr_workitem_id 0
		.amdhsa_next_free_vgpr 1
		.amdhsa_next_free_sgpr 0
		.amdhsa_reserve_vcc 0
		.amdhsa_reserve_flat_scratch 0
		.amdhsa_float_round_mode_32 0
		.amdhsa_float_round_mode_16_64 0
		.amdhsa_float_denorm_mode_32 3
		.amdhsa_float_denorm_mode_16_64 3
		.amdhsa_dx10_clamp 1
		.amdhsa_ieee_mode 1
		.amdhsa_fp16_overflow 0
		.amdhsa_exception_fp_ieee_invalid_op 0
		.amdhsa_exception_fp_denorm_src 0
		.amdhsa_exception_fp_ieee_div_zero 0
		.amdhsa_exception_fp_ieee_overflow 0
		.amdhsa_exception_fp_ieee_underflow 0
		.amdhsa_exception_fp_ieee_inexact 0
		.amdhsa_exception_int_div_zero 0
	.end_amdhsa_kernel
	.section	.text._ZN7rocprim17ROCPRIM_400000_NS6detail17trampoline_kernelINS0_14default_configENS1_25partition_config_selectorILNS1_17partition_subalgoE8EdNS0_10empty_typeEbEEZZNS1_14partition_implILS5_8ELb0ES3_jN6thrust23THRUST_200600_302600_NS6detail15normal_iteratorINSA_10device_ptrIdEEEEPS6_PKS6_NS0_5tupleIJSF_S6_EEENSJ_IJSG_SG_EEENS0_18inequality_wrapperINSA_8equal_toIdEEEEPmJS6_EEE10hipError_tPvRmT3_T4_T5_T6_T7_T9_mT8_P12ihipStream_tbDpT10_ENKUlT_T0_E_clISt17integral_constantIbLb1EES19_IbLb0EEEEDaS15_S16_EUlS15_E_NS1_11comp_targetILNS1_3genE8ELNS1_11target_archE1030ELNS1_3gpuE2ELNS1_3repE0EEENS1_30default_config_static_selectorELNS0_4arch9wavefront6targetE1EEEvT1_,"axG",@progbits,_ZN7rocprim17ROCPRIM_400000_NS6detail17trampoline_kernelINS0_14default_configENS1_25partition_config_selectorILNS1_17partition_subalgoE8EdNS0_10empty_typeEbEEZZNS1_14partition_implILS5_8ELb0ES3_jN6thrust23THRUST_200600_302600_NS6detail15normal_iteratorINSA_10device_ptrIdEEEEPS6_PKS6_NS0_5tupleIJSF_S6_EEENSJ_IJSG_SG_EEENS0_18inequality_wrapperINSA_8equal_toIdEEEEPmJS6_EEE10hipError_tPvRmT3_T4_T5_T6_T7_T9_mT8_P12ihipStream_tbDpT10_ENKUlT_T0_E_clISt17integral_constantIbLb1EES19_IbLb0EEEEDaS15_S16_EUlS15_E_NS1_11comp_targetILNS1_3genE8ELNS1_11target_archE1030ELNS1_3gpuE2ELNS1_3repE0EEENS1_30default_config_static_selectorELNS0_4arch9wavefront6targetE1EEEvT1_,comdat
.Lfunc_end37:
	.size	_ZN7rocprim17ROCPRIM_400000_NS6detail17trampoline_kernelINS0_14default_configENS1_25partition_config_selectorILNS1_17partition_subalgoE8EdNS0_10empty_typeEbEEZZNS1_14partition_implILS5_8ELb0ES3_jN6thrust23THRUST_200600_302600_NS6detail15normal_iteratorINSA_10device_ptrIdEEEEPS6_PKS6_NS0_5tupleIJSF_S6_EEENSJ_IJSG_SG_EEENS0_18inequality_wrapperINSA_8equal_toIdEEEEPmJS6_EEE10hipError_tPvRmT3_T4_T5_T6_T7_T9_mT8_P12ihipStream_tbDpT10_ENKUlT_T0_E_clISt17integral_constantIbLb1EES19_IbLb0EEEEDaS15_S16_EUlS15_E_NS1_11comp_targetILNS1_3genE8ELNS1_11target_archE1030ELNS1_3gpuE2ELNS1_3repE0EEENS1_30default_config_static_selectorELNS0_4arch9wavefront6targetE1EEEvT1_, .Lfunc_end37-_ZN7rocprim17ROCPRIM_400000_NS6detail17trampoline_kernelINS0_14default_configENS1_25partition_config_selectorILNS1_17partition_subalgoE8EdNS0_10empty_typeEbEEZZNS1_14partition_implILS5_8ELb0ES3_jN6thrust23THRUST_200600_302600_NS6detail15normal_iteratorINSA_10device_ptrIdEEEEPS6_PKS6_NS0_5tupleIJSF_S6_EEENSJ_IJSG_SG_EEENS0_18inequality_wrapperINSA_8equal_toIdEEEEPmJS6_EEE10hipError_tPvRmT3_T4_T5_T6_T7_T9_mT8_P12ihipStream_tbDpT10_ENKUlT_T0_E_clISt17integral_constantIbLb1EES19_IbLb0EEEEDaS15_S16_EUlS15_E_NS1_11comp_targetILNS1_3genE8ELNS1_11target_archE1030ELNS1_3gpuE2ELNS1_3repE0EEENS1_30default_config_static_selectorELNS0_4arch9wavefront6targetE1EEEvT1_
                                        ; -- End function
	.set _ZN7rocprim17ROCPRIM_400000_NS6detail17trampoline_kernelINS0_14default_configENS1_25partition_config_selectorILNS1_17partition_subalgoE8EdNS0_10empty_typeEbEEZZNS1_14partition_implILS5_8ELb0ES3_jN6thrust23THRUST_200600_302600_NS6detail15normal_iteratorINSA_10device_ptrIdEEEEPS6_PKS6_NS0_5tupleIJSF_S6_EEENSJ_IJSG_SG_EEENS0_18inequality_wrapperINSA_8equal_toIdEEEEPmJS6_EEE10hipError_tPvRmT3_T4_T5_T6_T7_T9_mT8_P12ihipStream_tbDpT10_ENKUlT_T0_E_clISt17integral_constantIbLb1EES19_IbLb0EEEEDaS15_S16_EUlS15_E_NS1_11comp_targetILNS1_3genE8ELNS1_11target_archE1030ELNS1_3gpuE2ELNS1_3repE0EEENS1_30default_config_static_selectorELNS0_4arch9wavefront6targetE1EEEvT1_.num_vgpr, 0
	.set _ZN7rocprim17ROCPRIM_400000_NS6detail17trampoline_kernelINS0_14default_configENS1_25partition_config_selectorILNS1_17partition_subalgoE8EdNS0_10empty_typeEbEEZZNS1_14partition_implILS5_8ELb0ES3_jN6thrust23THRUST_200600_302600_NS6detail15normal_iteratorINSA_10device_ptrIdEEEEPS6_PKS6_NS0_5tupleIJSF_S6_EEENSJ_IJSG_SG_EEENS0_18inequality_wrapperINSA_8equal_toIdEEEEPmJS6_EEE10hipError_tPvRmT3_T4_T5_T6_T7_T9_mT8_P12ihipStream_tbDpT10_ENKUlT_T0_E_clISt17integral_constantIbLb1EES19_IbLb0EEEEDaS15_S16_EUlS15_E_NS1_11comp_targetILNS1_3genE8ELNS1_11target_archE1030ELNS1_3gpuE2ELNS1_3repE0EEENS1_30default_config_static_selectorELNS0_4arch9wavefront6targetE1EEEvT1_.num_agpr, 0
	.set _ZN7rocprim17ROCPRIM_400000_NS6detail17trampoline_kernelINS0_14default_configENS1_25partition_config_selectorILNS1_17partition_subalgoE8EdNS0_10empty_typeEbEEZZNS1_14partition_implILS5_8ELb0ES3_jN6thrust23THRUST_200600_302600_NS6detail15normal_iteratorINSA_10device_ptrIdEEEEPS6_PKS6_NS0_5tupleIJSF_S6_EEENSJ_IJSG_SG_EEENS0_18inequality_wrapperINSA_8equal_toIdEEEEPmJS6_EEE10hipError_tPvRmT3_T4_T5_T6_T7_T9_mT8_P12ihipStream_tbDpT10_ENKUlT_T0_E_clISt17integral_constantIbLb1EES19_IbLb0EEEEDaS15_S16_EUlS15_E_NS1_11comp_targetILNS1_3genE8ELNS1_11target_archE1030ELNS1_3gpuE2ELNS1_3repE0EEENS1_30default_config_static_selectorELNS0_4arch9wavefront6targetE1EEEvT1_.numbered_sgpr, 0
	.set _ZN7rocprim17ROCPRIM_400000_NS6detail17trampoline_kernelINS0_14default_configENS1_25partition_config_selectorILNS1_17partition_subalgoE8EdNS0_10empty_typeEbEEZZNS1_14partition_implILS5_8ELb0ES3_jN6thrust23THRUST_200600_302600_NS6detail15normal_iteratorINSA_10device_ptrIdEEEEPS6_PKS6_NS0_5tupleIJSF_S6_EEENSJ_IJSG_SG_EEENS0_18inequality_wrapperINSA_8equal_toIdEEEEPmJS6_EEE10hipError_tPvRmT3_T4_T5_T6_T7_T9_mT8_P12ihipStream_tbDpT10_ENKUlT_T0_E_clISt17integral_constantIbLb1EES19_IbLb0EEEEDaS15_S16_EUlS15_E_NS1_11comp_targetILNS1_3genE8ELNS1_11target_archE1030ELNS1_3gpuE2ELNS1_3repE0EEENS1_30default_config_static_selectorELNS0_4arch9wavefront6targetE1EEEvT1_.num_named_barrier, 0
	.set _ZN7rocprim17ROCPRIM_400000_NS6detail17trampoline_kernelINS0_14default_configENS1_25partition_config_selectorILNS1_17partition_subalgoE8EdNS0_10empty_typeEbEEZZNS1_14partition_implILS5_8ELb0ES3_jN6thrust23THRUST_200600_302600_NS6detail15normal_iteratorINSA_10device_ptrIdEEEEPS6_PKS6_NS0_5tupleIJSF_S6_EEENSJ_IJSG_SG_EEENS0_18inequality_wrapperINSA_8equal_toIdEEEEPmJS6_EEE10hipError_tPvRmT3_T4_T5_T6_T7_T9_mT8_P12ihipStream_tbDpT10_ENKUlT_T0_E_clISt17integral_constantIbLb1EES19_IbLb0EEEEDaS15_S16_EUlS15_E_NS1_11comp_targetILNS1_3genE8ELNS1_11target_archE1030ELNS1_3gpuE2ELNS1_3repE0EEENS1_30default_config_static_selectorELNS0_4arch9wavefront6targetE1EEEvT1_.private_seg_size, 0
	.set _ZN7rocprim17ROCPRIM_400000_NS6detail17trampoline_kernelINS0_14default_configENS1_25partition_config_selectorILNS1_17partition_subalgoE8EdNS0_10empty_typeEbEEZZNS1_14partition_implILS5_8ELb0ES3_jN6thrust23THRUST_200600_302600_NS6detail15normal_iteratorINSA_10device_ptrIdEEEEPS6_PKS6_NS0_5tupleIJSF_S6_EEENSJ_IJSG_SG_EEENS0_18inequality_wrapperINSA_8equal_toIdEEEEPmJS6_EEE10hipError_tPvRmT3_T4_T5_T6_T7_T9_mT8_P12ihipStream_tbDpT10_ENKUlT_T0_E_clISt17integral_constantIbLb1EES19_IbLb0EEEEDaS15_S16_EUlS15_E_NS1_11comp_targetILNS1_3genE8ELNS1_11target_archE1030ELNS1_3gpuE2ELNS1_3repE0EEENS1_30default_config_static_selectorELNS0_4arch9wavefront6targetE1EEEvT1_.uses_vcc, 0
	.set _ZN7rocprim17ROCPRIM_400000_NS6detail17trampoline_kernelINS0_14default_configENS1_25partition_config_selectorILNS1_17partition_subalgoE8EdNS0_10empty_typeEbEEZZNS1_14partition_implILS5_8ELb0ES3_jN6thrust23THRUST_200600_302600_NS6detail15normal_iteratorINSA_10device_ptrIdEEEEPS6_PKS6_NS0_5tupleIJSF_S6_EEENSJ_IJSG_SG_EEENS0_18inequality_wrapperINSA_8equal_toIdEEEEPmJS6_EEE10hipError_tPvRmT3_T4_T5_T6_T7_T9_mT8_P12ihipStream_tbDpT10_ENKUlT_T0_E_clISt17integral_constantIbLb1EES19_IbLb0EEEEDaS15_S16_EUlS15_E_NS1_11comp_targetILNS1_3genE8ELNS1_11target_archE1030ELNS1_3gpuE2ELNS1_3repE0EEENS1_30default_config_static_selectorELNS0_4arch9wavefront6targetE1EEEvT1_.uses_flat_scratch, 0
	.set _ZN7rocprim17ROCPRIM_400000_NS6detail17trampoline_kernelINS0_14default_configENS1_25partition_config_selectorILNS1_17partition_subalgoE8EdNS0_10empty_typeEbEEZZNS1_14partition_implILS5_8ELb0ES3_jN6thrust23THRUST_200600_302600_NS6detail15normal_iteratorINSA_10device_ptrIdEEEEPS6_PKS6_NS0_5tupleIJSF_S6_EEENSJ_IJSG_SG_EEENS0_18inequality_wrapperINSA_8equal_toIdEEEEPmJS6_EEE10hipError_tPvRmT3_T4_T5_T6_T7_T9_mT8_P12ihipStream_tbDpT10_ENKUlT_T0_E_clISt17integral_constantIbLb1EES19_IbLb0EEEEDaS15_S16_EUlS15_E_NS1_11comp_targetILNS1_3genE8ELNS1_11target_archE1030ELNS1_3gpuE2ELNS1_3repE0EEENS1_30default_config_static_selectorELNS0_4arch9wavefront6targetE1EEEvT1_.has_dyn_sized_stack, 0
	.set _ZN7rocprim17ROCPRIM_400000_NS6detail17trampoline_kernelINS0_14default_configENS1_25partition_config_selectorILNS1_17partition_subalgoE8EdNS0_10empty_typeEbEEZZNS1_14partition_implILS5_8ELb0ES3_jN6thrust23THRUST_200600_302600_NS6detail15normal_iteratorINSA_10device_ptrIdEEEEPS6_PKS6_NS0_5tupleIJSF_S6_EEENSJ_IJSG_SG_EEENS0_18inequality_wrapperINSA_8equal_toIdEEEEPmJS6_EEE10hipError_tPvRmT3_T4_T5_T6_T7_T9_mT8_P12ihipStream_tbDpT10_ENKUlT_T0_E_clISt17integral_constantIbLb1EES19_IbLb0EEEEDaS15_S16_EUlS15_E_NS1_11comp_targetILNS1_3genE8ELNS1_11target_archE1030ELNS1_3gpuE2ELNS1_3repE0EEENS1_30default_config_static_selectorELNS0_4arch9wavefront6targetE1EEEvT1_.has_recursion, 0
	.set _ZN7rocprim17ROCPRIM_400000_NS6detail17trampoline_kernelINS0_14default_configENS1_25partition_config_selectorILNS1_17partition_subalgoE8EdNS0_10empty_typeEbEEZZNS1_14partition_implILS5_8ELb0ES3_jN6thrust23THRUST_200600_302600_NS6detail15normal_iteratorINSA_10device_ptrIdEEEEPS6_PKS6_NS0_5tupleIJSF_S6_EEENSJ_IJSG_SG_EEENS0_18inequality_wrapperINSA_8equal_toIdEEEEPmJS6_EEE10hipError_tPvRmT3_T4_T5_T6_T7_T9_mT8_P12ihipStream_tbDpT10_ENKUlT_T0_E_clISt17integral_constantIbLb1EES19_IbLb0EEEEDaS15_S16_EUlS15_E_NS1_11comp_targetILNS1_3genE8ELNS1_11target_archE1030ELNS1_3gpuE2ELNS1_3repE0EEENS1_30default_config_static_selectorELNS0_4arch9wavefront6targetE1EEEvT1_.has_indirect_call, 0
	.section	.AMDGPU.csdata,"",@progbits
; Kernel info:
; codeLenInByte = 0
; TotalNumSgprs: 4
; NumVgprs: 0
; ScratchSize: 0
; MemoryBound: 0
; FloatMode: 240
; IeeeMode: 1
; LDSByteSize: 0 bytes/workgroup (compile time only)
; SGPRBlocks: 0
; VGPRBlocks: 0
; NumSGPRsForWavesPerEU: 4
; NumVGPRsForWavesPerEU: 1
; Occupancy: 10
; WaveLimiterHint : 0
; COMPUTE_PGM_RSRC2:SCRATCH_EN: 0
; COMPUTE_PGM_RSRC2:USER_SGPR: 6
; COMPUTE_PGM_RSRC2:TRAP_HANDLER: 0
; COMPUTE_PGM_RSRC2:TGID_X_EN: 1
; COMPUTE_PGM_RSRC2:TGID_Y_EN: 0
; COMPUTE_PGM_RSRC2:TGID_Z_EN: 0
; COMPUTE_PGM_RSRC2:TIDIG_COMP_CNT: 0
	.section	.text._ZN7rocprim17ROCPRIM_400000_NS6detail31init_lookback_scan_state_kernelINS1_19lookback_scan_stateIjLb0ELb1EEENS1_16block_id_wrapperIjLb1EEEEEvT_jT0_jPNS7_10value_typeE,"axG",@progbits,_ZN7rocprim17ROCPRIM_400000_NS6detail31init_lookback_scan_state_kernelINS1_19lookback_scan_stateIjLb0ELb1EEENS1_16block_id_wrapperIjLb1EEEEEvT_jT0_jPNS7_10value_typeE,comdat
	.protected	_ZN7rocprim17ROCPRIM_400000_NS6detail31init_lookback_scan_state_kernelINS1_19lookback_scan_stateIjLb0ELb1EEENS1_16block_id_wrapperIjLb1EEEEEvT_jT0_jPNS7_10value_typeE ; -- Begin function _ZN7rocprim17ROCPRIM_400000_NS6detail31init_lookback_scan_state_kernelINS1_19lookback_scan_stateIjLb0ELb1EEENS1_16block_id_wrapperIjLb1EEEEEvT_jT0_jPNS7_10value_typeE
	.globl	_ZN7rocprim17ROCPRIM_400000_NS6detail31init_lookback_scan_state_kernelINS1_19lookback_scan_stateIjLb0ELb1EEENS1_16block_id_wrapperIjLb1EEEEEvT_jT0_jPNS7_10value_typeE
	.p2align	8
	.type	_ZN7rocprim17ROCPRIM_400000_NS6detail31init_lookback_scan_state_kernelINS1_19lookback_scan_stateIjLb0ELb1EEENS1_16block_id_wrapperIjLb1EEEEEvT_jT0_jPNS7_10value_typeE,@function
_ZN7rocprim17ROCPRIM_400000_NS6detail31init_lookback_scan_state_kernelINS1_19lookback_scan_stateIjLb0ELb1EEENS1_16block_id_wrapperIjLb1EEEEEvT_jT0_jPNS7_10value_typeE: ; @_ZN7rocprim17ROCPRIM_400000_NS6detail31init_lookback_scan_state_kernelINS1_19lookback_scan_stateIjLb0ELb1EEENS1_16block_id_wrapperIjLb1EEEEEvT_jT0_jPNS7_10value_typeE
; %bb.0:
	s_load_dword s7, s[4:5], 0x34
	s_load_dwordx2 s[2:3], s[4:5], 0x20
	s_load_dwordx2 s[0:1], s[4:5], 0x0
	s_load_dword s10, s[4:5], 0x8
	s_waitcnt lgkmcnt(0)
	s_and_b32 s7, s7, 0xffff
	s_mul_i32 s6, s6, s7
	s_cmp_eq_u64 s[2:3], 0
	v_add_u32_e32 v0, s6, v0
	s_cbranch_scc1 .LBB38_6
; %bb.1:
	s_load_dword s8, s[4:5], 0x18
	s_mov_b32 s9, 0
	s_waitcnt lgkmcnt(0)
	s_cmp_lt_u32 s8, s10
	s_cselect_b32 s6, s8, 0
	v_cmp_eq_u32_e32 vcc, s6, v0
	s_and_saveexec_b64 s[6:7], vcc
	s_cbranch_execz .LBB38_5
; %bb.2:
	s_add_i32 s8, s8, 64
	s_lshl_b64 s[8:9], s[8:9], 3
	s_add_u32 s8, s0, s8
	s_addc_u32 s9, s1, s9
	v_mov_b32_e32 v3, 0
	global_load_dwordx2 v[1:2], v3, s[8:9] glc
	s_waitcnt vmcnt(0)
	v_and_b32_e32 v4, 0xff, v2
	v_cmp_ne_u64_e32 vcc, 0, v[3:4]
	s_cbranch_vccnz .LBB38_4
.LBB38_3:                               ; =>This Inner Loop Header: Depth=1
	global_load_dwordx2 v[1:2], v3, s[8:9] glc
	s_waitcnt vmcnt(0)
	v_and_b32_e32 v4, 0xff, v2
	v_cmp_eq_u64_e32 vcc, 0, v[3:4]
	s_cbranch_vccnz .LBB38_3
.LBB38_4:
	v_mov_b32_e32 v2, 0
	global_store_dword v2, v1, s[2:3]
.LBB38_5:
	s_or_b64 exec, exec, s[6:7]
.LBB38_6:
	v_cmp_eq_u32_e32 vcc, 0, v0
	s_and_saveexec_b64 s[2:3], vcc
	s_cbranch_execnz .LBB38_10
; %bb.7:
	s_or_b64 exec, exec, s[2:3]
	v_cmp_gt_u32_e32 vcc, s10, v0
	s_and_saveexec_b64 s[2:3], vcc
	s_cbranch_execnz .LBB38_11
.LBB38_8:
	s_or_b64 exec, exec, s[2:3]
	v_cmp_gt_u32_e32 vcc, 64, v0
	s_and_saveexec_b64 s[2:3], vcc
	s_cbranch_execnz .LBB38_12
.LBB38_9:
	s_endpgm
.LBB38_10:
	s_load_dwordx2 s[4:5], s[4:5], 0x10
	v_mov_b32_e32 v1, 0
	s_waitcnt lgkmcnt(0)
	global_store_dword v1, v1, s[4:5]
	s_or_b64 exec, exec, s[2:3]
	v_cmp_gt_u32_e32 vcc, s10, v0
	s_and_saveexec_b64 s[2:3], vcc
	s_cbranch_execz .LBB38_8
.LBB38_11:
	v_add_u32_e32 v1, 64, v0
	v_mov_b32_e32 v2, 0
	v_lshlrev_b64 v[3:4], 3, v[1:2]
	v_mov_b32_e32 v1, s1
	v_add_co_u32_e32 v3, vcc, s0, v3
	v_addc_co_u32_e32 v4, vcc, v1, v4, vcc
	v_mov_b32_e32 v1, v2
	global_store_dwordx2 v[3:4], v[1:2], off
	s_or_b64 exec, exec, s[2:3]
	v_cmp_gt_u32_e32 vcc, 64, v0
	s_and_saveexec_b64 s[2:3], vcc
	s_cbranch_execz .LBB38_9
.LBB38_12:
	v_mov_b32_e32 v1, 0
	v_lshlrev_b64 v[2:3], 3, v[0:1]
	v_mov_b32_e32 v0, s1
	v_add_co_u32_e32 v2, vcc, s0, v2
	v_addc_co_u32_e32 v3, vcc, v0, v3, vcc
	v_mov_b32_e32 v5, 0xff
	v_mov_b32_e32 v4, v1
	global_store_dwordx2 v[2:3], v[4:5], off
	s_endpgm
	.section	.rodata,"a",@progbits
	.p2align	6, 0x0
	.amdhsa_kernel _ZN7rocprim17ROCPRIM_400000_NS6detail31init_lookback_scan_state_kernelINS1_19lookback_scan_stateIjLb0ELb1EEENS1_16block_id_wrapperIjLb1EEEEEvT_jT0_jPNS7_10value_typeE
		.amdhsa_group_segment_fixed_size 0
		.amdhsa_private_segment_fixed_size 0
		.amdhsa_kernarg_size 296
		.amdhsa_user_sgpr_count 6
		.amdhsa_user_sgpr_private_segment_buffer 1
		.amdhsa_user_sgpr_dispatch_ptr 0
		.amdhsa_user_sgpr_queue_ptr 0
		.amdhsa_user_sgpr_kernarg_segment_ptr 1
		.amdhsa_user_sgpr_dispatch_id 0
		.amdhsa_user_sgpr_flat_scratch_init 0
		.amdhsa_user_sgpr_private_segment_size 0
		.amdhsa_uses_dynamic_stack 0
		.amdhsa_system_sgpr_private_segment_wavefront_offset 0
		.amdhsa_system_sgpr_workgroup_id_x 1
		.amdhsa_system_sgpr_workgroup_id_y 0
		.amdhsa_system_sgpr_workgroup_id_z 0
		.amdhsa_system_sgpr_workgroup_info 0
		.amdhsa_system_vgpr_workitem_id 0
		.amdhsa_next_free_vgpr 6
		.amdhsa_next_free_sgpr 11
		.amdhsa_reserve_vcc 1
		.amdhsa_reserve_flat_scratch 0
		.amdhsa_float_round_mode_32 0
		.amdhsa_float_round_mode_16_64 0
		.amdhsa_float_denorm_mode_32 3
		.amdhsa_float_denorm_mode_16_64 3
		.amdhsa_dx10_clamp 1
		.amdhsa_ieee_mode 1
		.amdhsa_fp16_overflow 0
		.amdhsa_exception_fp_ieee_invalid_op 0
		.amdhsa_exception_fp_denorm_src 0
		.amdhsa_exception_fp_ieee_div_zero 0
		.amdhsa_exception_fp_ieee_overflow 0
		.amdhsa_exception_fp_ieee_underflow 0
		.amdhsa_exception_fp_ieee_inexact 0
		.amdhsa_exception_int_div_zero 0
	.end_amdhsa_kernel
	.section	.text._ZN7rocprim17ROCPRIM_400000_NS6detail31init_lookback_scan_state_kernelINS1_19lookback_scan_stateIjLb0ELb1EEENS1_16block_id_wrapperIjLb1EEEEEvT_jT0_jPNS7_10value_typeE,"axG",@progbits,_ZN7rocprim17ROCPRIM_400000_NS6detail31init_lookback_scan_state_kernelINS1_19lookback_scan_stateIjLb0ELb1EEENS1_16block_id_wrapperIjLb1EEEEEvT_jT0_jPNS7_10value_typeE,comdat
.Lfunc_end38:
	.size	_ZN7rocprim17ROCPRIM_400000_NS6detail31init_lookback_scan_state_kernelINS1_19lookback_scan_stateIjLb0ELb1EEENS1_16block_id_wrapperIjLb1EEEEEvT_jT0_jPNS7_10value_typeE, .Lfunc_end38-_ZN7rocprim17ROCPRIM_400000_NS6detail31init_lookback_scan_state_kernelINS1_19lookback_scan_stateIjLb0ELb1EEENS1_16block_id_wrapperIjLb1EEEEEvT_jT0_jPNS7_10value_typeE
                                        ; -- End function
	.set _ZN7rocprim17ROCPRIM_400000_NS6detail31init_lookback_scan_state_kernelINS1_19lookback_scan_stateIjLb0ELb1EEENS1_16block_id_wrapperIjLb1EEEEEvT_jT0_jPNS7_10value_typeE.num_vgpr, 6
	.set _ZN7rocprim17ROCPRIM_400000_NS6detail31init_lookback_scan_state_kernelINS1_19lookback_scan_stateIjLb0ELb1EEENS1_16block_id_wrapperIjLb1EEEEEvT_jT0_jPNS7_10value_typeE.num_agpr, 0
	.set _ZN7rocprim17ROCPRIM_400000_NS6detail31init_lookback_scan_state_kernelINS1_19lookback_scan_stateIjLb0ELb1EEENS1_16block_id_wrapperIjLb1EEEEEvT_jT0_jPNS7_10value_typeE.numbered_sgpr, 11
	.set _ZN7rocprim17ROCPRIM_400000_NS6detail31init_lookback_scan_state_kernelINS1_19lookback_scan_stateIjLb0ELb1EEENS1_16block_id_wrapperIjLb1EEEEEvT_jT0_jPNS7_10value_typeE.num_named_barrier, 0
	.set _ZN7rocprim17ROCPRIM_400000_NS6detail31init_lookback_scan_state_kernelINS1_19lookback_scan_stateIjLb0ELb1EEENS1_16block_id_wrapperIjLb1EEEEEvT_jT0_jPNS7_10value_typeE.private_seg_size, 0
	.set _ZN7rocprim17ROCPRIM_400000_NS6detail31init_lookback_scan_state_kernelINS1_19lookback_scan_stateIjLb0ELb1EEENS1_16block_id_wrapperIjLb1EEEEEvT_jT0_jPNS7_10value_typeE.uses_vcc, 1
	.set _ZN7rocprim17ROCPRIM_400000_NS6detail31init_lookback_scan_state_kernelINS1_19lookback_scan_stateIjLb0ELb1EEENS1_16block_id_wrapperIjLb1EEEEEvT_jT0_jPNS7_10value_typeE.uses_flat_scratch, 0
	.set _ZN7rocprim17ROCPRIM_400000_NS6detail31init_lookback_scan_state_kernelINS1_19lookback_scan_stateIjLb0ELb1EEENS1_16block_id_wrapperIjLb1EEEEEvT_jT0_jPNS7_10value_typeE.has_dyn_sized_stack, 0
	.set _ZN7rocprim17ROCPRIM_400000_NS6detail31init_lookback_scan_state_kernelINS1_19lookback_scan_stateIjLb0ELb1EEENS1_16block_id_wrapperIjLb1EEEEEvT_jT0_jPNS7_10value_typeE.has_recursion, 0
	.set _ZN7rocprim17ROCPRIM_400000_NS6detail31init_lookback_scan_state_kernelINS1_19lookback_scan_stateIjLb0ELb1EEENS1_16block_id_wrapperIjLb1EEEEEvT_jT0_jPNS7_10value_typeE.has_indirect_call, 0
	.section	.AMDGPU.csdata,"",@progbits
; Kernel info:
; codeLenInByte = 380
; TotalNumSgprs: 15
; NumVgprs: 6
; ScratchSize: 0
; MemoryBound: 0
; FloatMode: 240
; IeeeMode: 1
; LDSByteSize: 0 bytes/workgroup (compile time only)
; SGPRBlocks: 1
; VGPRBlocks: 1
; NumSGPRsForWavesPerEU: 15
; NumVGPRsForWavesPerEU: 6
; Occupancy: 10
; WaveLimiterHint : 0
; COMPUTE_PGM_RSRC2:SCRATCH_EN: 0
; COMPUTE_PGM_RSRC2:USER_SGPR: 6
; COMPUTE_PGM_RSRC2:TRAP_HANDLER: 0
; COMPUTE_PGM_RSRC2:TGID_X_EN: 1
; COMPUTE_PGM_RSRC2:TGID_Y_EN: 0
; COMPUTE_PGM_RSRC2:TGID_Z_EN: 0
; COMPUTE_PGM_RSRC2:TIDIG_COMP_CNT: 0
	.section	.text._ZN7rocprim17ROCPRIM_400000_NS6detail17trampoline_kernelINS0_14default_configENS1_25partition_config_selectorILNS1_17partition_subalgoE8EdNS0_10empty_typeEbEEZZNS1_14partition_implILS5_8ELb0ES3_jN6thrust23THRUST_200600_302600_NS6detail15normal_iteratorINSA_10device_ptrIdEEEEPS6_PKS6_NS0_5tupleIJSF_S6_EEENSJ_IJSG_SG_EEENS0_18inequality_wrapperINSA_8equal_toIdEEEEPmJS6_EEE10hipError_tPvRmT3_T4_T5_T6_T7_T9_mT8_P12ihipStream_tbDpT10_ENKUlT_T0_E_clISt17integral_constantIbLb0EES19_IbLb1EEEEDaS15_S16_EUlS15_E_NS1_11comp_targetILNS1_3genE0ELNS1_11target_archE4294967295ELNS1_3gpuE0ELNS1_3repE0EEENS1_30default_config_static_selectorELNS0_4arch9wavefront6targetE1EEEvT1_,"axG",@progbits,_ZN7rocprim17ROCPRIM_400000_NS6detail17trampoline_kernelINS0_14default_configENS1_25partition_config_selectorILNS1_17partition_subalgoE8EdNS0_10empty_typeEbEEZZNS1_14partition_implILS5_8ELb0ES3_jN6thrust23THRUST_200600_302600_NS6detail15normal_iteratorINSA_10device_ptrIdEEEEPS6_PKS6_NS0_5tupleIJSF_S6_EEENSJ_IJSG_SG_EEENS0_18inequality_wrapperINSA_8equal_toIdEEEEPmJS6_EEE10hipError_tPvRmT3_T4_T5_T6_T7_T9_mT8_P12ihipStream_tbDpT10_ENKUlT_T0_E_clISt17integral_constantIbLb0EES19_IbLb1EEEEDaS15_S16_EUlS15_E_NS1_11comp_targetILNS1_3genE0ELNS1_11target_archE4294967295ELNS1_3gpuE0ELNS1_3repE0EEENS1_30default_config_static_selectorELNS0_4arch9wavefront6targetE1EEEvT1_,comdat
	.protected	_ZN7rocprim17ROCPRIM_400000_NS6detail17trampoline_kernelINS0_14default_configENS1_25partition_config_selectorILNS1_17partition_subalgoE8EdNS0_10empty_typeEbEEZZNS1_14partition_implILS5_8ELb0ES3_jN6thrust23THRUST_200600_302600_NS6detail15normal_iteratorINSA_10device_ptrIdEEEEPS6_PKS6_NS0_5tupleIJSF_S6_EEENSJ_IJSG_SG_EEENS0_18inequality_wrapperINSA_8equal_toIdEEEEPmJS6_EEE10hipError_tPvRmT3_T4_T5_T6_T7_T9_mT8_P12ihipStream_tbDpT10_ENKUlT_T0_E_clISt17integral_constantIbLb0EES19_IbLb1EEEEDaS15_S16_EUlS15_E_NS1_11comp_targetILNS1_3genE0ELNS1_11target_archE4294967295ELNS1_3gpuE0ELNS1_3repE0EEENS1_30default_config_static_selectorELNS0_4arch9wavefront6targetE1EEEvT1_ ; -- Begin function _ZN7rocprim17ROCPRIM_400000_NS6detail17trampoline_kernelINS0_14default_configENS1_25partition_config_selectorILNS1_17partition_subalgoE8EdNS0_10empty_typeEbEEZZNS1_14partition_implILS5_8ELb0ES3_jN6thrust23THRUST_200600_302600_NS6detail15normal_iteratorINSA_10device_ptrIdEEEEPS6_PKS6_NS0_5tupleIJSF_S6_EEENSJ_IJSG_SG_EEENS0_18inequality_wrapperINSA_8equal_toIdEEEEPmJS6_EEE10hipError_tPvRmT3_T4_T5_T6_T7_T9_mT8_P12ihipStream_tbDpT10_ENKUlT_T0_E_clISt17integral_constantIbLb0EES19_IbLb1EEEEDaS15_S16_EUlS15_E_NS1_11comp_targetILNS1_3genE0ELNS1_11target_archE4294967295ELNS1_3gpuE0ELNS1_3repE0EEENS1_30default_config_static_selectorELNS0_4arch9wavefront6targetE1EEEvT1_
	.globl	_ZN7rocprim17ROCPRIM_400000_NS6detail17trampoline_kernelINS0_14default_configENS1_25partition_config_selectorILNS1_17partition_subalgoE8EdNS0_10empty_typeEbEEZZNS1_14partition_implILS5_8ELb0ES3_jN6thrust23THRUST_200600_302600_NS6detail15normal_iteratorINSA_10device_ptrIdEEEEPS6_PKS6_NS0_5tupleIJSF_S6_EEENSJ_IJSG_SG_EEENS0_18inequality_wrapperINSA_8equal_toIdEEEEPmJS6_EEE10hipError_tPvRmT3_T4_T5_T6_T7_T9_mT8_P12ihipStream_tbDpT10_ENKUlT_T0_E_clISt17integral_constantIbLb0EES19_IbLb1EEEEDaS15_S16_EUlS15_E_NS1_11comp_targetILNS1_3genE0ELNS1_11target_archE4294967295ELNS1_3gpuE0ELNS1_3repE0EEENS1_30default_config_static_selectorELNS0_4arch9wavefront6targetE1EEEvT1_
	.p2align	8
	.type	_ZN7rocprim17ROCPRIM_400000_NS6detail17trampoline_kernelINS0_14default_configENS1_25partition_config_selectorILNS1_17partition_subalgoE8EdNS0_10empty_typeEbEEZZNS1_14partition_implILS5_8ELb0ES3_jN6thrust23THRUST_200600_302600_NS6detail15normal_iteratorINSA_10device_ptrIdEEEEPS6_PKS6_NS0_5tupleIJSF_S6_EEENSJ_IJSG_SG_EEENS0_18inequality_wrapperINSA_8equal_toIdEEEEPmJS6_EEE10hipError_tPvRmT3_T4_T5_T6_T7_T9_mT8_P12ihipStream_tbDpT10_ENKUlT_T0_E_clISt17integral_constantIbLb0EES19_IbLb1EEEEDaS15_S16_EUlS15_E_NS1_11comp_targetILNS1_3genE0ELNS1_11target_archE4294967295ELNS1_3gpuE0ELNS1_3repE0EEENS1_30default_config_static_selectorELNS0_4arch9wavefront6targetE1EEEvT1_,@function
_ZN7rocprim17ROCPRIM_400000_NS6detail17trampoline_kernelINS0_14default_configENS1_25partition_config_selectorILNS1_17partition_subalgoE8EdNS0_10empty_typeEbEEZZNS1_14partition_implILS5_8ELb0ES3_jN6thrust23THRUST_200600_302600_NS6detail15normal_iteratorINSA_10device_ptrIdEEEEPS6_PKS6_NS0_5tupleIJSF_S6_EEENSJ_IJSG_SG_EEENS0_18inequality_wrapperINSA_8equal_toIdEEEEPmJS6_EEE10hipError_tPvRmT3_T4_T5_T6_T7_T9_mT8_P12ihipStream_tbDpT10_ENKUlT_T0_E_clISt17integral_constantIbLb0EES19_IbLb1EEEEDaS15_S16_EUlS15_E_NS1_11comp_targetILNS1_3genE0ELNS1_11target_archE4294967295ELNS1_3gpuE0ELNS1_3repE0EEENS1_30default_config_static_selectorELNS0_4arch9wavefront6targetE1EEEvT1_: ; @_ZN7rocprim17ROCPRIM_400000_NS6detail17trampoline_kernelINS0_14default_configENS1_25partition_config_selectorILNS1_17partition_subalgoE8EdNS0_10empty_typeEbEEZZNS1_14partition_implILS5_8ELb0ES3_jN6thrust23THRUST_200600_302600_NS6detail15normal_iteratorINSA_10device_ptrIdEEEEPS6_PKS6_NS0_5tupleIJSF_S6_EEENSJ_IJSG_SG_EEENS0_18inequality_wrapperINSA_8equal_toIdEEEEPmJS6_EEE10hipError_tPvRmT3_T4_T5_T6_T7_T9_mT8_P12ihipStream_tbDpT10_ENKUlT_T0_E_clISt17integral_constantIbLb0EES19_IbLb1EEEEDaS15_S16_EUlS15_E_NS1_11comp_targetILNS1_3genE0ELNS1_11target_archE4294967295ELNS1_3gpuE0ELNS1_3repE0EEENS1_30default_config_static_selectorELNS0_4arch9wavefront6targetE1EEEvT1_
; %bb.0:
	.section	.rodata,"a",@progbits
	.p2align	6, 0x0
	.amdhsa_kernel _ZN7rocprim17ROCPRIM_400000_NS6detail17trampoline_kernelINS0_14default_configENS1_25partition_config_selectorILNS1_17partition_subalgoE8EdNS0_10empty_typeEbEEZZNS1_14partition_implILS5_8ELb0ES3_jN6thrust23THRUST_200600_302600_NS6detail15normal_iteratorINSA_10device_ptrIdEEEEPS6_PKS6_NS0_5tupleIJSF_S6_EEENSJ_IJSG_SG_EEENS0_18inequality_wrapperINSA_8equal_toIdEEEEPmJS6_EEE10hipError_tPvRmT3_T4_T5_T6_T7_T9_mT8_P12ihipStream_tbDpT10_ENKUlT_T0_E_clISt17integral_constantIbLb0EES19_IbLb1EEEEDaS15_S16_EUlS15_E_NS1_11comp_targetILNS1_3genE0ELNS1_11target_archE4294967295ELNS1_3gpuE0ELNS1_3repE0EEENS1_30default_config_static_selectorELNS0_4arch9wavefront6targetE1EEEvT1_
		.amdhsa_group_segment_fixed_size 0
		.amdhsa_private_segment_fixed_size 0
		.amdhsa_kernarg_size 128
		.amdhsa_user_sgpr_count 6
		.amdhsa_user_sgpr_private_segment_buffer 1
		.amdhsa_user_sgpr_dispatch_ptr 0
		.amdhsa_user_sgpr_queue_ptr 0
		.amdhsa_user_sgpr_kernarg_segment_ptr 1
		.amdhsa_user_sgpr_dispatch_id 0
		.amdhsa_user_sgpr_flat_scratch_init 0
		.amdhsa_user_sgpr_private_segment_size 0
		.amdhsa_uses_dynamic_stack 0
		.amdhsa_system_sgpr_private_segment_wavefront_offset 0
		.amdhsa_system_sgpr_workgroup_id_x 1
		.amdhsa_system_sgpr_workgroup_id_y 0
		.amdhsa_system_sgpr_workgroup_id_z 0
		.amdhsa_system_sgpr_workgroup_info 0
		.amdhsa_system_vgpr_workitem_id 0
		.amdhsa_next_free_vgpr 1
		.amdhsa_next_free_sgpr 0
		.amdhsa_reserve_vcc 0
		.amdhsa_reserve_flat_scratch 0
		.amdhsa_float_round_mode_32 0
		.amdhsa_float_round_mode_16_64 0
		.amdhsa_float_denorm_mode_32 3
		.amdhsa_float_denorm_mode_16_64 3
		.amdhsa_dx10_clamp 1
		.amdhsa_ieee_mode 1
		.amdhsa_fp16_overflow 0
		.amdhsa_exception_fp_ieee_invalid_op 0
		.amdhsa_exception_fp_denorm_src 0
		.amdhsa_exception_fp_ieee_div_zero 0
		.amdhsa_exception_fp_ieee_overflow 0
		.amdhsa_exception_fp_ieee_underflow 0
		.amdhsa_exception_fp_ieee_inexact 0
		.amdhsa_exception_int_div_zero 0
	.end_amdhsa_kernel
	.section	.text._ZN7rocprim17ROCPRIM_400000_NS6detail17trampoline_kernelINS0_14default_configENS1_25partition_config_selectorILNS1_17partition_subalgoE8EdNS0_10empty_typeEbEEZZNS1_14partition_implILS5_8ELb0ES3_jN6thrust23THRUST_200600_302600_NS6detail15normal_iteratorINSA_10device_ptrIdEEEEPS6_PKS6_NS0_5tupleIJSF_S6_EEENSJ_IJSG_SG_EEENS0_18inequality_wrapperINSA_8equal_toIdEEEEPmJS6_EEE10hipError_tPvRmT3_T4_T5_T6_T7_T9_mT8_P12ihipStream_tbDpT10_ENKUlT_T0_E_clISt17integral_constantIbLb0EES19_IbLb1EEEEDaS15_S16_EUlS15_E_NS1_11comp_targetILNS1_3genE0ELNS1_11target_archE4294967295ELNS1_3gpuE0ELNS1_3repE0EEENS1_30default_config_static_selectorELNS0_4arch9wavefront6targetE1EEEvT1_,"axG",@progbits,_ZN7rocprim17ROCPRIM_400000_NS6detail17trampoline_kernelINS0_14default_configENS1_25partition_config_selectorILNS1_17partition_subalgoE8EdNS0_10empty_typeEbEEZZNS1_14partition_implILS5_8ELb0ES3_jN6thrust23THRUST_200600_302600_NS6detail15normal_iteratorINSA_10device_ptrIdEEEEPS6_PKS6_NS0_5tupleIJSF_S6_EEENSJ_IJSG_SG_EEENS0_18inequality_wrapperINSA_8equal_toIdEEEEPmJS6_EEE10hipError_tPvRmT3_T4_T5_T6_T7_T9_mT8_P12ihipStream_tbDpT10_ENKUlT_T0_E_clISt17integral_constantIbLb0EES19_IbLb1EEEEDaS15_S16_EUlS15_E_NS1_11comp_targetILNS1_3genE0ELNS1_11target_archE4294967295ELNS1_3gpuE0ELNS1_3repE0EEENS1_30default_config_static_selectorELNS0_4arch9wavefront6targetE1EEEvT1_,comdat
.Lfunc_end39:
	.size	_ZN7rocprim17ROCPRIM_400000_NS6detail17trampoline_kernelINS0_14default_configENS1_25partition_config_selectorILNS1_17partition_subalgoE8EdNS0_10empty_typeEbEEZZNS1_14partition_implILS5_8ELb0ES3_jN6thrust23THRUST_200600_302600_NS6detail15normal_iteratorINSA_10device_ptrIdEEEEPS6_PKS6_NS0_5tupleIJSF_S6_EEENSJ_IJSG_SG_EEENS0_18inequality_wrapperINSA_8equal_toIdEEEEPmJS6_EEE10hipError_tPvRmT3_T4_T5_T6_T7_T9_mT8_P12ihipStream_tbDpT10_ENKUlT_T0_E_clISt17integral_constantIbLb0EES19_IbLb1EEEEDaS15_S16_EUlS15_E_NS1_11comp_targetILNS1_3genE0ELNS1_11target_archE4294967295ELNS1_3gpuE0ELNS1_3repE0EEENS1_30default_config_static_selectorELNS0_4arch9wavefront6targetE1EEEvT1_, .Lfunc_end39-_ZN7rocprim17ROCPRIM_400000_NS6detail17trampoline_kernelINS0_14default_configENS1_25partition_config_selectorILNS1_17partition_subalgoE8EdNS0_10empty_typeEbEEZZNS1_14partition_implILS5_8ELb0ES3_jN6thrust23THRUST_200600_302600_NS6detail15normal_iteratorINSA_10device_ptrIdEEEEPS6_PKS6_NS0_5tupleIJSF_S6_EEENSJ_IJSG_SG_EEENS0_18inequality_wrapperINSA_8equal_toIdEEEEPmJS6_EEE10hipError_tPvRmT3_T4_T5_T6_T7_T9_mT8_P12ihipStream_tbDpT10_ENKUlT_T0_E_clISt17integral_constantIbLb0EES19_IbLb1EEEEDaS15_S16_EUlS15_E_NS1_11comp_targetILNS1_3genE0ELNS1_11target_archE4294967295ELNS1_3gpuE0ELNS1_3repE0EEENS1_30default_config_static_selectorELNS0_4arch9wavefront6targetE1EEEvT1_
                                        ; -- End function
	.set _ZN7rocprim17ROCPRIM_400000_NS6detail17trampoline_kernelINS0_14default_configENS1_25partition_config_selectorILNS1_17partition_subalgoE8EdNS0_10empty_typeEbEEZZNS1_14partition_implILS5_8ELb0ES3_jN6thrust23THRUST_200600_302600_NS6detail15normal_iteratorINSA_10device_ptrIdEEEEPS6_PKS6_NS0_5tupleIJSF_S6_EEENSJ_IJSG_SG_EEENS0_18inequality_wrapperINSA_8equal_toIdEEEEPmJS6_EEE10hipError_tPvRmT3_T4_T5_T6_T7_T9_mT8_P12ihipStream_tbDpT10_ENKUlT_T0_E_clISt17integral_constantIbLb0EES19_IbLb1EEEEDaS15_S16_EUlS15_E_NS1_11comp_targetILNS1_3genE0ELNS1_11target_archE4294967295ELNS1_3gpuE0ELNS1_3repE0EEENS1_30default_config_static_selectorELNS0_4arch9wavefront6targetE1EEEvT1_.num_vgpr, 0
	.set _ZN7rocprim17ROCPRIM_400000_NS6detail17trampoline_kernelINS0_14default_configENS1_25partition_config_selectorILNS1_17partition_subalgoE8EdNS0_10empty_typeEbEEZZNS1_14partition_implILS5_8ELb0ES3_jN6thrust23THRUST_200600_302600_NS6detail15normal_iteratorINSA_10device_ptrIdEEEEPS6_PKS6_NS0_5tupleIJSF_S6_EEENSJ_IJSG_SG_EEENS0_18inequality_wrapperINSA_8equal_toIdEEEEPmJS6_EEE10hipError_tPvRmT3_T4_T5_T6_T7_T9_mT8_P12ihipStream_tbDpT10_ENKUlT_T0_E_clISt17integral_constantIbLb0EES19_IbLb1EEEEDaS15_S16_EUlS15_E_NS1_11comp_targetILNS1_3genE0ELNS1_11target_archE4294967295ELNS1_3gpuE0ELNS1_3repE0EEENS1_30default_config_static_selectorELNS0_4arch9wavefront6targetE1EEEvT1_.num_agpr, 0
	.set _ZN7rocprim17ROCPRIM_400000_NS6detail17trampoline_kernelINS0_14default_configENS1_25partition_config_selectorILNS1_17partition_subalgoE8EdNS0_10empty_typeEbEEZZNS1_14partition_implILS5_8ELb0ES3_jN6thrust23THRUST_200600_302600_NS6detail15normal_iteratorINSA_10device_ptrIdEEEEPS6_PKS6_NS0_5tupleIJSF_S6_EEENSJ_IJSG_SG_EEENS0_18inequality_wrapperINSA_8equal_toIdEEEEPmJS6_EEE10hipError_tPvRmT3_T4_T5_T6_T7_T9_mT8_P12ihipStream_tbDpT10_ENKUlT_T0_E_clISt17integral_constantIbLb0EES19_IbLb1EEEEDaS15_S16_EUlS15_E_NS1_11comp_targetILNS1_3genE0ELNS1_11target_archE4294967295ELNS1_3gpuE0ELNS1_3repE0EEENS1_30default_config_static_selectorELNS0_4arch9wavefront6targetE1EEEvT1_.numbered_sgpr, 0
	.set _ZN7rocprim17ROCPRIM_400000_NS6detail17trampoline_kernelINS0_14default_configENS1_25partition_config_selectorILNS1_17partition_subalgoE8EdNS0_10empty_typeEbEEZZNS1_14partition_implILS5_8ELb0ES3_jN6thrust23THRUST_200600_302600_NS6detail15normal_iteratorINSA_10device_ptrIdEEEEPS6_PKS6_NS0_5tupleIJSF_S6_EEENSJ_IJSG_SG_EEENS0_18inequality_wrapperINSA_8equal_toIdEEEEPmJS6_EEE10hipError_tPvRmT3_T4_T5_T6_T7_T9_mT8_P12ihipStream_tbDpT10_ENKUlT_T0_E_clISt17integral_constantIbLb0EES19_IbLb1EEEEDaS15_S16_EUlS15_E_NS1_11comp_targetILNS1_3genE0ELNS1_11target_archE4294967295ELNS1_3gpuE0ELNS1_3repE0EEENS1_30default_config_static_selectorELNS0_4arch9wavefront6targetE1EEEvT1_.num_named_barrier, 0
	.set _ZN7rocprim17ROCPRIM_400000_NS6detail17trampoline_kernelINS0_14default_configENS1_25partition_config_selectorILNS1_17partition_subalgoE8EdNS0_10empty_typeEbEEZZNS1_14partition_implILS5_8ELb0ES3_jN6thrust23THRUST_200600_302600_NS6detail15normal_iteratorINSA_10device_ptrIdEEEEPS6_PKS6_NS0_5tupleIJSF_S6_EEENSJ_IJSG_SG_EEENS0_18inequality_wrapperINSA_8equal_toIdEEEEPmJS6_EEE10hipError_tPvRmT3_T4_T5_T6_T7_T9_mT8_P12ihipStream_tbDpT10_ENKUlT_T0_E_clISt17integral_constantIbLb0EES19_IbLb1EEEEDaS15_S16_EUlS15_E_NS1_11comp_targetILNS1_3genE0ELNS1_11target_archE4294967295ELNS1_3gpuE0ELNS1_3repE0EEENS1_30default_config_static_selectorELNS0_4arch9wavefront6targetE1EEEvT1_.private_seg_size, 0
	.set _ZN7rocprim17ROCPRIM_400000_NS6detail17trampoline_kernelINS0_14default_configENS1_25partition_config_selectorILNS1_17partition_subalgoE8EdNS0_10empty_typeEbEEZZNS1_14partition_implILS5_8ELb0ES3_jN6thrust23THRUST_200600_302600_NS6detail15normal_iteratorINSA_10device_ptrIdEEEEPS6_PKS6_NS0_5tupleIJSF_S6_EEENSJ_IJSG_SG_EEENS0_18inequality_wrapperINSA_8equal_toIdEEEEPmJS6_EEE10hipError_tPvRmT3_T4_T5_T6_T7_T9_mT8_P12ihipStream_tbDpT10_ENKUlT_T0_E_clISt17integral_constantIbLb0EES19_IbLb1EEEEDaS15_S16_EUlS15_E_NS1_11comp_targetILNS1_3genE0ELNS1_11target_archE4294967295ELNS1_3gpuE0ELNS1_3repE0EEENS1_30default_config_static_selectorELNS0_4arch9wavefront6targetE1EEEvT1_.uses_vcc, 0
	.set _ZN7rocprim17ROCPRIM_400000_NS6detail17trampoline_kernelINS0_14default_configENS1_25partition_config_selectorILNS1_17partition_subalgoE8EdNS0_10empty_typeEbEEZZNS1_14partition_implILS5_8ELb0ES3_jN6thrust23THRUST_200600_302600_NS6detail15normal_iteratorINSA_10device_ptrIdEEEEPS6_PKS6_NS0_5tupleIJSF_S6_EEENSJ_IJSG_SG_EEENS0_18inequality_wrapperINSA_8equal_toIdEEEEPmJS6_EEE10hipError_tPvRmT3_T4_T5_T6_T7_T9_mT8_P12ihipStream_tbDpT10_ENKUlT_T0_E_clISt17integral_constantIbLb0EES19_IbLb1EEEEDaS15_S16_EUlS15_E_NS1_11comp_targetILNS1_3genE0ELNS1_11target_archE4294967295ELNS1_3gpuE0ELNS1_3repE0EEENS1_30default_config_static_selectorELNS0_4arch9wavefront6targetE1EEEvT1_.uses_flat_scratch, 0
	.set _ZN7rocprim17ROCPRIM_400000_NS6detail17trampoline_kernelINS0_14default_configENS1_25partition_config_selectorILNS1_17partition_subalgoE8EdNS0_10empty_typeEbEEZZNS1_14partition_implILS5_8ELb0ES3_jN6thrust23THRUST_200600_302600_NS6detail15normal_iteratorINSA_10device_ptrIdEEEEPS6_PKS6_NS0_5tupleIJSF_S6_EEENSJ_IJSG_SG_EEENS0_18inequality_wrapperINSA_8equal_toIdEEEEPmJS6_EEE10hipError_tPvRmT3_T4_T5_T6_T7_T9_mT8_P12ihipStream_tbDpT10_ENKUlT_T0_E_clISt17integral_constantIbLb0EES19_IbLb1EEEEDaS15_S16_EUlS15_E_NS1_11comp_targetILNS1_3genE0ELNS1_11target_archE4294967295ELNS1_3gpuE0ELNS1_3repE0EEENS1_30default_config_static_selectorELNS0_4arch9wavefront6targetE1EEEvT1_.has_dyn_sized_stack, 0
	.set _ZN7rocprim17ROCPRIM_400000_NS6detail17trampoline_kernelINS0_14default_configENS1_25partition_config_selectorILNS1_17partition_subalgoE8EdNS0_10empty_typeEbEEZZNS1_14partition_implILS5_8ELb0ES3_jN6thrust23THRUST_200600_302600_NS6detail15normal_iteratorINSA_10device_ptrIdEEEEPS6_PKS6_NS0_5tupleIJSF_S6_EEENSJ_IJSG_SG_EEENS0_18inequality_wrapperINSA_8equal_toIdEEEEPmJS6_EEE10hipError_tPvRmT3_T4_T5_T6_T7_T9_mT8_P12ihipStream_tbDpT10_ENKUlT_T0_E_clISt17integral_constantIbLb0EES19_IbLb1EEEEDaS15_S16_EUlS15_E_NS1_11comp_targetILNS1_3genE0ELNS1_11target_archE4294967295ELNS1_3gpuE0ELNS1_3repE0EEENS1_30default_config_static_selectorELNS0_4arch9wavefront6targetE1EEEvT1_.has_recursion, 0
	.set _ZN7rocprim17ROCPRIM_400000_NS6detail17trampoline_kernelINS0_14default_configENS1_25partition_config_selectorILNS1_17partition_subalgoE8EdNS0_10empty_typeEbEEZZNS1_14partition_implILS5_8ELb0ES3_jN6thrust23THRUST_200600_302600_NS6detail15normal_iteratorINSA_10device_ptrIdEEEEPS6_PKS6_NS0_5tupleIJSF_S6_EEENSJ_IJSG_SG_EEENS0_18inequality_wrapperINSA_8equal_toIdEEEEPmJS6_EEE10hipError_tPvRmT3_T4_T5_T6_T7_T9_mT8_P12ihipStream_tbDpT10_ENKUlT_T0_E_clISt17integral_constantIbLb0EES19_IbLb1EEEEDaS15_S16_EUlS15_E_NS1_11comp_targetILNS1_3genE0ELNS1_11target_archE4294967295ELNS1_3gpuE0ELNS1_3repE0EEENS1_30default_config_static_selectorELNS0_4arch9wavefront6targetE1EEEvT1_.has_indirect_call, 0
	.section	.AMDGPU.csdata,"",@progbits
; Kernel info:
; codeLenInByte = 0
; TotalNumSgprs: 4
; NumVgprs: 0
; ScratchSize: 0
; MemoryBound: 0
; FloatMode: 240
; IeeeMode: 1
; LDSByteSize: 0 bytes/workgroup (compile time only)
; SGPRBlocks: 0
; VGPRBlocks: 0
; NumSGPRsForWavesPerEU: 4
; NumVGPRsForWavesPerEU: 1
; Occupancy: 10
; WaveLimiterHint : 0
; COMPUTE_PGM_RSRC2:SCRATCH_EN: 0
; COMPUTE_PGM_RSRC2:USER_SGPR: 6
; COMPUTE_PGM_RSRC2:TRAP_HANDLER: 0
; COMPUTE_PGM_RSRC2:TGID_X_EN: 1
; COMPUTE_PGM_RSRC2:TGID_Y_EN: 0
; COMPUTE_PGM_RSRC2:TGID_Z_EN: 0
; COMPUTE_PGM_RSRC2:TIDIG_COMP_CNT: 0
	.section	.text._ZN7rocprim17ROCPRIM_400000_NS6detail17trampoline_kernelINS0_14default_configENS1_25partition_config_selectorILNS1_17partition_subalgoE8EdNS0_10empty_typeEbEEZZNS1_14partition_implILS5_8ELb0ES3_jN6thrust23THRUST_200600_302600_NS6detail15normal_iteratorINSA_10device_ptrIdEEEEPS6_PKS6_NS0_5tupleIJSF_S6_EEENSJ_IJSG_SG_EEENS0_18inequality_wrapperINSA_8equal_toIdEEEEPmJS6_EEE10hipError_tPvRmT3_T4_T5_T6_T7_T9_mT8_P12ihipStream_tbDpT10_ENKUlT_T0_E_clISt17integral_constantIbLb0EES19_IbLb1EEEEDaS15_S16_EUlS15_E_NS1_11comp_targetILNS1_3genE5ELNS1_11target_archE942ELNS1_3gpuE9ELNS1_3repE0EEENS1_30default_config_static_selectorELNS0_4arch9wavefront6targetE1EEEvT1_,"axG",@progbits,_ZN7rocprim17ROCPRIM_400000_NS6detail17trampoline_kernelINS0_14default_configENS1_25partition_config_selectorILNS1_17partition_subalgoE8EdNS0_10empty_typeEbEEZZNS1_14partition_implILS5_8ELb0ES3_jN6thrust23THRUST_200600_302600_NS6detail15normal_iteratorINSA_10device_ptrIdEEEEPS6_PKS6_NS0_5tupleIJSF_S6_EEENSJ_IJSG_SG_EEENS0_18inequality_wrapperINSA_8equal_toIdEEEEPmJS6_EEE10hipError_tPvRmT3_T4_T5_T6_T7_T9_mT8_P12ihipStream_tbDpT10_ENKUlT_T0_E_clISt17integral_constantIbLb0EES19_IbLb1EEEEDaS15_S16_EUlS15_E_NS1_11comp_targetILNS1_3genE5ELNS1_11target_archE942ELNS1_3gpuE9ELNS1_3repE0EEENS1_30default_config_static_selectorELNS0_4arch9wavefront6targetE1EEEvT1_,comdat
	.protected	_ZN7rocprim17ROCPRIM_400000_NS6detail17trampoline_kernelINS0_14default_configENS1_25partition_config_selectorILNS1_17partition_subalgoE8EdNS0_10empty_typeEbEEZZNS1_14partition_implILS5_8ELb0ES3_jN6thrust23THRUST_200600_302600_NS6detail15normal_iteratorINSA_10device_ptrIdEEEEPS6_PKS6_NS0_5tupleIJSF_S6_EEENSJ_IJSG_SG_EEENS0_18inequality_wrapperINSA_8equal_toIdEEEEPmJS6_EEE10hipError_tPvRmT3_T4_T5_T6_T7_T9_mT8_P12ihipStream_tbDpT10_ENKUlT_T0_E_clISt17integral_constantIbLb0EES19_IbLb1EEEEDaS15_S16_EUlS15_E_NS1_11comp_targetILNS1_3genE5ELNS1_11target_archE942ELNS1_3gpuE9ELNS1_3repE0EEENS1_30default_config_static_selectorELNS0_4arch9wavefront6targetE1EEEvT1_ ; -- Begin function _ZN7rocprim17ROCPRIM_400000_NS6detail17trampoline_kernelINS0_14default_configENS1_25partition_config_selectorILNS1_17partition_subalgoE8EdNS0_10empty_typeEbEEZZNS1_14partition_implILS5_8ELb0ES3_jN6thrust23THRUST_200600_302600_NS6detail15normal_iteratorINSA_10device_ptrIdEEEEPS6_PKS6_NS0_5tupleIJSF_S6_EEENSJ_IJSG_SG_EEENS0_18inequality_wrapperINSA_8equal_toIdEEEEPmJS6_EEE10hipError_tPvRmT3_T4_T5_T6_T7_T9_mT8_P12ihipStream_tbDpT10_ENKUlT_T0_E_clISt17integral_constantIbLb0EES19_IbLb1EEEEDaS15_S16_EUlS15_E_NS1_11comp_targetILNS1_3genE5ELNS1_11target_archE942ELNS1_3gpuE9ELNS1_3repE0EEENS1_30default_config_static_selectorELNS0_4arch9wavefront6targetE1EEEvT1_
	.globl	_ZN7rocprim17ROCPRIM_400000_NS6detail17trampoline_kernelINS0_14default_configENS1_25partition_config_selectorILNS1_17partition_subalgoE8EdNS0_10empty_typeEbEEZZNS1_14partition_implILS5_8ELb0ES3_jN6thrust23THRUST_200600_302600_NS6detail15normal_iteratorINSA_10device_ptrIdEEEEPS6_PKS6_NS0_5tupleIJSF_S6_EEENSJ_IJSG_SG_EEENS0_18inequality_wrapperINSA_8equal_toIdEEEEPmJS6_EEE10hipError_tPvRmT3_T4_T5_T6_T7_T9_mT8_P12ihipStream_tbDpT10_ENKUlT_T0_E_clISt17integral_constantIbLb0EES19_IbLb1EEEEDaS15_S16_EUlS15_E_NS1_11comp_targetILNS1_3genE5ELNS1_11target_archE942ELNS1_3gpuE9ELNS1_3repE0EEENS1_30default_config_static_selectorELNS0_4arch9wavefront6targetE1EEEvT1_
	.p2align	8
	.type	_ZN7rocprim17ROCPRIM_400000_NS6detail17trampoline_kernelINS0_14default_configENS1_25partition_config_selectorILNS1_17partition_subalgoE8EdNS0_10empty_typeEbEEZZNS1_14partition_implILS5_8ELb0ES3_jN6thrust23THRUST_200600_302600_NS6detail15normal_iteratorINSA_10device_ptrIdEEEEPS6_PKS6_NS0_5tupleIJSF_S6_EEENSJ_IJSG_SG_EEENS0_18inequality_wrapperINSA_8equal_toIdEEEEPmJS6_EEE10hipError_tPvRmT3_T4_T5_T6_T7_T9_mT8_P12ihipStream_tbDpT10_ENKUlT_T0_E_clISt17integral_constantIbLb0EES19_IbLb1EEEEDaS15_S16_EUlS15_E_NS1_11comp_targetILNS1_3genE5ELNS1_11target_archE942ELNS1_3gpuE9ELNS1_3repE0EEENS1_30default_config_static_selectorELNS0_4arch9wavefront6targetE1EEEvT1_,@function
_ZN7rocprim17ROCPRIM_400000_NS6detail17trampoline_kernelINS0_14default_configENS1_25partition_config_selectorILNS1_17partition_subalgoE8EdNS0_10empty_typeEbEEZZNS1_14partition_implILS5_8ELb0ES3_jN6thrust23THRUST_200600_302600_NS6detail15normal_iteratorINSA_10device_ptrIdEEEEPS6_PKS6_NS0_5tupleIJSF_S6_EEENSJ_IJSG_SG_EEENS0_18inequality_wrapperINSA_8equal_toIdEEEEPmJS6_EEE10hipError_tPvRmT3_T4_T5_T6_T7_T9_mT8_P12ihipStream_tbDpT10_ENKUlT_T0_E_clISt17integral_constantIbLb0EES19_IbLb1EEEEDaS15_S16_EUlS15_E_NS1_11comp_targetILNS1_3genE5ELNS1_11target_archE942ELNS1_3gpuE9ELNS1_3repE0EEENS1_30default_config_static_selectorELNS0_4arch9wavefront6targetE1EEEvT1_: ; @_ZN7rocprim17ROCPRIM_400000_NS6detail17trampoline_kernelINS0_14default_configENS1_25partition_config_selectorILNS1_17partition_subalgoE8EdNS0_10empty_typeEbEEZZNS1_14partition_implILS5_8ELb0ES3_jN6thrust23THRUST_200600_302600_NS6detail15normal_iteratorINSA_10device_ptrIdEEEEPS6_PKS6_NS0_5tupleIJSF_S6_EEENSJ_IJSG_SG_EEENS0_18inequality_wrapperINSA_8equal_toIdEEEEPmJS6_EEE10hipError_tPvRmT3_T4_T5_T6_T7_T9_mT8_P12ihipStream_tbDpT10_ENKUlT_T0_E_clISt17integral_constantIbLb0EES19_IbLb1EEEEDaS15_S16_EUlS15_E_NS1_11comp_targetILNS1_3genE5ELNS1_11target_archE942ELNS1_3gpuE9ELNS1_3repE0EEENS1_30default_config_static_selectorELNS0_4arch9wavefront6targetE1EEEvT1_
; %bb.0:
	.section	.rodata,"a",@progbits
	.p2align	6, 0x0
	.amdhsa_kernel _ZN7rocprim17ROCPRIM_400000_NS6detail17trampoline_kernelINS0_14default_configENS1_25partition_config_selectorILNS1_17partition_subalgoE8EdNS0_10empty_typeEbEEZZNS1_14partition_implILS5_8ELb0ES3_jN6thrust23THRUST_200600_302600_NS6detail15normal_iteratorINSA_10device_ptrIdEEEEPS6_PKS6_NS0_5tupleIJSF_S6_EEENSJ_IJSG_SG_EEENS0_18inequality_wrapperINSA_8equal_toIdEEEEPmJS6_EEE10hipError_tPvRmT3_T4_T5_T6_T7_T9_mT8_P12ihipStream_tbDpT10_ENKUlT_T0_E_clISt17integral_constantIbLb0EES19_IbLb1EEEEDaS15_S16_EUlS15_E_NS1_11comp_targetILNS1_3genE5ELNS1_11target_archE942ELNS1_3gpuE9ELNS1_3repE0EEENS1_30default_config_static_selectorELNS0_4arch9wavefront6targetE1EEEvT1_
		.amdhsa_group_segment_fixed_size 0
		.amdhsa_private_segment_fixed_size 0
		.amdhsa_kernarg_size 128
		.amdhsa_user_sgpr_count 6
		.amdhsa_user_sgpr_private_segment_buffer 1
		.amdhsa_user_sgpr_dispatch_ptr 0
		.amdhsa_user_sgpr_queue_ptr 0
		.amdhsa_user_sgpr_kernarg_segment_ptr 1
		.amdhsa_user_sgpr_dispatch_id 0
		.amdhsa_user_sgpr_flat_scratch_init 0
		.amdhsa_user_sgpr_private_segment_size 0
		.amdhsa_uses_dynamic_stack 0
		.amdhsa_system_sgpr_private_segment_wavefront_offset 0
		.amdhsa_system_sgpr_workgroup_id_x 1
		.amdhsa_system_sgpr_workgroup_id_y 0
		.amdhsa_system_sgpr_workgroup_id_z 0
		.amdhsa_system_sgpr_workgroup_info 0
		.amdhsa_system_vgpr_workitem_id 0
		.amdhsa_next_free_vgpr 1
		.amdhsa_next_free_sgpr 0
		.amdhsa_reserve_vcc 0
		.amdhsa_reserve_flat_scratch 0
		.amdhsa_float_round_mode_32 0
		.amdhsa_float_round_mode_16_64 0
		.amdhsa_float_denorm_mode_32 3
		.amdhsa_float_denorm_mode_16_64 3
		.amdhsa_dx10_clamp 1
		.amdhsa_ieee_mode 1
		.amdhsa_fp16_overflow 0
		.amdhsa_exception_fp_ieee_invalid_op 0
		.amdhsa_exception_fp_denorm_src 0
		.amdhsa_exception_fp_ieee_div_zero 0
		.amdhsa_exception_fp_ieee_overflow 0
		.amdhsa_exception_fp_ieee_underflow 0
		.amdhsa_exception_fp_ieee_inexact 0
		.amdhsa_exception_int_div_zero 0
	.end_amdhsa_kernel
	.section	.text._ZN7rocprim17ROCPRIM_400000_NS6detail17trampoline_kernelINS0_14default_configENS1_25partition_config_selectorILNS1_17partition_subalgoE8EdNS0_10empty_typeEbEEZZNS1_14partition_implILS5_8ELb0ES3_jN6thrust23THRUST_200600_302600_NS6detail15normal_iteratorINSA_10device_ptrIdEEEEPS6_PKS6_NS0_5tupleIJSF_S6_EEENSJ_IJSG_SG_EEENS0_18inequality_wrapperINSA_8equal_toIdEEEEPmJS6_EEE10hipError_tPvRmT3_T4_T5_T6_T7_T9_mT8_P12ihipStream_tbDpT10_ENKUlT_T0_E_clISt17integral_constantIbLb0EES19_IbLb1EEEEDaS15_S16_EUlS15_E_NS1_11comp_targetILNS1_3genE5ELNS1_11target_archE942ELNS1_3gpuE9ELNS1_3repE0EEENS1_30default_config_static_selectorELNS0_4arch9wavefront6targetE1EEEvT1_,"axG",@progbits,_ZN7rocprim17ROCPRIM_400000_NS6detail17trampoline_kernelINS0_14default_configENS1_25partition_config_selectorILNS1_17partition_subalgoE8EdNS0_10empty_typeEbEEZZNS1_14partition_implILS5_8ELb0ES3_jN6thrust23THRUST_200600_302600_NS6detail15normal_iteratorINSA_10device_ptrIdEEEEPS6_PKS6_NS0_5tupleIJSF_S6_EEENSJ_IJSG_SG_EEENS0_18inequality_wrapperINSA_8equal_toIdEEEEPmJS6_EEE10hipError_tPvRmT3_T4_T5_T6_T7_T9_mT8_P12ihipStream_tbDpT10_ENKUlT_T0_E_clISt17integral_constantIbLb0EES19_IbLb1EEEEDaS15_S16_EUlS15_E_NS1_11comp_targetILNS1_3genE5ELNS1_11target_archE942ELNS1_3gpuE9ELNS1_3repE0EEENS1_30default_config_static_selectorELNS0_4arch9wavefront6targetE1EEEvT1_,comdat
.Lfunc_end40:
	.size	_ZN7rocprim17ROCPRIM_400000_NS6detail17trampoline_kernelINS0_14default_configENS1_25partition_config_selectorILNS1_17partition_subalgoE8EdNS0_10empty_typeEbEEZZNS1_14partition_implILS5_8ELb0ES3_jN6thrust23THRUST_200600_302600_NS6detail15normal_iteratorINSA_10device_ptrIdEEEEPS6_PKS6_NS0_5tupleIJSF_S6_EEENSJ_IJSG_SG_EEENS0_18inequality_wrapperINSA_8equal_toIdEEEEPmJS6_EEE10hipError_tPvRmT3_T4_T5_T6_T7_T9_mT8_P12ihipStream_tbDpT10_ENKUlT_T0_E_clISt17integral_constantIbLb0EES19_IbLb1EEEEDaS15_S16_EUlS15_E_NS1_11comp_targetILNS1_3genE5ELNS1_11target_archE942ELNS1_3gpuE9ELNS1_3repE0EEENS1_30default_config_static_selectorELNS0_4arch9wavefront6targetE1EEEvT1_, .Lfunc_end40-_ZN7rocprim17ROCPRIM_400000_NS6detail17trampoline_kernelINS0_14default_configENS1_25partition_config_selectorILNS1_17partition_subalgoE8EdNS0_10empty_typeEbEEZZNS1_14partition_implILS5_8ELb0ES3_jN6thrust23THRUST_200600_302600_NS6detail15normal_iteratorINSA_10device_ptrIdEEEEPS6_PKS6_NS0_5tupleIJSF_S6_EEENSJ_IJSG_SG_EEENS0_18inequality_wrapperINSA_8equal_toIdEEEEPmJS6_EEE10hipError_tPvRmT3_T4_T5_T6_T7_T9_mT8_P12ihipStream_tbDpT10_ENKUlT_T0_E_clISt17integral_constantIbLb0EES19_IbLb1EEEEDaS15_S16_EUlS15_E_NS1_11comp_targetILNS1_3genE5ELNS1_11target_archE942ELNS1_3gpuE9ELNS1_3repE0EEENS1_30default_config_static_selectorELNS0_4arch9wavefront6targetE1EEEvT1_
                                        ; -- End function
	.set _ZN7rocprim17ROCPRIM_400000_NS6detail17trampoline_kernelINS0_14default_configENS1_25partition_config_selectorILNS1_17partition_subalgoE8EdNS0_10empty_typeEbEEZZNS1_14partition_implILS5_8ELb0ES3_jN6thrust23THRUST_200600_302600_NS6detail15normal_iteratorINSA_10device_ptrIdEEEEPS6_PKS6_NS0_5tupleIJSF_S6_EEENSJ_IJSG_SG_EEENS0_18inequality_wrapperINSA_8equal_toIdEEEEPmJS6_EEE10hipError_tPvRmT3_T4_T5_T6_T7_T9_mT8_P12ihipStream_tbDpT10_ENKUlT_T0_E_clISt17integral_constantIbLb0EES19_IbLb1EEEEDaS15_S16_EUlS15_E_NS1_11comp_targetILNS1_3genE5ELNS1_11target_archE942ELNS1_3gpuE9ELNS1_3repE0EEENS1_30default_config_static_selectorELNS0_4arch9wavefront6targetE1EEEvT1_.num_vgpr, 0
	.set _ZN7rocprim17ROCPRIM_400000_NS6detail17trampoline_kernelINS0_14default_configENS1_25partition_config_selectorILNS1_17partition_subalgoE8EdNS0_10empty_typeEbEEZZNS1_14partition_implILS5_8ELb0ES3_jN6thrust23THRUST_200600_302600_NS6detail15normal_iteratorINSA_10device_ptrIdEEEEPS6_PKS6_NS0_5tupleIJSF_S6_EEENSJ_IJSG_SG_EEENS0_18inequality_wrapperINSA_8equal_toIdEEEEPmJS6_EEE10hipError_tPvRmT3_T4_T5_T6_T7_T9_mT8_P12ihipStream_tbDpT10_ENKUlT_T0_E_clISt17integral_constantIbLb0EES19_IbLb1EEEEDaS15_S16_EUlS15_E_NS1_11comp_targetILNS1_3genE5ELNS1_11target_archE942ELNS1_3gpuE9ELNS1_3repE0EEENS1_30default_config_static_selectorELNS0_4arch9wavefront6targetE1EEEvT1_.num_agpr, 0
	.set _ZN7rocprim17ROCPRIM_400000_NS6detail17trampoline_kernelINS0_14default_configENS1_25partition_config_selectorILNS1_17partition_subalgoE8EdNS0_10empty_typeEbEEZZNS1_14partition_implILS5_8ELb0ES3_jN6thrust23THRUST_200600_302600_NS6detail15normal_iteratorINSA_10device_ptrIdEEEEPS6_PKS6_NS0_5tupleIJSF_S6_EEENSJ_IJSG_SG_EEENS0_18inequality_wrapperINSA_8equal_toIdEEEEPmJS6_EEE10hipError_tPvRmT3_T4_T5_T6_T7_T9_mT8_P12ihipStream_tbDpT10_ENKUlT_T0_E_clISt17integral_constantIbLb0EES19_IbLb1EEEEDaS15_S16_EUlS15_E_NS1_11comp_targetILNS1_3genE5ELNS1_11target_archE942ELNS1_3gpuE9ELNS1_3repE0EEENS1_30default_config_static_selectorELNS0_4arch9wavefront6targetE1EEEvT1_.numbered_sgpr, 0
	.set _ZN7rocprim17ROCPRIM_400000_NS6detail17trampoline_kernelINS0_14default_configENS1_25partition_config_selectorILNS1_17partition_subalgoE8EdNS0_10empty_typeEbEEZZNS1_14partition_implILS5_8ELb0ES3_jN6thrust23THRUST_200600_302600_NS6detail15normal_iteratorINSA_10device_ptrIdEEEEPS6_PKS6_NS0_5tupleIJSF_S6_EEENSJ_IJSG_SG_EEENS0_18inequality_wrapperINSA_8equal_toIdEEEEPmJS6_EEE10hipError_tPvRmT3_T4_T5_T6_T7_T9_mT8_P12ihipStream_tbDpT10_ENKUlT_T0_E_clISt17integral_constantIbLb0EES19_IbLb1EEEEDaS15_S16_EUlS15_E_NS1_11comp_targetILNS1_3genE5ELNS1_11target_archE942ELNS1_3gpuE9ELNS1_3repE0EEENS1_30default_config_static_selectorELNS0_4arch9wavefront6targetE1EEEvT1_.num_named_barrier, 0
	.set _ZN7rocprim17ROCPRIM_400000_NS6detail17trampoline_kernelINS0_14default_configENS1_25partition_config_selectorILNS1_17partition_subalgoE8EdNS0_10empty_typeEbEEZZNS1_14partition_implILS5_8ELb0ES3_jN6thrust23THRUST_200600_302600_NS6detail15normal_iteratorINSA_10device_ptrIdEEEEPS6_PKS6_NS0_5tupleIJSF_S6_EEENSJ_IJSG_SG_EEENS0_18inequality_wrapperINSA_8equal_toIdEEEEPmJS6_EEE10hipError_tPvRmT3_T4_T5_T6_T7_T9_mT8_P12ihipStream_tbDpT10_ENKUlT_T0_E_clISt17integral_constantIbLb0EES19_IbLb1EEEEDaS15_S16_EUlS15_E_NS1_11comp_targetILNS1_3genE5ELNS1_11target_archE942ELNS1_3gpuE9ELNS1_3repE0EEENS1_30default_config_static_selectorELNS0_4arch9wavefront6targetE1EEEvT1_.private_seg_size, 0
	.set _ZN7rocprim17ROCPRIM_400000_NS6detail17trampoline_kernelINS0_14default_configENS1_25partition_config_selectorILNS1_17partition_subalgoE8EdNS0_10empty_typeEbEEZZNS1_14partition_implILS5_8ELb0ES3_jN6thrust23THRUST_200600_302600_NS6detail15normal_iteratorINSA_10device_ptrIdEEEEPS6_PKS6_NS0_5tupleIJSF_S6_EEENSJ_IJSG_SG_EEENS0_18inequality_wrapperINSA_8equal_toIdEEEEPmJS6_EEE10hipError_tPvRmT3_T4_T5_T6_T7_T9_mT8_P12ihipStream_tbDpT10_ENKUlT_T0_E_clISt17integral_constantIbLb0EES19_IbLb1EEEEDaS15_S16_EUlS15_E_NS1_11comp_targetILNS1_3genE5ELNS1_11target_archE942ELNS1_3gpuE9ELNS1_3repE0EEENS1_30default_config_static_selectorELNS0_4arch9wavefront6targetE1EEEvT1_.uses_vcc, 0
	.set _ZN7rocprim17ROCPRIM_400000_NS6detail17trampoline_kernelINS0_14default_configENS1_25partition_config_selectorILNS1_17partition_subalgoE8EdNS0_10empty_typeEbEEZZNS1_14partition_implILS5_8ELb0ES3_jN6thrust23THRUST_200600_302600_NS6detail15normal_iteratorINSA_10device_ptrIdEEEEPS6_PKS6_NS0_5tupleIJSF_S6_EEENSJ_IJSG_SG_EEENS0_18inequality_wrapperINSA_8equal_toIdEEEEPmJS6_EEE10hipError_tPvRmT3_T4_T5_T6_T7_T9_mT8_P12ihipStream_tbDpT10_ENKUlT_T0_E_clISt17integral_constantIbLb0EES19_IbLb1EEEEDaS15_S16_EUlS15_E_NS1_11comp_targetILNS1_3genE5ELNS1_11target_archE942ELNS1_3gpuE9ELNS1_3repE0EEENS1_30default_config_static_selectorELNS0_4arch9wavefront6targetE1EEEvT1_.uses_flat_scratch, 0
	.set _ZN7rocprim17ROCPRIM_400000_NS6detail17trampoline_kernelINS0_14default_configENS1_25partition_config_selectorILNS1_17partition_subalgoE8EdNS0_10empty_typeEbEEZZNS1_14partition_implILS5_8ELb0ES3_jN6thrust23THRUST_200600_302600_NS6detail15normal_iteratorINSA_10device_ptrIdEEEEPS6_PKS6_NS0_5tupleIJSF_S6_EEENSJ_IJSG_SG_EEENS0_18inequality_wrapperINSA_8equal_toIdEEEEPmJS6_EEE10hipError_tPvRmT3_T4_T5_T6_T7_T9_mT8_P12ihipStream_tbDpT10_ENKUlT_T0_E_clISt17integral_constantIbLb0EES19_IbLb1EEEEDaS15_S16_EUlS15_E_NS1_11comp_targetILNS1_3genE5ELNS1_11target_archE942ELNS1_3gpuE9ELNS1_3repE0EEENS1_30default_config_static_selectorELNS0_4arch9wavefront6targetE1EEEvT1_.has_dyn_sized_stack, 0
	.set _ZN7rocprim17ROCPRIM_400000_NS6detail17trampoline_kernelINS0_14default_configENS1_25partition_config_selectorILNS1_17partition_subalgoE8EdNS0_10empty_typeEbEEZZNS1_14partition_implILS5_8ELb0ES3_jN6thrust23THRUST_200600_302600_NS6detail15normal_iteratorINSA_10device_ptrIdEEEEPS6_PKS6_NS0_5tupleIJSF_S6_EEENSJ_IJSG_SG_EEENS0_18inequality_wrapperINSA_8equal_toIdEEEEPmJS6_EEE10hipError_tPvRmT3_T4_T5_T6_T7_T9_mT8_P12ihipStream_tbDpT10_ENKUlT_T0_E_clISt17integral_constantIbLb0EES19_IbLb1EEEEDaS15_S16_EUlS15_E_NS1_11comp_targetILNS1_3genE5ELNS1_11target_archE942ELNS1_3gpuE9ELNS1_3repE0EEENS1_30default_config_static_selectorELNS0_4arch9wavefront6targetE1EEEvT1_.has_recursion, 0
	.set _ZN7rocprim17ROCPRIM_400000_NS6detail17trampoline_kernelINS0_14default_configENS1_25partition_config_selectorILNS1_17partition_subalgoE8EdNS0_10empty_typeEbEEZZNS1_14partition_implILS5_8ELb0ES3_jN6thrust23THRUST_200600_302600_NS6detail15normal_iteratorINSA_10device_ptrIdEEEEPS6_PKS6_NS0_5tupleIJSF_S6_EEENSJ_IJSG_SG_EEENS0_18inequality_wrapperINSA_8equal_toIdEEEEPmJS6_EEE10hipError_tPvRmT3_T4_T5_T6_T7_T9_mT8_P12ihipStream_tbDpT10_ENKUlT_T0_E_clISt17integral_constantIbLb0EES19_IbLb1EEEEDaS15_S16_EUlS15_E_NS1_11comp_targetILNS1_3genE5ELNS1_11target_archE942ELNS1_3gpuE9ELNS1_3repE0EEENS1_30default_config_static_selectorELNS0_4arch9wavefront6targetE1EEEvT1_.has_indirect_call, 0
	.section	.AMDGPU.csdata,"",@progbits
; Kernel info:
; codeLenInByte = 0
; TotalNumSgprs: 4
; NumVgprs: 0
; ScratchSize: 0
; MemoryBound: 0
; FloatMode: 240
; IeeeMode: 1
; LDSByteSize: 0 bytes/workgroup (compile time only)
; SGPRBlocks: 0
; VGPRBlocks: 0
; NumSGPRsForWavesPerEU: 4
; NumVGPRsForWavesPerEU: 1
; Occupancy: 10
; WaveLimiterHint : 0
; COMPUTE_PGM_RSRC2:SCRATCH_EN: 0
; COMPUTE_PGM_RSRC2:USER_SGPR: 6
; COMPUTE_PGM_RSRC2:TRAP_HANDLER: 0
; COMPUTE_PGM_RSRC2:TGID_X_EN: 1
; COMPUTE_PGM_RSRC2:TGID_Y_EN: 0
; COMPUTE_PGM_RSRC2:TGID_Z_EN: 0
; COMPUTE_PGM_RSRC2:TIDIG_COMP_CNT: 0
	.section	.text._ZN7rocprim17ROCPRIM_400000_NS6detail17trampoline_kernelINS0_14default_configENS1_25partition_config_selectorILNS1_17partition_subalgoE8EdNS0_10empty_typeEbEEZZNS1_14partition_implILS5_8ELb0ES3_jN6thrust23THRUST_200600_302600_NS6detail15normal_iteratorINSA_10device_ptrIdEEEEPS6_PKS6_NS0_5tupleIJSF_S6_EEENSJ_IJSG_SG_EEENS0_18inequality_wrapperINSA_8equal_toIdEEEEPmJS6_EEE10hipError_tPvRmT3_T4_T5_T6_T7_T9_mT8_P12ihipStream_tbDpT10_ENKUlT_T0_E_clISt17integral_constantIbLb0EES19_IbLb1EEEEDaS15_S16_EUlS15_E_NS1_11comp_targetILNS1_3genE4ELNS1_11target_archE910ELNS1_3gpuE8ELNS1_3repE0EEENS1_30default_config_static_selectorELNS0_4arch9wavefront6targetE1EEEvT1_,"axG",@progbits,_ZN7rocprim17ROCPRIM_400000_NS6detail17trampoline_kernelINS0_14default_configENS1_25partition_config_selectorILNS1_17partition_subalgoE8EdNS0_10empty_typeEbEEZZNS1_14partition_implILS5_8ELb0ES3_jN6thrust23THRUST_200600_302600_NS6detail15normal_iteratorINSA_10device_ptrIdEEEEPS6_PKS6_NS0_5tupleIJSF_S6_EEENSJ_IJSG_SG_EEENS0_18inequality_wrapperINSA_8equal_toIdEEEEPmJS6_EEE10hipError_tPvRmT3_T4_T5_T6_T7_T9_mT8_P12ihipStream_tbDpT10_ENKUlT_T0_E_clISt17integral_constantIbLb0EES19_IbLb1EEEEDaS15_S16_EUlS15_E_NS1_11comp_targetILNS1_3genE4ELNS1_11target_archE910ELNS1_3gpuE8ELNS1_3repE0EEENS1_30default_config_static_selectorELNS0_4arch9wavefront6targetE1EEEvT1_,comdat
	.protected	_ZN7rocprim17ROCPRIM_400000_NS6detail17trampoline_kernelINS0_14default_configENS1_25partition_config_selectorILNS1_17partition_subalgoE8EdNS0_10empty_typeEbEEZZNS1_14partition_implILS5_8ELb0ES3_jN6thrust23THRUST_200600_302600_NS6detail15normal_iteratorINSA_10device_ptrIdEEEEPS6_PKS6_NS0_5tupleIJSF_S6_EEENSJ_IJSG_SG_EEENS0_18inequality_wrapperINSA_8equal_toIdEEEEPmJS6_EEE10hipError_tPvRmT3_T4_T5_T6_T7_T9_mT8_P12ihipStream_tbDpT10_ENKUlT_T0_E_clISt17integral_constantIbLb0EES19_IbLb1EEEEDaS15_S16_EUlS15_E_NS1_11comp_targetILNS1_3genE4ELNS1_11target_archE910ELNS1_3gpuE8ELNS1_3repE0EEENS1_30default_config_static_selectorELNS0_4arch9wavefront6targetE1EEEvT1_ ; -- Begin function _ZN7rocprim17ROCPRIM_400000_NS6detail17trampoline_kernelINS0_14default_configENS1_25partition_config_selectorILNS1_17partition_subalgoE8EdNS0_10empty_typeEbEEZZNS1_14partition_implILS5_8ELb0ES3_jN6thrust23THRUST_200600_302600_NS6detail15normal_iteratorINSA_10device_ptrIdEEEEPS6_PKS6_NS0_5tupleIJSF_S6_EEENSJ_IJSG_SG_EEENS0_18inequality_wrapperINSA_8equal_toIdEEEEPmJS6_EEE10hipError_tPvRmT3_T4_T5_T6_T7_T9_mT8_P12ihipStream_tbDpT10_ENKUlT_T0_E_clISt17integral_constantIbLb0EES19_IbLb1EEEEDaS15_S16_EUlS15_E_NS1_11comp_targetILNS1_3genE4ELNS1_11target_archE910ELNS1_3gpuE8ELNS1_3repE0EEENS1_30default_config_static_selectorELNS0_4arch9wavefront6targetE1EEEvT1_
	.globl	_ZN7rocprim17ROCPRIM_400000_NS6detail17trampoline_kernelINS0_14default_configENS1_25partition_config_selectorILNS1_17partition_subalgoE8EdNS0_10empty_typeEbEEZZNS1_14partition_implILS5_8ELb0ES3_jN6thrust23THRUST_200600_302600_NS6detail15normal_iteratorINSA_10device_ptrIdEEEEPS6_PKS6_NS0_5tupleIJSF_S6_EEENSJ_IJSG_SG_EEENS0_18inequality_wrapperINSA_8equal_toIdEEEEPmJS6_EEE10hipError_tPvRmT3_T4_T5_T6_T7_T9_mT8_P12ihipStream_tbDpT10_ENKUlT_T0_E_clISt17integral_constantIbLb0EES19_IbLb1EEEEDaS15_S16_EUlS15_E_NS1_11comp_targetILNS1_3genE4ELNS1_11target_archE910ELNS1_3gpuE8ELNS1_3repE0EEENS1_30default_config_static_selectorELNS0_4arch9wavefront6targetE1EEEvT1_
	.p2align	8
	.type	_ZN7rocprim17ROCPRIM_400000_NS6detail17trampoline_kernelINS0_14default_configENS1_25partition_config_selectorILNS1_17partition_subalgoE8EdNS0_10empty_typeEbEEZZNS1_14partition_implILS5_8ELb0ES3_jN6thrust23THRUST_200600_302600_NS6detail15normal_iteratorINSA_10device_ptrIdEEEEPS6_PKS6_NS0_5tupleIJSF_S6_EEENSJ_IJSG_SG_EEENS0_18inequality_wrapperINSA_8equal_toIdEEEEPmJS6_EEE10hipError_tPvRmT3_T4_T5_T6_T7_T9_mT8_P12ihipStream_tbDpT10_ENKUlT_T0_E_clISt17integral_constantIbLb0EES19_IbLb1EEEEDaS15_S16_EUlS15_E_NS1_11comp_targetILNS1_3genE4ELNS1_11target_archE910ELNS1_3gpuE8ELNS1_3repE0EEENS1_30default_config_static_selectorELNS0_4arch9wavefront6targetE1EEEvT1_,@function
_ZN7rocprim17ROCPRIM_400000_NS6detail17trampoline_kernelINS0_14default_configENS1_25partition_config_selectorILNS1_17partition_subalgoE8EdNS0_10empty_typeEbEEZZNS1_14partition_implILS5_8ELb0ES3_jN6thrust23THRUST_200600_302600_NS6detail15normal_iteratorINSA_10device_ptrIdEEEEPS6_PKS6_NS0_5tupleIJSF_S6_EEENSJ_IJSG_SG_EEENS0_18inequality_wrapperINSA_8equal_toIdEEEEPmJS6_EEE10hipError_tPvRmT3_T4_T5_T6_T7_T9_mT8_P12ihipStream_tbDpT10_ENKUlT_T0_E_clISt17integral_constantIbLb0EES19_IbLb1EEEEDaS15_S16_EUlS15_E_NS1_11comp_targetILNS1_3genE4ELNS1_11target_archE910ELNS1_3gpuE8ELNS1_3repE0EEENS1_30default_config_static_selectorELNS0_4arch9wavefront6targetE1EEEvT1_: ; @_ZN7rocprim17ROCPRIM_400000_NS6detail17trampoline_kernelINS0_14default_configENS1_25partition_config_selectorILNS1_17partition_subalgoE8EdNS0_10empty_typeEbEEZZNS1_14partition_implILS5_8ELb0ES3_jN6thrust23THRUST_200600_302600_NS6detail15normal_iteratorINSA_10device_ptrIdEEEEPS6_PKS6_NS0_5tupleIJSF_S6_EEENSJ_IJSG_SG_EEENS0_18inequality_wrapperINSA_8equal_toIdEEEEPmJS6_EEE10hipError_tPvRmT3_T4_T5_T6_T7_T9_mT8_P12ihipStream_tbDpT10_ENKUlT_T0_E_clISt17integral_constantIbLb0EES19_IbLb1EEEEDaS15_S16_EUlS15_E_NS1_11comp_targetILNS1_3genE4ELNS1_11target_archE910ELNS1_3gpuE8ELNS1_3repE0EEENS1_30default_config_static_selectorELNS0_4arch9wavefront6targetE1EEEvT1_
; %bb.0:
	.section	.rodata,"a",@progbits
	.p2align	6, 0x0
	.amdhsa_kernel _ZN7rocprim17ROCPRIM_400000_NS6detail17trampoline_kernelINS0_14default_configENS1_25partition_config_selectorILNS1_17partition_subalgoE8EdNS0_10empty_typeEbEEZZNS1_14partition_implILS5_8ELb0ES3_jN6thrust23THRUST_200600_302600_NS6detail15normal_iteratorINSA_10device_ptrIdEEEEPS6_PKS6_NS0_5tupleIJSF_S6_EEENSJ_IJSG_SG_EEENS0_18inequality_wrapperINSA_8equal_toIdEEEEPmJS6_EEE10hipError_tPvRmT3_T4_T5_T6_T7_T9_mT8_P12ihipStream_tbDpT10_ENKUlT_T0_E_clISt17integral_constantIbLb0EES19_IbLb1EEEEDaS15_S16_EUlS15_E_NS1_11comp_targetILNS1_3genE4ELNS1_11target_archE910ELNS1_3gpuE8ELNS1_3repE0EEENS1_30default_config_static_selectorELNS0_4arch9wavefront6targetE1EEEvT1_
		.amdhsa_group_segment_fixed_size 0
		.amdhsa_private_segment_fixed_size 0
		.amdhsa_kernarg_size 128
		.amdhsa_user_sgpr_count 6
		.amdhsa_user_sgpr_private_segment_buffer 1
		.amdhsa_user_sgpr_dispatch_ptr 0
		.amdhsa_user_sgpr_queue_ptr 0
		.amdhsa_user_sgpr_kernarg_segment_ptr 1
		.amdhsa_user_sgpr_dispatch_id 0
		.amdhsa_user_sgpr_flat_scratch_init 0
		.amdhsa_user_sgpr_private_segment_size 0
		.amdhsa_uses_dynamic_stack 0
		.amdhsa_system_sgpr_private_segment_wavefront_offset 0
		.amdhsa_system_sgpr_workgroup_id_x 1
		.amdhsa_system_sgpr_workgroup_id_y 0
		.amdhsa_system_sgpr_workgroup_id_z 0
		.amdhsa_system_sgpr_workgroup_info 0
		.amdhsa_system_vgpr_workitem_id 0
		.amdhsa_next_free_vgpr 1
		.amdhsa_next_free_sgpr 0
		.amdhsa_reserve_vcc 0
		.amdhsa_reserve_flat_scratch 0
		.amdhsa_float_round_mode_32 0
		.amdhsa_float_round_mode_16_64 0
		.amdhsa_float_denorm_mode_32 3
		.amdhsa_float_denorm_mode_16_64 3
		.amdhsa_dx10_clamp 1
		.amdhsa_ieee_mode 1
		.amdhsa_fp16_overflow 0
		.amdhsa_exception_fp_ieee_invalid_op 0
		.amdhsa_exception_fp_denorm_src 0
		.amdhsa_exception_fp_ieee_div_zero 0
		.amdhsa_exception_fp_ieee_overflow 0
		.amdhsa_exception_fp_ieee_underflow 0
		.amdhsa_exception_fp_ieee_inexact 0
		.amdhsa_exception_int_div_zero 0
	.end_amdhsa_kernel
	.section	.text._ZN7rocprim17ROCPRIM_400000_NS6detail17trampoline_kernelINS0_14default_configENS1_25partition_config_selectorILNS1_17partition_subalgoE8EdNS0_10empty_typeEbEEZZNS1_14partition_implILS5_8ELb0ES3_jN6thrust23THRUST_200600_302600_NS6detail15normal_iteratorINSA_10device_ptrIdEEEEPS6_PKS6_NS0_5tupleIJSF_S6_EEENSJ_IJSG_SG_EEENS0_18inequality_wrapperINSA_8equal_toIdEEEEPmJS6_EEE10hipError_tPvRmT3_T4_T5_T6_T7_T9_mT8_P12ihipStream_tbDpT10_ENKUlT_T0_E_clISt17integral_constantIbLb0EES19_IbLb1EEEEDaS15_S16_EUlS15_E_NS1_11comp_targetILNS1_3genE4ELNS1_11target_archE910ELNS1_3gpuE8ELNS1_3repE0EEENS1_30default_config_static_selectorELNS0_4arch9wavefront6targetE1EEEvT1_,"axG",@progbits,_ZN7rocprim17ROCPRIM_400000_NS6detail17trampoline_kernelINS0_14default_configENS1_25partition_config_selectorILNS1_17partition_subalgoE8EdNS0_10empty_typeEbEEZZNS1_14partition_implILS5_8ELb0ES3_jN6thrust23THRUST_200600_302600_NS6detail15normal_iteratorINSA_10device_ptrIdEEEEPS6_PKS6_NS0_5tupleIJSF_S6_EEENSJ_IJSG_SG_EEENS0_18inequality_wrapperINSA_8equal_toIdEEEEPmJS6_EEE10hipError_tPvRmT3_T4_T5_T6_T7_T9_mT8_P12ihipStream_tbDpT10_ENKUlT_T0_E_clISt17integral_constantIbLb0EES19_IbLb1EEEEDaS15_S16_EUlS15_E_NS1_11comp_targetILNS1_3genE4ELNS1_11target_archE910ELNS1_3gpuE8ELNS1_3repE0EEENS1_30default_config_static_selectorELNS0_4arch9wavefront6targetE1EEEvT1_,comdat
.Lfunc_end41:
	.size	_ZN7rocprim17ROCPRIM_400000_NS6detail17trampoline_kernelINS0_14default_configENS1_25partition_config_selectorILNS1_17partition_subalgoE8EdNS0_10empty_typeEbEEZZNS1_14partition_implILS5_8ELb0ES3_jN6thrust23THRUST_200600_302600_NS6detail15normal_iteratorINSA_10device_ptrIdEEEEPS6_PKS6_NS0_5tupleIJSF_S6_EEENSJ_IJSG_SG_EEENS0_18inequality_wrapperINSA_8equal_toIdEEEEPmJS6_EEE10hipError_tPvRmT3_T4_T5_T6_T7_T9_mT8_P12ihipStream_tbDpT10_ENKUlT_T0_E_clISt17integral_constantIbLb0EES19_IbLb1EEEEDaS15_S16_EUlS15_E_NS1_11comp_targetILNS1_3genE4ELNS1_11target_archE910ELNS1_3gpuE8ELNS1_3repE0EEENS1_30default_config_static_selectorELNS0_4arch9wavefront6targetE1EEEvT1_, .Lfunc_end41-_ZN7rocprim17ROCPRIM_400000_NS6detail17trampoline_kernelINS0_14default_configENS1_25partition_config_selectorILNS1_17partition_subalgoE8EdNS0_10empty_typeEbEEZZNS1_14partition_implILS5_8ELb0ES3_jN6thrust23THRUST_200600_302600_NS6detail15normal_iteratorINSA_10device_ptrIdEEEEPS6_PKS6_NS0_5tupleIJSF_S6_EEENSJ_IJSG_SG_EEENS0_18inequality_wrapperINSA_8equal_toIdEEEEPmJS6_EEE10hipError_tPvRmT3_T4_T5_T6_T7_T9_mT8_P12ihipStream_tbDpT10_ENKUlT_T0_E_clISt17integral_constantIbLb0EES19_IbLb1EEEEDaS15_S16_EUlS15_E_NS1_11comp_targetILNS1_3genE4ELNS1_11target_archE910ELNS1_3gpuE8ELNS1_3repE0EEENS1_30default_config_static_selectorELNS0_4arch9wavefront6targetE1EEEvT1_
                                        ; -- End function
	.set _ZN7rocprim17ROCPRIM_400000_NS6detail17trampoline_kernelINS0_14default_configENS1_25partition_config_selectorILNS1_17partition_subalgoE8EdNS0_10empty_typeEbEEZZNS1_14partition_implILS5_8ELb0ES3_jN6thrust23THRUST_200600_302600_NS6detail15normal_iteratorINSA_10device_ptrIdEEEEPS6_PKS6_NS0_5tupleIJSF_S6_EEENSJ_IJSG_SG_EEENS0_18inequality_wrapperINSA_8equal_toIdEEEEPmJS6_EEE10hipError_tPvRmT3_T4_T5_T6_T7_T9_mT8_P12ihipStream_tbDpT10_ENKUlT_T0_E_clISt17integral_constantIbLb0EES19_IbLb1EEEEDaS15_S16_EUlS15_E_NS1_11comp_targetILNS1_3genE4ELNS1_11target_archE910ELNS1_3gpuE8ELNS1_3repE0EEENS1_30default_config_static_selectorELNS0_4arch9wavefront6targetE1EEEvT1_.num_vgpr, 0
	.set _ZN7rocprim17ROCPRIM_400000_NS6detail17trampoline_kernelINS0_14default_configENS1_25partition_config_selectorILNS1_17partition_subalgoE8EdNS0_10empty_typeEbEEZZNS1_14partition_implILS5_8ELb0ES3_jN6thrust23THRUST_200600_302600_NS6detail15normal_iteratorINSA_10device_ptrIdEEEEPS6_PKS6_NS0_5tupleIJSF_S6_EEENSJ_IJSG_SG_EEENS0_18inequality_wrapperINSA_8equal_toIdEEEEPmJS6_EEE10hipError_tPvRmT3_T4_T5_T6_T7_T9_mT8_P12ihipStream_tbDpT10_ENKUlT_T0_E_clISt17integral_constantIbLb0EES19_IbLb1EEEEDaS15_S16_EUlS15_E_NS1_11comp_targetILNS1_3genE4ELNS1_11target_archE910ELNS1_3gpuE8ELNS1_3repE0EEENS1_30default_config_static_selectorELNS0_4arch9wavefront6targetE1EEEvT1_.num_agpr, 0
	.set _ZN7rocprim17ROCPRIM_400000_NS6detail17trampoline_kernelINS0_14default_configENS1_25partition_config_selectorILNS1_17partition_subalgoE8EdNS0_10empty_typeEbEEZZNS1_14partition_implILS5_8ELb0ES3_jN6thrust23THRUST_200600_302600_NS6detail15normal_iteratorINSA_10device_ptrIdEEEEPS6_PKS6_NS0_5tupleIJSF_S6_EEENSJ_IJSG_SG_EEENS0_18inequality_wrapperINSA_8equal_toIdEEEEPmJS6_EEE10hipError_tPvRmT3_T4_T5_T6_T7_T9_mT8_P12ihipStream_tbDpT10_ENKUlT_T0_E_clISt17integral_constantIbLb0EES19_IbLb1EEEEDaS15_S16_EUlS15_E_NS1_11comp_targetILNS1_3genE4ELNS1_11target_archE910ELNS1_3gpuE8ELNS1_3repE0EEENS1_30default_config_static_selectorELNS0_4arch9wavefront6targetE1EEEvT1_.numbered_sgpr, 0
	.set _ZN7rocprim17ROCPRIM_400000_NS6detail17trampoline_kernelINS0_14default_configENS1_25partition_config_selectorILNS1_17partition_subalgoE8EdNS0_10empty_typeEbEEZZNS1_14partition_implILS5_8ELb0ES3_jN6thrust23THRUST_200600_302600_NS6detail15normal_iteratorINSA_10device_ptrIdEEEEPS6_PKS6_NS0_5tupleIJSF_S6_EEENSJ_IJSG_SG_EEENS0_18inequality_wrapperINSA_8equal_toIdEEEEPmJS6_EEE10hipError_tPvRmT3_T4_T5_T6_T7_T9_mT8_P12ihipStream_tbDpT10_ENKUlT_T0_E_clISt17integral_constantIbLb0EES19_IbLb1EEEEDaS15_S16_EUlS15_E_NS1_11comp_targetILNS1_3genE4ELNS1_11target_archE910ELNS1_3gpuE8ELNS1_3repE0EEENS1_30default_config_static_selectorELNS0_4arch9wavefront6targetE1EEEvT1_.num_named_barrier, 0
	.set _ZN7rocprim17ROCPRIM_400000_NS6detail17trampoline_kernelINS0_14default_configENS1_25partition_config_selectorILNS1_17partition_subalgoE8EdNS0_10empty_typeEbEEZZNS1_14partition_implILS5_8ELb0ES3_jN6thrust23THRUST_200600_302600_NS6detail15normal_iteratorINSA_10device_ptrIdEEEEPS6_PKS6_NS0_5tupleIJSF_S6_EEENSJ_IJSG_SG_EEENS0_18inequality_wrapperINSA_8equal_toIdEEEEPmJS6_EEE10hipError_tPvRmT3_T4_T5_T6_T7_T9_mT8_P12ihipStream_tbDpT10_ENKUlT_T0_E_clISt17integral_constantIbLb0EES19_IbLb1EEEEDaS15_S16_EUlS15_E_NS1_11comp_targetILNS1_3genE4ELNS1_11target_archE910ELNS1_3gpuE8ELNS1_3repE0EEENS1_30default_config_static_selectorELNS0_4arch9wavefront6targetE1EEEvT1_.private_seg_size, 0
	.set _ZN7rocprim17ROCPRIM_400000_NS6detail17trampoline_kernelINS0_14default_configENS1_25partition_config_selectorILNS1_17partition_subalgoE8EdNS0_10empty_typeEbEEZZNS1_14partition_implILS5_8ELb0ES3_jN6thrust23THRUST_200600_302600_NS6detail15normal_iteratorINSA_10device_ptrIdEEEEPS6_PKS6_NS0_5tupleIJSF_S6_EEENSJ_IJSG_SG_EEENS0_18inequality_wrapperINSA_8equal_toIdEEEEPmJS6_EEE10hipError_tPvRmT3_T4_T5_T6_T7_T9_mT8_P12ihipStream_tbDpT10_ENKUlT_T0_E_clISt17integral_constantIbLb0EES19_IbLb1EEEEDaS15_S16_EUlS15_E_NS1_11comp_targetILNS1_3genE4ELNS1_11target_archE910ELNS1_3gpuE8ELNS1_3repE0EEENS1_30default_config_static_selectorELNS0_4arch9wavefront6targetE1EEEvT1_.uses_vcc, 0
	.set _ZN7rocprim17ROCPRIM_400000_NS6detail17trampoline_kernelINS0_14default_configENS1_25partition_config_selectorILNS1_17partition_subalgoE8EdNS0_10empty_typeEbEEZZNS1_14partition_implILS5_8ELb0ES3_jN6thrust23THRUST_200600_302600_NS6detail15normal_iteratorINSA_10device_ptrIdEEEEPS6_PKS6_NS0_5tupleIJSF_S6_EEENSJ_IJSG_SG_EEENS0_18inequality_wrapperINSA_8equal_toIdEEEEPmJS6_EEE10hipError_tPvRmT3_T4_T5_T6_T7_T9_mT8_P12ihipStream_tbDpT10_ENKUlT_T0_E_clISt17integral_constantIbLb0EES19_IbLb1EEEEDaS15_S16_EUlS15_E_NS1_11comp_targetILNS1_3genE4ELNS1_11target_archE910ELNS1_3gpuE8ELNS1_3repE0EEENS1_30default_config_static_selectorELNS0_4arch9wavefront6targetE1EEEvT1_.uses_flat_scratch, 0
	.set _ZN7rocprim17ROCPRIM_400000_NS6detail17trampoline_kernelINS0_14default_configENS1_25partition_config_selectorILNS1_17partition_subalgoE8EdNS0_10empty_typeEbEEZZNS1_14partition_implILS5_8ELb0ES3_jN6thrust23THRUST_200600_302600_NS6detail15normal_iteratorINSA_10device_ptrIdEEEEPS6_PKS6_NS0_5tupleIJSF_S6_EEENSJ_IJSG_SG_EEENS0_18inequality_wrapperINSA_8equal_toIdEEEEPmJS6_EEE10hipError_tPvRmT3_T4_T5_T6_T7_T9_mT8_P12ihipStream_tbDpT10_ENKUlT_T0_E_clISt17integral_constantIbLb0EES19_IbLb1EEEEDaS15_S16_EUlS15_E_NS1_11comp_targetILNS1_3genE4ELNS1_11target_archE910ELNS1_3gpuE8ELNS1_3repE0EEENS1_30default_config_static_selectorELNS0_4arch9wavefront6targetE1EEEvT1_.has_dyn_sized_stack, 0
	.set _ZN7rocprim17ROCPRIM_400000_NS6detail17trampoline_kernelINS0_14default_configENS1_25partition_config_selectorILNS1_17partition_subalgoE8EdNS0_10empty_typeEbEEZZNS1_14partition_implILS5_8ELb0ES3_jN6thrust23THRUST_200600_302600_NS6detail15normal_iteratorINSA_10device_ptrIdEEEEPS6_PKS6_NS0_5tupleIJSF_S6_EEENSJ_IJSG_SG_EEENS0_18inequality_wrapperINSA_8equal_toIdEEEEPmJS6_EEE10hipError_tPvRmT3_T4_T5_T6_T7_T9_mT8_P12ihipStream_tbDpT10_ENKUlT_T0_E_clISt17integral_constantIbLb0EES19_IbLb1EEEEDaS15_S16_EUlS15_E_NS1_11comp_targetILNS1_3genE4ELNS1_11target_archE910ELNS1_3gpuE8ELNS1_3repE0EEENS1_30default_config_static_selectorELNS0_4arch9wavefront6targetE1EEEvT1_.has_recursion, 0
	.set _ZN7rocprim17ROCPRIM_400000_NS6detail17trampoline_kernelINS0_14default_configENS1_25partition_config_selectorILNS1_17partition_subalgoE8EdNS0_10empty_typeEbEEZZNS1_14partition_implILS5_8ELb0ES3_jN6thrust23THRUST_200600_302600_NS6detail15normal_iteratorINSA_10device_ptrIdEEEEPS6_PKS6_NS0_5tupleIJSF_S6_EEENSJ_IJSG_SG_EEENS0_18inequality_wrapperINSA_8equal_toIdEEEEPmJS6_EEE10hipError_tPvRmT3_T4_T5_T6_T7_T9_mT8_P12ihipStream_tbDpT10_ENKUlT_T0_E_clISt17integral_constantIbLb0EES19_IbLb1EEEEDaS15_S16_EUlS15_E_NS1_11comp_targetILNS1_3genE4ELNS1_11target_archE910ELNS1_3gpuE8ELNS1_3repE0EEENS1_30default_config_static_selectorELNS0_4arch9wavefront6targetE1EEEvT1_.has_indirect_call, 0
	.section	.AMDGPU.csdata,"",@progbits
; Kernel info:
; codeLenInByte = 0
; TotalNumSgprs: 4
; NumVgprs: 0
; ScratchSize: 0
; MemoryBound: 0
; FloatMode: 240
; IeeeMode: 1
; LDSByteSize: 0 bytes/workgroup (compile time only)
; SGPRBlocks: 0
; VGPRBlocks: 0
; NumSGPRsForWavesPerEU: 4
; NumVGPRsForWavesPerEU: 1
; Occupancy: 10
; WaveLimiterHint : 0
; COMPUTE_PGM_RSRC2:SCRATCH_EN: 0
; COMPUTE_PGM_RSRC2:USER_SGPR: 6
; COMPUTE_PGM_RSRC2:TRAP_HANDLER: 0
; COMPUTE_PGM_RSRC2:TGID_X_EN: 1
; COMPUTE_PGM_RSRC2:TGID_Y_EN: 0
; COMPUTE_PGM_RSRC2:TGID_Z_EN: 0
; COMPUTE_PGM_RSRC2:TIDIG_COMP_CNT: 0
	.section	.text._ZN7rocprim17ROCPRIM_400000_NS6detail17trampoline_kernelINS0_14default_configENS1_25partition_config_selectorILNS1_17partition_subalgoE8EdNS0_10empty_typeEbEEZZNS1_14partition_implILS5_8ELb0ES3_jN6thrust23THRUST_200600_302600_NS6detail15normal_iteratorINSA_10device_ptrIdEEEEPS6_PKS6_NS0_5tupleIJSF_S6_EEENSJ_IJSG_SG_EEENS0_18inequality_wrapperINSA_8equal_toIdEEEEPmJS6_EEE10hipError_tPvRmT3_T4_T5_T6_T7_T9_mT8_P12ihipStream_tbDpT10_ENKUlT_T0_E_clISt17integral_constantIbLb0EES19_IbLb1EEEEDaS15_S16_EUlS15_E_NS1_11comp_targetILNS1_3genE3ELNS1_11target_archE908ELNS1_3gpuE7ELNS1_3repE0EEENS1_30default_config_static_selectorELNS0_4arch9wavefront6targetE1EEEvT1_,"axG",@progbits,_ZN7rocprim17ROCPRIM_400000_NS6detail17trampoline_kernelINS0_14default_configENS1_25partition_config_selectorILNS1_17partition_subalgoE8EdNS0_10empty_typeEbEEZZNS1_14partition_implILS5_8ELb0ES3_jN6thrust23THRUST_200600_302600_NS6detail15normal_iteratorINSA_10device_ptrIdEEEEPS6_PKS6_NS0_5tupleIJSF_S6_EEENSJ_IJSG_SG_EEENS0_18inequality_wrapperINSA_8equal_toIdEEEEPmJS6_EEE10hipError_tPvRmT3_T4_T5_T6_T7_T9_mT8_P12ihipStream_tbDpT10_ENKUlT_T0_E_clISt17integral_constantIbLb0EES19_IbLb1EEEEDaS15_S16_EUlS15_E_NS1_11comp_targetILNS1_3genE3ELNS1_11target_archE908ELNS1_3gpuE7ELNS1_3repE0EEENS1_30default_config_static_selectorELNS0_4arch9wavefront6targetE1EEEvT1_,comdat
	.protected	_ZN7rocprim17ROCPRIM_400000_NS6detail17trampoline_kernelINS0_14default_configENS1_25partition_config_selectorILNS1_17partition_subalgoE8EdNS0_10empty_typeEbEEZZNS1_14partition_implILS5_8ELb0ES3_jN6thrust23THRUST_200600_302600_NS6detail15normal_iteratorINSA_10device_ptrIdEEEEPS6_PKS6_NS0_5tupleIJSF_S6_EEENSJ_IJSG_SG_EEENS0_18inequality_wrapperINSA_8equal_toIdEEEEPmJS6_EEE10hipError_tPvRmT3_T4_T5_T6_T7_T9_mT8_P12ihipStream_tbDpT10_ENKUlT_T0_E_clISt17integral_constantIbLb0EES19_IbLb1EEEEDaS15_S16_EUlS15_E_NS1_11comp_targetILNS1_3genE3ELNS1_11target_archE908ELNS1_3gpuE7ELNS1_3repE0EEENS1_30default_config_static_selectorELNS0_4arch9wavefront6targetE1EEEvT1_ ; -- Begin function _ZN7rocprim17ROCPRIM_400000_NS6detail17trampoline_kernelINS0_14default_configENS1_25partition_config_selectorILNS1_17partition_subalgoE8EdNS0_10empty_typeEbEEZZNS1_14partition_implILS5_8ELb0ES3_jN6thrust23THRUST_200600_302600_NS6detail15normal_iteratorINSA_10device_ptrIdEEEEPS6_PKS6_NS0_5tupleIJSF_S6_EEENSJ_IJSG_SG_EEENS0_18inequality_wrapperINSA_8equal_toIdEEEEPmJS6_EEE10hipError_tPvRmT3_T4_T5_T6_T7_T9_mT8_P12ihipStream_tbDpT10_ENKUlT_T0_E_clISt17integral_constantIbLb0EES19_IbLb1EEEEDaS15_S16_EUlS15_E_NS1_11comp_targetILNS1_3genE3ELNS1_11target_archE908ELNS1_3gpuE7ELNS1_3repE0EEENS1_30default_config_static_selectorELNS0_4arch9wavefront6targetE1EEEvT1_
	.globl	_ZN7rocprim17ROCPRIM_400000_NS6detail17trampoline_kernelINS0_14default_configENS1_25partition_config_selectorILNS1_17partition_subalgoE8EdNS0_10empty_typeEbEEZZNS1_14partition_implILS5_8ELb0ES3_jN6thrust23THRUST_200600_302600_NS6detail15normal_iteratorINSA_10device_ptrIdEEEEPS6_PKS6_NS0_5tupleIJSF_S6_EEENSJ_IJSG_SG_EEENS0_18inequality_wrapperINSA_8equal_toIdEEEEPmJS6_EEE10hipError_tPvRmT3_T4_T5_T6_T7_T9_mT8_P12ihipStream_tbDpT10_ENKUlT_T0_E_clISt17integral_constantIbLb0EES19_IbLb1EEEEDaS15_S16_EUlS15_E_NS1_11comp_targetILNS1_3genE3ELNS1_11target_archE908ELNS1_3gpuE7ELNS1_3repE0EEENS1_30default_config_static_selectorELNS0_4arch9wavefront6targetE1EEEvT1_
	.p2align	8
	.type	_ZN7rocprim17ROCPRIM_400000_NS6detail17trampoline_kernelINS0_14default_configENS1_25partition_config_selectorILNS1_17partition_subalgoE8EdNS0_10empty_typeEbEEZZNS1_14partition_implILS5_8ELb0ES3_jN6thrust23THRUST_200600_302600_NS6detail15normal_iteratorINSA_10device_ptrIdEEEEPS6_PKS6_NS0_5tupleIJSF_S6_EEENSJ_IJSG_SG_EEENS0_18inequality_wrapperINSA_8equal_toIdEEEEPmJS6_EEE10hipError_tPvRmT3_T4_T5_T6_T7_T9_mT8_P12ihipStream_tbDpT10_ENKUlT_T0_E_clISt17integral_constantIbLb0EES19_IbLb1EEEEDaS15_S16_EUlS15_E_NS1_11comp_targetILNS1_3genE3ELNS1_11target_archE908ELNS1_3gpuE7ELNS1_3repE0EEENS1_30default_config_static_selectorELNS0_4arch9wavefront6targetE1EEEvT1_,@function
_ZN7rocprim17ROCPRIM_400000_NS6detail17trampoline_kernelINS0_14default_configENS1_25partition_config_selectorILNS1_17partition_subalgoE8EdNS0_10empty_typeEbEEZZNS1_14partition_implILS5_8ELb0ES3_jN6thrust23THRUST_200600_302600_NS6detail15normal_iteratorINSA_10device_ptrIdEEEEPS6_PKS6_NS0_5tupleIJSF_S6_EEENSJ_IJSG_SG_EEENS0_18inequality_wrapperINSA_8equal_toIdEEEEPmJS6_EEE10hipError_tPvRmT3_T4_T5_T6_T7_T9_mT8_P12ihipStream_tbDpT10_ENKUlT_T0_E_clISt17integral_constantIbLb0EES19_IbLb1EEEEDaS15_S16_EUlS15_E_NS1_11comp_targetILNS1_3genE3ELNS1_11target_archE908ELNS1_3gpuE7ELNS1_3repE0EEENS1_30default_config_static_selectorELNS0_4arch9wavefront6targetE1EEEvT1_: ; @_ZN7rocprim17ROCPRIM_400000_NS6detail17trampoline_kernelINS0_14default_configENS1_25partition_config_selectorILNS1_17partition_subalgoE8EdNS0_10empty_typeEbEEZZNS1_14partition_implILS5_8ELb0ES3_jN6thrust23THRUST_200600_302600_NS6detail15normal_iteratorINSA_10device_ptrIdEEEEPS6_PKS6_NS0_5tupleIJSF_S6_EEENSJ_IJSG_SG_EEENS0_18inequality_wrapperINSA_8equal_toIdEEEEPmJS6_EEE10hipError_tPvRmT3_T4_T5_T6_T7_T9_mT8_P12ihipStream_tbDpT10_ENKUlT_T0_E_clISt17integral_constantIbLb0EES19_IbLb1EEEEDaS15_S16_EUlS15_E_NS1_11comp_targetILNS1_3genE3ELNS1_11target_archE908ELNS1_3gpuE7ELNS1_3repE0EEENS1_30default_config_static_selectorELNS0_4arch9wavefront6targetE1EEEvT1_
; %bb.0:
	.section	.rodata,"a",@progbits
	.p2align	6, 0x0
	.amdhsa_kernel _ZN7rocprim17ROCPRIM_400000_NS6detail17trampoline_kernelINS0_14default_configENS1_25partition_config_selectorILNS1_17partition_subalgoE8EdNS0_10empty_typeEbEEZZNS1_14partition_implILS5_8ELb0ES3_jN6thrust23THRUST_200600_302600_NS6detail15normal_iteratorINSA_10device_ptrIdEEEEPS6_PKS6_NS0_5tupleIJSF_S6_EEENSJ_IJSG_SG_EEENS0_18inequality_wrapperINSA_8equal_toIdEEEEPmJS6_EEE10hipError_tPvRmT3_T4_T5_T6_T7_T9_mT8_P12ihipStream_tbDpT10_ENKUlT_T0_E_clISt17integral_constantIbLb0EES19_IbLb1EEEEDaS15_S16_EUlS15_E_NS1_11comp_targetILNS1_3genE3ELNS1_11target_archE908ELNS1_3gpuE7ELNS1_3repE0EEENS1_30default_config_static_selectorELNS0_4arch9wavefront6targetE1EEEvT1_
		.amdhsa_group_segment_fixed_size 0
		.amdhsa_private_segment_fixed_size 0
		.amdhsa_kernarg_size 128
		.amdhsa_user_sgpr_count 6
		.amdhsa_user_sgpr_private_segment_buffer 1
		.amdhsa_user_sgpr_dispatch_ptr 0
		.amdhsa_user_sgpr_queue_ptr 0
		.amdhsa_user_sgpr_kernarg_segment_ptr 1
		.amdhsa_user_sgpr_dispatch_id 0
		.amdhsa_user_sgpr_flat_scratch_init 0
		.amdhsa_user_sgpr_private_segment_size 0
		.amdhsa_uses_dynamic_stack 0
		.amdhsa_system_sgpr_private_segment_wavefront_offset 0
		.amdhsa_system_sgpr_workgroup_id_x 1
		.amdhsa_system_sgpr_workgroup_id_y 0
		.amdhsa_system_sgpr_workgroup_id_z 0
		.amdhsa_system_sgpr_workgroup_info 0
		.amdhsa_system_vgpr_workitem_id 0
		.amdhsa_next_free_vgpr 1
		.amdhsa_next_free_sgpr 0
		.amdhsa_reserve_vcc 0
		.amdhsa_reserve_flat_scratch 0
		.amdhsa_float_round_mode_32 0
		.amdhsa_float_round_mode_16_64 0
		.amdhsa_float_denorm_mode_32 3
		.amdhsa_float_denorm_mode_16_64 3
		.amdhsa_dx10_clamp 1
		.amdhsa_ieee_mode 1
		.amdhsa_fp16_overflow 0
		.amdhsa_exception_fp_ieee_invalid_op 0
		.amdhsa_exception_fp_denorm_src 0
		.amdhsa_exception_fp_ieee_div_zero 0
		.amdhsa_exception_fp_ieee_overflow 0
		.amdhsa_exception_fp_ieee_underflow 0
		.amdhsa_exception_fp_ieee_inexact 0
		.amdhsa_exception_int_div_zero 0
	.end_amdhsa_kernel
	.section	.text._ZN7rocprim17ROCPRIM_400000_NS6detail17trampoline_kernelINS0_14default_configENS1_25partition_config_selectorILNS1_17partition_subalgoE8EdNS0_10empty_typeEbEEZZNS1_14partition_implILS5_8ELb0ES3_jN6thrust23THRUST_200600_302600_NS6detail15normal_iteratorINSA_10device_ptrIdEEEEPS6_PKS6_NS0_5tupleIJSF_S6_EEENSJ_IJSG_SG_EEENS0_18inequality_wrapperINSA_8equal_toIdEEEEPmJS6_EEE10hipError_tPvRmT3_T4_T5_T6_T7_T9_mT8_P12ihipStream_tbDpT10_ENKUlT_T0_E_clISt17integral_constantIbLb0EES19_IbLb1EEEEDaS15_S16_EUlS15_E_NS1_11comp_targetILNS1_3genE3ELNS1_11target_archE908ELNS1_3gpuE7ELNS1_3repE0EEENS1_30default_config_static_selectorELNS0_4arch9wavefront6targetE1EEEvT1_,"axG",@progbits,_ZN7rocprim17ROCPRIM_400000_NS6detail17trampoline_kernelINS0_14default_configENS1_25partition_config_selectorILNS1_17partition_subalgoE8EdNS0_10empty_typeEbEEZZNS1_14partition_implILS5_8ELb0ES3_jN6thrust23THRUST_200600_302600_NS6detail15normal_iteratorINSA_10device_ptrIdEEEEPS6_PKS6_NS0_5tupleIJSF_S6_EEENSJ_IJSG_SG_EEENS0_18inequality_wrapperINSA_8equal_toIdEEEEPmJS6_EEE10hipError_tPvRmT3_T4_T5_T6_T7_T9_mT8_P12ihipStream_tbDpT10_ENKUlT_T0_E_clISt17integral_constantIbLb0EES19_IbLb1EEEEDaS15_S16_EUlS15_E_NS1_11comp_targetILNS1_3genE3ELNS1_11target_archE908ELNS1_3gpuE7ELNS1_3repE0EEENS1_30default_config_static_selectorELNS0_4arch9wavefront6targetE1EEEvT1_,comdat
.Lfunc_end42:
	.size	_ZN7rocprim17ROCPRIM_400000_NS6detail17trampoline_kernelINS0_14default_configENS1_25partition_config_selectorILNS1_17partition_subalgoE8EdNS0_10empty_typeEbEEZZNS1_14partition_implILS5_8ELb0ES3_jN6thrust23THRUST_200600_302600_NS6detail15normal_iteratorINSA_10device_ptrIdEEEEPS6_PKS6_NS0_5tupleIJSF_S6_EEENSJ_IJSG_SG_EEENS0_18inequality_wrapperINSA_8equal_toIdEEEEPmJS6_EEE10hipError_tPvRmT3_T4_T5_T6_T7_T9_mT8_P12ihipStream_tbDpT10_ENKUlT_T0_E_clISt17integral_constantIbLb0EES19_IbLb1EEEEDaS15_S16_EUlS15_E_NS1_11comp_targetILNS1_3genE3ELNS1_11target_archE908ELNS1_3gpuE7ELNS1_3repE0EEENS1_30default_config_static_selectorELNS0_4arch9wavefront6targetE1EEEvT1_, .Lfunc_end42-_ZN7rocprim17ROCPRIM_400000_NS6detail17trampoline_kernelINS0_14default_configENS1_25partition_config_selectorILNS1_17partition_subalgoE8EdNS0_10empty_typeEbEEZZNS1_14partition_implILS5_8ELb0ES3_jN6thrust23THRUST_200600_302600_NS6detail15normal_iteratorINSA_10device_ptrIdEEEEPS6_PKS6_NS0_5tupleIJSF_S6_EEENSJ_IJSG_SG_EEENS0_18inequality_wrapperINSA_8equal_toIdEEEEPmJS6_EEE10hipError_tPvRmT3_T4_T5_T6_T7_T9_mT8_P12ihipStream_tbDpT10_ENKUlT_T0_E_clISt17integral_constantIbLb0EES19_IbLb1EEEEDaS15_S16_EUlS15_E_NS1_11comp_targetILNS1_3genE3ELNS1_11target_archE908ELNS1_3gpuE7ELNS1_3repE0EEENS1_30default_config_static_selectorELNS0_4arch9wavefront6targetE1EEEvT1_
                                        ; -- End function
	.set _ZN7rocprim17ROCPRIM_400000_NS6detail17trampoline_kernelINS0_14default_configENS1_25partition_config_selectorILNS1_17partition_subalgoE8EdNS0_10empty_typeEbEEZZNS1_14partition_implILS5_8ELb0ES3_jN6thrust23THRUST_200600_302600_NS6detail15normal_iteratorINSA_10device_ptrIdEEEEPS6_PKS6_NS0_5tupleIJSF_S6_EEENSJ_IJSG_SG_EEENS0_18inequality_wrapperINSA_8equal_toIdEEEEPmJS6_EEE10hipError_tPvRmT3_T4_T5_T6_T7_T9_mT8_P12ihipStream_tbDpT10_ENKUlT_T0_E_clISt17integral_constantIbLb0EES19_IbLb1EEEEDaS15_S16_EUlS15_E_NS1_11comp_targetILNS1_3genE3ELNS1_11target_archE908ELNS1_3gpuE7ELNS1_3repE0EEENS1_30default_config_static_selectorELNS0_4arch9wavefront6targetE1EEEvT1_.num_vgpr, 0
	.set _ZN7rocprim17ROCPRIM_400000_NS6detail17trampoline_kernelINS0_14default_configENS1_25partition_config_selectorILNS1_17partition_subalgoE8EdNS0_10empty_typeEbEEZZNS1_14partition_implILS5_8ELb0ES3_jN6thrust23THRUST_200600_302600_NS6detail15normal_iteratorINSA_10device_ptrIdEEEEPS6_PKS6_NS0_5tupleIJSF_S6_EEENSJ_IJSG_SG_EEENS0_18inequality_wrapperINSA_8equal_toIdEEEEPmJS6_EEE10hipError_tPvRmT3_T4_T5_T6_T7_T9_mT8_P12ihipStream_tbDpT10_ENKUlT_T0_E_clISt17integral_constantIbLb0EES19_IbLb1EEEEDaS15_S16_EUlS15_E_NS1_11comp_targetILNS1_3genE3ELNS1_11target_archE908ELNS1_3gpuE7ELNS1_3repE0EEENS1_30default_config_static_selectorELNS0_4arch9wavefront6targetE1EEEvT1_.num_agpr, 0
	.set _ZN7rocprim17ROCPRIM_400000_NS6detail17trampoline_kernelINS0_14default_configENS1_25partition_config_selectorILNS1_17partition_subalgoE8EdNS0_10empty_typeEbEEZZNS1_14partition_implILS5_8ELb0ES3_jN6thrust23THRUST_200600_302600_NS6detail15normal_iteratorINSA_10device_ptrIdEEEEPS6_PKS6_NS0_5tupleIJSF_S6_EEENSJ_IJSG_SG_EEENS0_18inequality_wrapperINSA_8equal_toIdEEEEPmJS6_EEE10hipError_tPvRmT3_T4_T5_T6_T7_T9_mT8_P12ihipStream_tbDpT10_ENKUlT_T0_E_clISt17integral_constantIbLb0EES19_IbLb1EEEEDaS15_S16_EUlS15_E_NS1_11comp_targetILNS1_3genE3ELNS1_11target_archE908ELNS1_3gpuE7ELNS1_3repE0EEENS1_30default_config_static_selectorELNS0_4arch9wavefront6targetE1EEEvT1_.numbered_sgpr, 0
	.set _ZN7rocprim17ROCPRIM_400000_NS6detail17trampoline_kernelINS0_14default_configENS1_25partition_config_selectorILNS1_17partition_subalgoE8EdNS0_10empty_typeEbEEZZNS1_14partition_implILS5_8ELb0ES3_jN6thrust23THRUST_200600_302600_NS6detail15normal_iteratorINSA_10device_ptrIdEEEEPS6_PKS6_NS0_5tupleIJSF_S6_EEENSJ_IJSG_SG_EEENS0_18inequality_wrapperINSA_8equal_toIdEEEEPmJS6_EEE10hipError_tPvRmT3_T4_T5_T6_T7_T9_mT8_P12ihipStream_tbDpT10_ENKUlT_T0_E_clISt17integral_constantIbLb0EES19_IbLb1EEEEDaS15_S16_EUlS15_E_NS1_11comp_targetILNS1_3genE3ELNS1_11target_archE908ELNS1_3gpuE7ELNS1_3repE0EEENS1_30default_config_static_selectorELNS0_4arch9wavefront6targetE1EEEvT1_.num_named_barrier, 0
	.set _ZN7rocprim17ROCPRIM_400000_NS6detail17trampoline_kernelINS0_14default_configENS1_25partition_config_selectorILNS1_17partition_subalgoE8EdNS0_10empty_typeEbEEZZNS1_14partition_implILS5_8ELb0ES3_jN6thrust23THRUST_200600_302600_NS6detail15normal_iteratorINSA_10device_ptrIdEEEEPS6_PKS6_NS0_5tupleIJSF_S6_EEENSJ_IJSG_SG_EEENS0_18inequality_wrapperINSA_8equal_toIdEEEEPmJS6_EEE10hipError_tPvRmT3_T4_T5_T6_T7_T9_mT8_P12ihipStream_tbDpT10_ENKUlT_T0_E_clISt17integral_constantIbLb0EES19_IbLb1EEEEDaS15_S16_EUlS15_E_NS1_11comp_targetILNS1_3genE3ELNS1_11target_archE908ELNS1_3gpuE7ELNS1_3repE0EEENS1_30default_config_static_selectorELNS0_4arch9wavefront6targetE1EEEvT1_.private_seg_size, 0
	.set _ZN7rocprim17ROCPRIM_400000_NS6detail17trampoline_kernelINS0_14default_configENS1_25partition_config_selectorILNS1_17partition_subalgoE8EdNS0_10empty_typeEbEEZZNS1_14partition_implILS5_8ELb0ES3_jN6thrust23THRUST_200600_302600_NS6detail15normal_iteratorINSA_10device_ptrIdEEEEPS6_PKS6_NS0_5tupleIJSF_S6_EEENSJ_IJSG_SG_EEENS0_18inequality_wrapperINSA_8equal_toIdEEEEPmJS6_EEE10hipError_tPvRmT3_T4_T5_T6_T7_T9_mT8_P12ihipStream_tbDpT10_ENKUlT_T0_E_clISt17integral_constantIbLb0EES19_IbLb1EEEEDaS15_S16_EUlS15_E_NS1_11comp_targetILNS1_3genE3ELNS1_11target_archE908ELNS1_3gpuE7ELNS1_3repE0EEENS1_30default_config_static_selectorELNS0_4arch9wavefront6targetE1EEEvT1_.uses_vcc, 0
	.set _ZN7rocprim17ROCPRIM_400000_NS6detail17trampoline_kernelINS0_14default_configENS1_25partition_config_selectorILNS1_17partition_subalgoE8EdNS0_10empty_typeEbEEZZNS1_14partition_implILS5_8ELb0ES3_jN6thrust23THRUST_200600_302600_NS6detail15normal_iteratorINSA_10device_ptrIdEEEEPS6_PKS6_NS0_5tupleIJSF_S6_EEENSJ_IJSG_SG_EEENS0_18inequality_wrapperINSA_8equal_toIdEEEEPmJS6_EEE10hipError_tPvRmT3_T4_T5_T6_T7_T9_mT8_P12ihipStream_tbDpT10_ENKUlT_T0_E_clISt17integral_constantIbLb0EES19_IbLb1EEEEDaS15_S16_EUlS15_E_NS1_11comp_targetILNS1_3genE3ELNS1_11target_archE908ELNS1_3gpuE7ELNS1_3repE0EEENS1_30default_config_static_selectorELNS0_4arch9wavefront6targetE1EEEvT1_.uses_flat_scratch, 0
	.set _ZN7rocprim17ROCPRIM_400000_NS6detail17trampoline_kernelINS0_14default_configENS1_25partition_config_selectorILNS1_17partition_subalgoE8EdNS0_10empty_typeEbEEZZNS1_14partition_implILS5_8ELb0ES3_jN6thrust23THRUST_200600_302600_NS6detail15normal_iteratorINSA_10device_ptrIdEEEEPS6_PKS6_NS0_5tupleIJSF_S6_EEENSJ_IJSG_SG_EEENS0_18inequality_wrapperINSA_8equal_toIdEEEEPmJS6_EEE10hipError_tPvRmT3_T4_T5_T6_T7_T9_mT8_P12ihipStream_tbDpT10_ENKUlT_T0_E_clISt17integral_constantIbLb0EES19_IbLb1EEEEDaS15_S16_EUlS15_E_NS1_11comp_targetILNS1_3genE3ELNS1_11target_archE908ELNS1_3gpuE7ELNS1_3repE0EEENS1_30default_config_static_selectorELNS0_4arch9wavefront6targetE1EEEvT1_.has_dyn_sized_stack, 0
	.set _ZN7rocprim17ROCPRIM_400000_NS6detail17trampoline_kernelINS0_14default_configENS1_25partition_config_selectorILNS1_17partition_subalgoE8EdNS0_10empty_typeEbEEZZNS1_14partition_implILS5_8ELb0ES3_jN6thrust23THRUST_200600_302600_NS6detail15normal_iteratorINSA_10device_ptrIdEEEEPS6_PKS6_NS0_5tupleIJSF_S6_EEENSJ_IJSG_SG_EEENS0_18inequality_wrapperINSA_8equal_toIdEEEEPmJS6_EEE10hipError_tPvRmT3_T4_T5_T6_T7_T9_mT8_P12ihipStream_tbDpT10_ENKUlT_T0_E_clISt17integral_constantIbLb0EES19_IbLb1EEEEDaS15_S16_EUlS15_E_NS1_11comp_targetILNS1_3genE3ELNS1_11target_archE908ELNS1_3gpuE7ELNS1_3repE0EEENS1_30default_config_static_selectorELNS0_4arch9wavefront6targetE1EEEvT1_.has_recursion, 0
	.set _ZN7rocprim17ROCPRIM_400000_NS6detail17trampoline_kernelINS0_14default_configENS1_25partition_config_selectorILNS1_17partition_subalgoE8EdNS0_10empty_typeEbEEZZNS1_14partition_implILS5_8ELb0ES3_jN6thrust23THRUST_200600_302600_NS6detail15normal_iteratorINSA_10device_ptrIdEEEEPS6_PKS6_NS0_5tupleIJSF_S6_EEENSJ_IJSG_SG_EEENS0_18inequality_wrapperINSA_8equal_toIdEEEEPmJS6_EEE10hipError_tPvRmT3_T4_T5_T6_T7_T9_mT8_P12ihipStream_tbDpT10_ENKUlT_T0_E_clISt17integral_constantIbLb0EES19_IbLb1EEEEDaS15_S16_EUlS15_E_NS1_11comp_targetILNS1_3genE3ELNS1_11target_archE908ELNS1_3gpuE7ELNS1_3repE0EEENS1_30default_config_static_selectorELNS0_4arch9wavefront6targetE1EEEvT1_.has_indirect_call, 0
	.section	.AMDGPU.csdata,"",@progbits
; Kernel info:
; codeLenInByte = 0
; TotalNumSgprs: 4
; NumVgprs: 0
; ScratchSize: 0
; MemoryBound: 0
; FloatMode: 240
; IeeeMode: 1
; LDSByteSize: 0 bytes/workgroup (compile time only)
; SGPRBlocks: 0
; VGPRBlocks: 0
; NumSGPRsForWavesPerEU: 4
; NumVGPRsForWavesPerEU: 1
; Occupancy: 10
; WaveLimiterHint : 0
; COMPUTE_PGM_RSRC2:SCRATCH_EN: 0
; COMPUTE_PGM_RSRC2:USER_SGPR: 6
; COMPUTE_PGM_RSRC2:TRAP_HANDLER: 0
; COMPUTE_PGM_RSRC2:TGID_X_EN: 1
; COMPUTE_PGM_RSRC2:TGID_Y_EN: 0
; COMPUTE_PGM_RSRC2:TGID_Z_EN: 0
; COMPUTE_PGM_RSRC2:TIDIG_COMP_CNT: 0
	.section	.text._ZN7rocprim17ROCPRIM_400000_NS6detail17trampoline_kernelINS0_14default_configENS1_25partition_config_selectorILNS1_17partition_subalgoE8EdNS0_10empty_typeEbEEZZNS1_14partition_implILS5_8ELb0ES3_jN6thrust23THRUST_200600_302600_NS6detail15normal_iteratorINSA_10device_ptrIdEEEEPS6_PKS6_NS0_5tupleIJSF_S6_EEENSJ_IJSG_SG_EEENS0_18inequality_wrapperINSA_8equal_toIdEEEEPmJS6_EEE10hipError_tPvRmT3_T4_T5_T6_T7_T9_mT8_P12ihipStream_tbDpT10_ENKUlT_T0_E_clISt17integral_constantIbLb0EES19_IbLb1EEEEDaS15_S16_EUlS15_E_NS1_11comp_targetILNS1_3genE2ELNS1_11target_archE906ELNS1_3gpuE6ELNS1_3repE0EEENS1_30default_config_static_selectorELNS0_4arch9wavefront6targetE1EEEvT1_,"axG",@progbits,_ZN7rocprim17ROCPRIM_400000_NS6detail17trampoline_kernelINS0_14default_configENS1_25partition_config_selectorILNS1_17partition_subalgoE8EdNS0_10empty_typeEbEEZZNS1_14partition_implILS5_8ELb0ES3_jN6thrust23THRUST_200600_302600_NS6detail15normal_iteratorINSA_10device_ptrIdEEEEPS6_PKS6_NS0_5tupleIJSF_S6_EEENSJ_IJSG_SG_EEENS0_18inequality_wrapperINSA_8equal_toIdEEEEPmJS6_EEE10hipError_tPvRmT3_T4_T5_T6_T7_T9_mT8_P12ihipStream_tbDpT10_ENKUlT_T0_E_clISt17integral_constantIbLb0EES19_IbLb1EEEEDaS15_S16_EUlS15_E_NS1_11comp_targetILNS1_3genE2ELNS1_11target_archE906ELNS1_3gpuE6ELNS1_3repE0EEENS1_30default_config_static_selectorELNS0_4arch9wavefront6targetE1EEEvT1_,comdat
	.protected	_ZN7rocprim17ROCPRIM_400000_NS6detail17trampoline_kernelINS0_14default_configENS1_25partition_config_selectorILNS1_17partition_subalgoE8EdNS0_10empty_typeEbEEZZNS1_14partition_implILS5_8ELb0ES3_jN6thrust23THRUST_200600_302600_NS6detail15normal_iteratorINSA_10device_ptrIdEEEEPS6_PKS6_NS0_5tupleIJSF_S6_EEENSJ_IJSG_SG_EEENS0_18inequality_wrapperINSA_8equal_toIdEEEEPmJS6_EEE10hipError_tPvRmT3_T4_T5_T6_T7_T9_mT8_P12ihipStream_tbDpT10_ENKUlT_T0_E_clISt17integral_constantIbLb0EES19_IbLb1EEEEDaS15_S16_EUlS15_E_NS1_11comp_targetILNS1_3genE2ELNS1_11target_archE906ELNS1_3gpuE6ELNS1_3repE0EEENS1_30default_config_static_selectorELNS0_4arch9wavefront6targetE1EEEvT1_ ; -- Begin function _ZN7rocprim17ROCPRIM_400000_NS6detail17trampoline_kernelINS0_14default_configENS1_25partition_config_selectorILNS1_17partition_subalgoE8EdNS0_10empty_typeEbEEZZNS1_14partition_implILS5_8ELb0ES3_jN6thrust23THRUST_200600_302600_NS6detail15normal_iteratorINSA_10device_ptrIdEEEEPS6_PKS6_NS0_5tupleIJSF_S6_EEENSJ_IJSG_SG_EEENS0_18inequality_wrapperINSA_8equal_toIdEEEEPmJS6_EEE10hipError_tPvRmT3_T4_T5_T6_T7_T9_mT8_P12ihipStream_tbDpT10_ENKUlT_T0_E_clISt17integral_constantIbLb0EES19_IbLb1EEEEDaS15_S16_EUlS15_E_NS1_11comp_targetILNS1_3genE2ELNS1_11target_archE906ELNS1_3gpuE6ELNS1_3repE0EEENS1_30default_config_static_selectorELNS0_4arch9wavefront6targetE1EEEvT1_
	.globl	_ZN7rocprim17ROCPRIM_400000_NS6detail17trampoline_kernelINS0_14default_configENS1_25partition_config_selectorILNS1_17partition_subalgoE8EdNS0_10empty_typeEbEEZZNS1_14partition_implILS5_8ELb0ES3_jN6thrust23THRUST_200600_302600_NS6detail15normal_iteratorINSA_10device_ptrIdEEEEPS6_PKS6_NS0_5tupleIJSF_S6_EEENSJ_IJSG_SG_EEENS0_18inequality_wrapperINSA_8equal_toIdEEEEPmJS6_EEE10hipError_tPvRmT3_T4_T5_T6_T7_T9_mT8_P12ihipStream_tbDpT10_ENKUlT_T0_E_clISt17integral_constantIbLb0EES19_IbLb1EEEEDaS15_S16_EUlS15_E_NS1_11comp_targetILNS1_3genE2ELNS1_11target_archE906ELNS1_3gpuE6ELNS1_3repE0EEENS1_30default_config_static_selectorELNS0_4arch9wavefront6targetE1EEEvT1_
	.p2align	8
	.type	_ZN7rocprim17ROCPRIM_400000_NS6detail17trampoline_kernelINS0_14default_configENS1_25partition_config_selectorILNS1_17partition_subalgoE8EdNS0_10empty_typeEbEEZZNS1_14partition_implILS5_8ELb0ES3_jN6thrust23THRUST_200600_302600_NS6detail15normal_iteratorINSA_10device_ptrIdEEEEPS6_PKS6_NS0_5tupleIJSF_S6_EEENSJ_IJSG_SG_EEENS0_18inequality_wrapperINSA_8equal_toIdEEEEPmJS6_EEE10hipError_tPvRmT3_T4_T5_T6_T7_T9_mT8_P12ihipStream_tbDpT10_ENKUlT_T0_E_clISt17integral_constantIbLb0EES19_IbLb1EEEEDaS15_S16_EUlS15_E_NS1_11comp_targetILNS1_3genE2ELNS1_11target_archE906ELNS1_3gpuE6ELNS1_3repE0EEENS1_30default_config_static_selectorELNS0_4arch9wavefront6targetE1EEEvT1_,@function
_ZN7rocprim17ROCPRIM_400000_NS6detail17trampoline_kernelINS0_14default_configENS1_25partition_config_selectorILNS1_17partition_subalgoE8EdNS0_10empty_typeEbEEZZNS1_14partition_implILS5_8ELb0ES3_jN6thrust23THRUST_200600_302600_NS6detail15normal_iteratorINSA_10device_ptrIdEEEEPS6_PKS6_NS0_5tupleIJSF_S6_EEENSJ_IJSG_SG_EEENS0_18inequality_wrapperINSA_8equal_toIdEEEEPmJS6_EEE10hipError_tPvRmT3_T4_T5_T6_T7_T9_mT8_P12ihipStream_tbDpT10_ENKUlT_T0_E_clISt17integral_constantIbLb0EES19_IbLb1EEEEDaS15_S16_EUlS15_E_NS1_11comp_targetILNS1_3genE2ELNS1_11target_archE906ELNS1_3gpuE6ELNS1_3repE0EEENS1_30default_config_static_selectorELNS0_4arch9wavefront6targetE1EEEvT1_: ; @_ZN7rocprim17ROCPRIM_400000_NS6detail17trampoline_kernelINS0_14default_configENS1_25partition_config_selectorILNS1_17partition_subalgoE8EdNS0_10empty_typeEbEEZZNS1_14partition_implILS5_8ELb0ES3_jN6thrust23THRUST_200600_302600_NS6detail15normal_iteratorINSA_10device_ptrIdEEEEPS6_PKS6_NS0_5tupleIJSF_S6_EEENSJ_IJSG_SG_EEENS0_18inequality_wrapperINSA_8equal_toIdEEEEPmJS6_EEE10hipError_tPvRmT3_T4_T5_T6_T7_T9_mT8_P12ihipStream_tbDpT10_ENKUlT_T0_E_clISt17integral_constantIbLb0EES19_IbLb1EEEEDaS15_S16_EUlS15_E_NS1_11comp_targetILNS1_3genE2ELNS1_11target_archE906ELNS1_3gpuE6ELNS1_3repE0EEENS1_30default_config_static_selectorELNS0_4arch9wavefront6targetE1EEEvT1_
; %bb.0:
	s_load_dwordx2 s[24:25], s[4:5], 0x28
	s_load_dwordx4 s[20:23], s[4:5], 0x40
	s_load_dwordx2 s[6:7], s[4:5], 0x50
	s_load_dwordx2 s[28:29], s[4:5], 0x60
	v_cmp_ne_u32_e64 s[2:3], 0, v0
	v_cmp_eq_u32_e64 s[0:1], 0, v0
	s_and_saveexec_b64 s[8:9], s[0:1]
	s_cbranch_execz .LBB43_4
; %bb.1:
	s_mov_b64 s[12:13], exec
	v_mbcnt_lo_u32_b32 v1, s12, 0
	v_mbcnt_hi_u32_b32 v1, s13, v1
	v_cmp_eq_u32_e32 vcc, 0, v1
                                        ; implicit-def: $vgpr2
	s_and_saveexec_b64 s[10:11], vcc
	s_cbranch_execz .LBB43_3
; %bb.2:
	s_load_dwordx2 s[14:15], s[4:5], 0x70
	s_bcnt1_i32_b64 s12, s[12:13]
	v_mov_b32_e32 v2, 0
	v_mov_b32_e32 v3, s12
	s_waitcnt lgkmcnt(0)
	global_atomic_add v2, v2, v3, s[14:15] glc
.LBB43_3:
	s_or_b64 exec, exec, s[10:11]
	s_waitcnt vmcnt(0)
	v_readfirstlane_b32 s10, v2
	v_add_u32_e32 v1, s10, v1
	v_mov_b32_e32 v2, 0
	ds_write_b32 v2, v1
.LBB43_4:
	s_or_b64 exec, exec, s[8:9]
	v_mov_b32_e32 v2, 0
	s_load_dwordx4 s[8:11], s[4:5], 0x8
	s_load_dword s12, s[4:5], 0x68
	s_waitcnt lgkmcnt(0)
	s_barrier
	ds_read_b32 v1, v2
	s_waitcnt lgkmcnt(0)
	s_barrier
	global_load_dwordx2 v[17:18], v2, s[22:23]
	s_lshl_b64 s[4:5], s[10:11], 3
	s_add_u32 s8, s8, s4
	s_movk_i32 s4, 0x700
	v_readfirstlane_b32 s33, v1
	v_mul_lo_u32 v1, v1, s4
	s_mul_i32 s4, s12, 0x700
	s_addc_u32 s9, s9, s5
	s_add_i32 s5, s4, s10
	s_add_i32 s13, s12, -1
	s_sub_i32 s38, s6, s5
	s_add_u32 s4, s10, s4
	s_addc_u32 s5, s11, 0
	v_mov_b32_e32 v3, s4
	v_mov_b32_e32 v4, s5
	v_cmp_le_u64_e32 vcc, s[6:7], v[3:4]
	s_cmp_eq_u32 s33, s13
	v_lshlrev_b64 v[1:2], 3, v[1:2]
	s_cselect_b64 s[22:23], -1, 0
	s_and_b64 s[16:17], vcc, s[22:23]
	v_mov_b32_e32 v3, s9
	v_add_co_u32_e32 v19, vcc, s8, v1
	s_xor_b64 s[26:27], s[16:17], -1
	v_addc_co_u32_e32 v20, vcc, v3, v2, vcc
	s_mov_b64 s[4:5], -1
	s_and_b64 vcc, exec, s[26:27]
	v_lshlrev_b32_e32 v37, 3, v0
	s_cbranch_vccz .LBB43_6
; %bb.5:
	v_lshlrev_b32_e32 v23, 3, v0
	v_add_co_u32_e32 v1, vcc, v19, v23
	v_addc_co_u32_e32 v2, vcc, 0, v20, vcc
	v_add_co_u32_e32 v3, vcc, 0x1000, v1
	v_addc_co_u32_e32 v4, vcc, 0, v2, vcc
	flat_load_dwordx2 v[5:6], v[1:2]
	flat_load_dwordx2 v[7:8], v[1:2] offset:2048
	flat_load_dwordx2 v[9:10], v[3:4]
	flat_load_dwordx2 v[11:12], v[3:4] offset:2048
	v_add_co_u32_e32 v3, vcc, 0x2000, v1
	v_addc_co_u32_e32 v4, vcc, 0, v2, vcc
	v_add_co_u32_e32 v1, vcc, 0x3000, v1
	v_addc_co_u32_e32 v2, vcc, 0, v2, vcc
	flat_load_dwordx2 v[13:14], v[3:4]
	flat_load_dwordx2 v[15:16], v[3:4] offset:2048
	flat_load_dwordx2 v[21:22], v[1:2]
	s_mov_b64 s[4:5], 0
	s_waitcnt vmcnt(0) lgkmcnt(0)
	ds_write2st64_b64 v23, v[5:6], v[7:8] offset1:4
	ds_write2st64_b64 v23, v[9:10], v[11:12] offset0:8 offset1:12
	ds_write2st64_b64 v23, v[13:14], v[15:16] offset0:16 offset1:20
	ds_write_b64 v23, v[21:22] offset:12288
	s_waitcnt lgkmcnt(0)
	s_barrier
.LBB43_6:
	s_andn2_b64 vcc, exec, s[4:5]
	s_addk_i32 s38, 0x700
	s_cbranch_vccnz .LBB43_22
; %bb.7:
	v_mov_b32_e32 v1, 0
	v_cmp_gt_u32_e32 vcc, s38, v0
	v_mov_b32_e32 v2, v1
	v_mov_b32_e32 v3, v1
	;; [unrolled: 1-line block ×13, first 2 shown]
	s_and_saveexec_b64 s[4:5], vcc
	s_cbranch_execz .LBB43_9
; %bb.8:
	v_lshlrev_b32_e32 v2, 3, v0
	v_add_co_u32_e32 v2, vcc, v19, v2
	v_addc_co_u32_e32 v3, vcc, 0, v20, vcc
	flat_load_dwordx2 v[2:3], v[2:3]
	v_mov_b32_e32 v4, v1
	v_mov_b32_e32 v5, v1
	;; [unrolled: 1-line block ×12, first 2 shown]
	s_waitcnt vmcnt(0) lgkmcnt(0)
	v_mov_b32_e32 v1, v2
	v_mov_b32_e32 v2, v3
	;; [unrolled: 1-line block ×16, first 2 shown]
.LBB43_9:
	s_or_b64 exec, exec, s[4:5]
	v_or_b32_e32 v15, 0x100, v0
	v_cmp_gt_u32_e32 vcc, s38, v15
	s_and_saveexec_b64 s[4:5], vcc
	s_cbranch_execz .LBB43_11
; %bb.10:
	v_lshlrev_b32_e32 v3, 3, v0
	v_add_co_u32_e32 v3, vcc, v19, v3
	v_addc_co_u32_e32 v4, vcc, 0, v20, vcc
	flat_load_dwordx2 v[3:4], v[3:4] offset:2048
.LBB43_11:
	s_or_b64 exec, exec, s[4:5]
	v_or_b32_e32 v15, 0x200, v0
	v_cmp_gt_u32_e32 vcc, s38, v15
	s_and_saveexec_b64 s[4:5], vcc
	s_cbranch_execz .LBB43_13
; %bb.12:
	v_lshlrev_b32_e32 v5, 3, v15
	v_add_co_u32_e32 v5, vcc, v19, v5
	v_addc_co_u32_e32 v6, vcc, 0, v20, vcc
	flat_load_dwordx2 v[5:6], v[5:6]
.LBB43_13:
	s_or_b64 exec, exec, s[4:5]
	v_or_b32_e32 v15, 0x300, v0
	v_cmp_gt_u32_e32 vcc, s38, v15
	s_and_saveexec_b64 s[4:5], vcc
	s_cbranch_execz .LBB43_15
; %bb.14:
	v_lshlrev_b32_e32 v7, 3, v15
	v_add_co_u32_e32 v7, vcc, v19, v7
	v_addc_co_u32_e32 v8, vcc, 0, v20, vcc
	flat_load_dwordx2 v[7:8], v[7:8]
.LBB43_15:
	;; [unrolled: 11-line block ×5, first 2 shown]
	s_or_b64 exec, exec, s[4:5]
	v_lshlrev_b32_e32 v15, 3, v0
	s_waitcnt vmcnt(0) lgkmcnt(0)
	ds_write2st64_b64 v15, v[1:2], v[3:4] offset1:4
	ds_write2st64_b64 v15, v[5:6], v[7:8] offset0:8 offset1:12
	ds_write2st64_b64 v15, v[9:10], v[11:12] offset0:16 offset1:20
	ds_write_b64 v15, v[13:14] offset:12288
	s_waitcnt lgkmcnt(0)
	s_barrier
.LBB43_22:
	v_mul_u32_u24_e32 v21, 7, v0
	v_lshlrev_b32_e32 v22, 3, v21
	ds_read2_b64 v[9:12], v22 offset1:1
	ds_read2_b64 v[5:8], v22 offset0:2 offset1:3
	ds_read2_b64 v[1:4], v22 offset0:4 offset1:5
	ds_read_b64 v[13:14], v22 offset:48
	s_cmp_lg_u32 s33, 0
	s_cselect_b64 s[18:19], -1, 0
	s_cmp_lg_u64 s[10:11], 0
	s_cselect_b64 s[4:5], -1, 0
	s_or_b64 s[4:5], s[4:5], s[18:19]
	s_mov_b64 s[30:31], 0
	s_and_b64 vcc, exec, s[4:5]
	s_waitcnt vmcnt(0) lgkmcnt(0)
	s_barrier
	s_cbranch_vccz .LBB43_27
; %bb.23:
	v_add_co_u32_e32 v15, vcc, -8, v19
	v_addc_co_u32_e32 v16, vcc, -1, v20, vcc
	flat_load_dwordx2 v[15:16], v[15:16]
	v_lshlrev_b32_e32 v23, 3, v0
	s_and_b64 vcc, exec, s[26:27]
	ds_write_b64 v23, v[13:14]
	s_cbranch_vccz .LBB43_28
; %bb.24:
	s_waitcnt vmcnt(0) lgkmcnt(0)
	v_mov_b32_e32 v20, v16
	v_mov_b32_e32 v19, v15
	s_barrier
	s_and_saveexec_b64 s[4:5], s[2:3]
; %bb.25:
	v_add_u32_e32 v19, -8, v23
	ds_read_b64 v[19:20], v19
; %bb.26:
	s_or_b64 exec, exec, s[4:5]
	v_cmp_neq_f64_e32 vcc, v[3:4], v[13:14]
	s_waitcnt lgkmcnt(0)
	v_cmp_neq_f64_e64 s[34:35], v[19:20], v[9:10]
	v_cndmask_b32_e64 v38, 0, 1, vcc
	v_cmp_neq_f64_e32 vcc, v[1:2], v[3:4]
	v_cndmask_b32_e64 v39, 0, 1, vcc
	v_cmp_neq_f64_e32 vcc, v[7:8], v[1:2]
	;; [unrolled: 2-line block ×5, first 2 shown]
	v_cndmask_b32_e64 v43, 0, 1, vcc
	s_branch .LBB43_32
.LBB43_27:
                                        ; implicit-def: $sgpr34_sgpr35
                                        ; implicit-def: $vgpr38
                                        ; implicit-def: $vgpr39
                                        ; implicit-def: $vgpr40
                                        ; implicit-def: $vgpr41
                                        ; implicit-def: $vgpr42
                                        ; implicit-def: $vgpr43
	s_branch .LBB43_33
.LBB43_28:
                                        ; implicit-def: $sgpr34_sgpr35
                                        ; implicit-def: $vgpr38
                                        ; implicit-def: $vgpr39
                                        ; implicit-def: $vgpr40
                                        ; implicit-def: $vgpr41
                                        ; implicit-def: $vgpr42
                                        ; implicit-def: $vgpr43
	s_cbranch_execz .LBB43_32
; %bb.29:
	s_waitcnt vmcnt(0) lgkmcnt(0)
	s_barrier
	s_and_saveexec_b64 s[4:5], s[2:3]
; %bb.30:
	v_add_u32_e32 v15, -8, v23
	ds_read_b64 v[15:16], v15
; %bb.31:
	s_or_b64 exec, exec, s[4:5]
	v_cmp_neq_f64_e32 vcc, v[3:4], v[13:14]
	v_cmp_neq_f64_e64 s[4:5], v[1:2], v[3:4]
	v_cmp_neq_f64_e64 s[6:7], v[7:8], v[1:2]
	v_add_u32_e32 v19, 6, v21
	v_cmp_gt_u32_e64 s[8:9], s38, v19
	v_add_u32_e32 v20, 5, v21
	v_cmp_gt_u32_e64 s[10:11], s38, v20
	v_add_u32_e32 v19, 4, v21
	s_and_b64 s[8:9], s[8:9], vcc
	v_cmp_neq_f64_e32 vcc, v[5:6], v[7:8]
	s_and_b64 s[4:5], s[10:11], s[4:5]
	v_cndmask_b32_e64 v39, 0, 1, s[4:5]
	v_cmp_gt_u32_e64 s[4:5], s38, v19
	s_and_b64 s[4:5], s[4:5], s[6:7]
	v_cndmask_b32_e64 v40, 0, 1, s[4:5]
	v_add_u32_e32 v19, 3, v21
	v_cmp_neq_f64_e64 s[4:5], v[11:12], v[5:6]
	v_cmp_gt_u32_e64 s[6:7], s38, v19
	s_and_b64 s[6:7], s[6:7], vcc
	v_cmp_neq_f64_e32 vcc, v[9:10], v[11:12]
	v_cndmask_b32_e64 v38, 0, 1, s[8:9]
	s_waitcnt lgkmcnt(0)
	v_cmp_neq_f64_e64 s[8:9], v[15:16], v[9:10]
	v_add_u32_e32 v19, 2, v21
	v_cndmask_b32_e64 v41, 0, 1, s[6:7]
	v_cmp_gt_u32_e64 s[6:7], s38, v19
	s_and_b64 s[4:5], s[6:7], s[4:5]
	v_add_u32_e32 v15, 1, v21
	v_cndmask_b32_e64 v42, 0, 1, s[4:5]
	v_cmp_gt_u32_e64 s[4:5], s38, v15
	s_and_b64 s[4:5], s[4:5], vcc
	v_cmp_gt_u32_e32 vcc, s38, v21
	v_cndmask_b32_e64 v43, 0, 1, s[4:5]
	s_and_b64 s[34:35], vcc, s[8:9]
.LBB43_32:
	s_mov_b64 s[30:31], -1
	s_cbranch_execnz .LBB43_41
.LBB43_33:
	v_cmp_neq_f64_e64 s[4:5], v[3:4], v[13:14]
	v_cmp_neq_f64_e64 s[6:7], v[1:2], v[3:4]
	;; [unrolled: 1-line block ×6, first 2 shown]
	s_movk_i32 s34, 0xffd0
	s_waitcnt vmcnt(0) lgkmcnt(0)
	v_mad_i32_i24 v15, v0, s34, v22
	s_and_b64 vcc, exec, s[26:27]
	ds_write_b64 v15, v[13:14]
	s_cbranch_vccz .LBB43_37
; %bb.34:
	s_waitcnt lgkmcnt(0)
	s_barrier
                                        ; implicit-def: $sgpr34_sgpr35
	s_and_saveexec_b64 s[36:37], s[2:3]
	s_xor_b64 s[36:37], exec, s[36:37]
	s_cbranch_execz .LBB43_36
; %bb.35:
	v_add_u32_e32 v16, -8, v15
	ds_read_b64 v[19:20], v16
	s_or_b64 s[30:31], s[30:31], exec
	s_waitcnt lgkmcnt(0)
	v_cmp_neq_f64_e64 s[34:35], v[19:20], v[9:10]
.LBB43_36:
	s_or_b64 exec, exec, s[36:37]
	v_cndmask_b32_e64 v38, 0, 1, s[4:5]
	v_cndmask_b32_e64 v39, 0, 1, s[6:7]
	;; [unrolled: 1-line block ×6, first 2 shown]
	s_branch .LBB43_41
.LBB43_37:
                                        ; implicit-def: $sgpr34_sgpr35
                                        ; implicit-def: $vgpr38
                                        ; implicit-def: $vgpr39
                                        ; implicit-def: $vgpr40
                                        ; implicit-def: $vgpr41
                                        ; implicit-def: $vgpr42
                                        ; implicit-def: $vgpr43
	s_cbranch_execz .LBB43_41
; %bb.38:
	v_cmp_neq_f64_e32 vcc, v[3:4], v[13:14]
	v_cmp_neq_f64_e64 s[4:5], v[1:2], v[3:4]
	v_cmp_neq_f64_e64 s[6:7], v[7:8], v[1:2]
	v_add_u32_e32 v16, 6, v21
	v_add_u32_e32 v19, 5, v21
	v_cmp_gt_u32_e64 s[8:9], s38, v16
	v_cmp_gt_u32_e64 s[10:11], s38, v19
	v_add_u32_e32 v16, 4, v21
	s_and_b64 s[12:13], s[8:9], vcc
	v_cmp_neq_f64_e32 vcc, v[5:6], v[7:8]
	s_and_b64 s[10:11], s[10:11], s[4:5]
	v_cmp_gt_u32_e64 s[4:5], s38, v16
	v_cmp_neq_f64_e64 s[8:9], v[11:12], v[5:6]
	s_and_b64 s[14:15], s[4:5], s[6:7]
	v_cmp_neq_f64_e64 s[4:5], v[9:10], v[11:12]
	v_add_u32_e32 v16, 3, v21
	v_cmp_gt_u32_e64 s[6:7], s38, v16
	v_add_u32_e32 v16, 2, v21
	s_and_b64 s[6:7], s[6:7], vcc
	v_cmp_gt_u32_e32 vcc, s38, v16
	v_add_u32_e32 v16, 1, v21
	s_and_b64 s[8:9], vcc, s[8:9]
	v_cmp_gt_u32_e32 vcc, s38, v16
	s_and_b64 s[4:5], vcc, s[4:5]
	s_waitcnt lgkmcnt(0)
	s_barrier
                                        ; implicit-def: $sgpr34_sgpr35
	s_and_saveexec_b64 s[36:37], s[2:3]
	s_cbranch_execz .LBB43_40
; %bb.39:
	v_add_u32_e32 v15, -8, v15
	ds_read_b64 v[15:16], v15
	v_cmp_gt_u32_e64 s[2:3], s38, v21
	s_or_b64 s[30:31], s[30:31], exec
	s_waitcnt lgkmcnt(0)
	v_cmp_neq_f64_e32 vcc, v[15:16], v[9:10]
	s_and_b64 s[34:35], s[2:3], vcc
.LBB43_40:
	s_or_b64 exec, exec, s[36:37]
	v_cndmask_b32_e64 v38, 0, 1, s[12:13]
	v_cndmask_b32_e64 v39, 0, 1, s[10:11]
	;; [unrolled: 1-line block ×6, first 2 shown]
.LBB43_41:
	v_mov_b32_e32 v28, 1
	s_and_saveexec_b64 s[2:3], s[30:31]
; %bb.42:
	v_cndmask_b32_e64 v28, 0, 1, s[34:35]
; %bb.43:
	s_or_b64 exec, exec, s[2:3]
	s_andn2_b64 vcc, exec, s[16:17]
	s_cbranch_vccnz .LBB43_45
; %bb.44:
	v_cmp_gt_u32_e32 vcc, s38, v21
	s_waitcnt vmcnt(0) lgkmcnt(0)
	v_add_u32_e32 v15, 1, v21
	v_cndmask_b32_e32 v28, 0, v28, vcc
	v_cmp_gt_u32_e32 vcc, s38, v15
	v_add_u32_e32 v15, 2, v21
	v_cndmask_b32_e32 v43, 0, v43, vcc
	v_cmp_gt_u32_e32 vcc, s38, v15
	;; [unrolled: 3-line block ×6, first 2 shown]
	v_cndmask_b32_e32 v38, 0, v38, vcc
.LBB43_45:
	v_and_b32_e32 v27, 0xffff, v28
	v_and_b32_e32 v30, 0xff, v43
	;; [unrolled: 1-line block ×5, first 2 shown]
	s_waitcnt vmcnt(0) lgkmcnt(0)
	v_add3_u32 v16, v30, v27, v31
	v_and_b32_e32 v36, 0xff, v39
	v_and_b32_e32 v15, 0xff, v38
	v_add3_u32 v16, v16, v32, v34
	v_add3_u32 v44, v16, v36, v15
	v_mbcnt_lo_u32_b32 v15, -1, 0
	v_mbcnt_hi_u32_b32 v33, -1, v15
	v_and_b32_e32 v15, 15, v33
	v_cmp_eq_u32_e64 s[14:15], 0, v15
	v_cmp_lt_u32_e64 s[12:13], 1, v15
	v_cmp_lt_u32_e64 s[10:11], 3, v15
	;; [unrolled: 1-line block ×3, first 2 shown]
	v_and_b32_e32 v15, 16, v33
	v_cmp_eq_u32_e64 s[6:7], 0, v15
	v_or_b32_e32 v15, 63, v0
	v_cmp_lt_u32_e64 s[2:3], 31, v33
	v_lshrrev_b32_e32 v35, 6, v0
	v_cmp_eq_u32_e64 s[4:5], v0, v15
	s_and_b64 vcc, exec, s[18:19]
	s_barrier
	s_cbranch_vccz .LBB43_67
; %bb.46:
	v_mov_b32_dpp v15, v44 row_shr:1 row_mask:0xf bank_mask:0xf
	v_cndmask_b32_e64 v15, v15, 0, s[14:15]
	v_add_u32_e32 v15, v15, v44
	s_nop 1
	v_mov_b32_dpp v16, v15 row_shr:2 row_mask:0xf bank_mask:0xf
	v_cndmask_b32_e64 v16, 0, v16, s[12:13]
	v_add_u32_e32 v15, v15, v16
	s_nop 1
	v_mov_b32_dpp v16, v15 row_shr:4 row_mask:0xf bank_mask:0xf
	v_cndmask_b32_e64 v16, 0, v16, s[10:11]
	v_add_u32_e32 v15, v15, v16
	s_nop 1
	v_mov_b32_dpp v16, v15 row_shr:8 row_mask:0xf bank_mask:0xf
	v_cndmask_b32_e64 v16, 0, v16, s[8:9]
	v_add_u32_e32 v15, v15, v16
	s_nop 1
	v_mov_b32_dpp v16, v15 row_bcast:15 row_mask:0xf bank_mask:0xf
	v_cndmask_b32_e64 v16, v16, 0, s[6:7]
	v_add_u32_e32 v15, v15, v16
	s_nop 1
	v_mov_b32_dpp v16, v15 row_bcast:31 row_mask:0xf bank_mask:0xf
	v_cndmask_b32_e64 v16, 0, v16, s[2:3]
	v_add_u32_e32 v15, v15, v16
	s_and_saveexec_b64 s[16:17], s[4:5]
; %bb.47:
	v_lshlrev_b32_e32 v16, 2, v35
	ds_write_b32 v16, v15
; %bb.48:
	s_or_b64 exec, exec, s[16:17]
	v_cmp_gt_u32_e32 vcc, 4, v0
	s_waitcnt lgkmcnt(0)
	s_barrier
	s_and_saveexec_b64 s[16:17], vcc
	s_cbranch_execz .LBB43_50
; %bb.49:
	v_lshlrev_b32_e32 v16, 2, v0
	ds_read_b32 v19, v16
	v_and_b32_e32 v20, 3, v33
	v_cmp_ne_u32_e32 vcc, 0, v20
	s_waitcnt lgkmcnt(0)
	v_mov_b32_dpp v21, v19 row_shr:1 row_mask:0xf bank_mask:0xf
	v_cndmask_b32_e32 v21, 0, v21, vcc
	v_add_u32_e32 v19, v21, v19
	v_cmp_lt_u32_e32 vcc, 1, v20
	s_nop 0
	v_mov_b32_dpp v21, v19 row_shr:2 row_mask:0xf bank_mask:0xf
	v_cndmask_b32_e32 v20, 0, v21, vcc
	v_add_u32_e32 v19, v19, v20
	ds_write_b32 v16, v19
.LBB43_50:
	s_or_b64 exec, exec, s[16:17]
	v_cmp_gt_u32_e32 vcc, 64, v0
	v_cmp_lt_u32_e64 s[16:17], 63, v0
	s_waitcnt lgkmcnt(0)
	s_barrier
                                        ; implicit-def: $vgpr29
	s_and_saveexec_b64 s[18:19], s[16:17]
	s_cbranch_execz .LBB43_52
; %bb.51:
	v_lshl_add_u32 v16, v35, 2, -4
	ds_read_b32 v29, v16
	s_waitcnt lgkmcnt(0)
	v_add_u32_e32 v15, v29, v15
.LBB43_52:
	s_or_b64 exec, exec, s[18:19]
	v_subrev_co_u32_e64 v16, s[16:17], 1, v33
	v_and_b32_e32 v19, 64, v33
	v_cmp_lt_i32_e64 s[18:19], v16, v19
	v_cndmask_b32_e64 v16, v16, v33, s[18:19]
	v_lshlrev_b32_e32 v16, 2, v16
	ds_bpermute_b32 v45, v16, v15
	s_and_saveexec_b64 s[18:19], vcc
	s_cbranch_execz .LBB43_72
; %bb.53:
	v_mov_b32_e32 v23, 0
	ds_read_b32 v15, v23 offset:12
	s_and_saveexec_b64 s[30:31], s[16:17]
	s_cbranch_execz .LBB43_55
; %bb.54:
	s_add_i32 s34, s33, 64
	s_mov_b32 s35, 0
	s_lshl_b64 s[34:35], s[34:35], 3
	s_add_u32 s34, s28, s34
	v_mov_b32_e32 v16, 1
	s_addc_u32 s35, s29, s35
	s_waitcnt lgkmcnt(0)
	global_store_dwordx2 v23, v[15:16], s[34:35]
.LBB43_55:
	s_or_b64 exec, exec, s[30:31]
	v_xad_u32 v19, v33, -1, s33
	v_add_u32_e32 v22, 64, v19
	v_lshlrev_b64 v[20:21], 3, v[22:23]
	v_mov_b32_e32 v16, s29
	v_add_co_u32_e32 v24, vcc, s28, v20
	v_addc_co_u32_e32 v25, vcc, v16, v21, vcc
	global_load_dwordx2 v[21:22], v[24:25], off glc
	s_waitcnt vmcnt(0)
	v_cmp_eq_u16_sdwa s[34:35], v22, v23 src0_sel:BYTE_0 src1_sel:DWORD
	s_and_saveexec_b64 s[30:31], s[34:35]
	s_cbranch_execz .LBB43_59
; %bb.56:
	s_mov_b64 s[34:35], 0
	v_mov_b32_e32 v16, 0
.LBB43_57:                              ; =>This Inner Loop Header: Depth=1
	global_load_dwordx2 v[21:22], v[24:25], off glc
	s_waitcnt vmcnt(0)
	v_cmp_ne_u16_sdwa s[36:37], v22, v16 src0_sel:BYTE_0 src1_sel:DWORD
	s_or_b64 s[34:35], s[36:37], s[34:35]
	s_andn2_b64 exec, exec, s[34:35]
	s_cbranch_execnz .LBB43_57
; %bb.58:
	s_or_b64 exec, exec, s[34:35]
.LBB43_59:
	s_or_b64 exec, exec, s[30:31]
	v_and_b32_e32 v47, 63, v33
	v_mov_b32_e32 v46, 2
	v_lshlrev_b64 v[23:24], v33, -1
	v_cmp_ne_u32_e32 vcc, 63, v47
	v_cmp_eq_u16_sdwa s[30:31], v22, v46 src0_sel:BYTE_0 src1_sel:DWORD
	v_addc_co_u32_e32 v25, vcc, 0, v33, vcc
	v_and_b32_e32 v16, s31, v24
	v_lshlrev_b32_e32 v48, 2, v25
	v_or_b32_e32 v16, 0x80000000, v16
	ds_bpermute_b32 v25, v48, v21
	v_and_b32_e32 v20, s30, v23
	v_ffbl_b32_e32 v16, v16
	v_add_u32_e32 v16, 32, v16
	v_ffbl_b32_e32 v20, v20
	v_min_u32_e32 v16, v20, v16
	v_cmp_lt_u32_e32 vcc, v47, v16
	s_waitcnt lgkmcnt(0)
	v_cndmask_b32_e32 v20, 0, v25, vcc
	v_cmp_gt_u32_e32 vcc, 62, v47
	v_add_u32_e32 v20, v20, v21
	v_cndmask_b32_e64 v21, 0, 2, vcc
	v_add_lshl_u32 v49, v21, v33, 2
	ds_bpermute_b32 v21, v49, v20
	v_add_u32_e32 v50, 2, v47
	v_cmp_le_u32_e32 vcc, v50, v16
	v_add_u32_e32 v52, 4, v47
	v_add_u32_e32 v54, 8, v47
	s_waitcnt lgkmcnt(0)
	v_cndmask_b32_e32 v21, 0, v21, vcc
	v_cmp_gt_u32_e32 vcc, 60, v47
	v_add_u32_e32 v20, v20, v21
	v_cndmask_b32_e64 v21, 0, 4, vcc
	v_add_lshl_u32 v51, v21, v33, 2
	ds_bpermute_b32 v21, v51, v20
	v_cmp_le_u32_e32 vcc, v52, v16
	v_add_u32_e32 v56, 16, v47
	v_add_u32_e32 v58, 32, v47
	s_waitcnt lgkmcnt(0)
	v_cndmask_b32_e32 v21, 0, v21, vcc
	v_cmp_gt_u32_e32 vcc, 56, v47
	v_add_u32_e32 v20, v20, v21
	v_cndmask_b32_e64 v21, 0, 8, vcc
	v_add_lshl_u32 v53, v21, v33, 2
	ds_bpermute_b32 v21, v53, v20
	v_cmp_le_u32_e32 vcc, v54, v16
	s_waitcnt lgkmcnt(0)
	v_cndmask_b32_e32 v21, 0, v21, vcc
	v_cmp_gt_u32_e32 vcc, 48, v47
	v_add_u32_e32 v20, v20, v21
	v_cndmask_b32_e64 v21, 0, 16, vcc
	v_add_lshl_u32 v55, v21, v33, 2
	ds_bpermute_b32 v21, v55, v20
	v_cmp_le_u32_e32 vcc, v56, v16
	s_waitcnt lgkmcnt(0)
	v_cndmask_b32_e32 v21, 0, v21, vcc
	v_add_u32_e32 v20, v20, v21
	v_mov_b32_e32 v21, 0x80
	v_lshl_or_b32 v57, v33, 2, v21
	ds_bpermute_b32 v21, v57, v20
	v_cmp_le_u32_e32 vcc, v58, v16
	s_waitcnt lgkmcnt(0)
	v_cndmask_b32_e32 v16, 0, v21, vcc
	v_add_u32_e32 v21, v20, v16
	v_mov_b32_e32 v20, 0
	s_branch .LBB43_62
.LBB43_60:                              ;   in Loop: Header=BB43_62 Depth=1
	s_or_b64 exec, exec, s[30:31]
	v_cmp_eq_u16_sdwa s[30:31], v22, v46 src0_sel:BYTE_0 src1_sel:DWORD
	v_and_b32_e32 v25, s31, v24
	v_or_b32_e32 v25, 0x80000000, v25
	ds_bpermute_b32 v59, v48, v21
	v_and_b32_e32 v26, s30, v23
	v_ffbl_b32_e32 v25, v25
	v_add_u32_e32 v25, 32, v25
	v_ffbl_b32_e32 v26, v26
	v_min_u32_e32 v25, v26, v25
	v_cmp_lt_u32_e32 vcc, v47, v25
	s_waitcnt lgkmcnt(0)
	v_cndmask_b32_e32 v26, 0, v59, vcc
	v_add_u32_e32 v21, v26, v21
	ds_bpermute_b32 v26, v49, v21
	v_cmp_le_u32_e32 vcc, v50, v25
	v_subrev_u32_e32 v19, 64, v19
	s_mov_b64 s[30:31], 0
	s_waitcnt lgkmcnt(0)
	v_cndmask_b32_e32 v26, 0, v26, vcc
	v_add_u32_e32 v21, v21, v26
	ds_bpermute_b32 v26, v51, v21
	v_cmp_le_u32_e32 vcc, v52, v25
	s_waitcnt lgkmcnt(0)
	v_cndmask_b32_e32 v26, 0, v26, vcc
	v_add_u32_e32 v21, v21, v26
	ds_bpermute_b32 v26, v53, v21
	v_cmp_le_u32_e32 vcc, v54, v25
	;; [unrolled: 5-line block ×4, first 2 shown]
	s_waitcnt lgkmcnt(0)
	v_cndmask_b32_e32 v25, 0, v26, vcc
	v_add3_u32 v21, v25, v16, v21
.LBB43_61:                              ;   in Loop: Header=BB43_62 Depth=1
	s_and_b64 vcc, exec, s[30:31]
	s_cbranch_vccnz .LBB43_68
.LBB43_62:                              ; =>This Loop Header: Depth=1
                                        ;     Child Loop BB43_65 Depth 2
	v_cmp_ne_u16_sdwa s[30:31], v22, v46 src0_sel:BYTE_0 src1_sel:DWORD
	v_mov_b32_e32 v16, v21
	s_cmp_lg_u64 s[30:31], exec
	s_mov_b64 s[30:31], -1
                                        ; implicit-def: $vgpr21
                                        ; implicit-def: $vgpr22
	s_cbranch_scc1 .LBB43_61
; %bb.63:                               ;   in Loop: Header=BB43_62 Depth=1
	v_lshlrev_b64 v[21:22], 3, v[19:20]
	v_mov_b32_e32 v26, s29
	v_add_co_u32_e32 v25, vcc, s28, v21
	v_addc_co_u32_e32 v26, vcc, v26, v22, vcc
	global_load_dwordx2 v[21:22], v[25:26], off glc
	s_waitcnt vmcnt(0)
	v_cmp_eq_u16_sdwa s[34:35], v22, v20 src0_sel:BYTE_0 src1_sel:DWORD
	s_and_saveexec_b64 s[30:31], s[34:35]
	s_cbranch_execz .LBB43_60
; %bb.64:                               ;   in Loop: Header=BB43_62 Depth=1
	s_mov_b64 s[34:35], 0
.LBB43_65:                              ;   Parent Loop BB43_62 Depth=1
                                        ; =>  This Inner Loop Header: Depth=2
	global_load_dwordx2 v[21:22], v[25:26], off glc
	s_waitcnt vmcnt(0)
	v_cmp_ne_u16_sdwa s[36:37], v22, v20 src0_sel:BYTE_0 src1_sel:DWORD
	s_or_b64 s[34:35], s[36:37], s[34:35]
	s_andn2_b64 exec, exec, s[34:35]
	s_cbranch_execnz .LBB43_65
; %bb.66:                               ;   in Loop: Header=BB43_62 Depth=1
	s_or_b64 exec, exec, s[34:35]
	s_branch .LBB43_60
.LBB43_67:
                                        ; implicit-def: $vgpr19
                                        ; implicit-def: $vgpr15
                                        ; implicit-def: $vgpr29
	s_cbranch_execnz .LBB43_73
	s_branch .LBB43_82
.LBB43_68:
	s_and_saveexec_b64 s[30:31], s[16:17]
	s_cbranch_execz .LBB43_70
; %bb.69:
	s_add_i32 s34, s33, 64
	s_mov_b32 s35, 0
	s_lshl_b64 s[34:35], s[34:35], 3
	s_add_u32 s34, s28, s34
	v_add_u32_e32 v19, v16, v15
	v_mov_b32_e32 v20, 2
	s_addc_u32 s35, s29, s35
	v_mov_b32_e32 v21, 0
	global_store_dwordx2 v21, v[19:20], s[34:35]
	ds_write_b64 v21, v[15:16] offset:14336
.LBB43_70:
	s_or_b64 exec, exec, s[30:31]
	s_and_b64 exec, exec, s[0:1]
; %bb.71:
	v_mov_b32_e32 v15, 0
	ds_write_b32 v15, v16 offset:12
.LBB43_72:
	s_or_b64 exec, exec, s[18:19]
	v_mov_b32_e32 v15, 0
	s_waitcnt vmcnt(0) lgkmcnt(0)
	s_barrier
	ds_read_b32 v19, v15 offset:12
	s_waitcnt lgkmcnt(0)
	s_barrier
	ds_read_b64 v[15:16], v15 offset:14336
	v_cndmask_b32_e64 v20, v45, v29, s[16:17]
	v_cndmask_b32_e64 v20, v20, 0, s[0:1]
	v_add_u32_e32 v29, v19, v20
	s_waitcnt lgkmcnt(0)
	v_mov_b32_e32 v19, v16
	s_branch .LBB43_82
.LBB43_73:
	v_mov_b32_dpp v15, v44 row_shr:1 row_mask:0xf bank_mask:0xf
	v_cndmask_b32_e64 v15, v15, 0, s[14:15]
	v_add_u32_e32 v15, v15, v44
	s_nop 1
	v_mov_b32_dpp v16, v15 row_shr:2 row_mask:0xf bank_mask:0xf
	v_cndmask_b32_e64 v16, 0, v16, s[12:13]
	v_add_u32_e32 v15, v15, v16
	s_nop 1
	;; [unrolled: 4-line block ×4, first 2 shown]
	v_mov_b32_dpp v16, v15 row_bcast:15 row_mask:0xf bank_mask:0xf
	v_cndmask_b32_e64 v16, v16, 0, s[6:7]
	v_add_u32_e32 v15, v15, v16
	s_nop 1
	v_mov_b32_dpp v16, v15 row_bcast:31 row_mask:0xf bank_mask:0xf
	v_cndmask_b32_e64 v16, 0, v16, s[2:3]
	v_add_u32_e32 v15, v15, v16
	s_and_saveexec_b64 s[2:3], s[4:5]
; %bb.74:
	v_lshlrev_b32_e32 v16, 2, v35
	ds_write_b32 v16, v15
; %bb.75:
	s_or_b64 exec, exec, s[2:3]
	v_cmp_gt_u32_e32 vcc, 4, v0
	s_waitcnt lgkmcnt(0)
	s_barrier
	s_and_saveexec_b64 s[2:3], vcc
	s_cbranch_execz .LBB43_77
; %bb.76:
	v_lshlrev_b32_e32 v16, 2, v0
	ds_read_b32 v19, v16
	v_and_b32_e32 v20, 3, v33
	v_cmp_ne_u32_e32 vcc, 0, v20
	s_waitcnt lgkmcnt(0)
	v_mov_b32_dpp v21, v19 row_shr:1 row_mask:0xf bank_mask:0xf
	v_cndmask_b32_e32 v21, 0, v21, vcc
	v_add_u32_e32 v19, v21, v19
	v_cmp_lt_u32_e32 vcc, 1, v20
	s_nop 0
	v_mov_b32_dpp v21, v19 row_shr:2 row_mask:0xf bank_mask:0xf
	v_cndmask_b32_e32 v20, 0, v21, vcc
	v_add_u32_e32 v19, v19, v20
	ds_write_b32 v16, v19
.LBB43_77:
	s_or_b64 exec, exec, s[2:3]
	v_cmp_lt_u32_e32 vcc, 63, v0
	v_mov_b32_e32 v16, 0
	v_mov_b32_e32 v19, 0
	s_waitcnt lgkmcnt(0)
	s_barrier
	s_and_saveexec_b64 s[2:3], vcc
; %bb.78:
	v_lshl_add_u32 v19, v35, 2, -4
	ds_read_b32 v19, v19
; %bb.79:
	s_or_b64 exec, exec, s[2:3]
	v_subrev_co_u32_e32 v20, vcc, 1, v33
	v_and_b32_e32 v21, 64, v33
	v_cmp_lt_i32_e64 s[2:3], v20, v21
	v_cndmask_b32_e64 v20, v20, v33, s[2:3]
	s_waitcnt lgkmcnt(0)
	v_add_u32_e32 v15, v19, v15
	v_lshlrev_b32_e32 v20, 2, v20
	ds_bpermute_b32 v20, v20, v15
	ds_read_b32 v15, v16 offset:12
	s_and_saveexec_b64 s[2:3], s[0:1]
	s_cbranch_execz .LBB43_81
; %bb.80:
	v_mov_b32_e32 v21, 0
	v_mov_b32_e32 v16, 2
	s_waitcnt lgkmcnt(0)
	global_store_dwordx2 v21, v[15:16], s[28:29] offset:512
.LBB43_81:
	s_or_b64 exec, exec, s[2:3]
	s_waitcnt lgkmcnt(1)
	v_cndmask_b32_e32 v16, v20, v19, vcc
	v_cndmask_b32_e64 v29, v16, 0, s[0:1]
	s_waitcnt vmcnt(0) lgkmcnt(0)
	s_barrier
	v_mov_b32_e32 v19, 0
.LBB43_82:
	v_add_u32_e32 v35, v29, v27
	v_add_u32_e32 v33, v35, v30
	;; [unrolled: 1-line block ×4, first 2 shown]
	s_movk_i32 s4, 0x101
	v_add_u32_e32 v25, v27, v34
	v_cmp_gt_u32_e32 vcc, s4, v15
	v_lshlrev_b64 v[21:22], 3, v[17:18]
	v_add_u32_e32 v23, v25, v36
	s_mov_b64 s[2:3], -1
	v_and_b32_e32 v16, 1, v28
	s_cbranch_vccnz .LBB43_86
; %bb.83:
	s_and_b64 vcc, exec, s[2:3]
	s_cbranch_vccnz .LBB43_101
.LBB43_84:
	s_and_b64 s[0:1], s[0:1], s[22:23]
	s_and_saveexec_b64 s[2:3], s[0:1]
	s_cbranch_execnz .LBB43_118
.LBB43_85:
	s_endpgm
.LBB43_86:
	v_mov_b32_e32 v26, s25
	v_add_co_u32_e32 v20, vcc, s24, v21
	v_add_u32_e32 v24, v19, v15
	v_addc_co_u32_e32 v44, vcc, v26, v22, vcc
	v_cmp_lt_u32_e32 vcc, v29, v24
	s_or_b64 s[2:3], s[26:27], vcc
	v_cmp_eq_u32_e32 vcc, 1, v16
	s_and_b64 s[4:5], s[2:3], vcc
	s_and_saveexec_b64 s[2:3], s[4:5]
	s_cbranch_execz .LBB43_88
; %bb.87:
	v_mov_b32_e32 v30, 0
	v_lshlrev_b64 v[45:46], 3, v[29:30]
	v_add_co_u32_e32 v45, vcc, v20, v45
	v_addc_co_u32_e32 v46, vcc, v44, v46, vcc
	global_store_dwordx2 v[45:46], v[9:10], off
.LBB43_88:
	s_or_b64 exec, exec, s[2:3]
	v_cmp_lt_u32_e32 vcc, v35, v24
	v_and_b32_e32 v26, 1, v43
	s_or_b64 s[2:3], s[26:27], vcc
	v_cmp_eq_u32_e32 vcc, 1, v26
	s_and_b64 s[4:5], s[2:3], vcc
	s_and_saveexec_b64 s[2:3], s[4:5]
	s_cbranch_execz .LBB43_90
; %bb.89:
	v_mov_b32_e32 v36, 0
	v_lshlrev_b64 v[45:46], 3, v[35:36]
	v_add_co_u32_e32 v45, vcc, v20, v45
	v_addc_co_u32_e32 v46, vcc, v44, v46, vcc
	global_store_dwordx2 v[45:46], v[11:12], off
.LBB43_90:
	s_or_b64 exec, exec, s[2:3]
	v_cmp_lt_u32_e32 vcc, v33, v24
	v_and_b32_e32 v26, 1, v42
	;; [unrolled: 15-line block ×6, first 2 shown]
	s_or_b64 s[2:3], s[26:27], vcc
	v_cmp_eq_u32_e32 vcc, 1, v24
	s_and_b64 s[4:5], s[2:3], vcc
	s_and_saveexec_b64 s[2:3], s[4:5]
	s_cbranch_execz .LBB43_100
; %bb.99:
	v_mov_b32_e32 v24, 0
	v_lshlrev_b64 v[45:46], 3, v[23:24]
	v_add_co_u32_e32 v45, vcc, v20, v45
	v_addc_co_u32_e32 v46, vcc, v44, v46, vcc
	global_store_dwordx2 v[45:46], v[13:14], off
.LBB43_100:
	s_or_b64 exec, exec, s[2:3]
	s_branch .LBB43_84
.LBB43_101:
	v_cmp_eq_u32_e32 vcc, 1, v16
	s_and_saveexec_b64 s[2:3], vcc
; %bb.102:
	v_sub_u32_e32 v16, v29, v19
	v_lshlrev_b32_e32 v16, 3, v16
	ds_write_b64 v16, v[9:10]
; %bb.103:
	s_or_b64 exec, exec, s[2:3]
	v_and_b32_e32 v9, 1, v43
	v_cmp_eq_u32_e32 vcc, 1, v9
	s_and_saveexec_b64 s[2:3], vcc
; %bb.104:
	v_sub_u32_e32 v9, v35, v19
	v_lshlrev_b32_e32 v9, 3, v9
	ds_write_b64 v9, v[11:12]
; %bb.105:
	s_or_b64 exec, exec, s[2:3]
	v_and_b32_e32 v9, 1, v42
	;; [unrolled: 9-line block ×6, first 2 shown]
	v_cmp_eq_u32_e32 vcc, 1, v1
	s_and_saveexec_b64 s[2:3], vcc
; %bb.114:
	v_sub_u32_e32 v1, v23, v19
	v_lshlrev_b32_e32 v1, 3, v1
	ds_write_b64 v1, v[13:14]
; %bb.115:
	s_or_b64 exec, exec, s[2:3]
	v_mov_b32_e32 v1, 0
	v_mov_b32_e32 v20, v1
	;; [unrolled: 1-line block ×3, first 2 shown]
	v_add_co_u32_e32 v4, vcc, s24, v21
	v_addc_co_u32_e32 v5, vcc, v2, v22, vcc
	v_lshlrev_b64 v[2:3], 3, v[19:20]
	s_mov_b64 s[4:5], 0
	v_add_co_u32_e32 v2, vcc, v4, v2
	v_addc_co_u32_e32 v3, vcc, v5, v3, vcc
	s_waitcnt vmcnt(0) lgkmcnt(0)
	s_barrier
.LBB43_116:                             ; =>This Inner Loop Header: Depth=1
	ds_read_b64 v[6:7], v37
	v_lshlrev_b64 v[4:5], 3, v[0:1]
	v_add_u32_e32 v0, 0x100, v0
	v_cmp_ge_u32_e32 vcc, v0, v15
	v_add_co_u32_e64 v4, s[2:3], v2, v4
	v_add_u32_e32 v37, 0x800, v37
	v_addc_co_u32_e64 v5, s[2:3], v3, v5, s[2:3]
	s_or_b64 s[4:5], vcc, s[4:5]
	s_waitcnt lgkmcnt(0)
	global_store_dwordx2 v[4:5], v[6:7], off
	s_andn2_b64 exec, exec, s[4:5]
	s_cbranch_execnz .LBB43_116
; %bb.117:
	s_or_b64 exec, exec, s[4:5]
	s_and_b64 s[0:1], s[0:1], s[22:23]
	s_and_saveexec_b64 s[2:3], s[0:1]
	s_cbranch_execz .LBB43_85
.LBB43_118:
	v_add_co_u32_e32 v0, vcc, v17, v15
	v_addc_co_u32_e32 v1, vcc, 0, v18, vcc
	v_add_co_u32_e32 v0, vcc, v0, v19
	v_mov_b32_e32 v2, 0
	v_addc_co_u32_e32 v1, vcc, 0, v1, vcc
	global_store_dwordx2 v2, v[0:1], s[20:21]
	s_endpgm
	.section	.rodata,"a",@progbits
	.p2align	6, 0x0
	.amdhsa_kernel _ZN7rocprim17ROCPRIM_400000_NS6detail17trampoline_kernelINS0_14default_configENS1_25partition_config_selectorILNS1_17partition_subalgoE8EdNS0_10empty_typeEbEEZZNS1_14partition_implILS5_8ELb0ES3_jN6thrust23THRUST_200600_302600_NS6detail15normal_iteratorINSA_10device_ptrIdEEEEPS6_PKS6_NS0_5tupleIJSF_S6_EEENSJ_IJSG_SG_EEENS0_18inequality_wrapperINSA_8equal_toIdEEEEPmJS6_EEE10hipError_tPvRmT3_T4_T5_T6_T7_T9_mT8_P12ihipStream_tbDpT10_ENKUlT_T0_E_clISt17integral_constantIbLb0EES19_IbLb1EEEEDaS15_S16_EUlS15_E_NS1_11comp_targetILNS1_3genE2ELNS1_11target_archE906ELNS1_3gpuE6ELNS1_3repE0EEENS1_30default_config_static_selectorELNS0_4arch9wavefront6targetE1EEEvT1_
		.amdhsa_group_segment_fixed_size 14344
		.amdhsa_private_segment_fixed_size 0
		.amdhsa_kernarg_size 128
		.amdhsa_user_sgpr_count 6
		.amdhsa_user_sgpr_private_segment_buffer 1
		.amdhsa_user_sgpr_dispatch_ptr 0
		.amdhsa_user_sgpr_queue_ptr 0
		.amdhsa_user_sgpr_kernarg_segment_ptr 1
		.amdhsa_user_sgpr_dispatch_id 0
		.amdhsa_user_sgpr_flat_scratch_init 0
		.amdhsa_user_sgpr_private_segment_size 0
		.amdhsa_uses_dynamic_stack 0
		.amdhsa_system_sgpr_private_segment_wavefront_offset 0
		.amdhsa_system_sgpr_workgroup_id_x 1
		.amdhsa_system_sgpr_workgroup_id_y 0
		.amdhsa_system_sgpr_workgroup_id_z 0
		.amdhsa_system_sgpr_workgroup_info 0
		.amdhsa_system_vgpr_workitem_id 0
		.amdhsa_next_free_vgpr 60
		.amdhsa_next_free_sgpr 98
		.amdhsa_reserve_vcc 1
		.amdhsa_reserve_flat_scratch 0
		.amdhsa_float_round_mode_32 0
		.amdhsa_float_round_mode_16_64 0
		.amdhsa_float_denorm_mode_32 3
		.amdhsa_float_denorm_mode_16_64 3
		.amdhsa_dx10_clamp 1
		.amdhsa_ieee_mode 1
		.amdhsa_fp16_overflow 0
		.amdhsa_exception_fp_ieee_invalid_op 0
		.amdhsa_exception_fp_denorm_src 0
		.amdhsa_exception_fp_ieee_div_zero 0
		.amdhsa_exception_fp_ieee_overflow 0
		.amdhsa_exception_fp_ieee_underflow 0
		.amdhsa_exception_fp_ieee_inexact 0
		.amdhsa_exception_int_div_zero 0
	.end_amdhsa_kernel
	.section	.text._ZN7rocprim17ROCPRIM_400000_NS6detail17trampoline_kernelINS0_14default_configENS1_25partition_config_selectorILNS1_17partition_subalgoE8EdNS0_10empty_typeEbEEZZNS1_14partition_implILS5_8ELb0ES3_jN6thrust23THRUST_200600_302600_NS6detail15normal_iteratorINSA_10device_ptrIdEEEEPS6_PKS6_NS0_5tupleIJSF_S6_EEENSJ_IJSG_SG_EEENS0_18inequality_wrapperINSA_8equal_toIdEEEEPmJS6_EEE10hipError_tPvRmT3_T4_T5_T6_T7_T9_mT8_P12ihipStream_tbDpT10_ENKUlT_T0_E_clISt17integral_constantIbLb0EES19_IbLb1EEEEDaS15_S16_EUlS15_E_NS1_11comp_targetILNS1_3genE2ELNS1_11target_archE906ELNS1_3gpuE6ELNS1_3repE0EEENS1_30default_config_static_selectorELNS0_4arch9wavefront6targetE1EEEvT1_,"axG",@progbits,_ZN7rocprim17ROCPRIM_400000_NS6detail17trampoline_kernelINS0_14default_configENS1_25partition_config_selectorILNS1_17partition_subalgoE8EdNS0_10empty_typeEbEEZZNS1_14partition_implILS5_8ELb0ES3_jN6thrust23THRUST_200600_302600_NS6detail15normal_iteratorINSA_10device_ptrIdEEEEPS6_PKS6_NS0_5tupleIJSF_S6_EEENSJ_IJSG_SG_EEENS0_18inequality_wrapperINSA_8equal_toIdEEEEPmJS6_EEE10hipError_tPvRmT3_T4_T5_T6_T7_T9_mT8_P12ihipStream_tbDpT10_ENKUlT_T0_E_clISt17integral_constantIbLb0EES19_IbLb1EEEEDaS15_S16_EUlS15_E_NS1_11comp_targetILNS1_3genE2ELNS1_11target_archE906ELNS1_3gpuE6ELNS1_3repE0EEENS1_30default_config_static_selectorELNS0_4arch9wavefront6targetE1EEEvT1_,comdat
.Lfunc_end43:
	.size	_ZN7rocprim17ROCPRIM_400000_NS6detail17trampoline_kernelINS0_14default_configENS1_25partition_config_selectorILNS1_17partition_subalgoE8EdNS0_10empty_typeEbEEZZNS1_14partition_implILS5_8ELb0ES3_jN6thrust23THRUST_200600_302600_NS6detail15normal_iteratorINSA_10device_ptrIdEEEEPS6_PKS6_NS0_5tupleIJSF_S6_EEENSJ_IJSG_SG_EEENS0_18inequality_wrapperINSA_8equal_toIdEEEEPmJS6_EEE10hipError_tPvRmT3_T4_T5_T6_T7_T9_mT8_P12ihipStream_tbDpT10_ENKUlT_T0_E_clISt17integral_constantIbLb0EES19_IbLb1EEEEDaS15_S16_EUlS15_E_NS1_11comp_targetILNS1_3genE2ELNS1_11target_archE906ELNS1_3gpuE6ELNS1_3repE0EEENS1_30default_config_static_selectorELNS0_4arch9wavefront6targetE1EEEvT1_, .Lfunc_end43-_ZN7rocprim17ROCPRIM_400000_NS6detail17trampoline_kernelINS0_14default_configENS1_25partition_config_selectorILNS1_17partition_subalgoE8EdNS0_10empty_typeEbEEZZNS1_14partition_implILS5_8ELb0ES3_jN6thrust23THRUST_200600_302600_NS6detail15normal_iteratorINSA_10device_ptrIdEEEEPS6_PKS6_NS0_5tupleIJSF_S6_EEENSJ_IJSG_SG_EEENS0_18inequality_wrapperINSA_8equal_toIdEEEEPmJS6_EEE10hipError_tPvRmT3_T4_T5_T6_T7_T9_mT8_P12ihipStream_tbDpT10_ENKUlT_T0_E_clISt17integral_constantIbLb0EES19_IbLb1EEEEDaS15_S16_EUlS15_E_NS1_11comp_targetILNS1_3genE2ELNS1_11target_archE906ELNS1_3gpuE6ELNS1_3repE0EEENS1_30default_config_static_selectorELNS0_4arch9wavefront6targetE1EEEvT1_
                                        ; -- End function
	.set _ZN7rocprim17ROCPRIM_400000_NS6detail17trampoline_kernelINS0_14default_configENS1_25partition_config_selectorILNS1_17partition_subalgoE8EdNS0_10empty_typeEbEEZZNS1_14partition_implILS5_8ELb0ES3_jN6thrust23THRUST_200600_302600_NS6detail15normal_iteratorINSA_10device_ptrIdEEEEPS6_PKS6_NS0_5tupleIJSF_S6_EEENSJ_IJSG_SG_EEENS0_18inequality_wrapperINSA_8equal_toIdEEEEPmJS6_EEE10hipError_tPvRmT3_T4_T5_T6_T7_T9_mT8_P12ihipStream_tbDpT10_ENKUlT_T0_E_clISt17integral_constantIbLb0EES19_IbLb1EEEEDaS15_S16_EUlS15_E_NS1_11comp_targetILNS1_3genE2ELNS1_11target_archE906ELNS1_3gpuE6ELNS1_3repE0EEENS1_30default_config_static_selectorELNS0_4arch9wavefront6targetE1EEEvT1_.num_vgpr, 60
	.set _ZN7rocprim17ROCPRIM_400000_NS6detail17trampoline_kernelINS0_14default_configENS1_25partition_config_selectorILNS1_17partition_subalgoE8EdNS0_10empty_typeEbEEZZNS1_14partition_implILS5_8ELb0ES3_jN6thrust23THRUST_200600_302600_NS6detail15normal_iteratorINSA_10device_ptrIdEEEEPS6_PKS6_NS0_5tupleIJSF_S6_EEENSJ_IJSG_SG_EEENS0_18inequality_wrapperINSA_8equal_toIdEEEEPmJS6_EEE10hipError_tPvRmT3_T4_T5_T6_T7_T9_mT8_P12ihipStream_tbDpT10_ENKUlT_T0_E_clISt17integral_constantIbLb0EES19_IbLb1EEEEDaS15_S16_EUlS15_E_NS1_11comp_targetILNS1_3genE2ELNS1_11target_archE906ELNS1_3gpuE6ELNS1_3repE0EEENS1_30default_config_static_selectorELNS0_4arch9wavefront6targetE1EEEvT1_.num_agpr, 0
	.set _ZN7rocprim17ROCPRIM_400000_NS6detail17trampoline_kernelINS0_14default_configENS1_25partition_config_selectorILNS1_17partition_subalgoE8EdNS0_10empty_typeEbEEZZNS1_14partition_implILS5_8ELb0ES3_jN6thrust23THRUST_200600_302600_NS6detail15normal_iteratorINSA_10device_ptrIdEEEEPS6_PKS6_NS0_5tupleIJSF_S6_EEENSJ_IJSG_SG_EEENS0_18inequality_wrapperINSA_8equal_toIdEEEEPmJS6_EEE10hipError_tPvRmT3_T4_T5_T6_T7_T9_mT8_P12ihipStream_tbDpT10_ENKUlT_T0_E_clISt17integral_constantIbLb0EES19_IbLb1EEEEDaS15_S16_EUlS15_E_NS1_11comp_targetILNS1_3genE2ELNS1_11target_archE906ELNS1_3gpuE6ELNS1_3repE0EEENS1_30default_config_static_selectorELNS0_4arch9wavefront6targetE1EEEvT1_.numbered_sgpr, 39
	.set _ZN7rocprim17ROCPRIM_400000_NS6detail17trampoline_kernelINS0_14default_configENS1_25partition_config_selectorILNS1_17partition_subalgoE8EdNS0_10empty_typeEbEEZZNS1_14partition_implILS5_8ELb0ES3_jN6thrust23THRUST_200600_302600_NS6detail15normal_iteratorINSA_10device_ptrIdEEEEPS6_PKS6_NS0_5tupleIJSF_S6_EEENSJ_IJSG_SG_EEENS0_18inequality_wrapperINSA_8equal_toIdEEEEPmJS6_EEE10hipError_tPvRmT3_T4_T5_T6_T7_T9_mT8_P12ihipStream_tbDpT10_ENKUlT_T0_E_clISt17integral_constantIbLb0EES19_IbLb1EEEEDaS15_S16_EUlS15_E_NS1_11comp_targetILNS1_3genE2ELNS1_11target_archE906ELNS1_3gpuE6ELNS1_3repE0EEENS1_30default_config_static_selectorELNS0_4arch9wavefront6targetE1EEEvT1_.num_named_barrier, 0
	.set _ZN7rocprim17ROCPRIM_400000_NS6detail17trampoline_kernelINS0_14default_configENS1_25partition_config_selectorILNS1_17partition_subalgoE8EdNS0_10empty_typeEbEEZZNS1_14partition_implILS5_8ELb0ES3_jN6thrust23THRUST_200600_302600_NS6detail15normal_iteratorINSA_10device_ptrIdEEEEPS6_PKS6_NS0_5tupleIJSF_S6_EEENSJ_IJSG_SG_EEENS0_18inequality_wrapperINSA_8equal_toIdEEEEPmJS6_EEE10hipError_tPvRmT3_T4_T5_T6_T7_T9_mT8_P12ihipStream_tbDpT10_ENKUlT_T0_E_clISt17integral_constantIbLb0EES19_IbLb1EEEEDaS15_S16_EUlS15_E_NS1_11comp_targetILNS1_3genE2ELNS1_11target_archE906ELNS1_3gpuE6ELNS1_3repE0EEENS1_30default_config_static_selectorELNS0_4arch9wavefront6targetE1EEEvT1_.private_seg_size, 0
	.set _ZN7rocprim17ROCPRIM_400000_NS6detail17trampoline_kernelINS0_14default_configENS1_25partition_config_selectorILNS1_17partition_subalgoE8EdNS0_10empty_typeEbEEZZNS1_14partition_implILS5_8ELb0ES3_jN6thrust23THRUST_200600_302600_NS6detail15normal_iteratorINSA_10device_ptrIdEEEEPS6_PKS6_NS0_5tupleIJSF_S6_EEENSJ_IJSG_SG_EEENS0_18inequality_wrapperINSA_8equal_toIdEEEEPmJS6_EEE10hipError_tPvRmT3_T4_T5_T6_T7_T9_mT8_P12ihipStream_tbDpT10_ENKUlT_T0_E_clISt17integral_constantIbLb0EES19_IbLb1EEEEDaS15_S16_EUlS15_E_NS1_11comp_targetILNS1_3genE2ELNS1_11target_archE906ELNS1_3gpuE6ELNS1_3repE0EEENS1_30default_config_static_selectorELNS0_4arch9wavefront6targetE1EEEvT1_.uses_vcc, 1
	.set _ZN7rocprim17ROCPRIM_400000_NS6detail17trampoline_kernelINS0_14default_configENS1_25partition_config_selectorILNS1_17partition_subalgoE8EdNS0_10empty_typeEbEEZZNS1_14partition_implILS5_8ELb0ES3_jN6thrust23THRUST_200600_302600_NS6detail15normal_iteratorINSA_10device_ptrIdEEEEPS6_PKS6_NS0_5tupleIJSF_S6_EEENSJ_IJSG_SG_EEENS0_18inequality_wrapperINSA_8equal_toIdEEEEPmJS6_EEE10hipError_tPvRmT3_T4_T5_T6_T7_T9_mT8_P12ihipStream_tbDpT10_ENKUlT_T0_E_clISt17integral_constantIbLb0EES19_IbLb1EEEEDaS15_S16_EUlS15_E_NS1_11comp_targetILNS1_3genE2ELNS1_11target_archE906ELNS1_3gpuE6ELNS1_3repE0EEENS1_30default_config_static_selectorELNS0_4arch9wavefront6targetE1EEEvT1_.uses_flat_scratch, 0
	.set _ZN7rocprim17ROCPRIM_400000_NS6detail17trampoline_kernelINS0_14default_configENS1_25partition_config_selectorILNS1_17partition_subalgoE8EdNS0_10empty_typeEbEEZZNS1_14partition_implILS5_8ELb0ES3_jN6thrust23THRUST_200600_302600_NS6detail15normal_iteratorINSA_10device_ptrIdEEEEPS6_PKS6_NS0_5tupleIJSF_S6_EEENSJ_IJSG_SG_EEENS0_18inequality_wrapperINSA_8equal_toIdEEEEPmJS6_EEE10hipError_tPvRmT3_T4_T5_T6_T7_T9_mT8_P12ihipStream_tbDpT10_ENKUlT_T0_E_clISt17integral_constantIbLb0EES19_IbLb1EEEEDaS15_S16_EUlS15_E_NS1_11comp_targetILNS1_3genE2ELNS1_11target_archE906ELNS1_3gpuE6ELNS1_3repE0EEENS1_30default_config_static_selectorELNS0_4arch9wavefront6targetE1EEEvT1_.has_dyn_sized_stack, 0
	.set _ZN7rocprim17ROCPRIM_400000_NS6detail17trampoline_kernelINS0_14default_configENS1_25partition_config_selectorILNS1_17partition_subalgoE8EdNS0_10empty_typeEbEEZZNS1_14partition_implILS5_8ELb0ES3_jN6thrust23THRUST_200600_302600_NS6detail15normal_iteratorINSA_10device_ptrIdEEEEPS6_PKS6_NS0_5tupleIJSF_S6_EEENSJ_IJSG_SG_EEENS0_18inequality_wrapperINSA_8equal_toIdEEEEPmJS6_EEE10hipError_tPvRmT3_T4_T5_T6_T7_T9_mT8_P12ihipStream_tbDpT10_ENKUlT_T0_E_clISt17integral_constantIbLb0EES19_IbLb1EEEEDaS15_S16_EUlS15_E_NS1_11comp_targetILNS1_3genE2ELNS1_11target_archE906ELNS1_3gpuE6ELNS1_3repE0EEENS1_30default_config_static_selectorELNS0_4arch9wavefront6targetE1EEEvT1_.has_recursion, 0
	.set _ZN7rocprim17ROCPRIM_400000_NS6detail17trampoline_kernelINS0_14default_configENS1_25partition_config_selectorILNS1_17partition_subalgoE8EdNS0_10empty_typeEbEEZZNS1_14partition_implILS5_8ELb0ES3_jN6thrust23THRUST_200600_302600_NS6detail15normal_iteratorINSA_10device_ptrIdEEEEPS6_PKS6_NS0_5tupleIJSF_S6_EEENSJ_IJSG_SG_EEENS0_18inequality_wrapperINSA_8equal_toIdEEEEPmJS6_EEE10hipError_tPvRmT3_T4_T5_T6_T7_T9_mT8_P12ihipStream_tbDpT10_ENKUlT_T0_E_clISt17integral_constantIbLb0EES19_IbLb1EEEEDaS15_S16_EUlS15_E_NS1_11comp_targetILNS1_3genE2ELNS1_11target_archE906ELNS1_3gpuE6ELNS1_3repE0EEENS1_30default_config_static_selectorELNS0_4arch9wavefront6targetE1EEEvT1_.has_indirect_call, 0
	.section	.AMDGPU.csdata,"",@progbits
; Kernel info:
; codeLenInByte = 4868
; TotalNumSgprs: 43
; NumVgprs: 60
; ScratchSize: 0
; MemoryBound: 0
; FloatMode: 240
; IeeeMode: 1
; LDSByteSize: 14344 bytes/workgroup (compile time only)
; SGPRBlocks: 12
; VGPRBlocks: 14
; NumSGPRsForWavesPerEU: 102
; NumVGPRsForWavesPerEU: 60
; Occupancy: 4
; WaveLimiterHint : 1
; COMPUTE_PGM_RSRC2:SCRATCH_EN: 0
; COMPUTE_PGM_RSRC2:USER_SGPR: 6
; COMPUTE_PGM_RSRC2:TRAP_HANDLER: 0
; COMPUTE_PGM_RSRC2:TGID_X_EN: 1
; COMPUTE_PGM_RSRC2:TGID_Y_EN: 0
; COMPUTE_PGM_RSRC2:TGID_Z_EN: 0
; COMPUTE_PGM_RSRC2:TIDIG_COMP_CNT: 0
	.section	.text._ZN7rocprim17ROCPRIM_400000_NS6detail17trampoline_kernelINS0_14default_configENS1_25partition_config_selectorILNS1_17partition_subalgoE8EdNS0_10empty_typeEbEEZZNS1_14partition_implILS5_8ELb0ES3_jN6thrust23THRUST_200600_302600_NS6detail15normal_iteratorINSA_10device_ptrIdEEEEPS6_PKS6_NS0_5tupleIJSF_S6_EEENSJ_IJSG_SG_EEENS0_18inequality_wrapperINSA_8equal_toIdEEEEPmJS6_EEE10hipError_tPvRmT3_T4_T5_T6_T7_T9_mT8_P12ihipStream_tbDpT10_ENKUlT_T0_E_clISt17integral_constantIbLb0EES19_IbLb1EEEEDaS15_S16_EUlS15_E_NS1_11comp_targetILNS1_3genE10ELNS1_11target_archE1200ELNS1_3gpuE4ELNS1_3repE0EEENS1_30default_config_static_selectorELNS0_4arch9wavefront6targetE1EEEvT1_,"axG",@progbits,_ZN7rocprim17ROCPRIM_400000_NS6detail17trampoline_kernelINS0_14default_configENS1_25partition_config_selectorILNS1_17partition_subalgoE8EdNS0_10empty_typeEbEEZZNS1_14partition_implILS5_8ELb0ES3_jN6thrust23THRUST_200600_302600_NS6detail15normal_iteratorINSA_10device_ptrIdEEEEPS6_PKS6_NS0_5tupleIJSF_S6_EEENSJ_IJSG_SG_EEENS0_18inequality_wrapperINSA_8equal_toIdEEEEPmJS6_EEE10hipError_tPvRmT3_T4_T5_T6_T7_T9_mT8_P12ihipStream_tbDpT10_ENKUlT_T0_E_clISt17integral_constantIbLb0EES19_IbLb1EEEEDaS15_S16_EUlS15_E_NS1_11comp_targetILNS1_3genE10ELNS1_11target_archE1200ELNS1_3gpuE4ELNS1_3repE0EEENS1_30default_config_static_selectorELNS0_4arch9wavefront6targetE1EEEvT1_,comdat
	.protected	_ZN7rocprim17ROCPRIM_400000_NS6detail17trampoline_kernelINS0_14default_configENS1_25partition_config_selectorILNS1_17partition_subalgoE8EdNS0_10empty_typeEbEEZZNS1_14partition_implILS5_8ELb0ES3_jN6thrust23THRUST_200600_302600_NS6detail15normal_iteratorINSA_10device_ptrIdEEEEPS6_PKS6_NS0_5tupleIJSF_S6_EEENSJ_IJSG_SG_EEENS0_18inequality_wrapperINSA_8equal_toIdEEEEPmJS6_EEE10hipError_tPvRmT3_T4_T5_T6_T7_T9_mT8_P12ihipStream_tbDpT10_ENKUlT_T0_E_clISt17integral_constantIbLb0EES19_IbLb1EEEEDaS15_S16_EUlS15_E_NS1_11comp_targetILNS1_3genE10ELNS1_11target_archE1200ELNS1_3gpuE4ELNS1_3repE0EEENS1_30default_config_static_selectorELNS0_4arch9wavefront6targetE1EEEvT1_ ; -- Begin function _ZN7rocprim17ROCPRIM_400000_NS6detail17trampoline_kernelINS0_14default_configENS1_25partition_config_selectorILNS1_17partition_subalgoE8EdNS0_10empty_typeEbEEZZNS1_14partition_implILS5_8ELb0ES3_jN6thrust23THRUST_200600_302600_NS6detail15normal_iteratorINSA_10device_ptrIdEEEEPS6_PKS6_NS0_5tupleIJSF_S6_EEENSJ_IJSG_SG_EEENS0_18inequality_wrapperINSA_8equal_toIdEEEEPmJS6_EEE10hipError_tPvRmT3_T4_T5_T6_T7_T9_mT8_P12ihipStream_tbDpT10_ENKUlT_T0_E_clISt17integral_constantIbLb0EES19_IbLb1EEEEDaS15_S16_EUlS15_E_NS1_11comp_targetILNS1_3genE10ELNS1_11target_archE1200ELNS1_3gpuE4ELNS1_3repE0EEENS1_30default_config_static_selectorELNS0_4arch9wavefront6targetE1EEEvT1_
	.globl	_ZN7rocprim17ROCPRIM_400000_NS6detail17trampoline_kernelINS0_14default_configENS1_25partition_config_selectorILNS1_17partition_subalgoE8EdNS0_10empty_typeEbEEZZNS1_14partition_implILS5_8ELb0ES3_jN6thrust23THRUST_200600_302600_NS6detail15normal_iteratorINSA_10device_ptrIdEEEEPS6_PKS6_NS0_5tupleIJSF_S6_EEENSJ_IJSG_SG_EEENS0_18inequality_wrapperINSA_8equal_toIdEEEEPmJS6_EEE10hipError_tPvRmT3_T4_T5_T6_T7_T9_mT8_P12ihipStream_tbDpT10_ENKUlT_T0_E_clISt17integral_constantIbLb0EES19_IbLb1EEEEDaS15_S16_EUlS15_E_NS1_11comp_targetILNS1_3genE10ELNS1_11target_archE1200ELNS1_3gpuE4ELNS1_3repE0EEENS1_30default_config_static_selectorELNS0_4arch9wavefront6targetE1EEEvT1_
	.p2align	8
	.type	_ZN7rocprim17ROCPRIM_400000_NS6detail17trampoline_kernelINS0_14default_configENS1_25partition_config_selectorILNS1_17partition_subalgoE8EdNS0_10empty_typeEbEEZZNS1_14partition_implILS5_8ELb0ES3_jN6thrust23THRUST_200600_302600_NS6detail15normal_iteratorINSA_10device_ptrIdEEEEPS6_PKS6_NS0_5tupleIJSF_S6_EEENSJ_IJSG_SG_EEENS0_18inequality_wrapperINSA_8equal_toIdEEEEPmJS6_EEE10hipError_tPvRmT3_T4_T5_T6_T7_T9_mT8_P12ihipStream_tbDpT10_ENKUlT_T0_E_clISt17integral_constantIbLb0EES19_IbLb1EEEEDaS15_S16_EUlS15_E_NS1_11comp_targetILNS1_3genE10ELNS1_11target_archE1200ELNS1_3gpuE4ELNS1_3repE0EEENS1_30default_config_static_selectorELNS0_4arch9wavefront6targetE1EEEvT1_,@function
_ZN7rocprim17ROCPRIM_400000_NS6detail17trampoline_kernelINS0_14default_configENS1_25partition_config_selectorILNS1_17partition_subalgoE8EdNS0_10empty_typeEbEEZZNS1_14partition_implILS5_8ELb0ES3_jN6thrust23THRUST_200600_302600_NS6detail15normal_iteratorINSA_10device_ptrIdEEEEPS6_PKS6_NS0_5tupleIJSF_S6_EEENSJ_IJSG_SG_EEENS0_18inequality_wrapperINSA_8equal_toIdEEEEPmJS6_EEE10hipError_tPvRmT3_T4_T5_T6_T7_T9_mT8_P12ihipStream_tbDpT10_ENKUlT_T0_E_clISt17integral_constantIbLb0EES19_IbLb1EEEEDaS15_S16_EUlS15_E_NS1_11comp_targetILNS1_3genE10ELNS1_11target_archE1200ELNS1_3gpuE4ELNS1_3repE0EEENS1_30default_config_static_selectorELNS0_4arch9wavefront6targetE1EEEvT1_: ; @_ZN7rocprim17ROCPRIM_400000_NS6detail17trampoline_kernelINS0_14default_configENS1_25partition_config_selectorILNS1_17partition_subalgoE8EdNS0_10empty_typeEbEEZZNS1_14partition_implILS5_8ELb0ES3_jN6thrust23THRUST_200600_302600_NS6detail15normal_iteratorINSA_10device_ptrIdEEEEPS6_PKS6_NS0_5tupleIJSF_S6_EEENSJ_IJSG_SG_EEENS0_18inequality_wrapperINSA_8equal_toIdEEEEPmJS6_EEE10hipError_tPvRmT3_T4_T5_T6_T7_T9_mT8_P12ihipStream_tbDpT10_ENKUlT_T0_E_clISt17integral_constantIbLb0EES19_IbLb1EEEEDaS15_S16_EUlS15_E_NS1_11comp_targetILNS1_3genE10ELNS1_11target_archE1200ELNS1_3gpuE4ELNS1_3repE0EEENS1_30default_config_static_selectorELNS0_4arch9wavefront6targetE1EEEvT1_
; %bb.0:
	.section	.rodata,"a",@progbits
	.p2align	6, 0x0
	.amdhsa_kernel _ZN7rocprim17ROCPRIM_400000_NS6detail17trampoline_kernelINS0_14default_configENS1_25partition_config_selectorILNS1_17partition_subalgoE8EdNS0_10empty_typeEbEEZZNS1_14partition_implILS5_8ELb0ES3_jN6thrust23THRUST_200600_302600_NS6detail15normal_iteratorINSA_10device_ptrIdEEEEPS6_PKS6_NS0_5tupleIJSF_S6_EEENSJ_IJSG_SG_EEENS0_18inequality_wrapperINSA_8equal_toIdEEEEPmJS6_EEE10hipError_tPvRmT3_T4_T5_T6_T7_T9_mT8_P12ihipStream_tbDpT10_ENKUlT_T0_E_clISt17integral_constantIbLb0EES19_IbLb1EEEEDaS15_S16_EUlS15_E_NS1_11comp_targetILNS1_3genE10ELNS1_11target_archE1200ELNS1_3gpuE4ELNS1_3repE0EEENS1_30default_config_static_selectorELNS0_4arch9wavefront6targetE1EEEvT1_
		.amdhsa_group_segment_fixed_size 0
		.amdhsa_private_segment_fixed_size 0
		.amdhsa_kernarg_size 128
		.amdhsa_user_sgpr_count 6
		.amdhsa_user_sgpr_private_segment_buffer 1
		.amdhsa_user_sgpr_dispatch_ptr 0
		.amdhsa_user_sgpr_queue_ptr 0
		.amdhsa_user_sgpr_kernarg_segment_ptr 1
		.amdhsa_user_sgpr_dispatch_id 0
		.amdhsa_user_sgpr_flat_scratch_init 0
		.amdhsa_user_sgpr_private_segment_size 0
		.amdhsa_uses_dynamic_stack 0
		.amdhsa_system_sgpr_private_segment_wavefront_offset 0
		.amdhsa_system_sgpr_workgroup_id_x 1
		.amdhsa_system_sgpr_workgroup_id_y 0
		.amdhsa_system_sgpr_workgroup_id_z 0
		.amdhsa_system_sgpr_workgroup_info 0
		.amdhsa_system_vgpr_workitem_id 0
		.amdhsa_next_free_vgpr 1
		.amdhsa_next_free_sgpr 0
		.amdhsa_reserve_vcc 0
		.amdhsa_reserve_flat_scratch 0
		.amdhsa_float_round_mode_32 0
		.amdhsa_float_round_mode_16_64 0
		.amdhsa_float_denorm_mode_32 3
		.amdhsa_float_denorm_mode_16_64 3
		.amdhsa_dx10_clamp 1
		.amdhsa_ieee_mode 1
		.amdhsa_fp16_overflow 0
		.amdhsa_exception_fp_ieee_invalid_op 0
		.amdhsa_exception_fp_denorm_src 0
		.amdhsa_exception_fp_ieee_div_zero 0
		.amdhsa_exception_fp_ieee_overflow 0
		.amdhsa_exception_fp_ieee_underflow 0
		.amdhsa_exception_fp_ieee_inexact 0
		.amdhsa_exception_int_div_zero 0
	.end_amdhsa_kernel
	.section	.text._ZN7rocprim17ROCPRIM_400000_NS6detail17trampoline_kernelINS0_14default_configENS1_25partition_config_selectorILNS1_17partition_subalgoE8EdNS0_10empty_typeEbEEZZNS1_14partition_implILS5_8ELb0ES3_jN6thrust23THRUST_200600_302600_NS6detail15normal_iteratorINSA_10device_ptrIdEEEEPS6_PKS6_NS0_5tupleIJSF_S6_EEENSJ_IJSG_SG_EEENS0_18inequality_wrapperINSA_8equal_toIdEEEEPmJS6_EEE10hipError_tPvRmT3_T4_T5_T6_T7_T9_mT8_P12ihipStream_tbDpT10_ENKUlT_T0_E_clISt17integral_constantIbLb0EES19_IbLb1EEEEDaS15_S16_EUlS15_E_NS1_11comp_targetILNS1_3genE10ELNS1_11target_archE1200ELNS1_3gpuE4ELNS1_3repE0EEENS1_30default_config_static_selectorELNS0_4arch9wavefront6targetE1EEEvT1_,"axG",@progbits,_ZN7rocprim17ROCPRIM_400000_NS6detail17trampoline_kernelINS0_14default_configENS1_25partition_config_selectorILNS1_17partition_subalgoE8EdNS0_10empty_typeEbEEZZNS1_14partition_implILS5_8ELb0ES3_jN6thrust23THRUST_200600_302600_NS6detail15normal_iteratorINSA_10device_ptrIdEEEEPS6_PKS6_NS0_5tupleIJSF_S6_EEENSJ_IJSG_SG_EEENS0_18inequality_wrapperINSA_8equal_toIdEEEEPmJS6_EEE10hipError_tPvRmT3_T4_T5_T6_T7_T9_mT8_P12ihipStream_tbDpT10_ENKUlT_T0_E_clISt17integral_constantIbLb0EES19_IbLb1EEEEDaS15_S16_EUlS15_E_NS1_11comp_targetILNS1_3genE10ELNS1_11target_archE1200ELNS1_3gpuE4ELNS1_3repE0EEENS1_30default_config_static_selectorELNS0_4arch9wavefront6targetE1EEEvT1_,comdat
.Lfunc_end44:
	.size	_ZN7rocprim17ROCPRIM_400000_NS6detail17trampoline_kernelINS0_14default_configENS1_25partition_config_selectorILNS1_17partition_subalgoE8EdNS0_10empty_typeEbEEZZNS1_14partition_implILS5_8ELb0ES3_jN6thrust23THRUST_200600_302600_NS6detail15normal_iteratorINSA_10device_ptrIdEEEEPS6_PKS6_NS0_5tupleIJSF_S6_EEENSJ_IJSG_SG_EEENS0_18inequality_wrapperINSA_8equal_toIdEEEEPmJS6_EEE10hipError_tPvRmT3_T4_T5_T6_T7_T9_mT8_P12ihipStream_tbDpT10_ENKUlT_T0_E_clISt17integral_constantIbLb0EES19_IbLb1EEEEDaS15_S16_EUlS15_E_NS1_11comp_targetILNS1_3genE10ELNS1_11target_archE1200ELNS1_3gpuE4ELNS1_3repE0EEENS1_30default_config_static_selectorELNS0_4arch9wavefront6targetE1EEEvT1_, .Lfunc_end44-_ZN7rocprim17ROCPRIM_400000_NS6detail17trampoline_kernelINS0_14default_configENS1_25partition_config_selectorILNS1_17partition_subalgoE8EdNS0_10empty_typeEbEEZZNS1_14partition_implILS5_8ELb0ES3_jN6thrust23THRUST_200600_302600_NS6detail15normal_iteratorINSA_10device_ptrIdEEEEPS6_PKS6_NS0_5tupleIJSF_S6_EEENSJ_IJSG_SG_EEENS0_18inequality_wrapperINSA_8equal_toIdEEEEPmJS6_EEE10hipError_tPvRmT3_T4_T5_T6_T7_T9_mT8_P12ihipStream_tbDpT10_ENKUlT_T0_E_clISt17integral_constantIbLb0EES19_IbLb1EEEEDaS15_S16_EUlS15_E_NS1_11comp_targetILNS1_3genE10ELNS1_11target_archE1200ELNS1_3gpuE4ELNS1_3repE0EEENS1_30default_config_static_selectorELNS0_4arch9wavefront6targetE1EEEvT1_
                                        ; -- End function
	.set _ZN7rocprim17ROCPRIM_400000_NS6detail17trampoline_kernelINS0_14default_configENS1_25partition_config_selectorILNS1_17partition_subalgoE8EdNS0_10empty_typeEbEEZZNS1_14partition_implILS5_8ELb0ES3_jN6thrust23THRUST_200600_302600_NS6detail15normal_iteratorINSA_10device_ptrIdEEEEPS6_PKS6_NS0_5tupleIJSF_S6_EEENSJ_IJSG_SG_EEENS0_18inequality_wrapperINSA_8equal_toIdEEEEPmJS6_EEE10hipError_tPvRmT3_T4_T5_T6_T7_T9_mT8_P12ihipStream_tbDpT10_ENKUlT_T0_E_clISt17integral_constantIbLb0EES19_IbLb1EEEEDaS15_S16_EUlS15_E_NS1_11comp_targetILNS1_3genE10ELNS1_11target_archE1200ELNS1_3gpuE4ELNS1_3repE0EEENS1_30default_config_static_selectorELNS0_4arch9wavefront6targetE1EEEvT1_.num_vgpr, 0
	.set _ZN7rocprim17ROCPRIM_400000_NS6detail17trampoline_kernelINS0_14default_configENS1_25partition_config_selectorILNS1_17partition_subalgoE8EdNS0_10empty_typeEbEEZZNS1_14partition_implILS5_8ELb0ES3_jN6thrust23THRUST_200600_302600_NS6detail15normal_iteratorINSA_10device_ptrIdEEEEPS6_PKS6_NS0_5tupleIJSF_S6_EEENSJ_IJSG_SG_EEENS0_18inequality_wrapperINSA_8equal_toIdEEEEPmJS6_EEE10hipError_tPvRmT3_T4_T5_T6_T7_T9_mT8_P12ihipStream_tbDpT10_ENKUlT_T0_E_clISt17integral_constantIbLb0EES19_IbLb1EEEEDaS15_S16_EUlS15_E_NS1_11comp_targetILNS1_3genE10ELNS1_11target_archE1200ELNS1_3gpuE4ELNS1_3repE0EEENS1_30default_config_static_selectorELNS0_4arch9wavefront6targetE1EEEvT1_.num_agpr, 0
	.set _ZN7rocprim17ROCPRIM_400000_NS6detail17trampoline_kernelINS0_14default_configENS1_25partition_config_selectorILNS1_17partition_subalgoE8EdNS0_10empty_typeEbEEZZNS1_14partition_implILS5_8ELb0ES3_jN6thrust23THRUST_200600_302600_NS6detail15normal_iteratorINSA_10device_ptrIdEEEEPS6_PKS6_NS0_5tupleIJSF_S6_EEENSJ_IJSG_SG_EEENS0_18inequality_wrapperINSA_8equal_toIdEEEEPmJS6_EEE10hipError_tPvRmT3_T4_T5_T6_T7_T9_mT8_P12ihipStream_tbDpT10_ENKUlT_T0_E_clISt17integral_constantIbLb0EES19_IbLb1EEEEDaS15_S16_EUlS15_E_NS1_11comp_targetILNS1_3genE10ELNS1_11target_archE1200ELNS1_3gpuE4ELNS1_3repE0EEENS1_30default_config_static_selectorELNS0_4arch9wavefront6targetE1EEEvT1_.numbered_sgpr, 0
	.set _ZN7rocprim17ROCPRIM_400000_NS6detail17trampoline_kernelINS0_14default_configENS1_25partition_config_selectorILNS1_17partition_subalgoE8EdNS0_10empty_typeEbEEZZNS1_14partition_implILS5_8ELb0ES3_jN6thrust23THRUST_200600_302600_NS6detail15normal_iteratorINSA_10device_ptrIdEEEEPS6_PKS6_NS0_5tupleIJSF_S6_EEENSJ_IJSG_SG_EEENS0_18inequality_wrapperINSA_8equal_toIdEEEEPmJS6_EEE10hipError_tPvRmT3_T4_T5_T6_T7_T9_mT8_P12ihipStream_tbDpT10_ENKUlT_T0_E_clISt17integral_constantIbLb0EES19_IbLb1EEEEDaS15_S16_EUlS15_E_NS1_11comp_targetILNS1_3genE10ELNS1_11target_archE1200ELNS1_3gpuE4ELNS1_3repE0EEENS1_30default_config_static_selectorELNS0_4arch9wavefront6targetE1EEEvT1_.num_named_barrier, 0
	.set _ZN7rocprim17ROCPRIM_400000_NS6detail17trampoline_kernelINS0_14default_configENS1_25partition_config_selectorILNS1_17partition_subalgoE8EdNS0_10empty_typeEbEEZZNS1_14partition_implILS5_8ELb0ES3_jN6thrust23THRUST_200600_302600_NS6detail15normal_iteratorINSA_10device_ptrIdEEEEPS6_PKS6_NS0_5tupleIJSF_S6_EEENSJ_IJSG_SG_EEENS0_18inequality_wrapperINSA_8equal_toIdEEEEPmJS6_EEE10hipError_tPvRmT3_T4_T5_T6_T7_T9_mT8_P12ihipStream_tbDpT10_ENKUlT_T0_E_clISt17integral_constantIbLb0EES19_IbLb1EEEEDaS15_S16_EUlS15_E_NS1_11comp_targetILNS1_3genE10ELNS1_11target_archE1200ELNS1_3gpuE4ELNS1_3repE0EEENS1_30default_config_static_selectorELNS0_4arch9wavefront6targetE1EEEvT1_.private_seg_size, 0
	.set _ZN7rocprim17ROCPRIM_400000_NS6detail17trampoline_kernelINS0_14default_configENS1_25partition_config_selectorILNS1_17partition_subalgoE8EdNS0_10empty_typeEbEEZZNS1_14partition_implILS5_8ELb0ES3_jN6thrust23THRUST_200600_302600_NS6detail15normal_iteratorINSA_10device_ptrIdEEEEPS6_PKS6_NS0_5tupleIJSF_S6_EEENSJ_IJSG_SG_EEENS0_18inequality_wrapperINSA_8equal_toIdEEEEPmJS6_EEE10hipError_tPvRmT3_T4_T5_T6_T7_T9_mT8_P12ihipStream_tbDpT10_ENKUlT_T0_E_clISt17integral_constantIbLb0EES19_IbLb1EEEEDaS15_S16_EUlS15_E_NS1_11comp_targetILNS1_3genE10ELNS1_11target_archE1200ELNS1_3gpuE4ELNS1_3repE0EEENS1_30default_config_static_selectorELNS0_4arch9wavefront6targetE1EEEvT1_.uses_vcc, 0
	.set _ZN7rocprim17ROCPRIM_400000_NS6detail17trampoline_kernelINS0_14default_configENS1_25partition_config_selectorILNS1_17partition_subalgoE8EdNS0_10empty_typeEbEEZZNS1_14partition_implILS5_8ELb0ES3_jN6thrust23THRUST_200600_302600_NS6detail15normal_iteratorINSA_10device_ptrIdEEEEPS6_PKS6_NS0_5tupleIJSF_S6_EEENSJ_IJSG_SG_EEENS0_18inequality_wrapperINSA_8equal_toIdEEEEPmJS6_EEE10hipError_tPvRmT3_T4_T5_T6_T7_T9_mT8_P12ihipStream_tbDpT10_ENKUlT_T0_E_clISt17integral_constantIbLb0EES19_IbLb1EEEEDaS15_S16_EUlS15_E_NS1_11comp_targetILNS1_3genE10ELNS1_11target_archE1200ELNS1_3gpuE4ELNS1_3repE0EEENS1_30default_config_static_selectorELNS0_4arch9wavefront6targetE1EEEvT1_.uses_flat_scratch, 0
	.set _ZN7rocprim17ROCPRIM_400000_NS6detail17trampoline_kernelINS0_14default_configENS1_25partition_config_selectorILNS1_17partition_subalgoE8EdNS0_10empty_typeEbEEZZNS1_14partition_implILS5_8ELb0ES3_jN6thrust23THRUST_200600_302600_NS6detail15normal_iteratorINSA_10device_ptrIdEEEEPS6_PKS6_NS0_5tupleIJSF_S6_EEENSJ_IJSG_SG_EEENS0_18inequality_wrapperINSA_8equal_toIdEEEEPmJS6_EEE10hipError_tPvRmT3_T4_T5_T6_T7_T9_mT8_P12ihipStream_tbDpT10_ENKUlT_T0_E_clISt17integral_constantIbLb0EES19_IbLb1EEEEDaS15_S16_EUlS15_E_NS1_11comp_targetILNS1_3genE10ELNS1_11target_archE1200ELNS1_3gpuE4ELNS1_3repE0EEENS1_30default_config_static_selectorELNS0_4arch9wavefront6targetE1EEEvT1_.has_dyn_sized_stack, 0
	.set _ZN7rocprim17ROCPRIM_400000_NS6detail17trampoline_kernelINS0_14default_configENS1_25partition_config_selectorILNS1_17partition_subalgoE8EdNS0_10empty_typeEbEEZZNS1_14partition_implILS5_8ELb0ES3_jN6thrust23THRUST_200600_302600_NS6detail15normal_iteratorINSA_10device_ptrIdEEEEPS6_PKS6_NS0_5tupleIJSF_S6_EEENSJ_IJSG_SG_EEENS0_18inequality_wrapperINSA_8equal_toIdEEEEPmJS6_EEE10hipError_tPvRmT3_T4_T5_T6_T7_T9_mT8_P12ihipStream_tbDpT10_ENKUlT_T0_E_clISt17integral_constantIbLb0EES19_IbLb1EEEEDaS15_S16_EUlS15_E_NS1_11comp_targetILNS1_3genE10ELNS1_11target_archE1200ELNS1_3gpuE4ELNS1_3repE0EEENS1_30default_config_static_selectorELNS0_4arch9wavefront6targetE1EEEvT1_.has_recursion, 0
	.set _ZN7rocprim17ROCPRIM_400000_NS6detail17trampoline_kernelINS0_14default_configENS1_25partition_config_selectorILNS1_17partition_subalgoE8EdNS0_10empty_typeEbEEZZNS1_14partition_implILS5_8ELb0ES3_jN6thrust23THRUST_200600_302600_NS6detail15normal_iteratorINSA_10device_ptrIdEEEEPS6_PKS6_NS0_5tupleIJSF_S6_EEENSJ_IJSG_SG_EEENS0_18inequality_wrapperINSA_8equal_toIdEEEEPmJS6_EEE10hipError_tPvRmT3_T4_T5_T6_T7_T9_mT8_P12ihipStream_tbDpT10_ENKUlT_T0_E_clISt17integral_constantIbLb0EES19_IbLb1EEEEDaS15_S16_EUlS15_E_NS1_11comp_targetILNS1_3genE10ELNS1_11target_archE1200ELNS1_3gpuE4ELNS1_3repE0EEENS1_30default_config_static_selectorELNS0_4arch9wavefront6targetE1EEEvT1_.has_indirect_call, 0
	.section	.AMDGPU.csdata,"",@progbits
; Kernel info:
; codeLenInByte = 0
; TotalNumSgprs: 4
; NumVgprs: 0
; ScratchSize: 0
; MemoryBound: 0
; FloatMode: 240
; IeeeMode: 1
; LDSByteSize: 0 bytes/workgroup (compile time only)
; SGPRBlocks: 0
; VGPRBlocks: 0
; NumSGPRsForWavesPerEU: 4
; NumVGPRsForWavesPerEU: 1
; Occupancy: 10
; WaveLimiterHint : 0
; COMPUTE_PGM_RSRC2:SCRATCH_EN: 0
; COMPUTE_PGM_RSRC2:USER_SGPR: 6
; COMPUTE_PGM_RSRC2:TRAP_HANDLER: 0
; COMPUTE_PGM_RSRC2:TGID_X_EN: 1
; COMPUTE_PGM_RSRC2:TGID_Y_EN: 0
; COMPUTE_PGM_RSRC2:TGID_Z_EN: 0
; COMPUTE_PGM_RSRC2:TIDIG_COMP_CNT: 0
	.section	.text._ZN7rocprim17ROCPRIM_400000_NS6detail17trampoline_kernelINS0_14default_configENS1_25partition_config_selectorILNS1_17partition_subalgoE8EdNS0_10empty_typeEbEEZZNS1_14partition_implILS5_8ELb0ES3_jN6thrust23THRUST_200600_302600_NS6detail15normal_iteratorINSA_10device_ptrIdEEEEPS6_PKS6_NS0_5tupleIJSF_S6_EEENSJ_IJSG_SG_EEENS0_18inequality_wrapperINSA_8equal_toIdEEEEPmJS6_EEE10hipError_tPvRmT3_T4_T5_T6_T7_T9_mT8_P12ihipStream_tbDpT10_ENKUlT_T0_E_clISt17integral_constantIbLb0EES19_IbLb1EEEEDaS15_S16_EUlS15_E_NS1_11comp_targetILNS1_3genE9ELNS1_11target_archE1100ELNS1_3gpuE3ELNS1_3repE0EEENS1_30default_config_static_selectorELNS0_4arch9wavefront6targetE1EEEvT1_,"axG",@progbits,_ZN7rocprim17ROCPRIM_400000_NS6detail17trampoline_kernelINS0_14default_configENS1_25partition_config_selectorILNS1_17partition_subalgoE8EdNS0_10empty_typeEbEEZZNS1_14partition_implILS5_8ELb0ES3_jN6thrust23THRUST_200600_302600_NS6detail15normal_iteratorINSA_10device_ptrIdEEEEPS6_PKS6_NS0_5tupleIJSF_S6_EEENSJ_IJSG_SG_EEENS0_18inequality_wrapperINSA_8equal_toIdEEEEPmJS6_EEE10hipError_tPvRmT3_T4_T5_T6_T7_T9_mT8_P12ihipStream_tbDpT10_ENKUlT_T0_E_clISt17integral_constantIbLb0EES19_IbLb1EEEEDaS15_S16_EUlS15_E_NS1_11comp_targetILNS1_3genE9ELNS1_11target_archE1100ELNS1_3gpuE3ELNS1_3repE0EEENS1_30default_config_static_selectorELNS0_4arch9wavefront6targetE1EEEvT1_,comdat
	.protected	_ZN7rocprim17ROCPRIM_400000_NS6detail17trampoline_kernelINS0_14default_configENS1_25partition_config_selectorILNS1_17partition_subalgoE8EdNS0_10empty_typeEbEEZZNS1_14partition_implILS5_8ELb0ES3_jN6thrust23THRUST_200600_302600_NS6detail15normal_iteratorINSA_10device_ptrIdEEEEPS6_PKS6_NS0_5tupleIJSF_S6_EEENSJ_IJSG_SG_EEENS0_18inequality_wrapperINSA_8equal_toIdEEEEPmJS6_EEE10hipError_tPvRmT3_T4_T5_T6_T7_T9_mT8_P12ihipStream_tbDpT10_ENKUlT_T0_E_clISt17integral_constantIbLb0EES19_IbLb1EEEEDaS15_S16_EUlS15_E_NS1_11comp_targetILNS1_3genE9ELNS1_11target_archE1100ELNS1_3gpuE3ELNS1_3repE0EEENS1_30default_config_static_selectorELNS0_4arch9wavefront6targetE1EEEvT1_ ; -- Begin function _ZN7rocprim17ROCPRIM_400000_NS6detail17trampoline_kernelINS0_14default_configENS1_25partition_config_selectorILNS1_17partition_subalgoE8EdNS0_10empty_typeEbEEZZNS1_14partition_implILS5_8ELb0ES3_jN6thrust23THRUST_200600_302600_NS6detail15normal_iteratorINSA_10device_ptrIdEEEEPS6_PKS6_NS0_5tupleIJSF_S6_EEENSJ_IJSG_SG_EEENS0_18inequality_wrapperINSA_8equal_toIdEEEEPmJS6_EEE10hipError_tPvRmT3_T4_T5_T6_T7_T9_mT8_P12ihipStream_tbDpT10_ENKUlT_T0_E_clISt17integral_constantIbLb0EES19_IbLb1EEEEDaS15_S16_EUlS15_E_NS1_11comp_targetILNS1_3genE9ELNS1_11target_archE1100ELNS1_3gpuE3ELNS1_3repE0EEENS1_30default_config_static_selectorELNS0_4arch9wavefront6targetE1EEEvT1_
	.globl	_ZN7rocprim17ROCPRIM_400000_NS6detail17trampoline_kernelINS0_14default_configENS1_25partition_config_selectorILNS1_17partition_subalgoE8EdNS0_10empty_typeEbEEZZNS1_14partition_implILS5_8ELb0ES3_jN6thrust23THRUST_200600_302600_NS6detail15normal_iteratorINSA_10device_ptrIdEEEEPS6_PKS6_NS0_5tupleIJSF_S6_EEENSJ_IJSG_SG_EEENS0_18inequality_wrapperINSA_8equal_toIdEEEEPmJS6_EEE10hipError_tPvRmT3_T4_T5_T6_T7_T9_mT8_P12ihipStream_tbDpT10_ENKUlT_T0_E_clISt17integral_constantIbLb0EES19_IbLb1EEEEDaS15_S16_EUlS15_E_NS1_11comp_targetILNS1_3genE9ELNS1_11target_archE1100ELNS1_3gpuE3ELNS1_3repE0EEENS1_30default_config_static_selectorELNS0_4arch9wavefront6targetE1EEEvT1_
	.p2align	8
	.type	_ZN7rocprim17ROCPRIM_400000_NS6detail17trampoline_kernelINS0_14default_configENS1_25partition_config_selectorILNS1_17partition_subalgoE8EdNS0_10empty_typeEbEEZZNS1_14partition_implILS5_8ELb0ES3_jN6thrust23THRUST_200600_302600_NS6detail15normal_iteratorINSA_10device_ptrIdEEEEPS6_PKS6_NS0_5tupleIJSF_S6_EEENSJ_IJSG_SG_EEENS0_18inequality_wrapperINSA_8equal_toIdEEEEPmJS6_EEE10hipError_tPvRmT3_T4_T5_T6_T7_T9_mT8_P12ihipStream_tbDpT10_ENKUlT_T0_E_clISt17integral_constantIbLb0EES19_IbLb1EEEEDaS15_S16_EUlS15_E_NS1_11comp_targetILNS1_3genE9ELNS1_11target_archE1100ELNS1_3gpuE3ELNS1_3repE0EEENS1_30default_config_static_selectorELNS0_4arch9wavefront6targetE1EEEvT1_,@function
_ZN7rocprim17ROCPRIM_400000_NS6detail17trampoline_kernelINS0_14default_configENS1_25partition_config_selectorILNS1_17partition_subalgoE8EdNS0_10empty_typeEbEEZZNS1_14partition_implILS5_8ELb0ES3_jN6thrust23THRUST_200600_302600_NS6detail15normal_iteratorINSA_10device_ptrIdEEEEPS6_PKS6_NS0_5tupleIJSF_S6_EEENSJ_IJSG_SG_EEENS0_18inequality_wrapperINSA_8equal_toIdEEEEPmJS6_EEE10hipError_tPvRmT3_T4_T5_T6_T7_T9_mT8_P12ihipStream_tbDpT10_ENKUlT_T0_E_clISt17integral_constantIbLb0EES19_IbLb1EEEEDaS15_S16_EUlS15_E_NS1_11comp_targetILNS1_3genE9ELNS1_11target_archE1100ELNS1_3gpuE3ELNS1_3repE0EEENS1_30default_config_static_selectorELNS0_4arch9wavefront6targetE1EEEvT1_: ; @_ZN7rocprim17ROCPRIM_400000_NS6detail17trampoline_kernelINS0_14default_configENS1_25partition_config_selectorILNS1_17partition_subalgoE8EdNS0_10empty_typeEbEEZZNS1_14partition_implILS5_8ELb0ES3_jN6thrust23THRUST_200600_302600_NS6detail15normal_iteratorINSA_10device_ptrIdEEEEPS6_PKS6_NS0_5tupleIJSF_S6_EEENSJ_IJSG_SG_EEENS0_18inequality_wrapperINSA_8equal_toIdEEEEPmJS6_EEE10hipError_tPvRmT3_T4_T5_T6_T7_T9_mT8_P12ihipStream_tbDpT10_ENKUlT_T0_E_clISt17integral_constantIbLb0EES19_IbLb1EEEEDaS15_S16_EUlS15_E_NS1_11comp_targetILNS1_3genE9ELNS1_11target_archE1100ELNS1_3gpuE3ELNS1_3repE0EEENS1_30default_config_static_selectorELNS0_4arch9wavefront6targetE1EEEvT1_
; %bb.0:
	.section	.rodata,"a",@progbits
	.p2align	6, 0x0
	.amdhsa_kernel _ZN7rocprim17ROCPRIM_400000_NS6detail17trampoline_kernelINS0_14default_configENS1_25partition_config_selectorILNS1_17partition_subalgoE8EdNS0_10empty_typeEbEEZZNS1_14partition_implILS5_8ELb0ES3_jN6thrust23THRUST_200600_302600_NS6detail15normal_iteratorINSA_10device_ptrIdEEEEPS6_PKS6_NS0_5tupleIJSF_S6_EEENSJ_IJSG_SG_EEENS0_18inequality_wrapperINSA_8equal_toIdEEEEPmJS6_EEE10hipError_tPvRmT3_T4_T5_T6_T7_T9_mT8_P12ihipStream_tbDpT10_ENKUlT_T0_E_clISt17integral_constantIbLb0EES19_IbLb1EEEEDaS15_S16_EUlS15_E_NS1_11comp_targetILNS1_3genE9ELNS1_11target_archE1100ELNS1_3gpuE3ELNS1_3repE0EEENS1_30default_config_static_selectorELNS0_4arch9wavefront6targetE1EEEvT1_
		.amdhsa_group_segment_fixed_size 0
		.amdhsa_private_segment_fixed_size 0
		.amdhsa_kernarg_size 128
		.amdhsa_user_sgpr_count 6
		.amdhsa_user_sgpr_private_segment_buffer 1
		.amdhsa_user_sgpr_dispatch_ptr 0
		.amdhsa_user_sgpr_queue_ptr 0
		.amdhsa_user_sgpr_kernarg_segment_ptr 1
		.amdhsa_user_sgpr_dispatch_id 0
		.amdhsa_user_sgpr_flat_scratch_init 0
		.amdhsa_user_sgpr_private_segment_size 0
		.amdhsa_uses_dynamic_stack 0
		.amdhsa_system_sgpr_private_segment_wavefront_offset 0
		.amdhsa_system_sgpr_workgroup_id_x 1
		.amdhsa_system_sgpr_workgroup_id_y 0
		.amdhsa_system_sgpr_workgroup_id_z 0
		.amdhsa_system_sgpr_workgroup_info 0
		.amdhsa_system_vgpr_workitem_id 0
		.amdhsa_next_free_vgpr 1
		.amdhsa_next_free_sgpr 0
		.amdhsa_reserve_vcc 0
		.amdhsa_reserve_flat_scratch 0
		.amdhsa_float_round_mode_32 0
		.amdhsa_float_round_mode_16_64 0
		.amdhsa_float_denorm_mode_32 3
		.amdhsa_float_denorm_mode_16_64 3
		.amdhsa_dx10_clamp 1
		.amdhsa_ieee_mode 1
		.amdhsa_fp16_overflow 0
		.amdhsa_exception_fp_ieee_invalid_op 0
		.amdhsa_exception_fp_denorm_src 0
		.amdhsa_exception_fp_ieee_div_zero 0
		.amdhsa_exception_fp_ieee_overflow 0
		.amdhsa_exception_fp_ieee_underflow 0
		.amdhsa_exception_fp_ieee_inexact 0
		.amdhsa_exception_int_div_zero 0
	.end_amdhsa_kernel
	.section	.text._ZN7rocprim17ROCPRIM_400000_NS6detail17trampoline_kernelINS0_14default_configENS1_25partition_config_selectorILNS1_17partition_subalgoE8EdNS0_10empty_typeEbEEZZNS1_14partition_implILS5_8ELb0ES3_jN6thrust23THRUST_200600_302600_NS6detail15normal_iteratorINSA_10device_ptrIdEEEEPS6_PKS6_NS0_5tupleIJSF_S6_EEENSJ_IJSG_SG_EEENS0_18inequality_wrapperINSA_8equal_toIdEEEEPmJS6_EEE10hipError_tPvRmT3_T4_T5_T6_T7_T9_mT8_P12ihipStream_tbDpT10_ENKUlT_T0_E_clISt17integral_constantIbLb0EES19_IbLb1EEEEDaS15_S16_EUlS15_E_NS1_11comp_targetILNS1_3genE9ELNS1_11target_archE1100ELNS1_3gpuE3ELNS1_3repE0EEENS1_30default_config_static_selectorELNS0_4arch9wavefront6targetE1EEEvT1_,"axG",@progbits,_ZN7rocprim17ROCPRIM_400000_NS6detail17trampoline_kernelINS0_14default_configENS1_25partition_config_selectorILNS1_17partition_subalgoE8EdNS0_10empty_typeEbEEZZNS1_14partition_implILS5_8ELb0ES3_jN6thrust23THRUST_200600_302600_NS6detail15normal_iteratorINSA_10device_ptrIdEEEEPS6_PKS6_NS0_5tupleIJSF_S6_EEENSJ_IJSG_SG_EEENS0_18inequality_wrapperINSA_8equal_toIdEEEEPmJS6_EEE10hipError_tPvRmT3_T4_T5_T6_T7_T9_mT8_P12ihipStream_tbDpT10_ENKUlT_T0_E_clISt17integral_constantIbLb0EES19_IbLb1EEEEDaS15_S16_EUlS15_E_NS1_11comp_targetILNS1_3genE9ELNS1_11target_archE1100ELNS1_3gpuE3ELNS1_3repE0EEENS1_30default_config_static_selectorELNS0_4arch9wavefront6targetE1EEEvT1_,comdat
.Lfunc_end45:
	.size	_ZN7rocprim17ROCPRIM_400000_NS6detail17trampoline_kernelINS0_14default_configENS1_25partition_config_selectorILNS1_17partition_subalgoE8EdNS0_10empty_typeEbEEZZNS1_14partition_implILS5_8ELb0ES3_jN6thrust23THRUST_200600_302600_NS6detail15normal_iteratorINSA_10device_ptrIdEEEEPS6_PKS6_NS0_5tupleIJSF_S6_EEENSJ_IJSG_SG_EEENS0_18inequality_wrapperINSA_8equal_toIdEEEEPmJS6_EEE10hipError_tPvRmT3_T4_T5_T6_T7_T9_mT8_P12ihipStream_tbDpT10_ENKUlT_T0_E_clISt17integral_constantIbLb0EES19_IbLb1EEEEDaS15_S16_EUlS15_E_NS1_11comp_targetILNS1_3genE9ELNS1_11target_archE1100ELNS1_3gpuE3ELNS1_3repE0EEENS1_30default_config_static_selectorELNS0_4arch9wavefront6targetE1EEEvT1_, .Lfunc_end45-_ZN7rocprim17ROCPRIM_400000_NS6detail17trampoline_kernelINS0_14default_configENS1_25partition_config_selectorILNS1_17partition_subalgoE8EdNS0_10empty_typeEbEEZZNS1_14partition_implILS5_8ELb0ES3_jN6thrust23THRUST_200600_302600_NS6detail15normal_iteratorINSA_10device_ptrIdEEEEPS6_PKS6_NS0_5tupleIJSF_S6_EEENSJ_IJSG_SG_EEENS0_18inequality_wrapperINSA_8equal_toIdEEEEPmJS6_EEE10hipError_tPvRmT3_T4_T5_T6_T7_T9_mT8_P12ihipStream_tbDpT10_ENKUlT_T0_E_clISt17integral_constantIbLb0EES19_IbLb1EEEEDaS15_S16_EUlS15_E_NS1_11comp_targetILNS1_3genE9ELNS1_11target_archE1100ELNS1_3gpuE3ELNS1_3repE0EEENS1_30default_config_static_selectorELNS0_4arch9wavefront6targetE1EEEvT1_
                                        ; -- End function
	.set _ZN7rocprim17ROCPRIM_400000_NS6detail17trampoline_kernelINS0_14default_configENS1_25partition_config_selectorILNS1_17partition_subalgoE8EdNS0_10empty_typeEbEEZZNS1_14partition_implILS5_8ELb0ES3_jN6thrust23THRUST_200600_302600_NS6detail15normal_iteratorINSA_10device_ptrIdEEEEPS6_PKS6_NS0_5tupleIJSF_S6_EEENSJ_IJSG_SG_EEENS0_18inequality_wrapperINSA_8equal_toIdEEEEPmJS6_EEE10hipError_tPvRmT3_T4_T5_T6_T7_T9_mT8_P12ihipStream_tbDpT10_ENKUlT_T0_E_clISt17integral_constantIbLb0EES19_IbLb1EEEEDaS15_S16_EUlS15_E_NS1_11comp_targetILNS1_3genE9ELNS1_11target_archE1100ELNS1_3gpuE3ELNS1_3repE0EEENS1_30default_config_static_selectorELNS0_4arch9wavefront6targetE1EEEvT1_.num_vgpr, 0
	.set _ZN7rocprim17ROCPRIM_400000_NS6detail17trampoline_kernelINS0_14default_configENS1_25partition_config_selectorILNS1_17partition_subalgoE8EdNS0_10empty_typeEbEEZZNS1_14partition_implILS5_8ELb0ES3_jN6thrust23THRUST_200600_302600_NS6detail15normal_iteratorINSA_10device_ptrIdEEEEPS6_PKS6_NS0_5tupleIJSF_S6_EEENSJ_IJSG_SG_EEENS0_18inequality_wrapperINSA_8equal_toIdEEEEPmJS6_EEE10hipError_tPvRmT3_T4_T5_T6_T7_T9_mT8_P12ihipStream_tbDpT10_ENKUlT_T0_E_clISt17integral_constantIbLb0EES19_IbLb1EEEEDaS15_S16_EUlS15_E_NS1_11comp_targetILNS1_3genE9ELNS1_11target_archE1100ELNS1_3gpuE3ELNS1_3repE0EEENS1_30default_config_static_selectorELNS0_4arch9wavefront6targetE1EEEvT1_.num_agpr, 0
	.set _ZN7rocprim17ROCPRIM_400000_NS6detail17trampoline_kernelINS0_14default_configENS1_25partition_config_selectorILNS1_17partition_subalgoE8EdNS0_10empty_typeEbEEZZNS1_14partition_implILS5_8ELb0ES3_jN6thrust23THRUST_200600_302600_NS6detail15normal_iteratorINSA_10device_ptrIdEEEEPS6_PKS6_NS0_5tupleIJSF_S6_EEENSJ_IJSG_SG_EEENS0_18inequality_wrapperINSA_8equal_toIdEEEEPmJS6_EEE10hipError_tPvRmT3_T4_T5_T6_T7_T9_mT8_P12ihipStream_tbDpT10_ENKUlT_T0_E_clISt17integral_constantIbLb0EES19_IbLb1EEEEDaS15_S16_EUlS15_E_NS1_11comp_targetILNS1_3genE9ELNS1_11target_archE1100ELNS1_3gpuE3ELNS1_3repE0EEENS1_30default_config_static_selectorELNS0_4arch9wavefront6targetE1EEEvT1_.numbered_sgpr, 0
	.set _ZN7rocprim17ROCPRIM_400000_NS6detail17trampoline_kernelINS0_14default_configENS1_25partition_config_selectorILNS1_17partition_subalgoE8EdNS0_10empty_typeEbEEZZNS1_14partition_implILS5_8ELb0ES3_jN6thrust23THRUST_200600_302600_NS6detail15normal_iteratorINSA_10device_ptrIdEEEEPS6_PKS6_NS0_5tupleIJSF_S6_EEENSJ_IJSG_SG_EEENS0_18inequality_wrapperINSA_8equal_toIdEEEEPmJS6_EEE10hipError_tPvRmT3_T4_T5_T6_T7_T9_mT8_P12ihipStream_tbDpT10_ENKUlT_T0_E_clISt17integral_constantIbLb0EES19_IbLb1EEEEDaS15_S16_EUlS15_E_NS1_11comp_targetILNS1_3genE9ELNS1_11target_archE1100ELNS1_3gpuE3ELNS1_3repE0EEENS1_30default_config_static_selectorELNS0_4arch9wavefront6targetE1EEEvT1_.num_named_barrier, 0
	.set _ZN7rocprim17ROCPRIM_400000_NS6detail17trampoline_kernelINS0_14default_configENS1_25partition_config_selectorILNS1_17partition_subalgoE8EdNS0_10empty_typeEbEEZZNS1_14partition_implILS5_8ELb0ES3_jN6thrust23THRUST_200600_302600_NS6detail15normal_iteratorINSA_10device_ptrIdEEEEPS6_PKS6_NS0_5tupleIJSF_S6_EEENSJ_IJSG_SG_EEENS0_18inequality_wrapperINSA_8equal_toIdEEEEPmJS6_EEE10hipError_tPvRmT3_T4_T5_T6_T7_T9_mT8_P12ihipStream_tbDpT10_ENKUlT_T0_E_clISt17integral_constantIbLb0EES19_IbLb1EEEEDaS15_S16_EUlS15_E_NS1_11comp_targetILNS1_3genE9ELNS1_11target_archE1100ELNS1_3gpuE3ELNS1_3repE0EEENS1_30default_config_static_selectorELNS0_4arch9wavefront6targetE1EEEvT1_.private_seg_size, 0
	.set _ZN7rocprim17ROCPRIM_400000_NS6detail17trampoline_kernelINS0_14default_configENS1_25partition_config_selectorILNS1_17partition_subalgoE8EdNS0_10empty_typeEbEEZZNS1_14partition_implILS5_8ELb0ES3_jN6thrust23THRUST_200600_302600_NS6detail15normal_iteratorINSA_10device_ptrIdEEEEPS6_PKS6_NS0_5tupleIJSF_S6_EEENSJ_IJSG_SG_EEENS0_18inequality_wrapperINSA_8equal_toIdEEEEPmJS6_EEE10hipError_tPvRmT3_T4_T5_T6_T7_T9_mT8_P12ihipStream_tbDpT10_ENKUlT_T0_E_clISt17integral_constantIbLb0EES19_IbLb1EEEEDaS15_S16_EUlS15_E_NS1_11comp_targetILNS1_3genE9ELNS1_11target_archE1100ELNS1_3gpuE3ELNS1_3repE0EEENS1_30default_config_static_selectorELNS0_4arch9wavefront6targetE1EEEvT1_.uses_vcc, 0
	.set _ZN7rocprim17ROCPRIM_400000_NS6detail17trampoline_kernelINS0_14default_configENS1_25partition_config_selectorILNS1_17partition_subalgoE8EdNS0_10empty_typeEbEEZZNS1_14partition_implILS5_8ELb0ES3_jN6thrust23THRUST_200600_302600_NS6detail15normal_iteratorINSA_10device_ptrIdEEEEPS6_PKS6_NS0_5tupleIJSF_S6_EEENSJ_IJSG_SG_EEENS0_18inequality_wrapperINSA_8equal_toIdEEEEPmJS6_EEE10hipError_tPvRmT3_T4_T5_T6_T7_T9_mT8_P12ihipStream_tbDpT10_ENKUlT_T0_E_clISt17integral_constantIbLb0EES19_IbLb1EEEEDaS15_S16_EUlS15_E_NS1_11comp_targetILNS1_3genE9ELNS1_11target_archE1100ELNS1_3gpuE3ELNS1_3repE0EEENS1_30default_config_static_selectorELNS0_4arch9wavefront6targetE1EEEvT1_.uses_flat_scratch, 0
	.set _ZN7rocprim17ROCPRIM_400000_NS6detail17trampoline_kernelINS0_14default_configENS1_25partition_config_selectorILNS1_17partition_subalgoE8EdNS0_10empty_typeEbEEZZNS1_14partition_implILS5_8ELb0ES3_jN6thrust23THRUST_200600_302600_NS6detail15normal_iteratorINSA_10device_ptrIdEEEEPS6_PKS6_NS0_5tupleIJSF_S6_EEENSJ_IJSG_SG_EEENS0_18inequality_wrapperINSA_8equal_toIdEEEEPmJS6_EEE10hipError_tPvRmT3_T4_T5_T6_T7_T9_mT8_P12ihipStream_tbDpT10_ENKUlT_T0_E_clISt17integral_constantIbLb0EES19_IbLb1EEEEDaS15_S16_EUlS15_E_NS1_11comp_targetILNS1_3genE9ELNS1_11target_archE1100ELNS1_3gpuE3ELNS1_3repE0EEENS1_30default_config_static_selectorELNS0_4arch9wavefront6targetE1EEEvT1_.has_dyn_sized_stack, 0
	.set _ZN7rocprim17ROCPRIM_400000_NS6detail17trampoline_kernelINS0_14default_configENS1_25partition_config_selectorILNS1_17partition_subalgoE8EdNS0_10empty_typeEbEEZZNS1_14partition_implILS5_8ELb0ES3_jN6thrust23THRUST_200600_302600_NS6detail15normal_iteratorINSA_10device_ptrIdEEEEPS6_PKS6_NS0_5tupleIJSF_S6_EEENSJ_IJSG_SG_EEENS0_18inequality_wrapperINSA_8equal_toIdEEEEPmJS6_EEE10hipError_tPvRmT3_T4_T5_T6_T7_T9_mT8_P12ihipStream_tbDpT10_ENKUlT_T0_E_clISt17integral_constantIbLb0EES19_IbLb1EEEEDaS15_S16_EUlS15_E_NS1_11comp_targetILNS1_3genE9ELNS1_11target_archE1100ELNS1_3gpuE3ELNS1_3repE0EEENS1_30default_config_static_selectorELNS0_4arch9wavefront6targetE1EEEvT1_.has_recursion, 0
	.set _ZN7rocprim17ROCPRIM_400000_NS6detail17trampoline_kernelINS0_14default_configENS1_25partition_config_selectorILNS1_17partition_subalgoE8EdNS0_10empty_typeEbEEZZNS1_14partition_implILS5_8ELb0ES3_jN6thrust23THRUST_200600_302600_NS6detail15normal_iteratorINSA_10device_ptrIdEEEEPS6_PKS6_NS0_5tupleIJSF_S6_EEENSJ_IJSG_SG_EEENS0_18inequality_wrapperINSA_8equal_toIdEEEEPmJS6_EEE10hipError_tPvRmT3_T4_T5_T6_T7_T9_mT8_P12ihipStream_tbDpT10_ENKUlT_T0_E_clISt17integral_constantIbLb0EES19_IbLb1EEEEDaS15_S16_EUlS15_E_NS1_11comp_targetILNS1_3genE9ELNS1_11target_archE1100ELNS1_3gpuE3ELNS1_3repE0EEENS1_30default_config_static_selectorELNS0_4arch9wavefront6targetE1EEEvT1_.has_indirect_call, 0
	.section	.AMDGPU.csdata,"",@progbits
; Kernel info:
; codeLenInByte = 0
; TotalNumSgprs: 4
; NumVgprs: 0
; ScratchSize: 0
; MemoryBound: 0
; FloatMode: 240
; IeeeMode: 1
; LDSByteSize: 0 bytes/workgroup (compile time only)
; SGPRBlocks: 0
; VGPRBlocks: 0
; NumSGPRsForWavesPerEU: 4
; NumVGPRsForWavesPerEU: 1
; Occupancy: 10
; WaveLimiterHint : 0
; COMPUTE_PGM_RSRC2:SCRATCH_EN: 0
; COMPUTE_PGM_RSRC2:USER_SGPR: 6
; COMPUTE_PGM_RSRC2:TRAP_HANDLER: 0
; COMPUTE_PGM_RSRC2:TGID_X_EN: 1
; COMPUTE_PGM_RSRC2:TGID_Y_EN: 0
; COMPUTE_PGM_RSRC2:TGID_Z_EN: 0
; COMPUTE_PGM_RSRC2:TIDIG_COMP_CNT: 0
	.section	.text._ZN7rocprim17ROCPRIM_400000_NS6detail17trampoline_kernelINS0_14default_configENS1_25partition_config_selectorILNS1_17partition_subalgoE8EdNS0_10empty_typeEbEEZZNS1_14partition_implILS5_8ELb0ES3_jN6thrust23THRUST_200600_302600_NS6detail15normal_iteratorINSA_10device_ptrIdEEEEPS6_PKS6_NS0_5tupleIJSF_S6_EEENSJ_IJSG_SG_EEENS0_18inequality_wrapperINSA_8equal_toIdEEEEPmJS6_EEE10hipError_tPvRmT3_T4_T5_T6_T7_T9_mT8_P12ihipStream_tbDpT10_ENKUlT_T0_E_clISt17integral_constantIbLb0EES19_IbLb1EEEEDaS15_S16_EUlS15_E_NS1_11comp_targetILNS1_3genE8ELNS1_11target_archE1030ELNS1_3gpuE2ELNS1_3repE0EEENS1_30default_config_static_selectorELNS0_4arch9wavefront6targetE1EEEvT1_,"axG",@progbits,_ZN7rocprim17ROCPRIM_400000_NS6detail17trampoline_kernelINS0_14default_configENS1_25partition_config_selectorILNS1_17partition_subalgoE8EdNS0_10empty_typeEbEEZZNS1_14partition_implILS5_8ELb0ES3_jN6thrust23THRUST_200600_302600_NS6detail15normal_iteratorINSA_10device_ptrIdEEEEPS6_PKS6_NS0_5tupleIJSF_S6_EEENSJ_IJSG_SG_EEENS0_18inequality_wrapperINSA_8equal_toIdEEEEPmJS6_EEE10hipError_tPvRmT3_T4_T5_T6_T7_T9_mT8_P12ihipStream_tbDpT10_ENKUlT_T0_E_clISt17integral_constantIbLb0EES19_IbLb1EEEEDaS15_S16_EUlS15_E_NS1_11comp_targetILNS1_3genE8ELNS1_11target_archE1030ELNS1_3gpuE2ELNS1_3repE0EEENS1_30default_config_static_selectorELNS0_4arch9wavefront6targetE1EEEvT1_,comdat
	.protected	_ZN7rocprim17ROCPRIM_400000_NS6detail17trampoline_kernelINS0_14default_configENS1_25partition_config_selectorILNS1_17partition_subalgoE8EdNS0_10empty_typeEbEEZZNS1_14partition_implILS5_8ELb0ES3_jN6thrust23THRUST_200600_302600_NS6detail15normal_iteratorINSA_10device_ptrIdEEEEPS6_PKS6_NS0_5tupleIJSF_S6_EEENSJ_IJSG_SG_EEENS0_18inequality_wrapperINSA_8equal_toIdEEEEPmJS6_EEE10hipError_tPvRmT3_T4_T5_T6_T7_T9_mT8_P12ihipStream_tbDpT10_ENKUlT_T0_E_clISt17integral_constantIbLb0EES19_IbLb1EEEEDaS15_S16_EUlS15_E_NS1_11comp_targetILNS1_3genE8ELNS1_11target_archE1030ELNS1_3gpuE2ELNS1_3repE0EEENS1_30default_config_static_selectorELNS0_4arch9wavefront6targetE1EEEvT1_ ; -- Begin function _ZN7rocprim17ROCPRIM_400000_NS6detail17trampoline_kernelINS0_14default_configENS1_25partition_config_selectorILNS1_17partition_subalgoE8EdNS0_10empty_typeEbEEZZNS1_14partition_implILS5_8ELb0ES3_jN6thrust23THRUST_200600_302600_NS6detail15normal_iteratorINSA_10device_ptrIdEEEEPS6_PKS6_NS0_5tupleIJSF_S6_EEENSJ_IJSG_SG_EEENS0_18inequality_wrapperINSA_8equal_toIdEEEEPmJS6_EEE10hipError_tPvRmT3_T4_T5_T6_T7_T9_mT8_P12ihipStream_tbDpT10_ENKUlT_T0_E_clISt17integral_constantIbLb0EES19_IbLb1EEEEDaS15_S16_EUlS15_E_NS1_11comp_targetILNS1_3genE8ELNS1_11target_archE1030ELNS1_3gpuE2ELNS1_3repE0EEENS1_30default_config_static_selectorELNS0_4arch9wavefront6targetE1EEEvT1_
	.globl	_ZN7rocprim17ROCPRIM_400000_NS6detail17trampoline_kernelINS0_14default_configENS1_25partition_config_selectorILNS1_17partition_subalgoE8EdNS0_10empty_typeEbEEZZNS1_14partition_implILS5_8ELb0ES3_jN6thrust23THRUST_200600_302600_NS6detail15normal_iteratorINSA_10device_ptrIdEEEEPS6_PKS6_NS0_5tupleIJSF_S6_EEENSJ_IJSG_SG_EEENS0_18inequality_wrapperINSA_8equal_toIdEEEEPmJS6_EEE10hipError_tPvRmT3_T4_T5_T6_T7_T9_mT8_P12ihipStream_tbDpT10_ENKUlT_T0_E_clISt17integral_constantIbLb0EES19_IbLb1EEEEDaS15_S16_EUlS15_E_NS1_11comp_targetILNS1_3genE8ELNS1_11target_archE1030ELNS1_3gpuE2ELNS1_3repE0EEENS1_30default_config_static_selectorELNS0_4arch9wavefront6targetE1EEEvT1_
	.p2align	8
	.type	_ZN7rocprim17ROCPRIM_400000_NS6detail17trampoline_kernelINS0_14default_configENS1_25partition_config_selectorILNS1_17partition_subalgoE8EdNS0_10empty_typeEbEEZZNS1_14partition_implILS5_8ELb0ES3_jN6thrust23THRUST_200600_302600_NS6detail15normal_iteratorINSA_10device_ptrIdEEEEPS6_PKS6_NS0_5tupleIJSF_S6_EEENSJ_IJSG_SG_EEENS0_18inequality_wrapperINSA_8equal_toIdEEEEPmJS6_EEE10hipError_tPvRmT3_T4_T5_T6_T7_T9_mT8_P12ihipStream_tbDpT10_ENKUlT_T0_E_clISt17integral_constantIbLb0EES19_IbLb1EEEEDaS15_S16_EUlS15_E_NS1_11comp_targetILNS1_3genE8ELNS1_11target_archE1030ELNS1_3gpuE2ELNS1_3repE0EEENS1_30default_config_static_selectorELNS0_4arch9wavefront6targetE1EEEvT1_,@function
_ZN7rocprim17ROCPRIM_400000_NS6detail17trampoline_kernelINS0_14default_configENS1_25partition_config_selectorILNS1_17partition_subalgoE8EdNS0_10empty_typeEbEEZZNS1_14partition_implILS5_8ELb0ES3_jN6thrust23THRUST_200600_302600_NS6detail15normal_iteratorINSA_10device_ptrIdEEEEPS6_PKS6_NS0_5tupleIJSF_S6_EEENSJ_IJSG_SG_EEENS0_18inequality_wrapperINSA_8equal_toIdEEEEPmJS6_EEE10hipError_tPvRmT3_T4_T5_T6_T7_T9_mT8_P12ihipStream_tbDpT10_ENKUlT_T0_E_clISt17integral_constantIbLb0EES19_IbLb1EEEEDaS15_S16_EUlS15_E_NS1_11comp_targetILNS1_3genE8ELNS1_11target_archE1030ELNS1_3gpuE2ELNS1_3repE0EEENS1_30default_config_static_selectorELNS0_4arch9wavefront6targetE1EEEvT1_: ; @_ZN7rocprim17ROCPRIM_400000_NS6detail17trampoline_kernelINS0_14default_configENS1_25partition_config_selectorILNS1_17partition_subalgoE8EdNS0_10empty_typeEbEEZZNS1_14partition_implILS5_8ELb0ES3_jN6thrust23THRUST_200600_302600_NS6detail15normal_iteratorINSA_10device_ptrIdEEEEPS6_PKS6_NS0_5tupleIJSF_S6_EEENSJ_IJSG_SG_EEENS0_18inequality_wrapperINSA_8equal_toIdEEEEPmJS6_EEE10hipError_tPvRmT3_T4_T5_T6_T7_T9_mT8_P12ihipStream_tbDpT10_ENKUlT_T0_E_clISt17integral_constantIbLb0EES19_IbLb1EEEEDaS15_S16_EUlS15_E_NS1_11comp_targetILNS1_3genE8ELNS1_11target_archE1030ELNS1_3gpuE2ELNS1_3repE0EEENS1_30default_config_static_selectorELNS0_4arch9wavefront6targetE1EEEvT1_
; %bb.0:
	.section	.rodata,"a",@progbits
	.p2align	6, 0x0
	.amdhsa_kernel _ZN7rocprim17ROCPRIM_400000_NS6detail17trampoline_kernelINS0_14default_configENS1_25partition_config_selectorILNS1_17partition_subalgoE8EdNS0_10empty_typeEbEEZZNS1_14partition_implILS5_8ELb0ES3_jN6thrust23THRUST_200600_302600_NS6detail15normal_iteratorINSA_10device_ptrIdEEEEPS6_PKS6_NS0_5tupleIJSF_S6_EEENSJ_IJSG_SG_EEENS0_18inequality_wrapperINSA_8equal_toIdEEEEPmJS6_EEE10hipError_tPvRmT3_T4_T5_T6_T7_T9_mT8_P12ihipStream_tbDpT10_ENKUlT_T0_E_clISt17integral_constantIbLb0EES19_IbLb1EEEEDaS15_S16_EUlS15_E_NS1_11comp_targetILNS1_3genE8ELNS1_11target_archE1030ELNS1_3gpuE2ELNS1_3repE0EEENS1_30default_config_static_selectorELNS0_4arch9wavefront6targetE1EEEvT1_
		.amdhsa_group_segment_fixed_size 0
		.amdhsa_private_segment_fixed_size 0
		.amdhsa_kernarg_size 128
		.amdhsa_user_sgpr_count 6
		.amdhsa_user_sgpr_private_segment_buffer 1
		.amdhsa_user_sgpr_dispatch_ptr 0
		.amdhsa_user_sgpr_queue_ptr 0
		.amdhsa_user_sgpr_kernarg_segment_ptr 1
		.amdhsa_user_sgpr_dispatch_id 0
		.amdhsa_user_sgpr_flat_scratch_init 0
		.amdhsa_user_sgpr_private_segment_size 0
		.amdhsa_uses_dynamic_stack 0
		.amdhsa_system_sgpr_private_segment_wavefront_offset 0
		.amdhsa_system_sgpr_workgroup_id_x 1
		.amdhsa_system_sgpr_workgroup_id_y 0
		.amdhsa_system_sgpr_workgroup_id_z 0
		.amdhsa_system_sgpr_workgroup_info 0
		.amdhsa_system_vgpr_workitem_id 0
		.amdhsa_next_free_vgpr 1
		.amdhsa_next_free_sgpr 0
		.amdhsa_reserve_vcc 0
		.amdhsa_reserve_flat_scratch 0
		.amdhsa_float_round_mode_32 0
		.amdhsa_float_round_mode_16_64 0
		.amdhsa_float_denorm_mode_32 3
		.amdhsa_float_denorm_mode_16_64 3
		.amdhsa_dx10_clamp 1
		.amdhsa_ieee_mode 1
		.amdhsa_fp16_overflow 0
		.amdhsa_exception_fp_ieee_invalid_op 0
		.amdhsa_exception_fp_denorm_src 0
		.amdhsa_exception_fp_ieee_div_zero 0
		.amdhsa_exception_fp_ieee_overflow 0
		.amdhsa_exception_fp_ieee_underflow 0
		.amdhsa_exception_fp_ieee_inexact 0
		.amdhsa_exception_int_div_zero 0
	.end_amdhsa_kernel
	.section	.text._ZN7rocprim17ROCPRIM_400000_NS6detail17trampoline_kernelINS0_14default_configENS1_25partition_config_selectorILNS1_17partition_subalgoE8EdNS0_10empty_typeEbEEZZNS1_14partition_implILS5_8ELb0ES3_jN6thrust23THRUST_200600_302600_NS6detail15normal_iteratorINSA_10device_ptrIdEEEEPS6_PKS6_NS0_5tupleIJSF_S6_EEENSJ_IJSG_SG_EEENS0_18inequality_wrapperINSA_8equal_toIdEEEEPmJS6_EEE10hipError_tPvRmT3_T4_T5_T6_T7_T9_mT8_P12ihipStream_tbDpT10_ENKUlT_T0_E_clISt17integral_constantIbLb0EES19_IbLb1EEEEDaS15_S16_EUlS15_E_NS1_11comp_targetILNS1_3genE8ELNS1_11target_archE1030ELNS1_3gpuE2ELNS1_3repE0EEENS1_30default_config_static_selectorELNS0_4arch9wavefront6targetE1EEEvT1_,"axG",@progbits,_ZN7rocprim17ROCPRIM_400000_NS6detail17trampoline_kernelINS0_14default_configENS1_25partition_config_selectorILNS1_17partition_subalgoE8EdNS0_10empty_typeEbEEZZNS1_14partition_implILS5_8ELb0ES3_jN6thrust23THRUST_200600_302600_NS6detail15normal_iteratorINSA_10device_ptrIdEEEEPS6_PKS6_NS0_5tupleIJSF_S6_EEENSJ_IJSG_SG_EEENS0_18inequality_wrapperINSA_8equal_toIdEEEEPmJS6_EEE10hipError_tPvRmT3_T4_T5_T6_T7_T9_mT8_P12ihipStream_tbDpT10_ENKUlT_T0_E_clISt17integral_constantIbLb0EES19_IbLb1EEEEDaS15_S16_EUlS15_E_NS1_11comp_targetILNS1_3genE8ELNS1_11target_archE1030ELNS1_3gpuE2ELNS1_3repE0EEENS1_30default_config_static_selectorELNS0_4arch9wavefront6targetE1EEEvT1_,comdat
.Lfunc_end46:
	.size	_ZN7rocprim17ROCPRIM_400000_NS6detail17trampoline_kernelINS0_14default_configENS1_25partition_config_selectorILNS1_17partition_subalgoE8EdNS0_10empty_typeEbEEZZNS1_14partition_implILS5_8ELb0ES3_jN6thrust23THRUST_200600_302600_NS6detail15normal_iteratorINSA_10device_ptrIdEEEEPS6_PKS6_NS0_5tupleIJSF_S6_EEENSJ_IJSG_SG_EEENS0_18inequality_wrapperINSA_8equal_toIdEEEEPmJS6_EEE10hipError_tPvRmT3_T4_T5_T6_T7_T9_mT8_P12ihipStream_tbDpT10_ENKUlT_T0_E_clISt17integral_constantIbLb0EES19_IbLb1EEEEDaS15_S16_EUlS15_E_NS1_11comp_targetILNS1_3genE8ELNS1_11target_archE1030ELNS1_3gpuE2ELNS1_3repE0EEENS1_30default_config_static_selectorELNS0_4arch9wavefront6targetE1EEEvT1_, .Lfunc_end46-_ZN7rocprim17ROCPRIM_400000_NS6detail17trampoline_kernelINS0_14default_configENS1_25partition_config_selectorILNS1_17partition_subalgoE8EdNS0_10empty_typeEbEEZZNS1_14partition_implILS5_8ELb0ES3_jN6thrust23THRUST_200600_302600_NS6detail15normal_iteratorINSA_10device_ptrIdEEEEPS6_PKS6_NS0_5tupleIJSF_S6_EEENSJ_IJSG_SG_EEENS0_18inequality_wrapperINSA_8equal_toIdEEEEPmJS6_EEE10hipError_tPvRmT3_T4_T5_T6_T7_T9_mT8_P12ihipStream_tbDpT10_ENKUlT_T0_E_clISt17integral_constantIbLb0EES19_IbLb1EEEEDaS15_S16_EUlS15_E_NS1_11comp_targetILNS1_3genE8ELNS1_11target_archE1030ELNS1_3gpuE2ELNS1_3repE0EEENS1_30default_config_static_selectorELNS0_4arch9wavefront6targetE1EEEvT1_
                                        ; -- End function
	.set _ZN7rocprim17ROCPRIM_400000_NS6detail17trampoline_kernelINS0_14default_configENS1_25partition_config_selectorILNS1_17partition_subalgoE8EdNS0_10empty_typeEbEEZZNS1_14partition_implILS5_8ELb0ES3_jN6thrust23THRUST_200600_302600_NS6detail15normal_iteratorINSA_10device_ptrIdEEEEPS6_PKS6_NS0_5tupleIJSF_S6_EEENSJ_IJSG_SG_EEENS0_18inequality_wrapperINSA_8equal_toIdEEEEPmJS6_EEE10hipError_tPvRmT3_T4_T5_T6_T7_T9_mT8_P12ihipStream_tbDpT10_ENKUlT_T0_E_clISt17integral_constantIbLb0EES19_IbLb1EEEEDaS15_S16_EUlS15_E_NS1_11comp_targetILNS1_3genE8ELNS1_11target_archE1030ELNS1_3gpuE2ELNS1_3repE0EEENS1_30default_config_static_selectorELNS0_4arch9wavefront6targetE1EEEvT1_.num_vgpr, 0
	.set _ZN7rocprim17ROCPRIM_400000_NS6detail17trampoline_kernelINS0_14default_configENS1_25partition_config_selectorILNS1_17partition_subalgoE8EdNS0_10empty_typeEbEEZZNS1_14partition_implILS5_8ELb0ES3_jN6thrust23THRUST_200600_302600_NS6detail15normal_iteratorINSA_10device_ptrIdEEEEPS6_PKS6_NS0_5tupleIJSF_S6_EEENSJ_IJSG_SG_EEENS0_18inequality_wrapperINSA_8equal_toIdEEEEPmJS6_EEE10hipError_tPvRmT3_T4_T5_T6_T7_T9_mT8_P12ihipStream_tbDpT10_ENKUlT_T0_E_clISt17integral_constantIbLb0EES19_IbLb1EEEEDaS15_S16_EUlS15_E_NS1_11comp_targetILNS1_3genE8ELNS1_11target_archE1030ELNS1_3gpuE2ELNS1_3repE0EEENS1_30default_config_static_selectorELNS0_4arch9wavefront6targetE1EEEvT1_.num_agpr, 0
	.set _ZN7rocprim17ROCPRIM_400000_NS6detail17trampoline_kernelINS0_14default_configENS1_25partition_config_selectorILNS1_17partition_subalgoE8EdNS0_10empty_typeEbEEZZNS1_14partition_implILS5_8ELb0ES3_jN6thrust23THRUST_200600_302600_NS6detail15normal_iteratorINSA_10device_ptrIdEEEEPS6_PKS6_NS0_5tupleIJSF_S6_EEENSJ_IJSG_SG_EEENS0_18inequality_wrapperINSA_8equal_toIdEEEEPmJS6_EEE10hipError_tPvRmT3_T4_T5_T6_T7_T9_mT8_P12ihipStream_tbDpT10_ENKUlT_T0_E_clISt17integral_constantIbLb0EES19_IbLb1EEEEDaS15_S16_EUlS15_E_NS1_11comp_targetILNS1_3genE8ELNS1_11target_archE1030ELNS1_3gpuE2ELNS1_3repE0EEENS1_30default_config_static_selectorELNS0_4arch9wavefront6targetE1EEEvT1_.numbered_sgpr, 0
	.set _ZN7rocprim17ROCPRIM_400000_NS6detail17trampoline_kernelINS0_14default_configENS1_25partition_config_selectorILNS1_17partition_subalgoE8EdNS0_10empty_typeEbEEZZNS1_14partition_implILS5_8ELb0ES3_jN6thrust23THRUST_200600_302600_NS6detail15normal_iteratorINSA_10device_ptrIdEEEEPS6_PKS6_NS0_5tupleIJSF_S6_EEENSJ_IJSG_SG_EEENS0_18inequality_wrapperINSA_8equal_toIdEEEEPmJS6_EEE10hipError_tPvRmT3_T4_T5_T6_T7_T9_mT8_P12ihipStream_tbDpT10_ENKUlT_T0_E_clISt17integral_constantIbLb0EES19_IbLb1EEEEDaS15_S16_EUlS15_E_NS1_11comp_targetILNS1_3genE8ELNS1_11target_archE1030ELNS1_3gpuE2ELNS1_3repE0EEENS1_30default_config_static_selectorELNS0_4arch9wavefront6targetE1EEEvT1_.num_named_barrier, 0
	.set _ZN7rocprim17ROCPRIM_400000_NS6detail17trampoline_kernelINS0_14default_configENS1_25partition_config_selectorILNS1_17partition_subalgoE8EdNS0_10empty_typeEbEEZZNS1_14partition_implILS5_8ELb0ES3_jN6thrust23THRUST_200600_302600_NS6detail15normal_iteratorINSA_10device_ptrIdEEEEPS6_PKS6_NS0_5tupleIJSF_S6_EEENSJ_IJSG_SG_EEENS0_18inequality_wrapperINSA_8equal_toIdEEEEPmJS6_EEE10hipError_tPvRmT3_T4_T5_T6_T7_T9_mT8_P12ihipStream_tbDpT10_ENKUlT_T0_E_clISt17integral_constantIbLb0EES19_IbLb1EEEEDaS15_S16_EUlS15_E_NS1_11comp_targetILNS1_3genE8ELNS1_11target_archE1030ELNS1_3gpuE2ELNS1_3repE0EEENS1_30default_config_static_selectorELNS0_4arch9wavefront6targetE1EEEvT1_.private_seg_size, 0
	.set _ZN7rocprim17ROCPRIM_400000_NS6detail17trampoline_kernelINS0_14default_configENS1_25partition_config_selectorILNS1_17partition_subalgoE8EdNS0_10empty_typeEbEEZZNS1_14partition_implILS5_8ELb0ES3_jN6thrust23THRUST_200600_302600_NS6detail15normal_iteratorINSA_10device_ptrIdEEEEPS6_PKS6_NS0_5tupleIJSF_S6_EEENSJ_IJSG_SG_EEENS0_18inequality_wrapperINSA_8equal_toIdEEEEPmJS6_EEE10hipError_tPvRmT3_T4_T5_T6_T7_T9_mT8_P12ihipStream_tbDpT10_ENKUlT_T0_E_clISt17integral_constantIbLb0EES19_IbLb1EEEEDaS15_S16_EUlS15_E_NS1_11comp_targetILNS1_3genE8ELNS1_11target_archE1030ELNS1_3gpuE2ELNS1_3repE0EEENS1_30default_config_static_selectorELNS0_4arch9wavefront6targetE1EEEvT1_.uses_vcc, 0
	.set _ZN7rocprim17ROCPRIM_400000_NS6detail17trampoline_kernelINS0_14default_configENS1_25partition_config_selectorILNS1_17partition_subalgoE8EdNS0_10empty_typeEbEEZZNS1_14partition_implILS5_8ELb0ES3_jN6thrust23THRUST_200600_302600_NS6detail15normal_iteratorINSA_10device_ptrIdEEEEPS6_PKS6_NS0_5tupleIJSF_S6_EEENSJ_IJSG_SG_EEENS0_18inequality_wrapperINSA_8equal_toIdEEEEPmJS6_EEE10hipError_tPvRmT3_T4_T5_T6_T7_T9_mT8_P12ihipStream_tbDpT10_ENKUlT_T0_E_clISt17integral_constantIbLb0EES19_IbLb1EEEEDaS15_S16_EUlS15_E_NS1_11comp_targetILNS1_3genE8ELNS1_11target_archE1030ELNS1_3gpuE2ELNS1_3repE0EEENS1_30default_config_static_selectorELNS0_4arch9wavefront6targetE1EEEvT1_.uses_flat_scratch, 0
	.set _ZN7rocprim17ROCPRIM_400000_NS6detail17trampoline_kernelINS0_14default_configENS1_25partition_config_selectorILNS1_17partition_subalgoE8EdNS0_10empty_typeEbEEZZNS1_14partition_implILS5_8ELb0ES3_jN6thrust23THRUST_200600_302600_NS6detail15normal_iteratorINSA_10device_ptrIdEEEEPS6_PKS6_NS0_5tupleIJSF_S6_EEENSJ_IJSG_SG_EEENS0_18inequality_wrapperINSA_8equal_toIdEEEEPmJS6_EEE10hipError_tPvRmT3_T4_T5_T6_T7_T9_mT8_P12ihipStream_tbDpT10_ENKUlT_T0_E_clISt17integral_constantIbLb0EES19_IbLb1EEEEDaS15_S16_EUlS15_E_NS1_11comp_targetILNS1_3genE8ELNS1_11target_archE1030ELNS1_3gpuE2ELNS1_3repE0EEENS1_30default_config_static_selectorELNS0_4arch9wavefront6targetE1EEEvT1_.has_dyn_sized_stack, 0
	.set _ZN7rocprim17ROCPRIM_400000_NS6detail17trampoline_kernelINS0_14default_configENS1_25partition_config_selectorILNS1_17partition_subalgoE8EdNS0_10empty_typeEbEEZZNS1_14partition_implILS5_8ELb0ES3_jN6thrust23THRUST_200600_302600_NS6detail15normal_iteratorINSA_10device_ptrIdEEEEPS6_PKS6_NS0_5tupleIJSF_S6_EEENSJ_IJSG_SG_EEENS0_18inequality_wrapperINSA_8equal_toIdEEEEPmJS6_EEE10hipError_tPvRmT3_T4_T5_T6_T7_T9_mT8_P12ihipStream_tbDpT10_ENKUlT_T0_E_clISt17integral_constantIbLb0EES19_IbLb1EEEEDaS15_S16_EUlS15_E_NS1_11comp_targetILNS1_3genE8ELNS1_11target_archE1030ELNS1_3gpuE2ELNS1_3repE0EEENS1_30default_config_static_selectorELNS0_4arch9wavefront6targetE1EEEvT1_.has_recursion, 0
	.set _ZN7rocprim17ROCPRIM_400000_NS6detail17trampoline_kernelINS0_14default_configENS1_25partition_config_selectorILNS1_17partition_subalgoE8EdNS0_10empty_typeEbEEZZNS1_14partition_implILS5_8ELb0ES3_jN6thrust23THRUST_200600_302600_NS6detail15normal_iteratorINSA_10device_ptrIdEEEEPS6_PKS6_NS0_5tupleIJSF_S6_EEENSJ_IJSG_SG_EEENS0_18inequality_wrapperINSA_8equal_toIdEEEEPmJS6_EEE10hipError_tPvRmT3_T4_T5_T6_T7_T9_mT8_P12ihipStream_tbDpT10_ENKUlT_T0_E_clISt17integral_constantIbLb0EES19_IbLb1EEEEDaS15_S16_EUlS15_E_NS1_11comp_targetILNS1_3genE8ELNS1_11target_archE1030ELNS1_3gpuE2ELNS1_3repE0EEENS1_30default_config_static_selectorELNS0_4arch9wavefront6targetE1EEEvT1_.has_indirect_call, 0
	.section	.AMDGPU.csdata,"",@progbits
; Kernel info:
; codeLenInByte = 0
; TotalNumSgprs: 4
; NumVgprs: 0
; ScratchSize: 0
; MemoryBound: 0
; FloatMode: 240
; IeeeMode: 1
; LDSByteSize: 0 bytes/workgroup (compile time only)
; SGPRBlocks: 0
; VGPRBlocks: 0
; NumSGPRsForWavesPerEU: 4
; NumVGPRsForWavesPerEU: 1
; Occupancy: 10
; WaveLimiterHint : 0
; COMPUTE_PGM_RSRC2:SCRATCH_EN: 0
; COMPUTE_PGM_RSRC2:USER_SGPR: 6
; COMPUTE_PGM_RSRC2:TRAP_HANDLER: 0
; COMPUTE_PGM_RSRC2:TGID_X_EN: 1
; COMPUTE_PGM_RSRC2:TGID_Y_EN: 0
; COMPUTE_PGM_RSRC2:TGID_Z_EN: 0
; COMPUTE_PGM_RSRC2:TIDIG_COMP_CNT: 0
	.section	.text._ZN7rocprim17ROCPRIM_400000_NS6detail17trampoline_kernelINS0_14default_configENS1_25partition_config_selectorILNS1_17partition_subalgoE8EdNS0_10empty_typeEbEEZZNS1_14partition_implILS5_8ELb0ES3_jN6thrust23THRUST_200600_302600_NS6detail15normal_iteratorINSA_10device_ptrIdEEEEPS6_PKS6_NS0_5tupleIJSF_S6_EEENSJ_IJSG_SG_EEENS0_18inequality_wrapperI22is_equal_div_10_uniqueIdEEEPmJS6_EEE10hipError_tPvRmT3_T4_T5_T6_T7_T9_mT8_P12ihipStream_tbDpT10_ENKUlT_T0_E_clISt17integral_constantIbLb0EES1A_EEDaS15_S16_EUlS15_E_NS1_11comp_targetILNS1_3genE0ELNS1_11target_archE4294967295ELNS1_3gpuE0ELNS1_3repE0EEENS1_30default_config_static_selectorELNS0_4arch9wavefront6targetE1EEEvT1_,"axG",@progbits,_ZN7rocprim17ROCPRIM_400000_NS6detail17trampoline_kernelINS0_14default_configENS1_25partition_config_selectorILNS1_17partition_subalgoE8EdNS0_10empty_typeEbEEZZNS1_14partition_implILS5_8ELb0ES3_jN6thrust23THRUST_200600_302600_NS6detail15normal_iteratorINSA_10device_ptrIdEEEEPS6_PKS6_NS0_5tupleIJSF_S6_EEENSJ_IJSG_SG_EEENS0_18inequality_wrapperI22is_equal_div_10_uniqueIdEEEPmJS6_EEE10hipError_tPvRmT3_T4_T5_T6_T7_T9_mT8_P12ihipStream_tbDpT10_ENKUlT_T0_E_clISt17integral_constantIbLb0EES1A_EEDaS15_S16_EUlS15_E_NS1_11comp_targetILNS1_3genE0ELNS1_11target_archE4294967295ELNS1_3gpuE0ELNS1_3repE0EEENS1_30default_config_static_selectorELNS0_4arch9wavefront6targetE1EEEvT1_,comdat
	.protected	_ZN7rocprim17ROCPRIM_400000_NS6detail17trampoline_kernelINS0_14default_configENS1_25partition_config_selectorILNS1_17partition_subalgoE8EdNS0_10empty_typeEbEEZZNS1_14partition_implILS5_8ELb0ES3_jN6thrust23THRUST_200600_302600_NS6detail15normal_iteratorINSA_10device_ptrIdEEEEPS6_PKS6_NS0_5tupleIJSF_S6_EEENSJ_IJSG_SG_EEENS0_18inequality_wrapperI22is_equal_div_10_uniqueIdEEEPmJS6_EEE10hipError_tPvRmT3_T4_T5_T6_T7_T9_mT8_P12ihipStream_tbDpT10_ENKUlT_T0_E_clISt17integral_constantIbLb0EES1A_EEDaS15_S16_EUlS15_E_NS1_11comp_targetILNS1_3genE0ELNS1_11target_archE4294967295ELNS1_3gpuE0ELNS1_3repE0EEENS1_30default_config_static_selectorELNS0_4arch9wavefront6targetE1EEEvT1_ ; -- Begin function _ZN7rocprim17ROCPRIM_400000_NS6detail17trampoline_kernelINS0_14default_configENS1_25partition_config_selectorILNS1_17partition_subalgoE8EdNS0_10empty_typeEbEEZZNS1_14partition_implILS5_8ELb0ES3_jN6thrust23THRUST_200600_302600_NS6detail15normal_iteratorINSA_10device_ptrIdEEEEPS6_PKS6_NS0_5tupleIJSF_S6_EEENSJ_IJSG_SG_EEENS0_18inequality_wrapperI22is_equal_div_10_uniqueIdEEEPmJS6_EEE10hipError_tPvRmT3_T4_T5_T6_T7_T9_mT8_P12ihipStream_tbDpT10_ENKUlT_T0_E_clISt17integral_constantIbLb0EES1A_EEDaS15_S16_EUlS15_E_NS1_11comp_targetILNS1_3genE0ELNS1_11target_archE4294967295ELNS1_3gpuE0ELNS1_3repE0EEENS1_30default_config_static_selectorELNS0_4arch9wavefront6targetE1EEEvT1_
	.globl	_ZN7rocprim17ROCPRIM_400000_NS6detail17trampoline_kernelINS0_14default_configENS1_25partition_config_selectorILNS1_17partition_subalgoE8EdNS0_10empty_typeEbEEZZNS1_14partition_implILS5_8ELb0ES3_jN6thrust23THRUST_200600_302600_NS6detail15normal_iteratorINSA_10device_ptrIdEEEEPS6_PKS6_NS0_5tupleIJSF_S6_EEENSJ_IJSG_SG_EEENS0_18inequality_wrapperI22is_equal_div_10_uniqueIdEEEPmJS6_EEE10hipError_tPvRmT3_T4_T5_T6_T7_T9_mT8_P12ihipStream_tbDpT10_ENKUlT_T0_E_clISt17integral_constantIbLb0EES1A_EEDaS15_S16_EUlS15_E_NS1_11comp_targetILNS1_3genE0ELNS1_11target_archE4294967295ELNS1_3gpuE0ELNS1_3repE0EEENS1_30default_config_static_selectorELNS0_4arch9wavefront6targetE1EEEvT1_
	.p2align	8
	.type	_ZN7rocprim17ROCPRIM_400000_NS6detail17trampoline_kernelINS0_14default_configENS1_25partition_config_selectorILNS1_17partition_subalgoE8EdNS0_10empty_typeEbEEZZNS1_14partition_implILS5_8ELb0ES3_jN6thrust23THRUST_200600_302600_NS6detail15normal_iteratorINSA_10device_ptrIdEEEEPS6_PKS6_NS0_5tupleIJSF_S6_EEENSJ_IJSG_SG_EEENS0_18inequality_wrapperI22is_equal_div_10_uniqueIdEEEPmJS6_EEE10hipError_tPvRmT3_T4_T5_T6_T7_T9_mT8_P12ihipStream_tbDpT10_ENKUlT_T0_E_clISt17integral_constantIbLb0EES1A_EEDaS15_S16_EUlS15_E_NS1_11comp_targetILNS1_3genE0ELNS1_11target_archE4294967295ELNS1_3gpuE0ELNS1_3repE0EEENS1_30default_config_static_selectorELNS0_4arch9wavefront6targetE1EEEvT1_,@function
_ZN7rocprim17ROCPRIM_400000_NS6detail17trampoline_kernelINS0_14default_configENS1_25partition_config_selectorILNS1_17partition_subalgoE8EdNS0_10empty_typeEbEEZZNS1_14partition_implILS5_8ELb0ES3_jN6thrust23THRUST_200600_302600_NS6detail15normal_iteratorINSA_10device_ptrIdEEEEPS6_PKS6_NS0_5tupleIJSF_S6_EEENSJ_IJSG_SG_EEENS0_18inequality_wrapperI22is_equal_div_10_uniqueIdEEEPmJS6_EEE10hipError_tPvRmT3_T4_T5_T6_T7_T9_mT8_P12ihipStream_tbDpT10_ENKUlT_T0_E_clISt17integral_constantIbLb0EES1A_EEDaS15_S16_EUlS15_E_NS1_11comp_targetILNS1_3genE0ELNS1_11target_archE4294967295ELNS1_3gpuE0ELNS1_3repE0EEENS1_30default_config_static_selectorELNS0_4arch9wavefront6targetE1EEEvT1_: ; @_ZN7rocprim17ROCPRIM_400000_NS6detail17trampoline_kernelINS0_14default_configENS1_25partition_config_selectorILNS1_17partition_subalgoE8EdNS0_10empty_typeEbEEZZNS1_14partition_implILS5_8ELb0ES3_jN6thrust23THRUST_200600_302600_NS6detail15normal_iteratorINSA_10device_ptrIdEEEEPS6_PKS6_NS0_5tupleIJSF_S6_EEENSJ_IJSG_SG_EEENS0_18inequality_wrapperI22is_equal_div_10_uniqueIdEEEPmJS6_EEE10hipError_tPvRmT3_T4_T5_T6_T7_T9_mT8_P12ihipStream_tbDpT10_ENKUlT_T0_E_clISt17integral_constantIbLb0EES1A_EEDaS15_S16_EUlS15_E_NS1_11comp_targetILNS1_3genE0ELNS1_11target_archE4294967295ELNS1_3gpuE0ELNS1_3repE0EEENS1_30default_config_static_selectorELNS0_4arch9wavefront6targetE1EEEvT1_
; %bb.0:
	.section	.rodata,"a",@progbits
	.p2align	6, 0x0
	.amdhsa_kernel _ZN7rocprim17ROCPRIM_400000_NS6detail17trampoline_kernelINS0_14default_configENS1_25partition_config_selectorILNS1_17partition_subalgoE8EdNS0_10empty_typeEbEEZZNS1_14partition_implILS5_8ELb0ES3_jN6thrust23THRUST_200600_302600_NS6detail15normal_iteratorINSA_10device_ptrIdEEEEPS6_PKS6_NS0_5tupleIJSF_S6_EEENSJ_IJSG_SG_EEENS0_18inequality_wrapperI22is_equal_div_10_uniqueIdEEEPmJS6_EEE10hipError_tPvRmT3_T4_T5_T6_T7_T9_mT8_P12ihipStream_tbDpT10_ENKUlT_T0_E_clISt17integral_constantIbLb0EES1A_EEDaS15_S16_EUlS15_E_NS1_11comp_targetILNS1_3genE0ELNS1_11target_archE4294967295ELNS1_3gpuE0ELNS1_3repE0EEENS1_30default_config_static_selectorELNS0_4arch9wavefront6targetE1EEEvT1_
		.amdhsa_group_segment_fixed_size 0
		.amdhsa_private_segment_fixed_size 0
		.amdhsa_kernarg_size 112
		.amdhsa_user_sgpr_count 6
		.amdhsa_user_sgpr_private_segment_buffer 1
		.amdhsa_user_sgpr_dispatch_ptr 0
		.amdhsa_user_sgpr_queue_ptr 0
		.amdhsa_user_sgpr_kernarg_segment_ptr 1
		.amdhsa_user_sgpr_dispatch_id 0
		.amdhsa_user_sgpr_flat_scratch_init 0
		.amdhsa_user_sgpr_private_segment_size 0
		.amdhsa_uses_dynamic_stack 0
		.amdhsa_system_sgpr_private_segment_wavefront_offset 0
		.amdhsa_system_sgpr_workgroup_id_x 1
		.amdhsa_system_sgpr_workgroup_id_y 0
		.amdhsa_system_sgpr_workgroup_id_z 0
		.amdhsa_system_sgpr_workgroup_info 0
		.amdhsa_system_vgpr_workitem_id 0
		.amdhsa_next_free_vgpr 1
		.amdhsa_next_free_sgpr 0
		.amdhsa_reserve_vcc 0
		.amdhsa_reserve_flat_scratch 0
		.amdhsa_float_round_mode_32 0
		.amdhsa_float_round_mode_16_64 0
		.amdhsa_float_denorm_mode_32 3
		.amdhsa_float_denorm_mode_16_64 3
		.amdhsa_dx10_clamp 1
		.amdhsa_ieee_mode 1
		.amdhsa_fp16_overflow 0
		.amdhsa_exception_fp_ieee_invalid_op 0
		.amdhsa_exception_fp_denorm_src 0
		.amdhsa_exception_fp_ieee_div_zero 0
		.amdhsa_exception_fp_ieee_overflow 0
		.amdhsa_exception_fp_ieee_underflow 0
		.amdhsa_exception_fp_ieee_inexact 0
		.amdhsa_exception_int_div_zero 0
	.end_amdhsa_kernel
	.section	.text._ZN7rocprim17ROCPRIM_400000_NS6detail17trampoline_kernelINS0_14default_configENS1_25partition_config_selectorILNS1_17partition_subalgoE8EdNS0_10empty_typeEbEEZZNS1_14partition_implILS5_8ELb0ES3_jN6thrust23THRUST_200600_302600_NS6detail15normal_iteratorINSA_10device_ptrIdEEEEPS6_PKS6_NS0_5tupleIJSF_S6_EEENSJ_IJSG_SG_EEENS0_18inequality_wrapperI22is_equal_div_10_uniqueIdEEEPmJS6_EEE10hipError_tPvRmT3_T4_T5_T6_T7_T9_mT8_P12ihipStream_tbDpT10_ENKUlT_T0_E_clISt17integral_constantIbLb0EES1A_EEDaS15_S16_EUlS15_E_NS1_11comp_targetILNS1_3genE0ELNS1_11target_archE4294967295ELNS1_3gpuE0ELNS1_3repE0EEENS1_30default_config_static_selectorELNS0_4arch9wavefront6targetE1EEEvT1_,"axG",@progbits,_ZN7rocprim17ROCPRIM_400000_NS6detail17trampoline_kernelINS0_14default_configENS1_25partition_config_selectorILNS1_17partition_subalgoE8EdNS0_10empty_typeEbEEZZNS1_14partition_implILS5_8ELb0ES3_jN6thrust23THRUST_200600_302600_NS6detail15normal_iteratorINSA_10device_ptrIdEEEEPS6_PKS6_NS0_5tupleIJSF_S6_EEENSJ_IJSG_SG_EEENS0_18inequality_wrapperI22is_equal_div_10_uniqueIdEEEPmJS6_EEE10hipError_tPvRmT3_T4_T5_T6_T7_T9_mT8_P12ihipStream_tbDpT10_ENKUlT_T0_E_clISt17integral_constantIbLb0EES1A_EEDaS15_S16_EUlS15_E_NS1_11comp_targetILNS1_3genE0ELNS1_11target_archE4294967295ELNS1_3gpuE0ELNS1_3repE0EEENS1_30default_config_static_selectorELNS0_4arch9wavefront6targetE1EEEvT1_,comdat
.Lfunc_end47:
	.size	_ZN7rocprim17ROCPRIM_400000_NS6detail17trampoline_kernelINS0_14default_configENS1_25partition_config_selectorILNS1_17partition_subalgoE8EdNS0_10empty_typeEbEEZZNS1_14partition_implILS5_8ELb0ES3_jN6thrust23THRUST_200600_302600_NS6detail15normal_iteratorINSA_10device_ptrIdEEEEPS6_PKS6_NS0_5tupleIJSF_S6_EEENSJ_IJSG_SG_EEENS0_18inequality_wrapperI22is_equal_div_10_uniqueIdEEEPmJS6_EEE10hipError_tPvRmT3_T4_T5_T6_T7_T9_mT8_P12ihipStream_tbDpT10_ENKUlT_T0_E_clISt17integral_constantIbLb0EES1A_EEDaS15_S16_EUlS15_E_NS1_11comp_targetILNS1_3genE0ELNS1_11target_archE4294967295ELNS1_3gpuE0ELNS1_3repE0EEENS1_30default_config_static_selectorELNS0_4arch9wavefront6targetE1EEEvT1_, .Lfunc_end47-_ZN7rocprim17ROCPRIM_400000_NS6detail17trampoline_kernelINS0_14default_configENS1_25partition_config_selectorILNS1_17partition_subalgoE8EdNS0_10empty_typeEbEEZZNS1_14partition_implILS5_8ELb0ES3_jN6thrust23THRUST_200600_302600_NS6detail15normal_iteratorINSA_10device_ptrIdEEEEPS6_PKS6_NS0_5tupleIJSF_S6_EEENSJ_IJSG_SG_EEENS0_18inequality_wrapperI22is_equal_div_10_uniqueIdEEEPmJS6_EEE10hipError_tPvRmT3_T4_T5_T6_T7_T9_mT8_P12ihipStream_tbDpT10_ENKUlT_T0_E_clISt17integral_constantIbLb0EES1A_EEDaS15_S16_EUlS15_E_NS1_11comp_targetILNS1_3genE0ELNS1_11target_archE4294967295ELNS1_3gpuE0ELNS1_3repE0EEENS1_30default_config_static_selectorELNS0_4arch9wavefront6targetE1EEEvT1_
                                        ; -- End function
	.set _ZN7rocprim17ROCPRIM_400000_NS6detail17trampoline_kernelINS0_14default_configENS1_25partition_config_selectorILNS1_17partition_subalgoE8EdNS0_10empty_typeEbEEZZNS1_14partition_implILS5_8ELb0ES3_jN6thrust23THRUST_200600_302600_NS6detail15normal_iteratorINSA_10device_ptrIdEEEEPS6_PKS6_NS0_5tupleIJSF_S6_EEENSJ_IJSG_SG_EEENS0_18inequality_wrapperI22is_equal_div_10_uniqueIdEEEPmJS6_EEE10hipError_tPvRmT3_T4_T5_T6_T7_T9_mT8_P12ihipStream_tbDpT10_ENKUlT_T0_E_clISt17integral_constantIbLb0EES1A_EEDaS15_S16_EUlS15_E_NS1_11comp_targetILNS1_3genE0ELNS1_11target_archE4294967295ELNS1_3gpuE0ELNS1_3repE0EEENS1_30default_config_static_selectorELNS0_4arch9wavefront6targetE1EEEvT1_.num_vgpr, 0
	.set _ZN7rocprim17ROCPRIM_400000_NS6detail17trampoline_kernelINS0_14default_configENS1_25partition_config_selectorILNS1_17partition_subalgoE8EdNS0_10empty_typeEbEEZZNS1_14partition_implILS5_8ELb0ES3_jN6thrust23THRUST_200600_302600_NS6detail15normal_iteratorINSA_10device_ptrIdEEEEPS6_PKS6_NS0_5tupleIJSF_S6_EEENSJ_IJSG_SG_EEENS0_18inequality_wrapperI22is_equal_div_10_uniqueIdEEEPmJS6_EEE10hipError_tPvRmT3_T4_T5_T6_T7_T9_mT8_P12ihipStream_tbDpT10_ENKUlT_T0_E_clISt17integral_constantIbLb0EES1A_EEDaS15_S16_EUlS15_E_NS1_11comp_targetILNS1_3genE0ELNS1_11target_archE4294967295ELNS1_3gpuE0ELNS1_3repE0EEENS1_30default_config_static_selectorELNS0_4arch9wavefront6targetE1EEEvT1_.num_agpr, 0
	.set _ZN7rocprim17ROCPRIM_400000_NS6detail17trampoline_kernelINS0_14default_configENS1_25partition_config_selectorILNS1_17partition_subalgoE8EdNS0_10empty_typeEbEEZZNS1_14partition_implILS5_8ELb0ES3_jN6thrust23THRUST_200600_302600_NS6detail15normal_iteratorINSA_10device_ptrIdEEEEPS6_PKS6_NS0_5tupleIJSF_S6_EEENSJ_IJSG_SG_EEENS0_18inequality_wrapperI22is_equal_div_10_uniqueIdEEEPmJS6_EEE10hipError_tPvRmT3_T4_T5_T6_T7_T9_mT8_P12ihipStream_tbDpT10_ENKUlT_T0_E_clISt17integral_constantIbLb0EES1A_EEDaS15_S16_EUlS15_E_NS1_11comp_targetILNS1_3genE0ELNS1_11target_archE4294967295ELNS1_3gpuE0ELNS1_3repE0EEENS1_30default_config_static_selectorELNS0_4arch9wavefront6targetE1EEEvT1_.numbered_sgpr, 0
	.set _ZN7rocprim17ROCPRIM_400000_NS6detail17trampoline_kernelINS0_14default_configENS1_25partition_config_selectorILNS1_17partition_subalgoE8EdNS0_10empty_typeEbEEZZNS1_14partition_implILS5_8ELb0ES3_jN6thrust23THRUST_200600_302600_NS6detail15normal_iteratorINSA_10device_ptrIdEEEEPS6_PKS6_NS0_5tupleIJSF_S6_EEENSJ_IJSG_SG_EEENS0_18inequality_wrapperI22is_equal_div_10_uniqueIdEEEPmJS6_EEE10hipError_tPvRmT3_T4_T5_T6_T7_T9_mT8_P12ihipStream_tbDpT10_ENKUlT_T0_E_clISt17integral_constantIbLb0EES1A_EEDaS15_S16_EUlS15_E_NS1_11comp_targetILNS1_3genE0ELNS1_11target_archE4294967295ELNS1_3gpuE0ELNS1_3repE0EEENS1_30default_config_static_selectorELNS0_4arch9wavefront6targetE1EEEvT1_.num_named_barrier, 0
	.set _ZN7rocprim17ROCPRIM_400000_NS6detail17trampoline_kernelINS0_14default_configENS1_25partition_config_selectorILNS1_17partition_subalgoE8EdNS0_10empty_typeEbEEZZNS1_14partition_implILS5_8ELb0ES3_jN6thrust23THRUST_200600_302600_NS6detail15normal_iteratorINSA_10device_ptrIdEEEEPS6_PKS6_NS0_5tupleIJSF_S6_EEENSJ_IJSG_SG_EEENS0_18inequality_wrapperI22is_equal_div_10_uniqueIdEEEPmJS6_EEE10hipError_tPvRmT3_T4_T5_T6_T7_T9_mT8_P12ihipStream_tbDpT10_ENKUlT_T0_E_clISt17integral_constantIbLb0EES1A_EEDaS15_S16_EUlS15_E_NS1_11comp_targetILNS1_3genE0ELNS1_11target_archE4294967295ELNS1_3gpuE0ELNS1_3repE0EEENS1_30default_config_static_selectorELNS0_4arch9wavefront6targetE1EEEvT1_.private_seg_size, 0
	.set _ZN7rocprim17ROCPRIM_400000_NS6detail17trampoline_kernelINS0_14default_configENS1_25partition_config_selectorILNS1_17partition_subalgoE8EdNS0_10empty_typeEbEEZZNS1_14partition_implILS5_8ELb0ES3_jN6thrust23THRUST_200600_302600_NS6detail15normal_iteratorINSA_10device_ptrIdEEEEPS6_PKS6_NS0_5tupleIJSF_S6_EEENSJ_IJSG_SG_EEENS0_18inequality_wrapperI22is_equal_div_10_uniqueIdEEEPmJS6_EEE10hipError_tPvRmT3_T4_T5_T6_T7_T9_mT8_P12ihipStream_tbDpT10_ENKUlT_T0_E_clISt17integral_constantIbLb0EES1A_EEDaS15_S16_EUlS15_E_NS1_11comp_targetILNS1_3genE0ELNS1_11target_archE4294967295ELNS1_3gpuE0ELNS1_3repE0EEENS1_30default_config_static_selectorELNS0_4arch9wavefront6targetE1EEEvT1_.uses_vcc, 0
	.set _ZN7rocprim17ROCPRIM_400000_NS6detail17trampoline_kernelINS0_14default_configENS1_25partition_config_selectorILNS1_17partition_subalgoE8EdNS0_10empty_typeEbEEZZNS1_14partition_implILS5_8ELb0ES3_jN6thrust23THRUST_200600_302600_NS6detail15normal_iteratorINSA_10device_ptrIdEEEEPS6_PKS6_NS0_5tupleIJSF_S6_EEENSJ_IJSG_SG_EEENS0_18inequality_wrapperI22is_equal_div_10_uniqueIdEEEPmJS6_EEE10hipError_tPvRmT3_T4_T5_T6_T7_T9_mT8_P12ihipStream_tbDpT10_ENKUlT_T0_E_clISt17integral_constantIbLb0EES1A_EEDaS15_S16_EUlS15_E_NS1_11comp_targetILNS1_3genE0ELNS1_11target_archE4294967295ELNS1_3gpuE0ELNS1_3repE0EEENS1_30default_config_static_selectorELNS0_4arch9wavefront6targetE1EEEvT1_.uses_flat_scratch, 0
	.set _ZN7rocprim17ROCPRIM_400000_NS6detail17trampoline_kernelINS0_14default_configENS1_25partition_config_selectorILNS1_17partition_subalgoE8EdNS0_10empty_typeEbEEZZNS1_14partition_implILS5_8ELb0ES3_jN6thrust23THRUST_200600_302600_NS6detail15normal_iteratorINSA_10device_ptrIdEEEEPS6_PKS6_NS0_5tupleIJSF_S6_EEENSJ_IJSG_SG_EEENS0_18inequality_wrapperI22is_equal_div_10_uniqueIdEEEPmJS6_EEE10hipError_tPvRmT3_T4_T5_T6_T7_T9_mT8_P12ihipStream_tbDpT10_ENKUlT_T0_E_clISt17integral_constantIbLb0EES1A_EEDaS15_S16_EUlS15_E_NS1_11comp_targetILNS1_3genE0ELNS1_11target_archE4294967295ELNS1_3gpuE0ELNS1_3repE0EEENS1_30default_config_static_selectorELNS0_4arch9wavefront6targetE1EEEvT1_.has_dyn_sized_stack, 0
	.set _ZN7rocprim17ROCPRIM_400000_NS6detail17trampoline_kernelINS0_14default_configENS1_25partition_config_selectorILNS1_17partition_subalgoE8EdNS0_10empty_typeEbEEZZNS1_14partition_implILS5_8ELb0ES3_jN6thrust23THRUST_200600_302600_NS6detail15normal_iteratorINSA_10device_ptrIdEEEEPS6_PKS6_NS0_5tupleIJSF_S6_EEENSJ_IJSG_SG_EEENS0_18inequality_wrapperI22is_equal_div_10_uniqueIdEEEPmJS6_EEE10hipError_tPvRmT3_T4_T5_T6_T7_T9_mT8_P12ihipStream_tbDpT10_ENKUlT_T0_E_clISt17integral_constantIbLb0EES1A_EEDaS15_S16_EUlS15_E_NS1_11comp_targetILNS1_3genE0ELNS1_11target_archE4294967295ELNS1_3gpuE0ELNS1_3repE0EEENS1_30default_config_static_selectorELNS0_4arch9wavefront6targetE1EEEvT1_.has_recursion, 0
	.set _ZN7rocprim17ROCPRIM_400000_NS6detail17trampoline_kernelINS0_14default_configENS1_25partition_config_selectorILNS1_17partition_subalgoE8EdNS0_10empty_typeEbEEZZNS1_14partition_implILS5_8ELb0ES3_jN6thrust23THRUST_200600_302600_NS6detail15normal_iteratorINSA_10device_ptrIdEEEEPS6_PKS6_NS0_5tupleIJSF_S6_EEENSJ_IJSG_SG_EEENS0_18inequality_wrapperI22is_equal_div_10_uniqueIdEEEPmJS6_EEE10hipError_tPvRmT3_T4_T5_T6_T7_T9_mT8_P12ihipStream_tbDpT10_ENKUlT_T0_E_clISt17integral_constantIbLb0EES1A_EEDaS15_S16_EUlS15_E_NS1_11comp_targetILNS1_3genE0ELNS1_11target_archE4294967295ELNS1_3gpuE0ELNS1_3repE0EEENS1_30default_config_static_selectorELNS0_4arch9wavefront6targetE1EEEvT1_.has_indirect_call, 0
	.section	.AMDGPU.csdata,"",@progbits
; Kernel info:
; codeLenInByte = 0
; TotalNumSgprs: 4
; NumVgprs: 0
; ScratchSize: 0
; MemoryBound: 0
; FloatMode: 240
; IeeeMode: 1
; LDSByteSize: 0 bytes/workgroup (compile time only)
; SGPRBlocks: 0
; VGPRBlocks: 0
; NumSGPRsForWavesPerEU: 4
; NumVGPRsForWavesPerEU: 1
; Occupancy: 10
; WaveLimiterHint : 0
; COMPUTE_PGM_RSRC2:SCRATCH_EN: 0
; COMPUTE_PGM_RSRC2:USER_SGPR: 6
; COMPUTE_PGM_RSRC2:TRAP_HANDLER: 0
; COMPUTE_PGM_RSRC2:TGID_X_EN: 1
; COMPUTE_PGM_RSRC2:TGID_Y_EN: 0
; COMPUTE_PGM_RSRC2:TGID_Z_EN: 0
; COMPUTE_PGM_RSRC2:TIDIG_COMP_CNT: 0
	.section	.text._ZN7rocprim17ROCPRIM_400000_NS6detail17trampoline_kernelINS0_14default_configENS1_25partition_config_selectorILNS1_17partition_subalgoE8EdNS0_10empty_typeEbEEZZNS1_14partition_implILS5_8ELb0ES3_jN6thrust23THRUST_200600_302600_NS6detail15normal_iteratorINSA_10device_ptrIdEEEEPS6_PKS6_NS0_5tupleIJSF_S6_EEENSJ_IJSG_SG_EEENS0_18inequality_wrapperI22is_equal_div_10_uniqueIdEEEPmJS6_EEE10hipError_tPvRmT3_T4_T5_T6_T7_T9_mT8_P12ihipStream_tbDpT10_ENKUlT_T0_E_clISt17integral_constantIbLb0EES1A_EEDaS15_S16_EUlS15_E_NS1_11comp_targetILNS1_3genE5ELNS1_11target_archE942ELNS1_3gpuE9ELNS1_3repE0EEENS1_30default_config_static_selectorELNS0_4arch9wavefront6targetE1EEEvT1_,"axG",@progbits,_ZN7rocprim17ROCPRIM_400000_NS6detail17trampoline_kernelINS0_14default_configENS1_25partition_config_selectorILNS1_17partition_subalgoE8EdNS0_10empty_typeEbEEZZNS1_14partition_implILS5_8ELb0ES3_jN6thrust23THRUST_200600_302600_NS6detail15normal_iteratorINSA_10device_ptrIdEEEEPS6_PKS6_NS0_5tupleIJSF_S6_EEENSJ_IJSG_SG_EEENS0_18inequality_wrapperI22is_equal_div_10_uniqueIdEEEPmJS6_EEE10hipError_tPvRmT3_T4_T5_T6_T7_T9_mT8_P12ihipStream_tbDpT10_ENKUlT_T0_E_clISt17integral_constantIbLb0EES1A_EEDaS15_S16_EUlS15_E_NS1_11comp_targetILNS1_3genE5ELNS1_11target_archE942ELNS1_3gpuE9ELNS1_3repE0EEENS1_30default_config_static_selectorELNS0_4arch9wavefront6targetE1EEEvT1_,comdat
	.protected	_ZN7rocprim17ROCPRIM_400000_NS6detail17trampoline_kernelINS0_14default_configENS1_25partition_config_selectorILNS1_17partition_subalgoE8EdNS0_10empty_typeEbEEZZNS1_14partition_implILS5_8ELb0ES3_jN6thrust23THRUST_200600_302600_NS6detail15normal_iteratorINSA_10device_ptrIdEEEEPS6_PKS6_NS0_5tupleIJSF_S6_EEENSJ_IJSG_SG_EEENS0_18inequality_wrapperI22is_equal_div_10_uniqueIdEEEPmJS6_EEE10hipError_tPvRmT3_T4_T5_T6_T7_T9_mT8_P12ihipStream_tbDpT10_ENKUlT_T0_E_clISt17integral_constantIbLb0EES1A_EEDaS15_S16_EUlS15_E_NS1_11comp_targetILNS1_3genE5ELNS1_11target_archE942ELNS1_3gpuE9ELNS1_3repE0EEENS1_30default_config_static_selectorELNS0_4arch9wavefront6targetE1EEEvT1_ ; -- Begin function _ZN7rocprim17ROCPRIM_400000_NS6detail17trampoline_kernelINS0_14default_configENS1_25partition_config_selectorILNS1_17partition_subalgoE8EdNS0_10empty_typeEbEEZZNS1_14partition_implILS5_8ELb0ES3_jN6thrust23THRUST_200600_302600_NS6detail15normal_iteratorINSA_10device_ptrIdEEEEPS6_PKS6_NS0_5tupleIJSF_S6_EEENSJ_IJSG_SG_EEENS0_18inequality_wrapperI22is_equal_div_10_uniqueIdEEEPmJS6_EEE10hipError_tPvRmT3_T4_T5_T6_T7_T9_mT8_P12ihipStream_tbDpT10_ENKUlT_T0_E_clISt17integral_constantIbLb0EES1A_EEDaS15_S16_EUlS15_E_NS1_11comp_targetILNS1_3genE5ELNS1_11target_archE942ELNS1_3gpuE9ELNS1_3repE0EEENS1_30default_config_static_selectorELNS0_4arch9wavefront6targetE1EEEvT1_
	.globl	_ZN7rocprim17ROCPRIM_400000_NS6detail17trampoline_kernelINS0_14default_configENS1_25partition_config_selectorILNS1_17partition_subalgoE8EdNS0_10empty_typeEbEEZZNS1_14partition_implILS5_8ELb0ES3_jN6thrust23THRUST_200600_302600_NS6detail15normal_iteratorINSA_10device_ptrIdEEEEPS6_PKS6_NS0_5tupleIJSF_S6_EEENSJ_IJSG_SG_EEENS0_18inequality_wrapperI22is_equal_div_10_uniqueIdEEEPmJS6_EEE10hipError_tPvRmT3_T4_T5_T6_T7_T9_mT8_P12ihipStream_tbDpT10_ENKUlT_T0_E_clISt17integral_constantIbLb0EES1A_EEDaS15_S16_EUlS15_E_NS1_11comp_targetILNS1_3genE5ELNS1_11target_archE942ELNS1_3gpuE9ELNS1_3repE0EEENS1_30default_config_static_selectorELNS0_4arch9wavefront6targetE1EEEvT1_
	.p2align	8
	.type	_ZN7rocprim17ROCPRIM_400000_NS6detail17trampoline_kernelINS0_14default_configENS1_25partition_config_selectorILNS1_17partition_subalgoE8EdNS0_10empty_typeEbEEZZNS1_14partition_implILS5_8ELb0ES3_jN6thrust23THRUST_200600_302600_NS6detail15normal_iteratorINSA_10device_ptrIdEEEEPS6_PKS6_NS0_5tupleIJSF_S6_EEENSJ_IJSG_SG_EEENS0_18inequality_wrapperI22is_equal_div_10_uniqueIdEEEPmJS6_EEE10hipError_tPvRmT3_T4_T5_T6_T7_T9_mT8_P12ihipStream_tbDpT10_ENKUlT_T0_E_clISt17integral_constantIbLb0EES1A_EEDaS15_S16_EUlS15_E_NS1_11comp_targetILNS1_3genE5ELNS1_11target_archE942ELNS1_3gpuE9ELNS1_3repE0EEENS1_30default_config_static_selectorELNS0_4arch9wavefront6targetE1EEEvT1_,@function
_ZN7rocprim17ROCPRIM_400000_NS6detail17trampoline_kernelINS0_14default_configENS1_25partition_config_selectorILNS1_17partition_subalgoE8EdNS0_10empty_typeEbEEZZNS1_14partition_implILS5_8ELb0ES3_jN6thrust23THRUST_200600_302600_NS6detail15normal_iteratorINSA_10device_ptrIdEEEEPS6_PKS6_NS0_5tupleIJSF_S6_EEENSJ_IJSG_SG_EEENS0_18inequality_wrapperI22is_equal_div_10_uniqueIdEEEPmJS6_EEE10hipError_tPvRmT3_T4_T5_T6_T7_T9_mT8_P12ihipStream_tbDpT10_ENKUlT_T0_E_clISt17integral_constantIbLb0EES1A_EEDaS15_S16_EUlS15_E_NS1_11comp_targetILNS1_3genE5ELNS1_11target_archE942ELNS1_3gpuE9ELNS1_3repE0EEENS1_30default_config_static_selectorELNS0_4arch9wavefront6targetE1EEEvT1_: ; @_ZN7rocprim17ROCPRIM_400000_NS6detail17trampoline_kernelINS0_14default_configENS1_25partition_config_selectorILNS1_17partition_subalgoE8EdNS0_10empty_typeEbEEZZNS1_14partition_implILS5_8ELb0ES3_jN6thrust23THRUST_200600_302600_NS6detail15normal_iteratorINSA_10device_ptrIdEEEEPS6_PKS6_NS0_5tupleIJSF_S6_EEENSJ_IJSG_SG_EEENS0_18inequality_wrapperI22is_equal_div_10_uniqueIdEEEPmJS6_EEE10hipError_tPvRmT3_T4_T5_T6_T7_T9_mT8_P12ihipStream_tbDpT10_ENKUlT_T0_E_clISt17integral_constantIbLb0EES1A_EEDaS15_S16_EUlS15_E_NS1_11comp_targetILNS1_3genE5ELNS1_11target_archE942ELNS1_3gpuE9ELNS1_3repE0EEENS1_30default_config_static_selectorELNS0_4arch9wavefront6targetE1EEEvT1_
; %bb.0:
	.section	.rodata,"a",@progbits
	.p2align	6, 0x0
	.amdhsa_kernel _ZN7rocprim17ROCPRIM_400000_NS6detail17trampoline_kernelINS0_14default_configENS1_25partition_config_selectorILNS1_17partition_subalgoE8EdNS0_10empty_typeEbEEZZNS1_14partition_implILS5_8ELb0ES3_jN6thrust23THRUST_200600_302600_NS6detail15normal_iteratorINSA_10device_ptrIdEEEEPS6_PKS6_NS0_5tupleIJSF_S6_EEENSJ_IJSG_SG_EEENS0_18inequality_wrapperI22is_equal_div_10_uniqueIdEEEPmJS6_EEE10hipError_tPvRmT3_T4_T5_T6_T7_T9_mT8_P12ihipStream_tbDpT10_ENKUlT_T0_E_clISt17integral_constantIbLb0EES1A_EEDaS15_S16_EUlS15_E_NS1_11comp_targetILNS1_3genE5ELNS1_11target_archE942ELNS1_3gpuE9ELNS1_3repE0EEENS1_30default_config_static_selectorELNS0_4arch9wavefront6targetE1EEEvT1_
		.amdhsa_group_segment_fixed_size 0
		.amdhsa_private_segment_fixed_size 0
		.amdhsa_kernarg_size 112
		.amdhsa_user_sgpr_count 6
		.amdhsa_user_sgpr_private_segment_buffer 1
		.amdhsa_user_sgpr_dispatch_ptr 0
		.amdhsa_user_sgpr_queue_ptr 0
		.amdhsa_user_sgpr_kernarg_segment_ptr 1
		.amdhsa_user_sgpr_dispatch_id 0
		.amdhsa_user_sgpr_flat_scratch_init 0
		.amdhsa_user_sgpr_private_segment_size 0
		.amdhsa_uses_dynamic_stack 0
		.amdhsa_system_sgpr_private_segment_wavefront_offset 0
		.amdhsa_system_sgpr_workgroup_id_x 1
		.amdhsa_system_sgpr_workgroup_id_y 0
		.amdhsa_system_sgpr_workgroup_id_z 0
		.amdhsa_system_sgpr_workgroup_info 0
		.amdhsa_system_vgpr_workitem_id 0
		.amdhsa_next_free_vgpr 1
		.amdhsa_next_free_sgpr 0
		.amdhsa_reserve_vcc 0
		.amdhsa_reserve_flat_scratch 0
		.amdhsa_float_round_mode_32 0
		.amdhsa_float_round_mode_16_64 0
		.amdhsa_float_denorm_mode_32 3
		.amdhsa_float_denorm_mode_16_64 3
		.amdhsa_dx10_clamp 1
		.amdhsa_ieee_mode 1
		.amdhsa_fp16_overflow 0
		.amdhsa_exception_fp_ieee_invalid_op 0
		.amdhsa_exception_fp_denorm_src 0
		.amdhsa_exception_fp_ieee_div_zero 0
		.amdhsa_exception_fp_ieee_overflow 0
		.amdhsa_exception_fp_ieee_underflow 0
		.amdhsa_exception_fp_ieee_inexact 0
		.amdhsa_exception_int_div_zero 0
	.end_amdhsa_kernel
	.section	.text._ZN7rocprim17ROCPRIM_400000_NS6detail17trampoline_kernelINS0_14default_configENS1_25partition_config_selectorILNS1_17partition_subalgoE8EdNS0_10empty_typeEbEEZZNS1_14partition_implILS5_8ELb0ES3_jN6thrust23THRUST_200600_302600_NS6detail15normal_iteratorINSA_10device_ptrIdEEEEPS6_PKS6_NS0_5tupleIJSF_S6_EEENSJ_IJSG_SG_EEENS0_18inequality_wrapperI22is_equal_div_10_uniqueIdEEEPmJS6_EEE10hipError_tPvRmT3_T4_T5_T6_T7_T9_mT8_P12ihipStream_tbDpT10_ENKUlT_T0_E_clISt17integral_constantIbLb0EES1A_EEDaS15_S16_EUlS15_E_NS1_11comp_targetILNS1_3genE5ELNS1_11target_archE942ELNS1_3gpuE9ELNS1_3repE0EEENS1_30default_config_static_selectorELNS0_4arch9wavefront6targetE1EEEvT1_,"axG",@progbits,_ZN7rocprim17ROCPRIM_400000_NS6detail17trampoline_kernelINS0_14default_configENS1_25partition_config_selectorILNS1_17partition_subalgoE8EdNS0_10empty_typeEbEEZZNS1_14partition_implILS5_8ELb0ES3_jN6thrust23THRUST_200600_302600_NS6detail15normal_iteratorINSA_10device_ptrIdEEEEPS6_PKS6_NS0_5tupleIJSF_S6_EEENSJ_IJSG_SG_EEENS0_18inequality_wrapperI22is_equal_div_10_uniqueIdEEEPmJS6_EEE10hipError_tPvRmT3_T4_T5_T6_T7_T9_mT8_P12ihipStream_tbDpT10_ENKUlT_T0_E_clISt17integral_constantIbLb0EES1A_EEDaS15_S16_EUlS15_E_NS1_11comp_targetILNS1_3genE5ELNS1_11target_archE942ELNS1_3gpuE9ELNS1_3repE0EEENS1_30default_config_static_selectorELNS0_4arch9wavefront6targetE1EEEvT1_,comdat
.Lfunc_end48:
	.size	_ZN7rocprim17ROCPRIM_400000_NS6detail17trampoline_kernelINS0_14default_configENS1_25partition_config_selectorILNS1_17partition_subalgoE8EdNS0_10empty_typeEbEEZZNS1_14partition_implILS5_8ELb0ES3_jN6thrust23THRUST_200600_302600_NS6detail15normal_iteratorINSA_10device_ptrIdEEEEPS6_PKS6_NS0_5tupleIJSF_S6_EEENSJ_IJSG_SG_EEENS0_18inequality_wrapperI22is_equal_div_10_uniqueIdEEEPmJS6_EEE10hipError_tPvRmT3_T4_T5_T6_T7_T9_mT8_P12ihipStream_tbDpT10_ENKUlT_T0_E_clISt17integral_constantIbLb0EES1A_EEDaS15_S16_EUlS15_E_NS1_11comp_targetILNS1_3genE5ELNS1_11target_archE942ELNS1_3gpuE9ELNS1_3repE0EEENS1_30default_config_static_selectorELNS0_4arch9wavefront6targetE1EEEvT1_, .Lfunc_end48-_ZN7rocprim17ROCPRIM_400000_NS6detail17trampoline_kernelINS0_14default_configENS1_25partition_config_selectorILNS1_17partition_subalgoE8EdNS0_10empty_typeEbEEZZNS1_14partition_implILS5_8ELb0ES3_jN6thrust23THRUST_200600_302600_NS6detail15normal_iteratorINSA_10device_ptrIdEEEEPS6_PKS6_NS0_5tupleIJSF_S6_EEENSJ_IJSG_SG_EEENS0_18inequality_wrapperI22is_equal_div_10_uniqueIdEEEPmJS6_EEE10hipError_tPvRmT3_T4_T5_T6_T7_T9_mT8_P12ihipStream_tbDpT10_ENKUlT_T0_E_clISt17integral_constantIbLb0EES1A_EEDaS15_S16_EUlS15_E_NS1_11comp_targetILNS1_3genE5ELNS1_11target_archE942ELNS1_3gpuE9ELNS1_3repE0EEENS1_30default_config_static_selectorELNS0_4arch9wavefront6targetE1EEEvT1_
                                        ; -- End function
	.set _ZN7rocprim17ROCPRIM_400000_NS6detail17trampoline_kernelINS0_14default_configENS1_25partition_config_selectorILNS1_17partition_subalgoE8EdNS0_10empty_typeEbEEZZNS1_14partition_implILS5_8ELb0ES3_jN6thrust23THRUST_200600_302600_NS6detail15normal_iteratorINSA_10device_ptrIdEEEEPS6_PKS6_NS0_5tupleIJSF_S6_EEENSJ_IJSG_SG_EEENS0_18inequality_wrapperI22is_equal_div_10_uniqueIdEEEPmJS6_EEE10hipError_tPvRmT3_T4_T5_T6_T7_T9_mT8_P12ihipStream_tbDpT10_ENKUlT_T0_E_clISt17integral_constantIbLb0EES1A_EEDaS15_S16_EUlS15_E_NS1_11comp_targetILNS1_3genE5ELNS1_11target_archE942ELNS1_3gpuE9ELNS1_3repE0EEENS1_30default_config_static_selectorELNS0_4arch9wavefront6targetE1EEEvT1_.num_vgpr, 0
	.set _ZN7rocprim17ROCPRIM_400000_NS6detail17trampoline_kernelINS0_14default_configENS1_25partition_config_selectorILNS1_17partition_subalgoE8EdNS0_10empty_typeEbEEZZNS1_14partition_implILS5_8ELb0ES3_jN6thrust23THRUST_200600_302600_NS6detail15normal_iteratorINSA_10device_ptrIdEEEEPS6_PKS6_NS0_5tupleIJSF_S6_EEENSJ_IJSG_SG_EEENS0_18inequality_wrapperI22is_equal_div_10_uniqueIdEEEPmJS6_EEE10hipError_tPvRmT3_T4_T5_T6_T7_T9_mT8_P12ihipStream_tbDpT10_ENKUlT_T0_E_clISt17integral_constantIbLb0EES1A_EEDaS15_S16_EUlS15_E_NS1_11comp_targetILNS1_3genE5ELNS1_11target_archE942ELNS1_3gpuE9ELNS1_3repE0EEENS1_30default_config_static_selectorELNS0_4arch9wavefront6targetE1EEEvT1_.num_agpr, 0
	.set _ZN7rocprim17ROCPRIM_400000_NS6detail17trampoline_kernelINS0_14default_configENS1_25partition_config_selectorILNS1_17partition_subalgoE8EdNS0_10empty_typeEbEEZZNS1_14partition_implILS5_8ELb0ES3_jN6thrust23THRUST_200600_302600_NS6detail15normal_iteratorINSA_10device_ptrIdEEEEPS6_PKS6_NS0_5tupleIJSF_S6_EEENSJ_IJSG_SG_EEENS0_18inequality_wrapperI22is_equal_div_10_uniqueIdEEEPmJS6_EEE10hipError_tPvRmT3_T4_T5_T6_T7_T9_mT8_P12ihipStream_tbDpT10_ENKUlT_T0_E_clISt17integral_constantIbLb0EES1A_EEDaS15_S16_EUlS15_E_NS1_11comp_targetILNS1_3genE5ELNS1_11target_archE942ELNS1_3gpuE9ELNS1_3repE0EEENS1_30default_config_static_selectorELNS0_4arch9wavefront6targetE1EEEvT1_.numbered_sgpr, 0
	.set _ZN7rocprim17ROCPRIM_400000_NS6detail17trampoline_kernelINS0_14default_configENS1_25partition_config_selectorILNS1_17partition_subalgoE8EdNS0_10empty_typeEbEEZZNS1_14partition_implILS5_8ELb0ES3_jN6thrust23THRUST_200600_302600_NS6detail15normal_iteratorINSA_10device_ptrIdEEEEPS6_PKS6_NS0_5tupleIJSF_S6_EEENSJ_IJSG_SG_EEENS0_18inequality_wrapperI22is_equal_div_10_uniqueIdEEEPmJS6_EEE10hipError_tPvRmT3_T4_T5_T6_T7_T9_mT8_P12ihipStream_tbDpT10_ENKUlT_T0_E_clISt17integral_constantIbLb0EES1A_EEDaS15_S16_EUlS15_E_NS1_11comp_targetILNS1_3genE5ELNS1_11target_archE942ELNS1_3gpuE9ELNS1_3repE0EEENS1_30default_config_static_selectorELNS0_4arch9wavefront6targetE1EEEvT1_.num_named_barrier, 0
	.set _ZN7rocprim17ROCPRIM_400000_NS6detail17trampoline_kernelINS0_14default_configENS1_25partition_config_selectorILNS1_17partition_subalgoE8EdNS0_10empty_typeEbEEZZNS1_14partition_implILS5_8ELb0ES3_jN6thrust23THRUST_200600_302600_NS6detail15normal_iteratorINSA_10device_ptrIdEEEEPS6_PKS6_NS0_5tupleIJSF_S6_EEENSJ_IJSG_SG_EEENS0_18inequality_wrapperI22is_equal_div_10_uniqueIdEEEPmJS6_EEE10hipError_tPvRmT3_T4_T5_T6_T7_T9_mT8_P12ihipStream_tbDpT10_ENKUlT_T0_E_clISt17integral_constantIbLb0EES1A_EEDaS15_S16_EUlS15_E_NS1_11comp_targetILNS1_3genE5ELNS1_11target_archE942ELNS1_3gpuE9ELNS1_3repE0EEENS1_30default_config_static_selectorELNS0_4arch9wavefront6targetE1EEEvT1_.private_seg_size, 0
	.set _ZN7rocprim17ROCPRIM_400000_NS6detail17trampoline_kernelINS0_14default_configENS1_25partition_config_selectorILNS1_17partition_subalgoE8EdNS0_10empty_typeEbEEZZNS1_14partition_implILS5_8ELb0ES3_jN6thrust23THRUST_200600_302600_NS6detail15normal_iteratorINSA_10device_ptrIdEEEEPS6_PKS6_NS0_5tupleIJSF_S6_EEENSJ_IJSG_SG_EEENS0_18inequality_wrapperI22is_equal_div_10_uniqueIdEEEPmJS6_EEE10hipError_tPvRmT3_T4_T5_T6_T7_T9_mT8_P12ihipStream_tbDpT10_ENKUlT_T0_E_clISt17integral_constantIbLb0EES1A_EEDaS15_S16_EUlS15_E_NS1_11comp_targetILNS1_3genE5ELNS1_11target_archE942ELNS1_3gpuE9ELNS1_3repE0EEENS1_30default_config_static_selectorELNS0_4arch9wavefront6targetE1EEEvT1_.uses_vcc, 0
	.set _ZN7rocprim17ROCPRIM_400000_NS6detail17trampoline_kernelINS0_14default_configENS1_25partition_config_selectorILNS1_17partition_subalgoE8EdNS0_10empty_typeEbEEZZNS1_14partition_implILS5_8ELb0ES3_jN6thrust23THRUST_200600_302600_NS6detail15normal_iteratorINSA_10device_ptrIdEEEEPS6_PKS6_NS0_5tupleIJSF_S6_EEENSJ_IJSG_SG_EEENS0_18inequality_wrapperI22is_equal_div_10_uniqueIdEEEPmJS6_EEE10hipError_tPvRmT3_T4_T5_T6_T7_T9_mT8_P12ihipStream_tbDpT10_ENKUlT_T0_E_clISt17integral_constantIbLb0EES1A_EEDaS15_S16_EUlS15_E_NS1_11comp_targetILNS1_3genE5ELNS1_11target_archE942ELNS1_3gpuE9ELNS1_3repE0EEENS1_30default_config_static_selectorELNS0_4arch9wavefront6targetE1EEEvT1_.uses_flat_scratch, 0
	.set _ZN7rocprim17ROCPRIM_400000_NS6detail17trampoline_kernelINS0_14default_configENS1_25partition_config_selectorILNS1_17partition_subalgoE8EdNS0_10empty_typeEbEEZZNS1_14partition_implILS5_8ELb0ES3_jN6thrust23THRUST_200600_302600_NS6detail15normal_iteratorINSA_10device_ptrIdEEEEPS6_PKS6_NS0_5tupleIJSF_S6_EEENSJ_IJSG_SG_EEENS0_18inequality_wrapperI22is_equal_div_10_uniqueIdEEEPmJS6_EEE10hipError_tPvRmT3_T4_T5_T6_T7_T9_mT8_P12ihipStream_tbDpT10_ENKUlT_T0_E_clISt17integral_constantIbLb0EES1A_EEDaS15_S16_EUlS15_E_NS1_11comp_targetILNS1_3genE5ELNS1_11target_archE942ELNS1_3gpuE9ELNS1_3repE0EEENS1_30default_config_static_selectorELNS0_4arch9wavefront6targetE1EEEvT1_.has_dyn_sized_stack, 0
	.set _ZN7rocprim17ROCPRIM_400000_NS6detail17trampoline_kernelINS0_14default_configENS1_25partition_config_selectorILNS1_17partition_subalgoE8EdNS0_10empty_typeEbEEZZNS1_14partition_implILS5_8ELb0ES3_jN6thrust23THRUST_200600_302600_NS6detail15normal_iteratorINSA_10device_ptrIdEEEEPS6_PKS6_NS0_5tupleIJSF_S6_EEENSJ_IJSG_SG_EEENS0_18inequality_wrapperI22is_equal_div_10_uniqueIdEEEPmJS6_EEE10hipError_tPvRmT3_T4_T5_T6_T7_T9_mT8_P12ihipStream_tbDpT10_ENKUlT_T0_E_clISt17integral_constantIbLb0EES1A_EEDaS15_S16_EUlS15_E_NS1_11comp_targetILNS1_3genE5ELNS1_11target_archE942ELNS1_3gpuE9ELNS1_3repE0EEENS1_30default_config_static_selectorELNS0_4arch9wavefront6targetE1EEEvT1_.has_recursion, 0
	.set _ZN7rocprim17ROCPRIM_400000_NS6detail17trampoline_kernelINS0_14default_configENS1_25partition_config_selectorILNS1_17partition_subalgoE8EdNS0_10empty_typeEbEEZZNS1_14partition_implILS5_8ELb0ES3_jN6thrust23THRUST_200600_302600_NS6detail15normal_iteratorINSA_10device_ptrIdEEEEPS6_PKS6_NS0_5tupleIJSF_S6_EEENSJ_IJSG_SG_EEENS0_18inequality_wrapperI22is_equal_div_10_uniqueIdEEEPmJS6_EEE10hipError_tPvRmT3_T4_T5_T6_T7_T9_mT8_P12ihipStream_tbDpT10_ENKUlT_T0_E_clISt17integral_constantIbLb0EES1A_EEDaS15_S16_EUlS15_E_NS1_11comp_targetILNS1_3genE5ELNS1_11target_archE942ELNS1_3gpuE9ELNS1_3repE0EEENS1_30default_config_static_selectorELNS0_4arch9wavefront6targetE1EEEvT1_.has_indirect_call, 0
	.section	.AMDGPU.csdata,"",@progbits
; Kernel info:
; codeLenInByte = 0
; TotalNumSgprs: 4
; NumVgprs: 0
; ScratchSize: 0
; MemoryBound: 0
; FloatMode: 240
; IeeeMode: 1
; LDSByteSize: 0 bytes/workgroup (compile time only)
; SGPRBlocks: 0
; VGPRBlocks: 0
; NumSGPRsForWavesPerEU: 4
; NumVGPRsForWavesPerEU: 1
; Occupancy: 10
; WaveLimiterHint : 0
; COMPUTE_PGM_RSRC2:SCRATCH_EN: 0
; COMPUTE_PGM_RSRC2:USER_SGPR: 6
; COMPUTE_PGM_RSRC2:TRAP_HANDLER: 0
; COMPUTE_PGM_RSRC2:TGID_X_EN: 1
; COMPUTE_PGM_RSRC2:TGID_Y_EN: 0
; COMPUTE_PGM_RSRC2:TGID_Z_EN: 0
; COMPUTE_PGM_RSRC2:TIDIG_COMP_CNT: 0
	.section	.text._ZN7rocprim17ROCPRIM_400000_NS6detail17trampoline_kernelINS0_14default_configENS1_25partition_config_selectorILNS1_17partition_subalgoE8EdNS0_10empty_typeEbEEZZNS1_14partition_implILS5_8ELb0ES3_jN6thrust23THRUST_200600_302600_NS6detail15normal_iteratorINSA_10device_ptrIdEEEEPS6_PKS6_NS0_5tupleIJSF_S6_EEENSJ_IJSG_SG_EEENS0_18inequality_wrapperI22is_equal_div_10_uniqueIdEEEPmJS6_EEE10hipError_tPvRmT3_T4_T5_T6_T7_T9_mT8_P12ihipStream_tbDpT10_ENKUlT_T0_E_clISt17integral_constantIbLb0EES1A_EEDaS15_S16_EUlS15_E_NS1_11comp_targetILNS1_3genE4ELNS1_11target_archE910ELNS1_3gpuE8ELNS1_3repE0EEENS1_30default_config_static_selectorELNS0_4arch9wavefront6targetE1EEEvT1_,"axG",@progbits,_ZN7rocprim17ROCPRIM_400000_NS6detail17trampoline_kernelINS0_14default_configENS1_25partition_config_selectorILNS1_17partition_subalgoE8EdNS0_10empty_typeEbEEZZNS1_14partition_implILS5_8ELb0ES3_jN6thrust23THRUST_200600_302600_NS6detail15normal_iteratorINSA_10device_ptrIdEEEEPS6_PKS6_NS0_5tupleIJSF_S6_EEENSJ_IJSG_SG_EEENS0_18inequality_wrapperI22is_equal_div_10_uniqueIdEEEPmJS6_EEE10hipError_tPvRmT3_T4_T5_T6_T7_T9_mT8_P12ihipStream_tbDpT10_ENKUlT_T0_E_clISt17integral_constantIbLb0EES1A_EEDaS15_S16_EUlS15_E_NS1_11comp_targetILNS1_3genE4ELNS1_11target_archE910ELNS1_3gpuE8ELNS1_3repE0EEENS1_30default_config_static_selectorELNS0_4arch9wavefront6targetE1EEEvT1_,comdat
	.protected	_ZN7rocprim17ROCPRIM_400000_NS6detail17trampoline_kernelINS0_14default_configENS1_25partition_config_selectorILNS1_17partition_subalgoE8EdNS0_10empty_typeEbEEZZNS1_14partition_implILS5_8ELb0ES3_jN6thrust23THRUST_200600_302600_NS6detail15normal_iteratorINSA_10device_ptrIdEEEEPS6_PKS6_NS0_5tupleIJSF_S6_EEENSJ_IJSG_SG_EEENS0_18inequality_wrapperI22is_equal_div_10_uniqueIdEEEPmJS6_EEE10hipError_tPvRmT3_T4_T5_T6_T7_T9_mT8_P12ihipStream_tbDpT10_ENKUlT_T0_E_clISt17integral_constantIbLb0EES1A_EEDaS15_S16_EUlS15_E_NS1_11comp_targetILNS1_3genE4ELNS1_11target_archE910ELNS1_3gpuE8ELNS1_3repE0EEENS1_30default_config_static_selectorELNS0_4arch9wavefront6targetE1EEEvT1_ ; -- Begin function _ZN7rocprim17ROCPRIM_400000_NS6detail17trampoline_kernelINS0_14default_configENS1_25partition_config_selectorILNS1_17partition_subalgoE8EdNS0_10empty_typeEbEEZZNS1_14partition_implILS5_8ELb0ES3_jN6thrust23THRUST_200600_302600_NS6detail15normal_iteratorINSA_10device_ptrIdEEEEPS6_PKS6_NS0_5tupleIJSF_S6_EEENSJ_IJSG_SG_EEENS0_18inequality_wrapperI22is_equal_div_10_uniqueIdEEEPmJS6_EEE10hipError_tPvRmT3_T4_T5_T6_T7_T9_mT8_P12ihipStream_tbDpT10_ENKUlT_T0_E_clISt17integral_constantIbLb0EES1A_EEDaS15_S16_EUlS15_E_NS1_11comp_targetILNS1_3genE4ELNS1_11target_archE910ELNS1_3gpuE8ELNS1_3repE0EEENS1_30default_config_static_selectorELNS0_4arch9wavefront6targetE1EEEvT1_
	.globl	_ZN7rocprim17ROCPRIM_400000_NS6detail17trampoline_kernelINS0_14default_configENS1_25partition_config_selectorILNS1_17partition_subalgoE8EdNS0_10empty_typeEbEEZZNS1_14partition_implILS5_8ELb0ES3_jN6thrust23THRUST_200600_302600_NS6detail15normal_iteratorINSA_10device_ptrIdEEEEPS6_PKS6_NS0_5tupleIJSF_S6_EEENSJ_IJSG_SG_EEENS0_18inequality_wrapperI22is_equal_div_10_uniqueIdEEEPmJS6_EEE10hipError_tPvRmT3_T4_T5_T6_T7_T9_mT8_P12ihipStream_tbDpT10_ENKUlT_T0_E_clISt17integral_constantIbLb0EES1A_EEDaS15_S16_EUlS15_E_NS1_11comp_targetILNS1_3genE4ELNS1_11target_archE910ELNS1_3gpuE8ELNS1_3repE0EEENS1_30default_config_static_selectorELNS0_4arch9wavefront6targetE1EEEvT1_
	.p2align	8
	.type	_ZN7rocprim17ROCPRIM_400000_NS6detail17trampoline_kernelINS0_14default_configENS1_25partition_config_selectorILNS1_17partition_subalgoE8EdNS0_10empty_typeEbEEZZNS1_14partition_implILS5_8ELb0ES3_jN6thrust23THRUST_200600_302600_NS6detail15normal_iteratorINSA_10device_ptrIdEEEEPS6_PKS6_NS0_5tupleIJSF_S6_EEENSJ_IJSG_SG_EEENS0_18inequality_wrapperI22is_equal_div_10_uniqueIdEEEPmJS6_EEE10hipError_tPvRmT3_T4_T5_T6_T7_T9_mT8_P12ihipStream_tbDpT10_ENKUlT_T0_E_clISt17integral_constantIbLb0EES1A_EEDaS15_S16_EUlS15_E_NS1_11comp_targetILNS1_3genE4ELNS1_11target_archE910ELNS1_3gpuE8ELNS1_3repE0EEENS1_30default_config_static_selectorELNS0_4arch9wavefront6targetE1EEEvT1_,@function
_ZN7rocprim17ROCPRIM_400000_NS6detail17trampoline_kernelINS0_14default_configENS1_25partition_config_selectorILNS1_17partition_subalgoE8EdNS0_10empty_typeEbEEZZNS1_14partition_implILS5_8ELb0ES3_jN6thrust23THRUST_200600_302600_NS6detail15normal_iteratorINSA_10device_ptrIdEEEEPS6_PKS6_NS0_5tupleIJSF_S6_EEENSJ_IJSG_SG_EEENS0_18inequality_wrapperI22is_equal_div_10_uniqueIdEEEPmJS6_EEE10hipError_tPvRmT3_T4_T5_T6_T7_T9_mT8_P12ihipStream_tbDpT10_ENKUlT_T0_E_clISt17integral_constantIbLb0EES1A_EEDaS15_S16_EUlS15_E_NS1_11comp_targetILNS1_3genE4ELNS1_11target_archE910ELNS1_3gpuE8ELNS1_3repE0EEENS1_30default_config_static_selectorELNS0_4arch9wavefront6targetE1EEEvT1_: ; @_ZN7rocprim17ROCPRIM_400000_NS6detail17trampoline_kernelINS0_14default_configENS1_25partition_config_selectorILNS1_17partition_subalgoE8EdNS0_10empty_typeEbEEZZNS1_14partition_implILS5_8ELb0ES3_jN6thrust23THRUST_200600_302600_NS6detail15normal_iteratorINSA_10device_ptrIdEEEEPS6_PKS6_NS0_5tupleIJSF_S6_EEENSJ_IJSG_SG_EEENS0_18inequality_wrapperI22is_equal_div_10_uniqueIdEEEPmJS6_EEE10hipError_tPvRmT3_T4_T5_T6_T7_T9_mT8_P12ihipStream_tbDpT10_ENKUlT_T0_E_clISt17integral_constantIbLb0EES1A_EEDaS15_S16_EUlS15_E_NS1_11comp_targetILNS1_3genE4ELNS1_11target_archE910ELNS1_3gpuE8ELNS1_3repE0EEENS1_30default_config_static_selectorELNS0_4arch9wavefront6targetE1EEEvT1_
; %bb.0:
	.section	.rodata,"a",@progbits
	.p2align	6, 0x0
	.amdhsa_kernel _ZN7rocprim17ROCPRIM_400000_NS6detail17trampoline_kernelINS0_14default_configENS1_25partition_config_selectorILNS1_17partition_subalgoE8EdNS0_10empty_typeEbEEZZNS1_14partition_implILS5_8ELb0ES3_jN6thrust23THRUST_200600_302600_NS6detail15normal_iteratorINSA_10device_ptrIdEEEEPS6_PKS6_NS0_5tupleIJSF_S6_EEENSJ_IJSG_SG_EEENS0_18inequality_wrapperI22is_equal_div_10_uniqueIdEEEPmJS6_EEE10hipError_tPvRmT3_T4_T5_T6_T7_T9_mT8_P12ihipStream_tbDpT10_ENKUlT_T0_E_clISt17integral_constantIbLb0EES1A_EEDaS15_S16_EUlS15_E_NS1_11comp_targetILNS1_3genE4ELNS1_11target_archE910ELNS1_3gpuE8ELNS1_3repE0EEENS1_30default_config_static_selectorELNS0_4arch9wavefront6targetE1EEEvT1_
		.amdhsa_group_segment_fixed_size 0
		.amdhsa_private_segment_fixed_size 0
		.amdhsa_kernarg_size 112
		.amdhsa_user_sgpr_count 6
		.amdhsa_user_sgpr_private_segment_buffer 1
		.amdhsa_user_sgpr_dispatch_ptr 0
		.amdhsa_user_sgpr_queue_ptr 0
		.amdhsa_user_sgpr_kernarg_segment_ptr 1
		.amdhsa_user_sgpr_dispatch_id 0
		.amdhsa_user_sgpr_flat_scratch_init 0
		.amdhsa_user_sgpr_private_segment_size 0
		.amdhsa_uses_dynamic_stack 0
		.amdhsa_system_sgpr_private_segment_wavefront_offset 0
		.amdhsa_system_sgpr_workgroup_id_x 1
		.amdhsa_system_sgpr_workgroup_id_y 0
		.amdhsa_system_sgpr_workgroup_id_z 0
		.amdhsa_system_sgpr_workgroup_info 0
		.amdhsa_system_vgpr_workitem_id 0
		.amdhsa_next_free_vgpr 1
		.amdhsa_next_free_sgpr 0
		.amdhsa_reserve_vcc 0
		.amdhsa_reserve_flat_scratch 0
		.amdhsa_float_round_mode_32 0
		.amdhsa_float_round_mode_16_64 0
		.amdhsa_float_denorm_mode_32 3
		.amdhsa_float_denorm_mode_16_64 3
		.amdhsa_dx10_clamp 1
		.amdhsa_ieee_mode 1
		.amdhsa_fp16_overflow 0
		.amdhsa_exception_fp_ieee_invalid_op 0
		.amdhsa_exception_fp_denorm_src 0
		.amdhsa_exception_fp_ieee_div_zero 0
		.amdhsa_exception_fp_ieee_overflow 0
		.amdhsa_exception_fp_ieee_underflow 0
		.amdhsa_exception_fp_ieee_inexact 0
		.amdhsa_exception_int_div_zero 0
	.end_amdhsa_kernel
	.section	.text._ZN7rocprim17ROCPRIM_400000_NS6detail17trampoline_kernelINS0_14default_configENS1_25partition_config_selectorILNS1_17partition_subalgoE8EdNS0_10empty_typeEbEEZZNS1_14partition_implILS5_8ELb0ES3_jN6thrust23THRUST_200600_302600_NS6detail15normal_iteratorINSA_10device_ptrIdEEEEPS6_PKS6_NS0_5tupleIJSF_S6_EEENSJ_IJSG_SG_EEENS0_18inequality_wrapperI22is_equal_div_10_uniqueIdEEEPmJS6_EEE10hipError_tPvRmT3_T4_T5_T6_T7_T9_mT8_P12ihipStream_tbDpT10_ENKUlT_T0_E_clISt17integral_constantIbLb0EES1A_EEDaS15_S16_EUlS15_E_NS1_11comp_targetILNS1_3genE4ELNS1_11target_archE910ELNS1_3gpuE8ELNS1_3repE0EEENS1_30default_config_static_selectorELNS0_4arch9wavefront6targetE1EEEvT1_,"axG",@progbits,_ZN7rocprim17ROCPRIM_400000_NS6detail17trampoline_kernelINS0_14default_configENS1_25partition_config_selectorILNS1_17partition_subalgoE8EdNS0_10empty_typeEbEEZZNS1_14partition_implILS5_8ELb0ES3_jN6thrust23THRUST_200600_302600_NS6detail15normal_iteratorINSA_10device_ptrIdEEEEPS6_PKS6_NS0_5tupleIJSF_S6_EEENSJ_IJSG_SG_EEENS0_18inequality_wrapperI22is_equal_div_10_uniqueIdEEEPmJS6_EEE10hipError_tPvRmT3_T4_T5_T6_T7_T9_mT8_P12ihipStream_tbDpT10_ENKUlT_T0_E_clISt17integral_constantIbLb0EES1A_EEDaS15_S16_EUlS15_E_NS1_11comp_targetILNS1_3genE4ELNS1_11target_archE910ELNS1_3gpuE8ELNS1_3repE0EEENS1_30default_config_static_selectorELNS0_4arch9wavefront6targetE1EEEvT1_,comdat
.Lfunc_end49:
	.size	_ZN7rocprim17ROCPRIM_400000_NS6detail17trampoline_kernelINS0_14default_configENS1_25partition_config_selectorILNS1_17partition_subalgoE8EdNS0_10empty_typeEbEEZZNS1_14partition_implILS5_8ELb0ES3_jN6thrust23THRUST_200600_302600_NS6detail15normal_iteratorINSA_10device_ptrIdEEEEPS6_PKS6_NS0_5tupleIJSF_S6_EEENSJ_IJSG_SG_EEENS0_18inequality_wrapperI22is_equal_div_10_uniqueIdEEEPmJS6_EEE10hipError_tPvRmT3_T4_T5_T6_T7_T9_mT8_P12ihipStream_tbDpT10_ENKUlT_T0_E_clISt17integral_constantIbLb0EES1A_EEDaS15_S16_EUlS15_E_NS1_11comp_targetILNS1_3genE4ELNS1_11target_archE910ELNS1_3gpuE8ELNS1_3repE0EEENS1_30default_config_static_selectorELNS0_4arch9wavefront6targetE1EEEvT1_, .Lfunc_end49-_ZN7rocprim17ROCPRIM_400000_NS6detail17trampoline_kernelINS0_14default_configENS1_25partition_config_selectorILNS1_17partition_subalgoE8EdNS0_10empty_typeEbEEZZNS1_14partition_implILS5_8ELb0ES3_jN6thrust23THRUST_200600_302600_NS6detail15normal_iteratorINSA_10device_ptrIdEEEEPS6_PKS6_NS0_5tupleIJSF_S6_EEENSJ_IJSG_SG_EEENS0_18inequality_wrapperI22is_equal_div_10_uniqueIdEEEPmJS6_EEE10hipError_tPvRmT3_T4_T5_T6_T7_T9_mT8_P12ihipStream_tbDpT10_ENKUlT_T0_E_clISt17integral_constantIbLb0EES1A_EEDaS15_S16_EUlS15_E_NS1_11comp_targetILNS1_3genE4ELNS1_11target_archE910ELNS1_3gpuE8ELNS1_3repE0EEENS1_30default_config_static_selectorELNS0_4arch9wavefront6targetE1EEEvT1_
                                        ; -- End function
	.set _ZN7rocprim17ROCPRIM_400000_NS6detail17trampoline_kernelINS0_14default_configENS1_25partition_config_selectorILNS1_17partition_subalgoE8EdNS0_10empty_typeEbEEZZNS1_14partition_implILS5_8ELb0ES3_jN6thrust23THRUST_200600_302600_NS6detail15normal_iteratorINSA_10device_ptrIdEEEEPS6_PKS6_NS0_5tupleIJSF_S6_EEENSJ_IJSG_SG_EEENS0_18inequality_wrapperI22is_equal_div_10_uniqueIdEEEPmJS6_EEE10hipError_tPvRmT3_T4_T5_T6_T7_T9_mT8_P12ihipStream_tbDpT10_ENKUlT_T0_E_clISt17integral_constantIbLb0EES1A_EEDaS15_S16_EUlS15_E_NS1_11comp_targetILNS1_3genE4ELNS1_11target_archE910ELNS1_3gpuE8ELNS1_3repE0EEENS1_30default_config_static_selectorELNS0_4arch9wavefront6targetE1EEEvT1_.num_vgpr, 0
	.set _ZN7rocprim17ROCPRIM_400000_NS6detail17trampoline_kernelINS0_14default_configENS1_25partition_config_selectorILNS1_17partition_subalgoE8EdNS0_10empty_typeEbEEZZNS1_14partition_implILS5_8ELb0ES3_jN6thrust23THRUST_200600_302600_NS6detail15normal_iteratorINSA_10device_ptrIdEEEEPS6_PKS6_NS0_5tupleIJSF_S6_EEENSJ_IJSG_SG_EEENS0_18inequality_wrapperI22is_equal_div_10_uniqueIdEEEPmJS6_EEE10hipError_tPvRmT3_T4_T5_T6_T7_T9_mT8_P12ihipStream_tbDpT10_ENKUlT_T0_E_clISt17integral_constantIbLb0EES1A_EEDaS15_S16_EUlS15_E_NS1_11comp_targetILNS1_3genE4ELNS1_11target_archE910ELNS1_3gpuE8ELNS1_3repE0EEENS1_30default_config_static_selectorELNS0_4arch9wavefront6targetE1EEEvT1_.num_agpr, 0
	.set _ZN7rocprim17ROCPRIM_400000_NS6detail17trampoline_kernelINS0_14default_configENS1_25partition_config_selectorILNS1_17partition_subalgoE8EdNS0_10empty_typeEbEEZZNS1_14partition_implILS5_8ELb0ES3_jN6thrust23THRUST_200600_302600_NS6detail15normal_iteratorINSA_10device_ptrIdEEEEPS6_PKS6_NS0_5tupleIJSF_S6_EEENSJ_IJSG_SG_EEENS0_18inequality_wrapperI22is_equal_div_10_uniqueIdEEEPmJS6_EEE10hipError_tPvRmT3_T4_T5_T6_T7_T9_mT8_P12ihipStream_tbDpT10_ENKUlT_T0_E_clISt17integral_constantIbLb0EES1A_EEDaS15_S16_EUlS15_E_NS1_11comp_targetILNS1_3genE4ELNS1_11target_archE910ELNS1_3gpuE8ELNS1_3repE0EEENS1_30default_config_static_selectorELNS0_4arch9wavefront6targetE1EEEvT1_.numbered_sgpr, 0
	.set _ZN7rocprim17ROCPRIM_400000_NS6detail17trampoline_kernelINS0_14default_configENS1_25partition_config_selectorILNS1_17partition_subalgoE8EdNS0_10empty_typeEbEEZZNS1_14partition_implILS5_8ELb0ES3_jN6thrust23THRUST_200600_302600_NS6detail15normal_iteratorINSA_10device_ptrIdEEEEPS6_PKS6_NS0_5tupleIJSF_S6_EEENSJ_IJSG_SG_EEENS0_18inequality_wrapperI22is_equal_div_10_uniqueIdEEEPmJS6_EEE10hipError_tPvRmT3_T4_T5_T6_T7_T9_mT8_P12ihipStream_tbDpT10_ENKUlT_T0_E_clISt17integral_constantIbLb0EES1A_EEDaS15_S16_EUlS15_E_NS1_11comp_targetILNS1_3genE4ELNS1_11target_archE910ELNS1_3gpuE8ELNS1_3repE0EEENS1_30default_config_static_selectorELNS0_4arch9wavefront6targetE1EEEvT1_.num_named_barrier, 0
	.set _ZN7rocprim17ROCPRIM_400000_NS6detail17trampoline_kernelINS0_14default_configENS1_25partition_config_selectorILNS1_17partition_subalgoE8EdNS0_10empty_typeEbEEZZNS1_14partition_implILS5_8ELb0ES3_jN6thrust23THRUST_200600_302600_NS6detail15normal_iteratorINSA_10device_ptrIdEEEEPS6_PKS6_NS0_5tupleIJSF_S6_EEENSJ_IJSG_SG_EEENS0_18inequality_wrapperI22is_equal_div_10_uniqueIdEEEPmJS6_EEE10hipError_tPvRmT3_T4_T5_T6_T7_T9_mT8_P12ihipStream_tbDpT10_ENKUlT_T0_E_clISt17integral_constantIbLb0EES1A_EEDaS15_S16_EUlS15_E_NS1_11comp_targetILNS1_3genE4ELNS1_11target_archE910ELNS1_3gpuE8ELNS1_3repE0EEENS1_30default_config_static_selectorELNS0_4arch9wavefront6targetE1EEEvT1_.private_seg_size, 0
	.set _ZN7rocprim17ROCPRIM_400000_NS6detail17trampoline_kernelINS0_14default_configENS1_25partition_config_selectorILNS1_17partition_subalgoE8EdNS0_10empty_typeEbEEZZNS1_14partition_implILS5_8ELb0ES3_jN6thrust23THRUST_200600_302600_NS6detail15normal_iteratorINSA_10device_ptrIdEEEEPS6_PKS6_NS0_5tupleIJSF_S6_EEENSJ_IJSG_SG_EEENS0_18inequality_wrapperI22is_equal_div_10_uniqueIdEEEPmJS6_EEE10hipError_tPvRmT3_T4_T5_T6_T7_T9_mT8_P12ihipStream_tbDpT10_ENKUlT_T0_E_clISt17integral_constantIbLb0EES1A_EEDaS15_S16_EUlS15_E_NS1_11comp_targetILNS1_3genE4ELNS1_11target_archE910ELNS1_3gpuE8ELNS1_3repE0EEENS1_30default_config_static_selectorELNS0_4arch9wavefront6targetE1EEEvT1_.uses_vcc, 0
	.set _ZN7rocprim17ROCPRIM_400000_NS6detail17trampoline_kernelINS0_14default_configENS1_25partition_config_selectorILNS1_17partition_subalgoE8EdNS0_10empty_typeEbEEZZNS1_14partition_implILS5_8ELb0ES3_jN6thrust23THRUST_200600_302600_NS6detail15normal_iteratorINSA_10device_ptrIdEEEEPS6_PKS6_NS0_5tupleIJSF_S6_EEENSJ_IJSG_SG_EEENS0_18inequality_wrapperI22is_equal_div_10_uniqueIdEEEPmJS6_EEE10hipError_tPvRmT3_T4_T5_T6_T7_T9_mT8_P12ihipStream_tbDpT10_ENKUlT_T0_E_clISt17integral_constantIbLb0EES1A_EEDaS15_S16_EUlS15_E_NS1_11comp_targetILNS1_3genE4ELNS1_11target_archE910ELNS1_3gpuE8ELNS1_3repE0EEENS1_30default_config_static_selectorELNS0_4arch9wavefront6targetE1EEEvT1_.uses_flat_scratch, 0
	.set _ZN7rocprim17ROCPRIM_400000_NS6detail17trampoline_kernelINS0_14default_configENS1_25partition_config_selectorILNS1_17partition_subalgoE8EdNS0_10empty_typeEbEEZZNS1_14partition_implILS5_8ELb0ES3_jN6thrust23THRUST_200600_302600_NS6detail15normal_iteratorINSA_10device_ptrIdEEEEPS6_PKS6_NS0_5tupleIJSF_S6_EEENSJ_IJSG_SG_EEENS0_18inequality_wrapperI22is_equal_div_10_uniqueIdEEEPmJS6_EEE10hipError_tPvRmT3_T4_T5_T6_T7_T9_mT8_P12ihipStream_tbDpT10_ENKUlT_T0_E_clISt17integral_constantIbLb0EES1A_EEDaS15_S16_EUlS15_E_NS1_11comp_targetILNS1_3genE4ELNS1_11target_archE910ELNS1_3gpuE8ELNS1_3repE0EEENS1_30default_config_static_selectorELNS0_4arch9wavefront6targetE1EEEvT1_.has_dyn_sized_stack, 0
	.set _ZN7rocprim17ROCPRIM_400000_NS6detail17trampoline_kernelINS0_14default_configENS1_25partition_config_selectorILNS1_17partition_subalgoE8EdNS0_10empty_typeEbEEZZNS1_14partition_implILS5_8ELb0ES3_jN6thrust23THRUST_200600_302600_NS6detail15normal_iteratorINSA_10device_ptrIdEEEEPS6_PKS6_NS0_5tupleIJSF_S6_EEENSJ_IJSG_SG_EEENS0_18inequality_wrapperI22is_equal_div_10_uniqueIdEEEPmJS6_EEE10hipError_tPvRmT3_T4_T5_T6_T7_T9_mT8_P12ihipStream_tbDpT10_ENKUlT_T0_E_clISt17integral_constantIbLb0EES1A_EEDaS15_S16_EUlS15_E_NS1_11comp_targetILNS1_3genE4ELNS1_11target_archE910ELNS1_3gpuE8ELNS1_3repE0EEENS1_30default_config_static_selectorELNS0_4arch9wavefront6targetE1EEEvT1_.has_recursion, 0
	.set _ZN7rocprim17ROCPRIM_400000_NS6detail17trampoline_kernelINS0_14default_configENS1_25partition_config_selectorILNS1_17partition_subalgoE8EdNS0_10empty_typeEbEEZZNS1_14partition_implILS5_8ELb0ES3_jN6thrust23THRUST_200600_302600_NS6detail15normal_iteratorINSA_10device_ptrIdEEEEPS6_PKS6_NS0_5tupleIJSF_S6_EEENSJ_IJSG_SG_EEENS0_18inequality_wrapperI22is_equal_div_10_uniqueIdEEEPmJS6_EEE10hipError_tPvRmT3_T4_T5_T6_T7_T9_mT8_P12ihipStream_tbDpT10_ENKUlT_T0_E_clISt17integral_constantIbLb0EES1A_EEDaS15_S16_EUlS15_E_NS1_11comp_targetILNS1_3genE4ELNS1_11target_archE910ELNS1_3gpuE8ELNS1_3repE0EEENS1_30default_config_static_selectorELNS0_4arch9wavefront6targetE1EEEvT1_.has_indirect_call, 0
	.section	.AMDGPU.csdata,"",@progbits
; Kernel info:
; codeLenInByte = 0
; TotalNumSgprs: 4
; NumVgprs: 0
; ScratchSize: 0
; MemoryBound: 0
; FloatMode: 240
; IeeeMode: 1
; LDSByteSize: 0 bytes/workgroup (compile time only)
; SGPRBlocks: 0
; VGPRBlocks: 0
; NumSGPRsForWavesPerEU: 4
; NumVGPRsForWavesPerEU: 1
; Occupancy: 10
; WaveLimiterHint : 0
; COMPUTE_PGM_RSRC2:SCRATCH_EN: 0
; COMPUTE_PGM_RSRC2:USER_SGPR: 6
; COMPUTE_PGM_RSRC2:TRAP_HANDLER: 0
; COMPUTE_PGM_RSRC2:TGID_X_EN: 1
; COMPUTE_PGM_RSRC2:TGID_Y_EN: 0
; COMPUTE_PGM_RSRC2:TGID_Z_EN: 0
; COMPUTE_PGM_RSRC2:TIDIG_COMP_CNT: 0
	.section	.text._ZN7rocprim17ROCPRIM_400000_NS6detail17trampoline_kernelINS0_14default_configENS1_25partition_config_selectorILNS1_17partition_subalgoE8EdNS0_10empty_typeEbEEZZNS1_14partition_implILS5_8ELb0ES3_jN6thrust23THRUST_200600_302600_NS6detail15normal_iteratorINSA_10device_ptrIdEEEEPS6_PKS6_NS0_5tupleIJSF_S6_EEENSJ_IJSG_SG_EEENS0_18inequality_wrapperI22is_equal_div_10_uniqueIdEEEPmJS6_EEE10hipError_tPvRmT3_T4_T5_T6_T7_T9_mT8_P12ihipStream_tbDpT10_ENKUlT_T0_E_clISt17integral_constantIbLb0EES1A_EEDaS15_S16_EUlS15_E_NS1_11comp_targetILNS1_3genE3ELNS1_11target_archE908ELNS1_3gpuE7ELNS1_3repE0EEENS1_30default_config_static_selectorELNS0_4arch9wavefront6targetE1EEEvT1_,"axG",@progbits,_ZN7rocprim17ROCPRIM_400000_NS6detail17trampoline_kernelINS0_14default_configENS1_25partition_config_selectorILNS1_17partition_subalgoE8EdNS0_10empty_typeEbEEZZNS1_14partition_implILS5_8ELb0ES3_jN6thrust23THRUST_200600_302600_NS6detail15normal_iteratorINSA_10device_ptrIdEEEEPS6_PKS6_NS0_5tupleIJSF_S6_EEENSJ_IJSG_SG_EEENS0_18inequality_wrapperI22is_equal_div_10_uniqueIdEEEPmJS6_EEE10hipError_tPvRmT3_T4_T5_T6_T7_T9_mT8_P12ihipStream_tbDpT10_ENKUlT_T0_E_clISt17integral_constantIbLb0EES1A_EEDaS15_S16_EUlS15_E_NS1_11comp_targetILNS1_3genE3ELNS1_11target_archE908ELNS1_3gpuE7ELNS1_3repE0EEENS1_30default_config_static_selectorELNS0_4arch9wavefront6targetE1EEEvT1_,comdat
	.protected	_ZN7rocprim17ROCPRIM_400000_NS6detail17trampoline_kernelINS0_14default_configENS1_25partition_config_selectorILNS1_17partition_subalgoE8EdNS0_10empty_typeEbEEZZNS1_14partition_implILS5_8ELb0ES3_jN6thrust23THRUST_200600_302600_NS6detail15normal_iteratorINSA_10device_ptrIdEEEEPS6_PKS6_NS0_5tupleIJSF_S6_EEENSJ_IJSG_SG_EEENS0_18inequality_wrapperI22is_equal_div_10_uniqueIdEEEPmJS6_EEE10hipError_tPvRmT3_T4_T5_T6_T7_T9_mT8_P12ihipStream_tbDpT10_ENKUlT_T0_E_clISt17integral_constantIbLb0EES1A_EEDaS15_S16_EUlS15_E_NS1_11comp_targetILNS1_3genE3ELNS1_11target_archE908ELNS1_3gpuE7ELNS1_3repE0EEENS1_30default_config_static_selectorELNS0_4arch9wavefront6targetE1EEEvT1_ ; -- Begin function _ZN7rocprim17ROCPRIM_400000_NS6detail17trampoline_kernelINS0_14default_configENS1_25partition_config_selectorILNS1_17partition_subalgoE8EdNS0_10empty_typeEbEEZZNS1_14partition_implILS5_8ELb0ES3_jN6thrust23THRUST_200600_302600_NS6detail15normal_iteratorINSA_10device_ptrIdEEEEPS6_PKS6_NS0_5tupleIJSF_S6_EEENSJ_IJSG_SG_EEENS0_18inequality_wrapperI22is_equal_div_10_uniqueIdEEEPmJS6_EEE10hipError_tPvRmT3_T4_T5_T6_T7_T9_mT8_P12ihipStream_tbDpT10_ENKUlT_T0_E_clISt17integral_constantIbLb0EES1A_EEDaS15_S16_EUlS15_E_NS1_11comp_targetILNS1_3genE3ELNS1_11target_archE908ELNS1_3gpuE7ELNS1_3repE0EEENS1_30default_config_static_selectorELNS0_4arch9wavefront6targetE1EEEvT1_
	.globl	_ZN7rocprim17ROCPRIM_400000_NS6detail17trampoline_kernelINS0_14default_configENS1_25partition_config_selectorILNS1_17partition_subalgoE8EdNS0_10empty_typeEbEEZZNS1_14partition_implILS5_8ELb0ES3_jN6thrust23THRUST_200600_302600_NS6detail15normal_iteratorINSA_10device_ptrIdEEEEPS6_PKS6_NS0_5tupleIJSF_S6_EEENSJ_IJSG_SG_EEENS0_18inequality_wrapperI22is_equal_div_10_uniqueIdEEEPmJS6_EEE10hipError_tPvRmT3_T4_T5_T6_T7_T9_mT8_P12ihipStream_tbDpT10_ENKUlT_T0_E_clISt17integral_constantIbLb0EES1A_EEDaS15_S16_EUlS15_E_NS1_11comp_targetILNS1_3genE3ELNS1_11target_archE908ELNS1_3gpuE7ELNS1_3repE0EEENS1_30default_config_static_selectorELNS0_4arch9wavefront6targetE1EEEvT1_
	.p2align	8
	.type	_ZN7rocprim17ROCPRIM_400000_NS6detail17trampoline_kernelINS0_14default_configENS1_25partition_config_selectorILNS1_17partition_subalgoE8EdNS0_10empty_typeEbEEZZNS1_14partition_implILS5_8ELb0ES3_jN6thrust23THRUST_200600_302600_NS6detail15normal_iteratorINSA_10device_ptrIdEEEEPS6_PKS6_NS0_5tupleIJSF_S6_EEENSJ_IJSG_SG_EEENS0_18inequality_wrapperI22is_equal_div_10_uniqueIdEEEPmJS6_EEE10hipError_tPvRmT3_T4_T5_T6_T7_T9_mT8_P12ihipStream_tbDpT10_ENKUlT_T0_E_clISt17integral_constantIbLb0EES1A_EEDaS15_S16_EUlS15_E_NS1_11comp_targetILNS1_3genE3ELNS1_11target_archE908ELNS1_3gpuE7ELNS1_3repE0EEENS1_30default_config_static_selectorELNS0_4arch9wavefront6targetE1EEEvT1_,@function
_ZN7rocprim17ROCPRIM_400000_NS6detail17trampoline_kernelINS0_14default_configENS1_25partition_config_selectorILNS1_17partition_subalgoE8EdNS0_10empty_typeEbEEZZNS1_14partition_implILS5_8ELb0ES3_jN6thrust23THRUST_200600_302600_NS6detail15normal_iteratorINSA_10device_ptrIdEEEEPS6_PKS6_NS0_5tupleIJSF_S6_EEENSJ_IJSG_SG_EEENS0_18inequality_wrapperI22is_equal_div_10_uniqueIdEEEPmJS6_EEE10hipError_tPvRmT3_T4_T5_T6_T7_T9_mT8_P12ihipStream_tbDpT10_ENKUlT_T0_E_clISt17integral_constantIbLb0EES1A_EEDaS15_S16_EUlS15_E_NS1_11comp_targetILNS1_3genE3ELNS1_11target_archE908ELNS1_3gpuE7ELNS1_3repE0EEENS1_30default_config_static_selectorELNS0_4arch9wavefront6targetE1EEEvT1_: ; @_ZN7rocprim17ROCPRIM_400000_NS6detail17trampoline_kernelINS0_14default_configENS1_25partition_config_selectorILNS1_17partition_subalgoE8EdNS0_10empty_typeEbEEZZNS1_14partition_implILS5_8ELb0ES3_jN6thrust23THRUST_200600_302600_NS6detail15normal_iteratorINSA_10device_ptrIdEEEEPS6_PKS6_NS0_5tupleIJSF_S6_EEENSJ_IJSG_SG_EEENS0_18inequality_wrapperI22is_equal_div_10_uniqueIdEEEPmJS6_EEE10hipError_tPvRmT3_T4_T5_T6_T7_T9_mT8_P12ihipStream_tbDpT10_ENKUlT_T0_E_clISt17integral_constantIbLb0EES1A_EEDaS15_S16_EUlS15_E_NS1_11comp_targetILNS1_3genE3ELNS1_11target_archE908ELNS1_3gpuE7ELNS1_3repE0EEENS1_30default_config_static_selectorELNS0_4arch9wavefront6targetE1EEEvT1_
; %bb.0:
	.section	.rodata,"a",@progbits
	.p2align	6, 0x0
	.amdhsa_kernel _ZN7rocprim17ROCPRIM_400000_NS6detail17trampoline_kernelINS0_14default_configENS1_25partition_config_selectorILNS1_17partition_subalgoE8EdNS0_10empty_typeEbEEZZNS1_14partition_implILS5_8ELb0ES3_jN6thrust23THRUST_200600_302600_NS6detail15normal_iteratorINSA_10device_ptrIdEEEEPS6_PKS6_NS0_5tupleIJSF_S6_EEENSJ_IJSG_SG_EEENS0_18inequality_wrapperI22is_equal_div_10_uniqueIdEEEPmJS6_EEE10hipError_tPvRmT3_T4_T5_T6_T7_T9_mT8_P12ihipStream_tbDpT10_ENKUlT_T0_E_clISt17integral_constantIbLb0EES1A_EEDaS15_S16_EUlS15_E_NS1_11comp_targetILNS1_3genE3ELNS1_11target_archE908ELNS1_3gpuE7ELNS1_3repE0EEENS1_30default_config_static_selectorELNS0_4arch9wavefront6targetE1EEEvT1_
		.amdhsa_group_segment_fixed_size 0
		.amdhsa_private_segment_fixed_size 0
		.amdhsa_kernarg_size 112
		.amdhsa_user_sgpr_count 6
		.amdhsa_user_sgpr_private_segment_buffer 1
		.amdhsa_user_sgpr_dispatch_ptr 0
		.amdhsa_user_sgpr_queue_ptr 0
		.amdhsa_user_sgpr_kernarg_segment_ptr 1
		.amdhsa_user_sgpr_dispatch_id 0
		.amdhsa_user_sgpr_flat_scratch_init 0
		.amdhsa_user_sgpr_private_segment_size 0
		.amdhsa_uses_dynamic_stack 0
		.amdhsa_system_sgpr_private_segment_wavefront_offset 0
		.amdhsa_system_sgpr_workgroup_id_x 1
		.amdhsa_system_sgpr_workgroup_id_y 0
		.amdhsa_system_sgpr_workgroup_id_z 0
		.amdhsa_system_sgpr_workgroup_info 0
		.amdhsa_system_vgpr_workitem_id 0
		.amdhsa_next_free_vgpr 1
		.amdhsa_next_free_sgpr 0
		.amdhsa_reserve_vcc 0
		.amdhsa_reserve_flat_scratch 0
		.amdhsa_float_round_mode_32 0
		.amdhsa_float_round_mode_16_64 0
		.amdhsa_float_denorm_mode_32 3
		.amdhsa_float_denorm_mode_16_64 3
		.amdhsa_dx10_clamp 1
		.amdhsa_ieee_mode 1
		.amdhsa_fp16_overflow 0
		.amdhsa_exception_fp_ieee_invalid_op 0
		.amdhsa_exception_fp_denorm_src 0
		.amdhsa_exception_fp_ieee_div_zero 0
		.amdhsa_exception_fp_ieee_overflow 0
		.amdhsa_exception_fp_ieee_underflow 0
		.amdhsa_exception_fp_ieee_inexact 0
		.amdhsa_exception_int_div_zero 0
	.end_amdhsa_kernel
	.section	.text._ZN7rocprim17ROCPRIM_400000_NS6detail17trampoline_kernelINS0_14default_configENS1_25partition_config_selectorILNS1_17partition_subalgoE8EdNS0_10empty_typeEbEEZZNS1_14partition_implILS5_8ELb0ES3_jN6thrust23THRUST_200600_302600_NS6detail15normal_iteratorINSA_10device_ptrIdEEEEPS6_PKS6_NS0_5tupleIJSF_S6_EEENSJ_IJSG_SG_EEENS0_18inequality_wrapperI22is_equal_div_10_uniqueIdEEEPmJS6_EEE10hipError_tPvRmT3_T4_T5_T6_T7_T9_mT8_P12ihipStream_tbDpT10_ENKUlT_T0_E_clISt17integral_constantIbLb0EES1A_EEDaS15_S16_EUlS15_E_NS1_11comp_targetILNS1_3genE3ELNS1_11target_archE908ELNS1_3gpuE7ELNS1_3repE0EEENS1_30default_config_static_selectorELNS0_4arch9wavefront6targetE1EEEvT1_,"axG",@progbits,_ZN7rocprim17ROCPRIM_400000_NS6detail17trampoline_kernelINS0_14default_configENS1_25partition_config_selectorILNS1_17partition_subalgoE8EdNS0_10empty_typeEbEEZZNS1_14partition_implILS5_8ELb0ES3_jN6thrust23THRUST_200600_302600_NS6detail15normal_iteratorINSA_10device_ptrIdEEEEPS6_PKS6_NS0_5tupleIJSF_S6_EEENSJ_IJSG_SG_EEENS0_18inequality_wrapperI22is_equal_div_10_uniqueIdEEEPmJS6_EEE10hipError_tPvRmT3_T4_T5_T6_T7_T9_mT8_P12ihipStream_tbDpT10_ENKUlT_T0_E_clISt17integral_constantIbLb0EES1A_EEDaS15_S16_EUlS15_E_NS1_11comp_targetILNS1_3genE3ELNS1_11target_archE908ELNS1_3gpuE7ELNS1_3repE0EEENS1_30default_config_static_selectorELNS0_4arch9wavefront6targetE1EEEvT1_,comdat
.Lfunc_end50:
	.size	_ZN7rocprim17ROCPRIM_400000_NS6detail17trampoline_kernelINS0_14default_configENS1_25partition_config_selectorILNS1_17partition_subalgoE8EdNS0_10empty_typeEbEEZZNS1_14partition_implILS5_8ELb0ES3_jN6thrust23THRUST_200600_302600_NS6detail15normal_iteratorINSA_10device_ptrIdEEEEPS6_PKS6_NS0_5tupleIJSF_S6_EEENSJ_IJSG_SG_EEENS0_18inequality_wrapperI22is_equal_div_10_uniqueIdEEEPmJS6_EEE10hipError_tPvRmT3_T4_T5_T6_T7_T9_mT8_P12ihipStream_tbDpT10_ENKUlT_T0_E_clISt17integral_constantIbLb0EES1A_EEDaS15_S16_EUlS15_E_NS1_11comp_targetILNS1_3genE3ELNS1_11target_archE908ELNS1_3gpuE7ELNS1_3repE0EEENS1_30default_config_static_selectorELNS0_4arch9wavefront6targetE1EEEvT1_, .Lfunc_end50-_ZN7rocprim17ROCPRIM_400000_NS6detail17trampoline_kernelINS0_14default_configENS1_25partition_config_selectorILNS1_17partition_subalgoE8EdNS0_10empty_typeEbEEZZNS1_14partition_implILS5_8ELb0ES3_jN6thrust23THRUST_200600_302600_NS6detail15normal_iteratorINSA_10device_ptrIdEEEEPS6_PKS6_NS0_5tupleIJSF_S6_EEENSJ_IJSG_SG_EEENS0_18inequality_wrapperI22is_equal_div_10_uniqueIdEEEPmJS6_EEE10hipError_tPvRmT3_T4_T5_T6_T7_T9_mT8_P12ihipStream_tbDpT10_ENKUlT_T0_E_clISt17integral_constantIbLb0EES1A_EEDaS15_S16_EUlS15_E_NS1_11comp_targetILNS1_3genE3ELNS1_11target_archE908ELNS1_3gpuE7ELNS1_3repE0EEENS1_30default_config_static_selectorELNS0_4arch9wavefront6targetE1EEEvT1_
                                        ; -- End function
	.set _ZN7rocprim17ROCPRIM_400000_NS6detail17trampoline_kernelINS0_14default_configENS1_25partition_config_selectorILNS1_17partition_subalgoE8EdNS0_10empty_typeEbEEZZNS1_14partition_implILS5_8ELb0ES3_jN6thrust23THRUST_200600_302600_NS6detail15normal_iteratorINSA_10device_ptrIdEEEEPS6_PKS6_NS0_5tupleIJSF_S6_EEENSJ_IJSG_SG_EEENS0_18inequality_wrapperI22is_equal_div_10_uniqueIdEEEPmJS6_EEE10hipError_tPvRmT3_T4_T5_T6_T7_T9_mT8_P12ihipStream_tbDpT10_ENKUlT_T0_E_clISt17integral_constantIbLb0EES1A_EEDaS15_S16_EUlS15_E_NS1_11comp_targetILNS1_3genE3ELNS1_11target_archE908ELNS1_3gpuE7ELNS1_3repE0EEENS1_30default_config_static_selectorELNS0_4arch9wavefront6targetE1EEEvT1_.num_vgpr, 0
	.set _ZN7rocprim17ROCPRIM_400000_NS6detail17trampoline_kernelINS0_14default_configENS1_25partition_config_selectorILNS1_17partition_subalgoE8EdNS0_10empty_typeEbEEZZNS1_14partition_implILS5_8ELb0ES3_jN6thrust23THRUST_200600_302600_NS6detail15normal_iteratorINSA_10device_ptrIdEEEEPS6_PKS6_NS0_5tupleIJSF_S6_EEENSJ_IJSG_SG_EEENS0_18inequality_wrapperI22is_equal_div_10_uniqueIdEEEPmJS6_EEE10hipError_tPvRmT3_T4_T5_T6_T7_T9_mT8_P12ihipStream_tbDpT10_ENKUlT_T0_E_clISt17integral_constantIbLb0EES1A_EEDaS15_S16_EUlS15_E_NS1_11comp_targetILNS1_3genE3ELNS1_11target_archE908ELNS1_3gpuE7ELNS1_3repE0EEENS1_30default_config_static_selectorELNS0_4arch9wavefront6targetE1EEEvT1_.num_agpr, 0
	.set _ZN7rocprim17ROCPRIM_400000_NS6detail17trampoline_kernelINS0_14default_configENS1_25partition_config_selectorILNS1_17partition_subalgoE8EdNS0_10empty_typeEbEEZZNS1_14partition_implILS5_8ELb0ES3_jN6thrust23THRUST_200600_302600_NS6detail15normal_iteratorINSA_10device_ptrIdEEEEPS6_PKS6_NS0_5tupleIJSF_S6_EEENSJ_IJSG_SG_EEENS0_18inequality_wrapperI22is_equal_div_10_uniqueIdEEEPmJS6_EEE10hipError_tPvRmT3_T4_T5_T6_T7_T9_mT8_P12ihipStream_tbDpT10_ENKUlT_T0_E_clISt17integral_constantIbLb0EES1A_EEDaS15_S16_EUlS15_E_NS1_11comp_targetILNS1_3genE3ELNS1_11target_archE908ELNS1_3gpuE7ELNS1_3repE0EEENS1_30default_config_static_selectorELNS0_4arch9wavefront6targetE1EEEvT1_.numbered_sgpr, 0
	.set _ZN7rocprim17ROCPRIM_400000_NS6detail17trampoline_kernelINS0_14default_configENS1_25partition_config_selectorILNS1_17partition_subalgoE8EdNS0_10empty_typeEbEEZZNS1_14partition_implILS5_8ELb0ES3_jN6thrust23THRUST_200600_302600_NS6detail15normal_iteratorINSA_10device_ptrIdEEEEPS6_PKS6_NS0_5tupleIJSF_S6_EEENSJ_IJSG_SG_EEENS0_18inequality_wrapperI22is_equal_div_10_uniqueIdEEEPmJS6_EEE10hipError_tPvRmT3_T4_T5_T6_T7_T9_mT8_P12ihipStream_tbDpT10_ENKUlT_T0_E_clISt17integral_constantIbLb0EES1A_EEDaS15_S16_EUlS15_E_NS1_11comp_targetILNS1_3genE3ELNS1_11target_archE908ELNS1_3gpuE7ELNS1_3repE0EEENS1_30default_config_static_selectorELNS0_4arch9wavefront6targetE1EEEvT1_.num_named_barrier, 0
	.set _ZN7rocprim17ROCPRIM_400000_NS6detail17trampoline_kernelINS0_14default_configENS1_25partition_config_selectorILNS1_17partition_subalgoE8EdNS0_10empty_typeEbEEZZNS1_14partition_implILS5_8ELb0ES3_jN6thrust23THRUST_200600_302600_NS6detail15normal_iteratorINSA_10device_ptrIdEEEEPS6_PKS6_NS0_5tupleIJSF_S6_EEENSJ_IJSG_SG_EEENS0_18inequality_wrapperI22is_equal_div_10_uniqueIdEEEPmJS6_EEE10hipError_tPvRmT3_T4_T5_T6_T7_T9_mT8_P12ihipStream_tbDpT10_ENKUlT_T0_E_clISt17integral_constantIbLb0EES1A_EEDaS15_S16_EUlS15_E_NS1_11comp_targetILNS1_3genE3ELNS1_11target_archE908ELNS1_3gpuE7ELNS1_3repE0EEENS1_30default_config_static_selectorELNS0_4arch9wavefront6targetE1EEEvT1_.private_seg_size, 0
	.set _ZN7rocprim17ROCPRIM_400000_NS6detail17trampoline_kernelINS0_14default_configENS1_25partition_config_selectorILNS1_17partition_subalgoE8EdNS0_10empty_typeEbEEZZNS1_14partition_implILS5_8ELb0ES3_jN6thrust23THRUST_200600_302600_NS6detail15normal_iteratorINSA_10device_ptrIdEEEEPS6_PKS6_NS0_5tupleIJSF_S6_EEENSJ_IJSG_SG_EEENS0_18inequality_wrapperI22is_equal_div_10_uniqueIdEEEPmJS6_EEE10hipError_tPvRmT3_T4_T5_T6_T7_T9_mT8_P12ihipStream_tbDpT10_ENKUlT_T0_E_clISt17integral_constantIbLb0EES1A_EEDaS15_S16_EUlS15_E_NS1_11comp_targetILNS1_3genE3ELNS1_11target_archE908ELNS1_3gpuE7ELNS1_3repE0EEENS1_30default_config_static_selectorELNS0_4arch9wavefront6targetE1EEEvT1_.uses_vcc, 0
	.set _ZN7rocprim17ROCPRIM_400000_NS6detail17trampoline_kernelINS0_14default_configENS1_25partition_config_selectorILNS1_17partition_subalgoE8EdNS0_10empty_typeEbEEZZNS1_14partition_implILS5_8ELb0ES3_jN6thrust23THRUST_200600_302600_NS6detail15normal_iteratorINSA_10device_ptrIdEEEEPS6_PKS6_NS0_5tupleIJSF_S6_EEENSJ_IJSG_SG_EEENS0_18inequality_wrapperI22is_equal_div_10_uniqueIdEEEPmJS6_EEE10hipError_tPvRmT3_T4_T5_T6_T7_T9_mT8_P12ihipStream_tbDpT10_ENKUlT_T0_E_clISt17integral_constantIbLb0EES1A_EEDaS15_S16_EUlS15_E_NS1_11comp_targetILNS1_3genE3ELNS1_11target_archE908ELNS1_3gpuE7ELNS1_3repE0EEENS1_30default_config_static_selectorELNS0_4arch9wavefront6targetE1EEEvT1_.uses_flat_scratch, 0
	.set _ZN7rocprim17ROCPRIM_400000_NS6detail17trampoline_kernelINS0_14default_configENS1_25partition_config_selectorILNS1_17partition_subalgoE8EdNS0_10empty_typeEbEEZZNS1_14partition_implILS5_8ELb0ES3_jN6thrust23THRUST_200600_302600_NS6detail15normal_iteratorINSA_10device_ptrIdEEEEPS6_PKS6_NS0_5tupleIJSF_S6_EEENSJ_IJSG_SG_EEENS0_18inequality_wrapperI22is_equal_div_10_uniqueIdEEEPmJS6_EEE10hipError_tPvRmT3_T4_T5_T6_T7_T9_mT8_P12ihipStream_tbDpT10_ENKUlT_T0_E_clISt17integral_constantIbLb0EES1A_EEDaS15_S16_EUlS15_E_NS1_11comp_targetILNS1_3genE3ELNS1_11target_archE908ELNS1_3gpuE7ELNS1_3repE0EEENS1_30default_config_static_selectorELNS0_4arch9wavefront6targetE1EEEvT1_.has_dyn_sized_stack, 0
	.set _ZN7rocprim17ROCPRIM_400000_NS6detail17trampoline_kernelINS0_14default_configENS1_25partition_config_selectorILNS1_17partition_subalgoE8EdNS0_10empty_typeEbEEZZNS1_14partition_implILS5_8ELb0ES3_jN6thrust23THRUST_200600_302600_NS6detail15normal_iteratorINSA_10device_ptrIdEEEEPS6_PKS6_NS0_5tupleIJSF_S6_EEENSJ_IJSG_SG_EEENS0_18inequality_wrapperI22is_equal_div_10_uniqueIdEEEPmJS6_EEE10hipError_tPvRmT3_T4_T5_T6_T7_T9_mT8_P12ihipStream_tbDpT10_ENKUlT_T0_E_clISt17integral_constantIbLb0EES1A_EEDaS15_S16_EUlS15_E_NS1_11comp_targetILNS1_3genE3ELNS1_11target_archE908ELNS1_3gpuE7ELNS1_3repE0EEENS1_30default_config_static_selectorELNS0_4arch9wavefront6targetE1EEEvT1_.has_recursion, 0
	.set _ZN7rocprim17ROCPRIM_400000_NS6detail17trampoline_kernelINS0_14default_configENS1_25partition_config_selectorILNS1_17partition_subalgoE8EdNS0_10empty_typeEbEEZZNS1_14partition_implILS5_8ELb0ES3_jN6thrust23THRUST_200600_302600_NS6detail15normal_iteratorINSA_10device_ptrIdEEEEPS6_PKS6_NS0_5tupleIJSF_S6_EEENSJ_IJSG_SG_EEENS0_18inequality_wrapperI22is_equal_div_10_uniqueIdEEEPmJS6_EEE10hipError_tPvRmT3_T4_T5_T6_T7_T9_mT8_P12ihipStream_tbDpT10_ENKUlT_T0_E_clISt17integral_constantIbLb0EES1A_EEDaS15_S16_EUlS15_E_NS1_11comp_targetILNS1_3genE3ELNS1_11target_archE908ELNS1_3gpuE7ELNS1_3repE0EEENS1_30default_config_static_selectorELNS0_4arch9wavefront6targetE1EEEvT1_.has_indirect_call, 0
	.section	.AMDGPU.csdata,"",@progbits
; Kernel info:
; codeLenInByte = 0
; TotalNumSgprs: 4
; NumVgprs: 0
; ScratchSize: 0
; MemoryBound: 0
; FloatMode: 240
; IeeeMode: 1
; LDSByteSize: 0 bytes/workgroup (compile time only)
; SGPRBlocks: 0
; VGPRBlocks: 0
; NumSGPRsForWavesPerEU: 4
; NumVGPRsForWavesPerEU: 1
; Occupancy: 10
; WaveLimiterHint : 0
; COMPUTE_PGM_RSRC2:SCRATCH_EN: 0
; COMPUTE_PGM_RSRC2:USER_SGPR: 6
; COMPUTE_PGM_RSRC2:TRAP_HANDLER: 0
; COMPUTE_PGM_RSRC2:TGID_X_EN: 1
; COMPUTE_PGM_RSRC2:TGID_Y_EN: 0
; COMPUTE_PGM_RSRC2:TGID_Z_EN: 0
; COMPUTE_PGM_RSRC2:TIDIG_COMP_CNT: 0
	.section	.text._ZN7rocprim17ROCPRIM_400000_NS6detail17trampoline_kernelINS0_14default_configENS1_25partition_config_selectorILNS1_17partition_subalgoE8EdNS0_10empty_typeEbEEZZNS1_14partition_implILS5_8ELb0ES3_jN6thrust23THRUST_200600_302600_NS6detail15normal_iteratorINSA_10device_ptrIdEEEEPS6_PKS6_NS0_5tupleIJSF_S6_EEENSJ_IJSG_SG_EEENS0_18inequality_wrapperI22is_equal_div_10_uniqueIdEEEPmJS6_EEE10hipError_tPvRmT3_T4_T5_T6_T7_T9_mT8_P12ihipStream_tbDpT10_ENKUlT_T0_E_clISt17integral_constantIbLb0EES1A_EEDaS15_S16_EUlS15_E_NS1_11comp_targetILNS1_3genE2ELNS1_11target_archE906ELNS1_3gpuE6ELNS1_3repE0EEENS1_30default_config_static_selectorELNS0_4arch9wavefront6targetE1EEEvT1_,"axG",@progbits,_ZN7rocprim17ROCPRIM_400000_NS6detail17trampoline_kernelINS0_14default_configENS1_25partition_config_selectorILNS1_17partition_subalgoE8EdNS0_10empty_typeEbEEZZNS1_14partition_implILS5_8ELb0ES3_jN6thrust23THRUST_200600_302600_NS6detail15normal_iteratorINSA_10device_ptrIdEEEEPS6_PKS6_NS0_5tupleIJSF_S6_EEENSJ_IJSG_SG_EEENS0_18inequality_wrapperI22is_equal_div_10_uniqueIdEEEPmJS6_EEE10hipError_tPvRmT3_T4_T5_T6_T7_T9_mT8_P12ihipStream_tbDpT10_ENKUlT_T0_E_clISt17integral_constantIbLb0EES1A_EEDaS15_S16_EUlS15_E_NS1_11comp_targetILNS1_3genE2ELNS1_11target_archE906ELNS1_3gpuE6ELNS1_3repE0EEENS1_30default_config_static_selectorELNS0_4arch9wavefront6targetE1EEEvT1_,comdat
	.protected	_ZN7rocprim17ROCPRIM_400000_NS6detail17trampoline_kernelINS0_14default_configENS1_25partition_config_selectorILNS1_17partition_subalgoE8EdNS0_10empty_typeEbEEZZNS1_14partition_implILS5_8ELb0ES3_jN6thrust23THRUST_200600_302600_NS6detail15normal_iteratorINSA_10device_ptrIdEEEEPS6_PKS6_NS0_5tupleIJSF_S6_EEENSJ_IJSG_SG_EEENS0_18inequality_wrapperI22is_equal_div_10_uniqueIdEEEPmJS6_EEE10hipError_tPvRmT3_T4_T5_T6_T7_T9_mT8_P12ihipStream_tbDpT10_ENKUlT_T0_E_clISt17integral_constantIbLb0EES1A_EEDaS15_S16_EUlS15_E_NS1_11comp_targetILNS1_3genE2ELNS1_11target_archE906ELNS1_3gpuE6ELNS1_3repE0EEENS1_30default_config_static_selectorELNS0_4arch9wavefront6targetE1EEEvT1_ ; -- Begin function _ZN7rocprim17ROCPRIM_400000_NS6detail17trampoline_kernelINS0_14default_configENS1_25partition_config_selectorILNS1_17partition_subalgoE8EdNS0_10empty_typeEbEEZZNS1_14partition_implILS5_8ELb0ES3_jN6thrust23THRUST_200600_302600_NS6detail15normal_iteratorINSA_10device_ptrIdEEEEPS6_PKS6_NS0_5tupleIJSF_S6_EEENSJ_IJSG_SG_EEENS0_18inequality_wrapperI22is_equal_div_10_uniqueIdEEEPmJS6_EEE10hipError_tPvRmT3_T4_T5_T6_T7_T9_mT8_P12ihipStream_tbDpT10_ENKUlT_T0_E_clISt17integral_constantIbLb0EES1A_EEDaS15_S16_EUlS15_E_NS1_11comp_targetILNS1_3genE2ELNS1_11target_archE906ELNS1_3gpuE6ELNS1_3repE0EEENS1_30default_config_static_selectorELNS0_4arch9wavefront6targetE1EEEvT1_
	.globl	_ZN7rocprim17ROCPRIM_400000_NS6detail17trampoline_kernelINS0_14default_configENS1_25partition_config_selectorILNS1_17partition_subalgoE8EdNS0_10empty_typeEbEEZZNS1_14partition_implILS5_8ELb0ES3_jN6thrust23THRUST_200600_302600_NS6detail15normal_iteratorINSA_10device_ptrIdEEEEPS6_PKS6_NS0_5tupleIJSF_S6_EEENSJ_IJSG_SG_EEENS0_18inequality_wrapperI22is_equal_div_10_uniqueIdEEEPmJS6_EEE10hipError_tPvRmT3_T4_T5_T6_T7_T9_mT8_P12ihipStream_tbDpT10_ENKUlT_T0_E_clISt17integral_constantIbLb0EES1A_EEDaS15_S16_EUlS15_E_NS1_11comp_targetILNS1_3genE2ELNS1_11target_archE906ELNS1_3gpuE6ELNS1_3repE0EEENS1_30default_config_static_selectorELNS0_4arch9wavefront6targetE1EEEvT1_
	.p2align	8
	.type	_ZN7rocprim17ROCPRIM_400000_NS6detail17trampoline_kernelINS0_14default_configENS1_25partition_config_selectorILNS1_17partition_subalgoE8EdNS0_10empty_typeEbEEZZNS1_14partition_implILS5_8ELb0ES3_jN6thrust23THRUST_200600_302600_NS6detail15normal_iteratorINSA_10device_ptrIdEEEEPS6_PKS6_NS0_5tupleIJSF_S6_EEENSJ_IJSG_SG_EEENS0_18inequality_wrapperI22is_equal_div_10_uniqueIdEEEPmJS6_EEE10hipError_tPvRmT3_T4_T5_T6_T7_T9_mT8_P12ihipStream_tbDpT10_ENKUlT_T0_E_clISt17integral_constantIbLb0EES1A_EEDaS15_S16_EUlS15_E_NS1_11comp_targetILNS1_3genE2ELNS1_11target_archE906ELNS1_3gpuE6ELNS1_3repE0EEENS1_30default_config_static_selectorELNS0_4arch9wavefront6targetE1EEEvT1_,@function
_ZN7rocprim17ROCPRIM_400000_NS6detail17trampoline_kernelINS0_14default_configENS1_25partition_config_selectorILNS1_17partition_subalgoE8EdNS0_10empty_typeEbEEZZNS1_14partition_implILS5_8ELb0ES3_jN6thrust23THRUST_200600_302600_NS6detail15normal_iteratorINSA_10device_ptrIdEEEEPS6_PKS6_NS0_5tupleIJSF_S6_EEENSJ_IJSG_SG_EEENS0_18inequality_wrapperI22is_equal_div_10_uniqueIdEEEPmJS6_EEE10hipError_tPvRmT3_T4_T5_T6_T7_T9_mT8_P12ihipStream_tbDpT10_ENKUlT_T0_E_clISt17integral_constantIbLb0EES1A_EEDaS15_S16_EUlS15_E_NS1_11comp_targetILNS1_3genE2ELNS1_11target_archE906ELNS1_3gpuE6ELNS1_3repE0EEENS1_30default_config_static_selectorELNS0_4arch9wavefront6targetE1EEEvT1_: ; @_ZN7rocprim17ROCPRIM_400000_NS6detail17trampoline_kernelINS0_14default_configENS1_25partition_config_selectorILNS1_17partition_subalgoE8EdNS0_10empty_typeEbEEZZNS1_14partition_implILS5_8ELb0ES3_jN6thrust23THRUST_200600_302600_NS6detail15normal_iteratorINSA_10device_ptrIdEEEEPS6_PKS6_NS0_5tupleIJSF_S6_EEENSJ_IJSG_SG_EEENS0_18inequality_wrapperI22is_equal_div_10_uniqueIdEEEPmJS6_EEE10hipError_tPvRmT3_T4_T5_T6_T7_T9_mT8_P12ihipStream_tbDpT10_ENKUlT_T0_E_clISt17integral_constantIbLb0EES1A_EEDaS15_S16_EUlS15_E_NS1_11comp_targetILNS1_3genE2ELNS1_11target_archE906ELNS1_3gpuE6ELNS1_3repE0EEENS1_30default_config_static_selectorELNS0_4arch9wavefront6targetE1EEEvT1_
; %bb.0:
	s_load_dwordx4 s[0:3], s[4:5], 0x8
	s_load_dwordx4 s[24:27], s[4:5], 0x40
	s_load_dwordx2 s[8:9], s[4:5], 0x50
	s_load_dword s7, s[4:5], 0x68
	v_lshlrev_b32_e32 v31, 3, v0
	s_waitcnt lgkmcnt(0)
	s_lshl_b64 s[10:11], s[2:3], 3
	s_add_u32 s12, s0, s10
	s_addc_u32 s13, s1, s11
	s_mul_i32 s0, s7, 0x700
	s_add_i32 s1, s0, s2
	s_add_i32 s14, s7, -1
	s_sub_i32 s7, s8, s1
	s_add_u32 s0, s2, s0
	s_addc_u32 s1, s3, 0
	v_mov_b32_e32 v2, s1
	v_mov_b32_e32 v1, s0
	v_cmp_le_u64_e32 vcc, s[8:9], v[1:2]
	s_cmp_eq_u32 s6, s14
	s_load_dwordx2 s[22:23], s[26:27], 0x0
	s_cselect_b64 s[26:27], -1, 0
	s_mul_i32 s10, s6, 0x700
	s_mov_b32 s11, 0
	s_and_b64 s[16:17], s[26:27], vcc
	s_xor_b64 s[28:29], s[16:17], -1
	s_lshl_b64 s[8:9], s[10:11], 3
	s_add_u32 s8, s12, s8
	s_mov_b64 s[0:1], -1
	s_addc_u32 s9, s13, s9
	s_and_b64 vcc, exec, s[28:29]
	s_cbranch_vccz .LBB51_2
; %bb.1:
	v_lshlrev_b32_e32 v19, 3, v0
	v_mov_b32_e32 v2, s9
	v_add_co_u32_e32 v1, vcc, s8, v19
	v_addc_co_u32_e32 v2, vcc, 0, v2, vcc
	v_add_co_u32_e32 v3, vcc, 0x1000, v1
	v_addc_co_u32_e32 v4, vcc, 0, v2, vcc
	flat_load_dwordx2 v[5:6], v[1:2]
	flat_load_dwordx2 v[7:8], v[1:2] offset:2048
	flat_load_dwordx2 v[9:10], v[3:4]
	flat_load_dwordx2 v[11:12], v[3:4] offset:2048
	v_add_co_u32_e32 v3, vcc, 0x2000, v1
	v_addc_co_u32_e32 v4, vcc, 0, v2, vcc
	v_add_co_u32_e32 v1, vcc, 0x3000, v1
	v_addc_co_u32_e32 v2, vcc, 0, v2, vcc
	flat_load_dwordx2 v[13:14], v[3:4]
	flat_load_dwordx2 v[15:16], v[3:4] offset:2048
	flat_load_dwordx2 v[17:18], v[1:2]
	s_mov_b64 s[0:1], 0
	s_waitcnt vmcnt(0) lgkmcnt(0)
	ds_write2st64_b64 v19, v[5:6], v[7:8] offset1:4
	ds_write2st64_b64 v19, v[9:10], v[11:12] offset0:8 offset1:12
	ds_write2st64_b64 v19, v[13:14], v[15:16] offset0:16 offset1:20
	ds_write_b64 v19, v[17:18] offset:12288
	s_waitcnt lgkmcnt(0)
	s_barrier
.LBB51_2:
	s_andn2_b64 vcc, exec, s[0:1]
	s_addk_i32 s7, 0x700
	s_cbranch_vccnz .LBB51_18
; %bb.3:
	v_mov_b32_e32 v1, 0
	v_cmp_gt_u32_e32 vcc, s7, v0
	v_mov_b32_e32 v2, v1
	v_mov_b32_e32 v3, v1
	;; [unrolled: 1-line block ×13, first 2 shown]
	s_and_saveexec_b64 s[0:1], vcc
	s_cbranch_execz .LBB51_5
; %bb.4:
	v_lshlrev_b32_e32 v2, 3, v0
	v_mov_b32_e32 v3, s9
	v_add_co_u32_e32 v2, vcc, s8, v2
	v_addc_co_u32_e32 v3, vcc, 0, v3, vcc
	flat_load_dwordx2 v[2:3], v[2:3]
	v_mov_b32_e32 v4, v1
	v_mov_b32_e32 v5, v1
	;; [unrolled: 1-line block ×12, first 2 shown]
	s_waitcnt vmcnt(0) lgkmcnt(0)
	v_mov_b32_e32 v1, v2
	v_mov_b32_e32 v2, v3
	;; [unrolled: 1-line block ×16, first 2 shown]
.LBB51_5:
	s_or_b64 exec, exec, s[0:1]
	v_or_b32_e32 v15, 0x100, v0
	v_cmp_gt_u32_e32 vcc, s7, v15
	s_and_saveexec_b64 s[0:1], vcc
	s_cbranch_execz .LBB51_7
; %bb.6:
	v_lshlrev_b32_e32 v3, 3, v0
	v_mov_b32_e32 v4, s9
	v_add_co_u32_e32 v3, vcc, s8, v3
	v_addc_co_u32_e32 v4, vcc, 0, v4, vcc
	flat_load_dwordx2 v[3:4], v[3:4] offset:2048
.LBB51_7:
	s_or_b64 exec, exec, s[0:1]
	v_or_b32_e32 v15, 0x200, v0
	v_cmp_gt_u32_e32 vcc, s7, v15
	s_and_saveexec_b64 s[0:1], vcc
	s_cbranch_execz .LBB51_9
; %bb.8:
	v_lshlrev_b32_e32 v5, 3, v15
	v_mov_b32_e32 v6, s9
	v_add_co_u32_e32 v5, vcc, s8, v5
	v_addc_co_u32_e32 v6, vcc, 0, v6, vcc
	flat_load_dwordx2 v[5:6], v[5:6]
.LBB51_9:
	s_or_b64 exec, exec, s[0:1]
	v_or_b32_e32 v15, 0x300, v0
	v_cmp_gt_u32_e32 vcc, s7, v15
	s_and_saveexec_b64 s[0:1], vcc
	s_cbranch_execz .LBB51_11
; %bb.10:
	v_lshlrev_b32_e32 v7, 3, v15
	v_mov_b32_e32 v8, s9
	v_add_co_u32_e32 v7, vcc, s8, v7
	v_addc_co_u32_e32 v8, vcc, 0, v8, vcc
	flat_load_dwordx2 v[7:8], v[7:8]
.LBB51_11:
	;; [unrolled: 12-line block ×5, first 2 shown]
	s_or_b64 exec, exec, s[0:1]
	v_lshlrev_b32_e32 v15, 3, v0
	s_waitcnt vmcnt(0) lgkmcnt(0)
	ds_write2st64_b64 v15, v[1:2], v[3:4] offset1:4
	ds_write2st64_b64 v15, v[5:6], v[7:8] offset0:8 offset1:12
	ds_write2st64_b64 v15, v[9:10], v[11:12] offset0:16 offset1:20
	ds_write_b64 v15, v[13:14] offset:12288
	s_waitcnt lgkmcnt(0)
	s_barrier
.LBB51_18:
	v_mul_u32_u24_e32 v19, 7, v0
	v_lshlrev_b32_e32 v20, 3, v19
	s_waitcnt lgkmcnt(0)
	ds_read2_b64 v[9:12], v20 offset1:1
	ds_read2_b64 v[5:8], v20 offset0:2 offset1:3
	ds_read2_b64 v[1:4], v20 offset0:4 offset1:5
	ds_read_b64 v[13:14], v20 offset:48
	s_cmp_lg_u32 s6, 0
	s_cselect_b64 s[20:21], -1, 0
	s_cmp_lg_u64 s[2:3], 0
	s_cselect_b64 s[0:1], -1, 0
	s_or_b64 s[0:1], s[20:21], s[0:1]
	s_mov_b64 s[18:19], 0
	s_and_b64 vcc, exec, s[0:1]
	s_waitcnt lgkmcnt(0)
	s_barrier
	s_cbranch_vccz .LBB51_23
; %bb.19:
	v_mov_b32_e32 v16, s9
	v_add_co_u32_e64 v15, vcc, -8, s8
	v_addc_co_u32_e32 v16, vcc, -1, v16, vcc
	flat_load_dwordx2 v[15:16], v[15:16]
	v_lshlrev_b32_e32 v21, 3, v0
	s_and_b64 vcc, exec, s[28:29]
	ds_write_b64 v21, v[13:14]
	s_cbranch_vccz .LBB51_24
; %bb.20:
	s_waitcnt vmcnt(0) lgkmcnt(0)
	v_mov_b32_e32 v18, v16
	v_cmp_ne_u32_e32 vcc, 0, v0
	v_mov_b32_e32 v17, v15
	s_barrier
	s_and_saveexec_b64 s[0:1], vcc
; %bb.21:
	v_add_u32_e32 v17, -8, v21
	ds_read_b64 v[17:18], v17
; %bb.22:
	s_or_b64 exec, exec, s[0:1]
	v_cvt_i32_f64_e32 v22, v[3:4]
	v_cvt_i32_f64_e32 v23, v[13:14]
	;; [unrolled: 1-line block ×3, first 2 shown]
	s_mov_b32 s0, 0x66666667
	v_mul_hi_i32 v22, v22, s0
	v_mul_hi_i32 v23, v23, s0
	v_mul_hi_i32 v24, v24, s0
	s_waitcnt lgkmcnt(0)
	v_cvt_i32_f64_e32 v17, v[17:18]
	v_lshrrev_b32_e32 v25, 31, v22
	v_ashrrev_i32_e32 v22, 2, v22
	v_lshrrev_b32_e32 v26, 31, v23
	v_ashrrev_i32_e32 v23, 2, v23
	v_add_u32_e32 v22, v22, v25
	v_add_u32_e32 v23, v23, v26
	v_cmp_ne_u32_e32 vcc, v22, v23
	v_cvt_i32_f64_e32 v23, v[7:8]
	v_lshrrev_b32_e32 v25, 31, v24
	v_ashrrev_i32_e32 v24, 2, v24
	v_add_u32_e32 v24, v24, v25
	v_cndmask_b32_e64 v32, 0, 1, vcc
	v_cmp_ne_u32_e32 vcc, v24, v22
	v_cvt_i32_f64_e32 v22, v[5:6]
	v_mul_hi_i32 v23, v23, s0
	v_cndmask_b32_e64 v33, 0, 1, vcc
	v_mul_hi_i32 v17, v17, s0
	v_mul_hi_i32 v22, v22, s0
	v_lshrrev_b32_e32 v25, 31, v23
	v_ashrrev_i32_e32 v23, 2, v23
	v_add_u32_e32 v23, v23, v25
	v_cmp_ne_u32_e32 vcc, v23, v24
	v_cvt_i32_f64_e32 v24, v[11:12]
	v_lshrrev_b32_e32 v25, 31, v22
	v_ashrrev_i32_e32 v22, 2, v22
	v_add_u32_e32 v22, v22, v25
	v_cndmask_b32_e64 v34, 0, 1, vcc
	v_cmp_ne_u32_e32 vcc, v22, v23
	v_cvt_i32_f64_e32 v23, v[9:10]
	v_mul_hi_i32 v24, v24, s0
	v_cndmask_b32_e64 v35, 0, 1, vcc
	v_mul_hi_i32 v23, v23, s0
	v_lshrrev_b32_e32 v25, 31, v24
	v_ashrrev_i32_e32 v24, 2, v24
	v_add_u32_e32 v24, v24, v25
	v_cmp_ne_u32_e32 vcc, v24, v22
	v_lshrrev_b32_e32 v18, 31, v23
	v_ashrrev_i32_e32 v22, 2, v23
	v_add_u32_e32 v18, v22, v18
	v_lshrrev_b32_e32 v22, 31, v17
	v_ashrrev_i32_e32 v17, 2, v17
	v_cndmask_b32_e64 v36, 0, 1, vcc
	v_cmp_ne_u32_e32 vcc, v18, v24
	v_add_u32_e32 v17, v17, v22
	v_cndmask_b32_e64 v37, 0, 1, vcc
	v_cmp_ne_u32_e64 s[30:31], v17, v18
	s_branch .LBB51_42
.LBB51_23:
                                        ; implicit-def: $sgpr30_sgpr31
                                        ; implicit-def: $vgpr32
                                        ; implicit-def: $vgpr33
                                        ; implicit-def: $vgpr34
                                        ; implicit-def: $vgpr35
                                        ; implicit-def: $vgpr36
                                        ; implicit-def: $vgpr37
	s_branch .LBB51_43
.LBB51_24:
                                        ; implicit-def: $sgpr30_sgpr31
                                        ; implicit-def: $vgpr32
                                        ; implicit-def: $vgpr33
                                        ; implicit-def: $vgpr34
                                        ; implicit-def: $vgpr35
                                        ; implicit-def: $vgpr36
                                        ; implicit-def: $vgpr37
	s_cbranch_execz .LBB51_42
; %bb.25:
	v_add_u32_e32 v17, 6, v19
	v_cmp_gt_u32_e32 vcc, s7, v17
	s_mov_b64 s[2:3], 0
	s_mov_b64 s[0:1], 0
	s_and_saveexec_b64 s[8:9], vcc
	s_cbranch_execz .LBB51_27
; %bb.26:
	v_cvt_i32_f64_e32 v17, v[3:4]
	v_cvt_i32_f64_e32 v18, v[13:14]
	s_mov_b32 s0, 0x66666667
	v_mul_hi_i32 v17, v17, s0
	v_mul_hi_i32 v18, v18, s0
	v_lshrrev_b32_e32 v22, 31, v17
	v_ashrrev_i32_e32 v17, 2, v17
	v_lshrrev_b32_e32 v23, 31, v18
	v_ashrrev_i32_e32 v18, 2, v18
	v_add_u32_e32 v17, v17, v22
	v_add_u32_e32 v18, v18, v23
	v_cmp_ne_u32_e32 vcc, v17, v18
	s_and_b64 s[0:1], vcc, exec
.LBB51_27:
	s_or_b64 exec, exec, s[8:9]
	v_add_u32_e32 v17, 5, v19
	v_cmp_gt_u32_e32 vcc, s7, v17
	s_and_saveexec_b64 s[8:9], vcc
	s_cbranch_execz .LBB51_29
; %bb.28:
	v_cvt_i32_f64_e32 v17, v[1:2]
	v_cvt_i32_f64_e32 v18, v[3:4]
	s_mov_b32 s2, 0x66666667
	v_mul_hi_i32 v17, v17, s2
	v_mul_hi_i32 v18, v18, s2
	v_lshrrev_b32_e32 v22, 31, v17
	v_ashrrev_i32_e32 v17, 2, v17
	v_lshrrev_b32_e32 v23, 31, v18
	v_ashrrev_i32_e32 v18, 2, v18
	v_add_u32_e32 v17, v17, v22
	v_add_u32_e32 v18, v18, v23
	v_cmp_ne_u32_e32 vcc, v17, v18
	s_and_b64 s[2:3], vcc, exec
.LBB51_29:
	s_or_b64 exec, exec, s[8:9]
	v_add_u32_e32 v17, 4, v19
	v_cmp_gt_u32_e32 vcc, s7, v17
	s_mov_b64 s[10:11], 0
	s_mov_b64 s[8:9], 0
	s_and_saveexec_b64 s[12:13], vcc
	s_cbranch_execz .LBB51_31
; %bb.30:
	v_cvt_i32_f64_e32 v17, v[7:8]
	v_cvt_i32_f64_e32 v18, v[1:2]
	s_mov_b32 s8, 0x66666667
	v_mul_hi_i32 v17, v17, s8
	v_mul_hi_i32 v18, v18, s8
	v_lshrrev_b32_e32 v22, 31, v17
	v_ashrrev_i32_e32 v17, 2, v17
	v_lshrrev_b32_e32 v23, 31, v18
	v_ashrrev_i32_e32 v18, 2, v18
	v_add_u32_e32 v17, v17, v22
	v_add_u32_e32 v18, v18, v23
	v_cmp_ne_u32_e32 vcc, v17, v18
	s_and_b64 s[8:9], vcc, exec
.LBB51_31:
	s_or_b64 exec, exec, s[12:13]
	v_add_u32_e32 v17, 3, v19
	v_cmp_gt_u32_e32 vcc, s7, v17
	s_and_saveexec_b64 s[12:13], vcc
	s_cbranch_execz .LBB51_33
; %bb.32:
	v_cvt_i32_f64_e32 v17, v[5:6]
	v_cvt_i32_f64_e32 v18, v[7:8]
	s_mov_b32 s10, 0x66666667
	v_mul_hi_i32 v17, v17, s10
	v_mul_hi_i32 v18, v18, s10
	v_lshrrev_b32_e32 v22, 31, v17
	v_ashrrev_i32_e32 v17, 2, v17
	v_lshrrev_b32_e32 v23, 31, v18
	v_ashrrev_i32_e32 v18, 2, v18
	v_add_u32_e32 v17, v17, v22
	v_add_u32_e32 v18, v18, v23
	v_cmp_ne_u32_e32 vcc, v17, v18
	s_and_b64 s[10:11], vcc, exec
.LBB51_33:
	s_or_b64 exec, exec, s[12:13]
	;; [unrolled: 42-line block ×3, first 2 shown]
	v_cmp_ne_u32_e32 vcc, 0, v0
	s_waitcnt vmcnt(0) lgkmcnt(0)
	s_barrier
	s_and_saveexec_b64 s[18:19], vcc
; %bb.38:
	v_add_u32_e32 v15, -8, v21
	ds_read_b64 v[15:16], v15
; %bb.39:
	s_or_b64 exec, exec, s[18:19]
	v_cmp_gt_u32_e32 vcc, s7, v19
	s_mov_b64 s[30:31], 0
	s_and_saveexec_b64 s[18:19], vcc
	s_cbranch_execz .LBB51_41
; %bb.40:
	s_waitcnt lgkmcnt(0)
	v_cvt_i32_f64_e32 v15, v[15:16]
	v_cvt_i32_f64_e32 v16, v[9:10]
	s_mov_b32 s30, 0x66666667
	v_mul_hi_i32 v15, v15, s30
	v_mul_hi_i32 v16, v16, s30
	v_lshrrev_b32_e32 v17, 31, v15
	v_ashrrev_i32_e32 v15, 2, v15
	v_lshrrev_b32_e32 v18, 31, v16
	v_ashrrev_i32_e32 v16, 2, v16
	v_add_u32_e32 v15, v15, v17
	v_add_u32_e32 v16, v16, v18
	v_cmp_ne_u32_e32 vcc, v15, v16
	s_and_b64 s[30:31], vcc, exec
.LBB51_41:
	s_or_b64 exec, exec, s[18:19]
	v_cndmask_b32_e64 v37, 0, 1, s[14:15]
	v_cndmask_b32_e64 v36, 0, 1, s[12:13]
	;; [unrolled: 1-line block ×6, first 2 shown]
.LBB51_42:
	s_mov_b64 s[18:19], -1
	s_cbranch_execnz .LBB51_65
.LBB51_43:
	s_movk_i32 s0, 0xffd0
	s_waitcnt vmcnt(0) lgkmcnt(0)
	v_mad_i32_i24 v15, v0, s0, v20
	v_cvt_i32_f64_e32 v20, v[3:4]
	v_cvt_i32_f64_e32 v18, v[1:2]
	v_cvt_i32_f64_e32 v17, v[7:8]
	v_cvt_i32_f64_e32 v16, v[5:6]
	s_and_b64 vcc, exec, s[28:29]
	ds_write_b64 v15, v[13:14]
	s_cbranch_vccz .LBB51_47
; %bb.44:
	v_cvt_i32_f64_e32 v21, v[13:14]
	s_mov_b32 s33, 0x66666667
	v_mul_hi_i32 v22, v20, s33
	v_mul_hi_i32 v23, v18, s33
	;; [unrolled: 1-line block ×3, first 2 shown]
	v_cvt_i32_f64_e32 v25, v[9:10]
	v_lshrrev_b32_e32 v24, 31, v22
	v_ashrrev_i32_e32 v22, 2, v22
	v_add_u32_e32 v22, v22, v24
	v_lshrrev_b32_e32 v24, 31, v21
	v_ashrrev_i32_e32 v21, 2, v21
	v_add_u32_e32 v21, v21, v24
	v_mul_hi_i32 v24, v17, s33
	v_cmp_ne_u32_e32 vcc, v22, v21
	v_lshrrev_b32_e32 v21, 31, v23
	v_ashrrev_i32_e32 v23, 2, v23
	v_add_u32_e32 v21, v23, v21
	v_cmp_ne_u32_e64 s[0:1], v21, v22
	v_lshrrev_b32_e32 v22, 31, v24
	v_ashrrev_i32_e32 v23, 2, v24
	v_add_u32_e32 v22, v23, v22
	v_cvt_i32_f64_e32 v23, v[11:12]
	v_mul_hi_i32 v24, v16, s33
	v_cmp_ne_u32_e64 s[2:3], v22, v21
	v_cmp_ne_u32_e64 s[14:15], 0, v0
	v_mul_hi_i32 v23, v23, s33
	v_lshrrev_b32_e32 v21, 31, v24
	v_ashrrev_i32_e32 v24, 2, v24
	v_add_u32_e32 v21, v24, v21
	v_mul_hi_i32 v24, v25, s33
	v_cmp_ne_u32_e64 s[12:13], v21, v22
	v_lshrrev_b32_e32 v22, 31, v23
	v_ashrrev_i32_e32 v23, 2, v23
	v_add_u32_e32 v22, v23, v22
	v_cmp_ne_u32_e64 s[8:9], v22, v21
	v_lshrrev_b32_e32 v21, 31, v24
	v_ashrrev_i32_e32 v23, 2, v24
	v_add_u32_e32 v21, v23, v21
	v_cmp_ne_u32_e64 s[10:11], v21, v22
	s_waitcnt lgkmcnt(0)
	s_barrier
                                        ; implicit-def: $sgpr30_sgpr31
	s_and_saveexec_b64 s[34:35], s[14:15]
	s_xor_b64 s[14:15], exec, s[34:35]
	s_cbranch_execz .LBB51_46
; %bb.45:
	v_add_u32_e32 v22, -8, v15
	ds_read_b64 v[22:23], v22
	s_or_b64 s[18:19], s[18:19], exec
	s_waitcnt lgkmcnt(0)
	v_cvt_i32_f64_e32 v22, v[22:23]
	v_mul_hi_i32 v22, v22, s33
	v_lshrrev_b32_e32 v23, 31, v22
	v_ashrrev_i32_e32 v22, 2, v22
	v_add_u32_e32 v22, v22, v23
	v_cmp_ne_u32_e64 s[30:31], v22, v21
.LBB51_46:
	s_or_b64 exec, exec, s[14:15]
	v_cndmask_b32_e64 v32, 0, 1, vcc
	v_cndmask_b32_e64 v33, 0, 1, s[0:1]
	v_cndmask_b32_e64 v34, 0, 1, s[2:3]
	;; [unrolled: 1-line block ×5, first 2 shown]
	s_branch .LBB51_65
.LBB51_47:
                                        ; implicit-def: $sgpr30_sgpr31
                                        ; implicit-def: $vgpr32
                                        ; implicit-def: $vgpr33
                                        ; implicit-def: $vgpr34
                                        ; implicit-def: $vgpr35
                                        ; implicit-def: $vgpr36
                                        ; implicit-def: $vgpr37
	s_cbranch_execz .LBB51_65
; %bb.48:
	v_add_u32_e32 v21, 6, v19
	v_cmp_gt_u32_e32 vcc, s7, v21
	s_mov_b64 s[0:1], 0
	s_mov_b64 s[2:3], 0
	s_and_saveexec_b64 s[8:9], vcc
	s_cbranch_execz .LBB51_50
; %bb.49:
	v_cvt_i32_f64_e32 v21, v[13:14]
	s_mov_b32 s2, 0x66666667
	v_mul_hi_i32 v22, v20, s2
	v_mul_hi_i32 v21, v21, s2
	v_lshrrev_b32_e32 v23, 31, v22
	v_ashrrev_i32_e32 v22, 2, v22
	v_add_u32_e32 v22, v22, v23
	v_lshrrev_b32_e32 v23, 31, v21
	v_ashrrev_i32_e32 v21, 2, v21
	v_add_u32_e32 v21, v21, v23
	v_cmp_ne_u32_e32 vcc, v22, v21
	s_and_b64 s[2:3], vcc, exec
.LBB51_50:
	s_or_b64 exec, exec, s[8:9]
	v_add_u32_e32 v21, 5, v19
	v_cmp_gt_u32_e32 vcc, s7, v21
	s_and_saveexec_b64 s[8:9], vcc
	s_cbranch_execz .LBB51_52
; %bb.51:
	s_mov_b32 s0, 0x66666667
	v_mul_hi_i32 v21, v18, s0
	v_mul_hi_i32 v20, v20, s0
	v_lshrrev_b32_e32 v22, 31, v21
	v_ashrrev_i32_e32 v21, 2, v21
	v_lshrrev_b32_e32 v23, 31, v20
	v_ashrrev_i32_e32 v20, 2, v20
	v_add_u32_e32 v21, v21, v22
	v_add_u32_e32 v20, v20, v23
	v_cmp_ne_u32_e32 vcc, v21, v20
	s_and_b64 s[0:1], vcc, exec
.LBB51_52:
	s_or_b64 exec, exec, s[8:9]
	v_add_u32_e32 v20, 4, v19
	v_cmp_gt_u32_e32 vcc, s7, v20
	s_mov_b64 s[10:11], 0
	s_mov_b64 s[8:9], 0
	s_and_saveexec_b64 s[12:13], vcc
	s_cbranch_execz .LBB51_54
; %bb.53:
	s_mov_b32 s8, 0x66666667
	v_mul_hi_i32 v20, v17, s8
	v_mul_hi_i32 v18, v18, s8
	v_lshrrev_b32_e32 v21, 31, v20
	v_ashrrev_i32_e32 v20, 2, v20
	v_lshrrev_b32_e32 v22, 31, v18
	v_ashrrev_i32_e32 v18, 2, v18
	v_add_u32_e32 v20, v20, v21
	v_add_u32_e32 v18, v18, v22
	v_cmp_ne_u32_e32 vcc, v20, v18
	s_and_b64 s[8:9], vcc, exec
.LBB51_54:
	s_or_b64 exec, exec, s[12:13]
	v_add_u32_e32 v18, 3, v19
	v_cmp_gt_u32_e32 vcc, s7, v18
	s_and_saveexec_b64 s[12:13], vcc
	s_cbranch_execz .LBB51_56
; %bb.55:
	s_mov_b32 s10, 0x66666667
	v_mul_hi_i32 v18, v16, s10
	v_mul_hi_i32 v17, v17, s10
	v_lshrrev_b32_e32 v20, 31, v18
	v_ashrrev_i32_e32 v18, 2, v18
	v_lshrrev_b32_e32 v21, 31, v17
	v_ashrrev_i32_e32 v17, 2, v17
	v_add_u32_e32 v18, v18, v20
	v_add_u32_e32 v17, v17, v21
	v_cmp_ne_u32_e32 vcc, v18, v17
	s_and_b64 s[10:11], vcc, exec
.LBB51_56:
	s_or_b64 exec, exec, s[12:13]
	v_add_u32_e32 v17, 2, v19
	v_cmp_gt_u32_e32 vcc, s7, v17
	s_mov_b64 s[12:13], 0
	s_mov_b64 s[14:15], 0
	s_and_saveexec_b64 s[30:31], vcc
	s_cbranch_execz .LBB51_58
; %bb.57:
	v_cvt_i32_f64_e32 v17, v[11:12]
	s_mov_b32 s14, 0x66666667
	v_mul_hi_i32 v16, v16, s14
	v_mul_hi_i32 v17, v17, s14
	v_lshrrev_b32_e32 v18, 31, v16
	v_ashrrev_i32_e32 v16, 2, v16
	v_lshrrev_b32_e32 v20, 31, v17
	v_ashrrev_i32_e32 v17, 2, v17
	v_add_u32_e32 v17, v17, v20
	v_add_u32_e32 v16, v16, v18
	v_cmp_ne_u32_e32 vcc, v17, v16
	s_and_b64 s[14:15], vcc, exec
.LBB51_58:
	s_or_b64 exec, exec, s[30:31]
	v_add_u32_e32 v16, 1, v19
	v_cmp_gt_u32_e32 vcc, s7, v16
	s_and_saveexec_b64 s[30:31], vcc
	s_cbranch_execz .LBB51_60
; %bb.59:
	v_cvt_i32_f64_e32 v16, v[9:10]
	v_cvt_i32_f64_e32 v17, v[11:12]
	s_mov_b32 s12, 0x66666667
	v_mul_hi_i32 v16, v16, s12
	v_mul_hi_i32 v17, v17, s12
	v_lshrrev_b32_e32 v18, 31, v16
	v_ashrrev_i32_e32 v16, 2, v16
	v_lshrrev_b32_e32 v20, 31, v17
	v_ashrrev_i32_e32 v17, 2, v17
	v_add_u32_e32 v16, v16, v18
	v_add_u32_e32 v17, v17, v20
	v_cmp_ne_u32_e32 vcc, v16, v17
	s_and_b64 s[12:13], vcc, exec
.LBB51_60:
	s_or_b64 exec, exec, s[30:31]
	v_cmp_ne_u32_e32 vcc, 0, v0
	s_waitcnt lgkmcnt(0)
	s_barrier
                                        ; implicit-def: $sgpr30_sgpr31
	s_and_saveexec_b64 s[34:35], vcc
	s_cbranch_execz .LBB51_64
; %bb.61:
	v_cmp_gt_u32_e32 vcc, s7, v19
	s_mov_b64 s[30:31], 0
	s_and_saveexec_b64 s[36:37], vcc
	s_cbranch_execz .LBB51_63
; %bb.62:
	v_add_u32_e32 v15, -8, v15
	ds_read_b64 v[15:16], v15
	v_cvt_i32_f64_e32 v17, v[9:10]
	s_mov_b32 s30, 0x66666667
	s_waitcnt lgkmcnt(0)
	v_cvt_i32_f64_e32 v15, v[15:16]
	v_mul_hi_i32 v16, v17, s30
	v_mul_hi_i32 v15, v15, s30
	v_lshrrev_b32_e32 v17, 31, v16
	v_ashrrev_i32_e32 v16, 2, v16
	v_add_u32_e32 v16, v16, v17
	v_lshrrev_b32_e32 v18, 31, v15
	v_ashrrev_i32_e32 v15, 2, v15
	v_add_u32_e32 v15, v15, v18
	v_cmp_ne_u32_e32 vcc, v15, v16
	s_and_b64 s[30:31], vcc, exec
.LBB51_63:
	s_or_b64 exec, exec, s[36:37]
	s_or_b64 s[18:19], s[18:19], exec
.LBB51_64:
	s_or_b64 exec, exec, s[34:35]
	v_cndmask_b32_e64 v36, 0, 1, s[14:15]
	v_cndmask_b32_e64 v35, 0, 1, s[10:11]
	;; [unrolled: 1-line block ×6, first 2 shown]
.LBB51_65:
	v_mov_b32_e32 v26, 1
	s_and_saveexec_b64 s[0:1], s[18:19]
; %bb.66:
	v_cndmask_b32_e64 v26, 0, 1, s[30:31]
; %bb.67:
	s_or_b64 exec, exec, s[0:1]
	s_load_dwordx2 s[30:31], s[4:5], 0x60
	s_andn2_b64 vcc, exec, s[16:17]
	s_cbranch_vccnz .LBB51_69
; %bb.68:
	v_cmp_gt_u32_e32 vcc, s7, v19
	s_waitcnt vmcnt(0) lgkmcnt(0)
	v_add_u32_e32 v15, 1, v19
	v_cndmask_b32_e32 v26, 0, v26, vcc
	v_cmp_gt_u32_e32 vcc, s7, v15
	v_add_u32_e32 v15, 2, v19
	v_cndmask_b32_e32 v37, 0, v37, vcc
	v_cmp_gt_u32_e32 vcc, s7, v15
	;; [unrolled: 3-line block ×6, first 2 shown]
	v_cndmask_b32_e32 v32, 0, v32, vcc
.LBB51_69:
	v_and_b32_e32 v25, 0xffff, v26
	v_and_b32_e32 v27, 0xff, v37
	;; [unrolled: 1-line block ×5, first 2 shown]
	s_waitcnt vmcnt(0) lgkmcnt(0)
	v_add3_u32 v16, v27, v25, v28
	v_and_b32_e32 v39, 0xff, v33
	v_and_b32_e32 v15, 0xff, v32
	v_add3_u32 v16, v16, v30, v38
	v_add3_u32 v41, v16, v39, v15
	v_mbcnt_lo_u32_b32 v15, -1, 0
	v_mbcnt_hi_u32_b32 v29, -1, v15
	v_and_b32_e32 v15, 15, v29
	v_cmp_eq_u32_e64 s[14:15], 0, v15
	v_cmp_lt_u32_e64 s[12:13], 1, v15
	v_cmp_lt_u32_e64 s[10:11], 3, v15
	v_cmp_lt_u32_e64 s[8:9], 7, v15
	v_and_b32_e32 v15, 16, v29
	v_cmp_eq_u32_e64 s[18:19], 0, v15
	v_or_b32_e32 v15, 63, v0
	v_cmp_lt_u32_e64 s[0:1], 31, v29
	v_lshrrev_b32_e32 v40, 6, v0
	v_cmp_eq_u32_e64 s[2:3], v0, v15
	s_and_b64 vcc, exec, s[20:21]
	s_barrier
	s_cbranch_vccz .LBB51_91
; %bb.70:
	v_mov_b32_dpp v15, v41 row_shr:1 row_mask:0xf bank_mask:0xf
	v_cndmask_b32_e64 v15, v15, 0, s[14:15]
	v_add_u32_e32 v15, v15, v41
	s_nop 1
	v_mov_b32_dpp v16, v15 row_shr:2 row_mask:0xf bank_mask:0xf
	v_cndmask_b32_e64 v16, 0, v16, s[12:13]
	v_add_u32_e32 v15, v15, v16
	s_nop 1
	;; [unrolled: 4-line block ×4, first 2 shown]
	v_mov_b32_dpp v16, v15 row_bcast:15 row_mask:0xf bank_mask:0xf
	v_cndmask_b32_e64 v16, v16, 0, s[18:19]
	v_add_u32_e32 v15, v15, v16
	s_nop 1
	v_mov_b32_dpp v16, v15 row_bcast:31 row_mask:0xf bank_mask:0xf
	v_cndmask_b32_e64 v16, 0, v16, s[0:1]
	v_add_u32_e32 v15, v15, v16
	s_and_saveexec_b64 s[16:17], s[2:3]
; %bb.71:
	v_lshlrev_b32_e32 v16, 2, v40
	ds_write_b32 v16, v15
; %bb.72:
	s_or_b64 exec, exec, s[16:17]
	v_cmp_gt_u32_e32 vcc, 4, v0
	s_waitcnt lgkmcnt(0)
	s_barrier
	s_and_saveexec_b64 s[16:17], vcc
	s_cbranch_execz .LBB51_74
; %bb.73:
	v_lshlrev_b32_e32 v16, 2, v0
	ds_read_b32 v17, v16
	v_and_b32_e32 v18, 3, v29
	v_cmp_ne_u32_e32 vcc, 0, v18
	s_waitcnt lgkmcnt(0)
	v_mov_b32_dpp v19, v17 row_shr:1 row_mask:0xf bank_mask:0xf
	v_cndmask_b32_e32 v19, 0, v19, vcc
	v_add_u32_e32 v17, v19, v17
	v_cmp_lt_u32_e32 vcc, 1, v18
	s_nop 0
	v_mov_b32_dpp v19, v17 row_shr:2 row_mask:0xf bank_mask:0xf
	v_cndmask_b32_e32 v18, 0, v19, vcc
	v_add_u32_e32 v17, v17, v18
	ds_write_b32 v16, v17
.LBB51_74:
	s_or_b64 exec, exec, s[16:17]
	v_cmp_gt_u32_e32 vcc, 64, v0
	v_cmp_lt_u32_e64 s[16:17], 63, v0
	s_waitcnt lgkmcnt(0)
	s_barrier
                                        ; implicit-def: $vgpr42
	s_and_saveexec_b64 s[20:21], s[16:17]
	s_cbranch_execz .LBB51_76
; %bb.75:
	v_lshl_add_u32 v16, v40, 2, -4
	ds_read_b32 v42, v16
	s_waitcnt lgkmcnt(0)
	v_add_u32_e32 v15, v42, v15
.LBB51_76:
	s_or_b64 exec, exec, s[20:21]
	v_subrev_co_u32_e64 v16, s[16:17], 1, v29
	v_and_b32_e32 v17, 64, v29
	v_cmp_lt_i32_e64 s[20:21], v16, v17
	v_cndmask_b32_e64 v16, v16, v29, s[20:21]
	v_lshlrev_b32_e32 v16, 2, v16
	ds_bpermute_b32 v43, v16, v15
	s_and_saveexec_b64 s[20:21], vcc
	s_cbranch_execz .LBB51_96
; %bb.77:
	v_mov_b32_e32 v21, 0
	ds_read_b32 v15, v21 offset:12
	s_and_saveexec_b64 s[34:35], s[16:17]
	s_cbranch_execz .LBB51_79
; %bb.78:
	s_add_i32 s36, s6, 64
	s_mov_b32 s37, 0
	s_lshl_b64 s[36:37], s[36:37], 3
	s_add_u32 s36, s30, s36
	v_mov_b32_e32 v16, 1
	s_addc_u32 s37, s31, s37
	s_waitcnt lgkmcnt(0)
	global_store_dwordx2 v21, v[15:16], s[36:37]
.LBB51_79:
	s_or_b64 exec, exec, s[34:35]
	v_xad_u32 v17, v29, -1, s6
	v_add_u32_e32 v20, 64, v17
	v_lshlrev_b64 v[18:19], 3, v[20:21]
	v_mov_b32_e32 v16, s31
	v_add_co_u32_e32 v22, vcc, s30, v18
	v_addc_co_u32_e32 v23, vcc, v16, v19, vcc
	global_load_dwordx2 v[19:20], v[22:23], off glc
	s_waitcnt vmcnt(0)
	v_cmp_eq_u16_sdwa s[36:37], v20, v21 src0_sel:BYTE_0 src1_sel:DWORD
	s_and_saveexec_b64 s[34:35], s[36:37]
	s_cbranch_execz .LBB51_83
; %bb.80:
	s_mov_b64 s[36:37], 0
	v_mov_b32_e32 v16, 0
.LBB51_81:                              ; =>This Inner Loop Header: Depth=1
	global_load_dwordx2 v[19:20], v[22:23], off glc
	s_waitcnt vmcnt(0)
	v_cmp_ne_u16_sdwa s[38:39], v20, v16 src0_sel:BYTE_0 src1_sel:DWORD
	s_or_b64 s[36:37], s[38:39], s[36:37]
	s_andn2_b64 exec, exec, s[36:37]
	s_cbranch_execnz .LBB51_81
; %bb.82:
	s_or_b64 exec, exec, s[36:37]
.LBB51_83:
	s_or_b64 exec, exec, s[34:35]
	v_and_b32_e32 v45, 63, v29
	v_mov_b32_e32 v44, 2
	v_lshlrev_b64 v[21:22], v29, -1
	v_cmp_ne_u32_e32 vcc, 63, v45
	v_cmp_eq_u16_sdwa s[34:35], v20, v44 src0_sel:BYTE_0 src1_sel:DWORD
	v_addc_co_u32_e32 v23, vcc, 0, v29, vcc
	v_and_b32_e32 v16, s35, v22
	v_lshlrev_b32_e32 v46, 2, v23
	v_or_b32_e32 v16, 0x80000000, v16
	ds_bpermute_b32 v23, v46, v19
	v_and_b32_e32 v18, s34, v21
	v_ffbl_b32_e32 v16, v16
	v_add_u32_e32 v16, 32, v16
	v_ffbl_b32_e32 v18, v18
	v_min_u32_e32 v16, v18, v16
	v_cmp_lt_u32_e32 vcc, v45, v16
	s_waitcnt lgkmcnt(0)
	v_cndmask_b32_e32 v18, 0, v23, vcc
	v_cmp_gt_u32_e32 vcc, 62, v45
	v_add_u32_e32 v18, v18, v19
	v_cndmask_b32_e64 v19, 0, 2, vcc
	v_add_lshl_u32 v47, v19, v29, 2
	ds_bpermute_b32 v19, v47, v18
	v_add_u32_e32 v48, 2, v45
	v_cmp_le_u32_e32 vcc, v48, v16
	v_add_u32_e32 v50, 4, v45
	v_add_u32_e32 v52, 8, v45
	s_waitcnt lgkmcnt(0)
	v_cndmask_b32_e32 v19, 0, v19, vcc
	v_cmp_gt_u32_e32 vcc, 60, v45
	v_add_u32_e32 v18, v18, v19
	v_cndmask_b32_e64 v19, 0, 4, vcc
	v_add_lshl_u32 v49, v19, v29, 2
	ds_bpermute_b32 v19, v49, v18
	v_cmp_le_u32_e32 vcc, v50, v16
	v_add_u32_e32 v54, 16, v45
	v_add_u32_e32 v56, 32, v45
	s_waitcnt lgkmcnt(0)
	v_cndmask_b32_e32 v19, 0, v19, vcc
	v_cmp_gt_u32_e32 vcc, 56, v45
	v_add_u32_e32 v18, v18, v19
	v_cndmask_b32_e64 v19, 0, 8, vcc
	v_add_lshl_u32 v51, v19, v29, 2
	ds_bpermute_b32 v19, v51, v18
	v_cmp_le_u32_e32 vcc, v52, v16
	s_waitcnt lgkmcnt(0)
	v_cndmask_b32_e32 v19, 0, v19, vcc
	v_cmp_gt_u32_e32 vcc, 48, v45
	v_add_u32_e32 v18, v18, v19
	v_cndmask_b32_e64 v19, 0, 16, vcc
	v_add_lshl_u32 v53, v19, v29, 2
	ds_bpermute_b32 v19, v53, v18
	v_cmp_le_u32_e32 vcc, v54, v16
	s_waitcnt lgkmcnt(0)
	v_cndmask_b32_e32 v19, 0, v19, vcc
	v_add_u32_e32 v18, v18, v19
	v_mov_b32_e32 v19, 0x80
	v_lshl_or_b32 v55, v29, 2, v19
	ds_bpermute_b32 v19, v55, v18
	v_cmp_le_u32_e32 vcc, v56, v16
	s_waitcnt lgkmcnt(0)
	v_cndmask_b32_e32 v16, 0, v19, vcc
	v_add_u32_e32 v19, v18, v16
	v_mov_b32_e32 v18, 0
	s_branch .LBB51_86
.LBB51_84:                              ;   in Loop: Header=BB51_86 Depth=1
	s_or_b64 exec, exec, s[34:35]
	v_cmp_eq_u16_sdwa s[34:35], v20, v44 src0_sel:BYTE_0 src1_sel:DWORD
	v_and_b32_e32 v23, s35, v22
	v_or_b32_e32 v23, 0x80000000, v23
	ds_bpermute_b32 v57, v46, v19
	v_and_b32_e32 v24, s34, v21
	v_ffbl_b32_e32 v23, v23
	v_add_u32_e32 v23, 32, v23
	v_ffbl_b32_e32 v24, v24
	v_min_u32_e32 v23, v24, v23
	v_cmp_lt_u32_e32 vcc, v45, v23
	s_waitcnt lgkmcnt(0)
	v_cndmask_b32_e32 v24, 0, v57, vcc
	v_add_u32_e32 v19, v24, v19
	ds_bpermute_b32 v24, v47, v19
	v_cmp_le_u32_e32 vcc, v48, v23
	v_subrev_u32_e32 v17, 64, v17
	s_mov_b64 s[34:35], 0
	s_waitcnt lgkmcnt(0)
	v_cndmask_b32_e32 v24, 0, v24, vcc
	v_add_u32_e32 v19, v19, v24
	ds_bpermute_b32 v24, v49, v19
	v_cmp_le_u32_e32 vcc, v50, v23
	s_waitcnt lgkmcnt(0)
	v_cndmask_b32_e32 v24, 0, v24, vcc
	v_add_u32_e32 v19, v19, v24
	ds_bpermute_b32 v24, v51, v19
	v_cmp_le_u32_e32 vcc, v52, v23
	;; [unrolled: 5-line block ×4, first 2 shown]
	s_waitcnt lgkmcnt(0)
	v_cndmask_b32_e32 v23, 0, v24, vcc
	v_add3_u32 v19, v23, v16, v19
.LBB51_85:                              ;   in Loop: Header=BB51_86 Depth=1
	s_and_b64 vcc, exec, s[34:35]
	s_cbranch_vccnz .LBB51_92
.LBB51_86:                              ; =>This Loop Header: Depth=1
                                        ;     Child Loop BB51_89 Depth 2
	v_cmp_ne_u16_sdwa s[34:35], v20, v44 src0_sel:BYTE_0 src1_sel:DWORD
	v_mov_b32_e32 v16, v19
	s_cmp_lg_u64 s[34:35], exec
	s_mov_b64 s[34:35], -1
                                        ; implicit-def: $vgpr19
                                        ; implicit-def: $vgpr20
	s_cbranch_scc1 .LBB51_85
; %bb.87:                               ;   in Loop: Header=BB51_86 Depth=1
	v_lshlrev_b64 v[19:20], 3, v[17:18]
	v_mov_b32_e32 v24, s31
	v_add_co_u32_e32 v23, vcc, s30, v19
	v_addc_co_u32_e32 v24, vcc, v24, v20, vcc
	global_load_dwordx2 v[19:20], v[23:24], off glc
	s_waitcnt vmcnt(0)
	v_cmp_eq_u16_sdwa s[36:37], v20, v18 src0_sel:BYTE_0 src1_sel:DWORD
	s_and_saveexec_b64 s[34:35], s[36:37]
	s_cbranch_execz .LBB51_84
; %bb.88:                               ;   in Loop: Header=BB51_86 Depth=1
	s_mov_b64 s[36:37], 0
.LBB51_89:                              ;   Parent Loop BB51_86 Depth=1
                                        ; =>  This Inner Loop Header: Depth=2
	global_load_dwordx2 v[19:20], v[23:24], off glc
	s_waitcnt vmcnt(0)
	v_cmp_ne_u16_sdwa s[38:39], v20, v18 src0_sel:BYTE_0 src1_sel:DWORD
	s_or_b64 s[36:37], s[38:39], s[36:37]
	s_andn2_b64 exec, exec, s[36:37]
	s_cbranch_execnz .LBB51_89
; %bb.90:                               ;   in Loop: Header=BB51_86 Depth=1
	s_or_b64 exec, exec, s[36:37]
	s_branch .LBB51_84
.LBB51_91:
                                        ; implicit-def: $vgpr16
                                        ; implicit-def: $vgpr15
                                        ; implicit-def: $vgpr23
	s_load_dwordx2 s[4:5], s[4:5], 0x28
	s_cbranch_execnz .LBB51_97
	s_branch .LBB51_106
.LBB51_92:
	s_and_saveexec_b64 s[34:35], s[16:17]
	s_cbranch_execz .LBB51_94
; %bb.93:
	s_add_i32 s6, s6, 64
	s_mov_b32 s7, 0
	s_lshl_b64 s[6:7], s[6:7], 3
	s_add_u32 s6, s30, s6
	v_add_u32_e32 v17, v16, v15
	v_mov_b32_e32 v18, 2
	s_addc_u32 s7, s31, s7
	v_mov_b32_e32 v19, 0
	global_store_dwordx2 v19, v[17:18], s[6:7]
	ds_write_b64 v19, v[15:16] offset:14336
.LBB51_94:
	s_or_b64 exec, exec, s[34:35]
	v_cmp_eq_u32_e32 vcc, 0, v0
	s_and_b64 exec, exec, vcc
; %bb.95:
	v_mov_b32_e32 v15, 0
	ds_write_b32 v15, v16 offset:12
.LBB51_96:
	s_or_b64 exec, exec, s[20:21]
	v_mov_b32_e32 v15, 0
	s_waitcnt vmcnt(0) lgkmcnt(0)
	s_barrier
	ds_read_b32 v18, v15 offset:12
	s_waitcnt lgkmcnt(0)
	s_barrier
	ds_read_b64 v[15:16], v15 offset:14336
	v_cndmask_b32_e64 v17, v43, v42, s[16:17]
	v_cmp_ne_u32_e32 vcc, 0, v0
	v_cndmask_b32_e32 v17, 0, v17, vcc
	v_add_u32_e32 v23, v18, v17
	s_load_dwordx2 s[4:5], s[4:5], 0x28
	s_branch .LBB51_106
.LBB51_97:
	s_waitcnt lgkmcnt(0)
	v_mov_b32_dpp v15, v41 row_shr:1 row_mask:0xf bank_mask:0xf
	v_cndmask_b32_e64 v15, v15, 0, s[14:15]
	v_add_u32_e32 v15, v15, v41
	s_nop 1
	v_mov_b32_dpp v16, v15 row_shr:2 row_mask:0xf bank_mask:0xf
	v_cndmask_b32_e64 v16, 0, v16, s[12:13]
	v_add_u32_e32 v15, v15, v16
	s_nop 1
	;; [unrolled: 4-line block ×4, first 2 shown]
	v_mov_b32_dpp v16, v15 row_bcast:15 row_mask:0xf bank_mask:0xf
	v_cndmask_b32_e64 v16, v16, 0, s[18:19]
	v_add_u32_e32 v15, v15, v16
	s_nop 1
	v_mov_b32_dpp v16, v15 row_bcast:31 row_mask:0xf bank_mask:0xf
	v_cndmask_b32_e64 v16, 0, v16, s[0:1]
	v_add_u32_e32 v15, v15, v16
	s_and_saveexec_b64 s[0:1], s[2:3]
; %bb.98:
	v_lshlrev_b32_e32 v16, 2, v40
	ds_write_b32 v16, v15
; %bb.99:
	s_or_b64 exec, exec, s[0:1]
	v_cmp_gt_u32_e32 vcc, 4, v0
	s_waitcnt lgkmcnt(0)
	s_barrier
	s_and_saveexec_b64 s[0:1], vcc
	s_cbranch_execz .LBB51_101
; %bb.100:
	v_lshlrev_b32_e32 v16, 2, v0
	ds_read_b32 v17, v16
	v_and_b32_e32 v18, 3, v29
	v_cmp_ne_u32_e32 vcc, 0, v18
	s_waitcnt lgkmcnt(0)
	v_mov_b32_dpp v19, v17 row_shr:1 row_mask:0xf bank_mask:0xf
	v_cndmask_b32_e32 v19, 0, v19, vcc
	v_add_u32_e32 v17, v19, v17
	v_cmp_lt_u32_e32 vcc, 1, v18
	s_nop 0
	v_mov_b32_dpp v19, v17 row_shr:2 row_mask:0xf bank_mask:0xf
	v_cndmask_b32_e32 v18, 0, v19, vcc
	v_add_u32_e32 v17, v17, v18
	ds_write_b32 v16, v17
.LBB51_101:
	s_or_b64 exec, exec, s[0:1]
	v_cmp_lt_u32_e32 vcc, 63, v0
	v_mov_b32_e32 v16, 0
	v_mov_b32_e32 v17, 0
	s_waitcnt lgkmcnt(0)
	s_barrier
	s_and_saveexec_b64 s[0:1], vcc
; %bb.102:
	v_lshl_add_u32 v17, v40, 2, -4
	ds_read_b32 v17, v17
; %bb.103:
	s_or_b64 exec, exec, s[0:1]
	v_subrev_co_u32_e32 v18, vcc, 1, v29
	v_and_b32_e32 v19, 64, v29
	v_cmp_lt_i32_e64 s[0:1], v18, v19
	v_cndmask_b32_e64 v18, v18, v29, s[0:1]
	s_waitcnt lgkmcnt(0)
	v_add_u32_e32 v15, v17, v15
	v_lshlrev_b32_e32 v18, 2, v18
	ds_bpermute_b32 v18, v18, v15
	ds_read_b32 v15, v16 offset:12
	v_cmp_eq_u32_e64 s[0:1], 0, v0
	s_and_saveexec_b64 s[2:3], s[0:1]
	s_cbranch_execz .LBB51_105
; %bb.104:
	v_mov_b32_e32 v19, 0
	v_mov_b32_e32 v16, 2
	s_waitcnt lgkmcnt(0)
	global_store_dwordx2 v19, v[15:16], s[30:31] offset:512
.LBB51_105:
	s_or_b64 exec, exec, s[2:3]
	s_waitcnt lgkmcnt(1)
	v_cndmask_b32_e32 v16, v18, v17, vcc
	v_cndmask_b32_e64 v23, v16, 0, s[0:1]
	s_waitcnt vmcnt(0) lgkmcnt(0)
	s_barrier
	v_mov_b32_e32 v16, 0
.LBB51_106:
	v_add_u32_e32 v29, v23, v25
	v_add_u32_e32 v27, v29, v27
	;; [unrolled: 1-line block ×4, first 2 shown]
	s_movk_i32 s2, 0x101
	v_add_u32_e32 v19, v21, v38
	s_waitcnt lgkmcnt(0)
	v_cmp_gt_u32_e32 vcc, s2, v15
	v_add_u32_e32 v17, v19, v39
	s_mov_b64 s[0:1], -1
	v_and_b32_e32 v38, 1, v26
	s_cbranch_vccnz .LBB51_110
; %bb.107:
	s_and_b64 vcc, exec, s[0:1]
	s_cbranch_vccnz .LBB51_125
.LBB51_108:
	v_cmp_eq_u32_e32 vcc, 0, v0
	s_and_b64 s[0:1], vcc, s[26:27]
	s_and_saveexec_b64 s[2:3], s[0:1]
	s_cbranch_execnz .LBB51_142
.LBB51_109:
	s_endpgm
.LBB51_110:
	v_add_u32_e32 v18, v16, v15
	s_lshl_b64 s[0:1], s[22:23], 3
	s_add_u32 s2, s4, s0
	v_cmp_lt_u32_e32 vcc, v23, v18
	s_addc_u32 s3, s5, s1
	s_or_b64 s[0:1], s[28:29], vcc
	v_cmp_eq_u32_e32 vcc, 1, v38
	s_and_b64 s[6:7], s[0:1], vcc
	s_and_saveexec_b64 s[0:1], s[6:7]
	s_cbranch_execz .LBB51_112
; %bb.111:
	v_mov_b32_e32 v24, 0
	v_lshlrev_b64 v[39:40], 3, v[23:24]
	v_mov_b32_e32 v20, s3
	v_add_co_u32_e32 v39, vcc, s2, v39
	v_addc_co_u32_e32 v40, vcc, v20, v40, vcc
	global_store_dwordx2 v[39:40], v[9:10], off
.LBB51_112:
	s_or_b64 exec, exec, s[0:1]
	v_cmp_lt_u32_e32 vcc, v29, v18
	v_and_b32_e32 v20, 1, v37
	s_or_b64 s[0:1], s[28:29], vcc
	v_cmp_eq_u32_e32 vcc, 1, v20
	s_and_b64 s[6:7], s[0:1], vcc
	s_and_saveexec_b64 s[0:1], s[6:7]
	s_cbranch_execz .LBB51_114
; %bb.113:
	v_mov_b32_e32 v30, 0
	v_lshlrev_b64 v[39:40], 3, v[29:30]
	v_mov_b32_e32 v20, s3
	v_add_co_u32_e32 v39, vcc, s2, v39
	v_addc_co_u32_e32 v40, vcc, v20, v40, vcc
	global_store_dwordx2 v[39:40], v[11:12], off
.LBB51_114:
	s_or_b64 exec, exec, s[0:1]
	v_cmp_lt_u32_e32 vcc, v27, v18
	v_and_b32_e32 v20, 1, v36
	;; [unrolled: 16-line block ×6, first 2 shown]
	s_or_b64 s[0:1], s[28:29], vcc
	v_cmp_eq_u32_e32 vcc, 1, v18
	s_and_b64 s[6:7], s[0:1], vcc
	s_and_saveexec_b64 s[0:1], s[6:7]
	s_cbranch_execz .LBB51_124
; %bb.123:
	v_mov_b32_e32 v18, 0
	v_lshlrev_b64 v[39:40], 3, v[17:18]
	v_mov_b32_e32 v18, s3
	v_add_co_u32_e32 v39, vcc, s2, v39
	v_addc_co_u32_e32 v40, vcc, v18, v40, vcc
	global_store_dwordx2 v[39:40], v[13:14], off
.LBB51_124:
	s_or_b64 exec, exec, s[0:1]
	s_branch .LBB51_108
.LBB51_125:
	v_cmp_eq_u32_e32 vcc, 1, v38
	s_and_saveexec_b64 s[0:1], vcc
; %bb.126:
	v_sub_u32_e32 v18, v23, v16
	v_lshlrev_b32_e32 v18, 3, v18
	ds_write_b64 v18, v[9:10]
; %bb.127:
	s_or_b64 exec, exec, s[0:1]
	v_and_b32_e32 v9, 1, v37
	v_cmp_eq_u32_e32 vcc, 1, v9
	s_and_saveexec_b64 s[0:1], vcc
; %bb.128:
	v_sub_u32_e32 v9, v29, v16
	v_lshlrev_b32_e32 v9, 3, v9
	ds_write_b64 v9, v[11:12]
; %bb.129:
	s_or_b64 exec, exec, s[0:1]
	v_and_b32_e32 v9, 1, v36
	;; [unrolled: 9-line block ×6, first 2 shown]
	v_cmp_eq_u32_e32 vcc, 1, v1
	s_and_saveexec_b64 s[0:1], vcc
; %bb.138:
	v_sub_u32_e32 v1, v17, v16
	v_lshlrev_b32_e32 v1, 3, v1
	ds_write_b64 v1, v[13:14]
; %bb.139:
	s_or_b64 exec, exec, s[0:1]
	v_mov_b32_e32 v2, 0
	v_mov_b32_e32 v17, v2
	s_lshl_b64 s[0:1], s[22:23], 3
	s_add_u32 s0, s4, s0
	v_lshlrev_b64 v[3:4], 3, v[16:17]
	s_addc_u32 s1, s5, s1
	v_mov_b32_e32 v1, s1
	v_add_co_u32_e32 v3, vcc, s0, v3
	v_addc_co_u32_e32 v4, vcc, v1, v4, vcc
	s_mov_b64 s[2:3], 0
	v_mov_b32_e32 v1, v0
	s_waitcnt vmcnt(0) lgkmcnt(0)
	s_barrier
.LBB51_140:                             ; =>This Inner Loop Header: Depth=1
	ds_read_b64 v[7:8], v31
	v_lshlrev_b64 v[5:6], 3, v[1:2]
	v_add_u32_e32 v1, 0x100, v1
	v_cmp_ge_u32_e32 vcc, v1, v15
	v_add_co_u32_e64 v5, s[0:1], v3, v5
	v_add_u32_e32 v31, 0x800, v31
	v_addc_co_u32_e64 v6, s[0:1], v4, v6, s[0:1]
	s_or_b64 s[2:3], vcc, s[2:3]
	s_waitcnt lgkmcnt(0)
	global_store_dwordx2 v[5:6], v[7:8], off
	s_andn2_b64 exec, exec, s[2:3]
	s_cbranch_execnz .LBB51_140
; %bb.141:
	s_or_b64 exec, exec, s[2:3]
	v_cmp_eq_u32_e32 vcc, 0, v0
	s_and_b64 s[0:1], vcc, s[26:27]
	s_and_saveexec_b64 s[2:3], s[0:1]
	s_cbranch_execz .LBB51_109
.LBB51_142:
	v_mov_b32_e32 v0, s23
	v_add_co_u32_e32 v1, vcc, s22, v15
	v_addc_co_u32_e32 v3, vcc, 0, v0, vcc
	v_add_co_u32_e32 v0, vcc, v1, v16
	v_mov_b32_e32 v2, 0
	v_addc_co_u32_e32 v1, vcc, 0, v3, vcc
	global_store_dwordx2 v2, v[0:1], s[24:25]
	s_endpgm
	.section	.rodata,"a",@progbits
	.p2align	6, 0x0
	.amdhsa_kernel _ZN7rocprim17ROCPRIM_400000_NS6detail17trampoline_kernelINS0_14default_configENS1_25partition_config_selectorILNS1_17partition_subalgoE8EdNS0_10empty_typeEbEEZZNS1_14partition_implILS5_8ELb0ES3_jN6thrust23THRUST_200600_302600_NS6detail15normal_iteratorINSA_10device_ptrIdEEEEPS6_PKS6_NS0_5tupleIJSF_S6_EEENSJ_IJSG_SG_EEENS0_18inequality_wrapperI22is_equal_div_10_uniqueIdEEEPmJS6_EEE10hipError_tPvRmT3_T4_T5_T6_T7_T9_mT8_P12ihipStream_tbDpT10_ENKUlT_T0_E_clISt17integral_constantIbLb0EES1A_EEDaS15_S16_EUlS15_E_NS1_11comp_targetILNS1_3genE2ELNS1_11target_archE906ELNS1_3gpuE6ELNS1_3repE0EEENS1_30default_config_static_selectorELNS0_4arch9wavefront6targetE1EEEvT1_
		.amdhsa_group_segment_fixed_size 14344
		.amdhsa_private_segment_fixed_size 0
		.amdhsa_kernarg_size 112
		.amdhsa_user_sgpr_count 6
		.amdhsa_user_sgpr_private_segment_buffer 1
		.amdhsa_user_sgpr_dispatch_ptr 0
		.amdhsa_user_sgpr_queue_ptr 0
		.amdhsa_user_sgpr_kernarg_segment_ptr 1
		.amdhsa_user_sgpr_dispatch_id 0
		.amdhsa_user_sgpr_flat_scratch_init 0
		.amdhsa_user_sgpr_private_segment_size 0
		.amdhsa_uses_dynamic_stack 0
		.amdhsa_system_sgpr_private_segment_wavefront_offset 0
		.amdhsa_system_sgpr_workgroup_id_x 1
		.amdhsa_system_sgpr_workgroup_id_y 0
		.amdhsa_system_sgpr_workgroup_id_z 0
		.amdhsa_system_sgpr_workgroup_info 0
		.amdhsa_system_vgpr_workitem_id 0
		.amdhsa_next_free_vgpr 58
		.amdhsa_next_free_sgpr 98
		.amdhsa_reserve_vcc 1
		.amdhsa_reserve_flat_scratch 0
		.amdhsa_float_round_mode_32 0
		.amdhsa_float_round_mode_16_64 0
		.amdhsa_float_denorm_mode_32 3
		.amdhsa_float_denorm_mode_16_64 3
		.amdhsa_dx10_clamp 1
		.amdhsa_ieee_mode 1
		.amdhsa_fp16_overflow 0
		.amdhsa_exception_fp_ieee_invalid_op 0
		.amdhsa_exception_fp_denorm_src 0
		.amdhsa_exception_fp_ieee_div_zero 0
		.amdhsa_exception_fp_ieee_overflow 0
		.amdhsa_exception_fp_ieee_underflow 0
		.amdhsa_exception_fp_ieee_inexact 0
		.amdhsa_exception_int_div_zero 0
	.end_amdhsa_kernel
	.section	.text._ZN7rocprim17ROCPRIM_400000_NS6detail17trampoline_kernelINS0_14default_configENS1_25partition_config_selectorILNS1_17partition_subalgoE8EdNS0_10empty_typeEbEEZZNS1_14partition_implILS5_8ELb0ES3_jN6thrust23THRUST_200600_302600_NS6detail15normal_iteratorINSA_10device_ptrIdEEEEPS6_PKS6_NS0_5tupleIJSF_S6_EEENSJ_IJSG_SG_EEENS0_18inequality_wrapperI22is_equal_div_10_uniqueIdEEEPmJS6_EEE10hipError_tPvRmT3_T4_T5_T6_T7_T9_mT8_P12ihipStream_tbDpT10_ENKUlT_T0_E_clISt17integral_constantIbLb0EES1A_EEDaS15_S16_EUlS15_E_NS1_11comp_targetILNS1_3genE2ELNS1_11target_archE906ELNS1_3gpuE6ELNS1_3repE0EEENS1_30default_config_static_selectorELNS0_4arch9wavefront6targetE1EEEvT1_,"axG",@progbits,_ZN7rocprim17ROCPRIM_400000_NS6detail17trampoline_kernelINS0_14default_configENS1_25partition_config_selectorILNS1_17partition_subalgoE8EdNS0_10empty_typeEbEEZZNS1_14partition_implILS5_8ELb0ES3_jN6thrust23THRUST_200600_302600_NS6detail15normal_iteratorINSA_10device_ptrIdEEEEPS6_PKS6_NS0_5tupleIJSF_S6_EEENSJ_IJSG_SG_EEENS0_18inequality_wrapperI22is_equal_div_10_uniqueIdEEEPmJS6_EEE10hipError_tPvRmT3_T4_T5_T6_T7_T9_mT8_P12ihipStream_tbDpT10_ENKUlT_T0_E_clISt17integral_constantIbLb0EES1A_EEDaS15_S16_EUlS15_E_NS1_11comp_targetILNS1_3genE2ELNS1_11target_archE906ELNS1_3gpuE6ELNS1_3repE0EEENS1_30default_config_static_selectorELNS0_4arch9wavefront6targetE1EEEvT1_,comdat
.Lfunc_end51:
	.size	_ZN7rocprim17ROCPRIM_400000_NS6detail17trampoline_kernelINS0_14default_configENS1_25partition_config_selectorILNS1_17partition_subalgoE8EdNS0_10empty_typeEbEEZZNS1_14partition_implILS5_8ELb0ES3_jN6thrust23THRUST_200600_302600_NS6detail15normal_iteratorINSA_10device_ptrIdEEEEPS6_PKS6_NS0_5tupleIJSF_S6_EEENSJ_IJSG_SG_EEENS0_18inequality_wrapperI22is_equal_div_10_uniqueIdEEEPmJS6_EEE10hipError_tPvRmT3_T4_T5_T6_T7_T9_mT8_P12ihipStream_tbDpT10_ENKUlT_T0_E_clISt17integral_constantIbLb0EES1A_EEDaS15_S16_EUlS15_E_NS1_11comp_targetILNS1_3genE2ELNS1_11target_archE906ELNS1_3gpuE6ELNS1_3repE0EEENS1_30default_config_static_selectorELNS0_4arch9wavefront6targetE1EEEvT1_, .Lfunc_end51-_ZN7rocprim17ROCPRIM_400000_NS6detail17trampoline_kernelINS0_14default_configENS1_25partition_config_selectorILNS1_17partition_subalgoE8EdNS0_10empty_typeEbEEZZNS1_14partition_implILS5_8ELb0ES3_jN6thrust23THRUST_200600_302600_NS6detail15normal_iteratorINSA_10device_ptrIdEEEEPS6_PKS6_NS0_5tupleIJSF_S6_EEENSJ_IJSG_SG_EEENS0_18inequality_wrapperI22is_equal_div_10_uniqueIdEEEPmJS6_EEE10hipError_tPvRmT3_T4_T5_T6_T7_T9_mT8_P12ihipStream_tbDpT10_ENKUlT_T0_E_clISt17integral_constantIbLb0EES1A_EEDaS15_S16_EUlS15_E_NS1_11comp_targetILNS1_3genE2ELNS1_11target_archE906ELNS1_3gpuE6ELNS1_3repE0EEENS1_30default_config_static_selectorELNS0_4arch9wavefront6targetE1EEEvT1_
                                        ; -- End function
	.set _ZN7rocprim17ROCPRIM_400000_NS6detail17trampoline_kernelINS0_14default_configENS1_25partition_config_selectorILNS1_17partition_subalgoE8EdNS0_10empty_typeEbEEZZNS1_14partition_implILS5_8ELb0ES3_jN6thrust23THRUST_200600_302600_NS6detail15normal_iteratorINSA_10device_ptrIdEEEEPS6_PKS6_NS0_5tupleIJSF_S6_EEENSJ_IJSG_SG_EEENS0_18inequality_wrapperI22is_equal_div_10_uniqueIdEEEPmJS6_EEE10hipError_tPvRmT3_T4_T5_T6_T7_T9_mT8_P12ihipStream_tbDpT10_ENKUlT_T0_E_clISt17integral_constantIbLb0EES1A_EEDaS15_S16_EUlS15_E_NS1_11comp_targetILNS1_3genE2ELNS1_11target_archE906ELNS1_3gpuE6ELNS1_3repE0EEENS1_30default_config_static_selectorELNS0_4arch9wavefront6targetE1EEEvT1_.num_vgpr, 58
	.set _ZN7rocprim17ROCPRIM_400000_NS6detail17trampoline_kernelINS0_14default_configENS1_25partition_config_selectorILNS1_17partition_subalgoE8EdNS0_10empty_typeEbEEZZNS1_14partition_implILS5_8ELb0ES3_jN6thrust23THRUST_200600_302600_NS6detail15normal_iteratorINSA_10device_ptrIdEEEEPS6_PKS6_NS0_5tupleIJSF_S6_EEENSJ_IJSG_SG_EEENS0_18inequality_wrapperI22is_equal_div_10_uniqueIdEEEPmJS6_EEE10hipError_tPvRmT3_T4_T5_T6_T7_T9_mT8_P12ihipStream_tbDpT10_ENKUlT_T0_E_clISt17integral_constantIbLb0EES1A_EEDaS15_S16_EUlS15_E_NS1_11comp_targetILNS1_3genE2ELNS1_11target_archE906ELNS1_3gpuE6ELNS1_3repE0EEENS1_30default_config_static_selectorELNS0_4arch9wavefront6targetE1EEEvT1_.num_agpr, 0
	.set _ZN7rocprim17ROCPRIM_400000_NS6detail17trampoline_kernelINS0_14default_configENS1_25partition_config_selectorILNS1_17partition_subalgoE8EdNS0_10empty_typeEbEEZZNS1_14partition_implILS5_8ELb0ES3_jN6thrust23THRUST_200600_302600_NS6detail15normal_iteratorINSA_10device_ptrIdEEEEPS6_PKS6_NS0_5tupleIJSF_S6_EEENSJ_IJSG_SG_EEENS0_18inequality_wrapperI22is_equal_div_10_uniqueIdEEEPmJS6_EEE10hipError_tPvRmT3_T4_T5_T6_T7_T9_mT8_P12ihipStream_tbDpT10_ENKUlT_T0_E_clISt17integral_constantIbLb0EES1A_EEDaS15_S16_EUlS15_E_NS1_11comp_targetILNS1_3genE2ELNS1_11target_archE906ELNS1_3gpuE6ELNS1_3repE0EEENS1_30default_config_static_selectorELNS0_4arch9wavefront6targetE1EEEvT1_.numbered_sgpr, 40
	.set _ZN7rocprim17ROCPRIM_400000_NS6detail17trampoline_kernelINS0_14default_configENS1_25partition_config_selectorILNS1_17partition_subalgoE8EdNS0_10empty_typeEbEEZZNS1_14partition_implILS5_8ELb0ES3_jN6thrust23THRUST_200600_302600_NS6detail15normal_iteratorINSA_10device_ptrIdEEEEPS6_PKS6_NS0_5tupleIJSF_S6_EEENSJ_IJSG_SG_EEENS0_18inequality_wrapperI22is_equal_div_10_uniqueIdEEEPmJS6_EEE10hipError_tPvRmT3_T4_T5_T6_T7_T9_mT8_P12ihipStream_tbDpT10_ENKUlT_T0_E_clISt17integral_constantIbLb0EES1A_EEDaS15_S16_EUlS15_E_NS1_11comp_targetILNS1_3genE2ELNS1_11target_archE906ELNS1_3gpuE6ELNS1_3repE0EEENS1_30default_config_static_selectorELNS0_4arch9wavefront6targetE1EEEvT1_.num_named_barrier, 0
	.set _ZN7rocprim17ROCPRIM_400000_NS6detail17trampoline_kernelINS0_14default_configENS1_25partition_config_selectorILNS1_17partition_subalgoE8EdNS0_10empty_typeEbEEZZNS1_14partition_implILS5_8ELb0ES3_jN6thrust23THRUST_200600_302600_NS6detail15normal_iteratorINSA_10device_ptrIdEEEEPS6_PKS6_NS0_5tupleIJSF_S6_EEENSJ_IJSG_SG_EEENS0_18inequality_wrapperI22is_equal_div_10_uniqueIdEEEPmJS6_EEE10hipError_tPvRmT3_T4_T5_T6_T7_T9_mT8_P12ihipStream_tbDpT10_ENKUlT_T0_E_clISt17integral_constantIbLb0EES1A_EEDaS15_S16_EUlS15_E_NS1_11comp_targetILNS1_3genE2ELNS1_11target_archE906ELNS1_3gpuE6ELNS1_3repE0EEENS1_30default_config_static_selectorELNS0_4arch9wavefront6targetE1EEEvT1_.private_seg_size, 0
	.set _ZN7rocprim17ROCPRIM_400000_NS6detail17trampoline_kernelINS0_14default_configENS1_25partition_config_selectorILNS1_17partition_subalgoE8EdNS0_10empty_typeEbEEZZNS1_14partition_implILS5_8ELb0ES3_jN6thrust23THRUST_200600_302600_NS6detail15normal_iteratorINSA_10device_ptrIdEEEEPS6_PKS6_NS0_5tupleIJSF_S6_EEENSJ_IJSG_SG_EEENS0_18inequality_wrapperI22is_equal_div_10_uniqueIdEEEPmJS6_EEE10hipError_tPvRmT3_T4_T5_T6_T7_T9_mT8_P12ihipStream_tbDpT10_ENKUlT_T0_E_clISt17integral_constantIbLb0EES1A_EEDaS15_S16_EUlS15_E_NS1_11comp_targetILNS1_3genE2ELNS1_11target_archE906ELNS1_3gpuE6ELNS1_3repE0EEENS1_30default_config_static_selectorELNS0_4arch9wavefront6targetE1EEEvT1_.uses_vcc, 1
	.set _ZN7rocprim17ROCPRIM_400000_NS6detail17trampoline_kernelINS0_14default_configENS1_25partition_config_selectorILNS1_17partition_subalgoE8EdNS0_10empty_typeEbEEZZNS1_14partition_implILS5_8ELb0ES3_jN6thrust23THRUST_200600_302600_NS6detail15normal_iteratorINSA_10device_ptrIdEEEEPS6_PKS6_NS0_5tupleIJSF_S6_EEENSJ_IJSG_SG_EEENS0_18inequality_wrapperI22is_equal_div_10_uniqueIdEEEPmJS6_EEE10hipError_tPvRmT3_T4_T5_T6_T7_T9_mT8_P12ihipStream_tbDpT10_ENKUlT_T0_E_clISt17integral_constantIbLb0EES1A_EEDaS15_S16_EUlS15_E_NS1_11comp_targetILNS1_3genE2ELNS1_11target_archE906ELNS1_3gpuE6ELNS1_3repE0EEENS1_30default_config_static_selectorELNS0_4arch9wavefront6targetE1EEEvT1_.uses_flat_scratch, 0
	.set _ZN7rocprim17ROCPRIM_400000_NS6detail17trampoline_kernelINS0_14default_configENS1_25partition_config_selectorILNS1_17partition_subalgoE8EdNS0_10empty_typeEbEEZZNS1_14partition_implILS5_8ELb0ES3_jN6thrust23THRUST_200600_302600_NS6detail15normal_iteratorINSA_10device_ptrIdEEEEPS6_PKS6_NS0_5tupleIJSF_S6_EEENSJ_IJSG_SG_EEENS0_18inequality_wrapperI22is_equal_div_10_uniqueIdEEEPmJS6_EEE10hipError_tPvRmT3_T4_T5_T6_T7_T9_mT8_P12ihipStream_tbDpT10_ENKUlT_T0_E_clISt17integral_constantIbLb0EES1A_EEDaS15_S16_EUlS15_E_NS1_11comp_targetILNS1_3genE2ELNS1_11target_archE906ELNS1_3gpuE6ELNS1_3repE0EEENS1_30default_config_static_selectorELNS0_4arch9wavefront6targetE1EEEvT1_.has_dyn_sized_stack, 0
	.set _ZN7rocprim17ROCPRIM_400000_NS6detail17trampoline_kernelINS0_14default_configENS1_25partition_config_selectorILNS1_17partition_subalgoE8EdNS0_10empty_typeEbEEZZNS1_14partition_implILS5_8ELb0ES3_jN6thrust23THRUST_200600_302600_NS6detail15normal_iteratorINSA_10device_ptrIdEEEEPS6_PKS6_NS0_5tupleIJSF_S6_EEENSJ_IJSG_SG_EEENS0_18inequality_wrapperI22is_equal_div_10_uniqueIdEEEPmJS6_EEE10hipError_tPvRmT3_T4_T5_T6_T7_T9_mT8_P12ihipStream_tbDpT10_ENKUlT_T0_E_clISt17integral_constantIbLb0EES1A_EEDaS15_S16_EUlS15_E_NS1_11comp_targetILNS1_3genE2ELNS1_11target_archE906ELNS1_3gpuE6ELNS1_3repE0EEENS1_30default_config_static_selectorELNS0_4arch9wavefront6targetE1EEEvT1_.has_recursion, 0
	.set _ZN7rocprim17ROCPRIM_400000_NS6detail17trampoline_kernelINS0_14default_configENS1_25partition_config_selectorILNS1_17partition_subalgoE8EdNS0_10empty_typeEbEEZZNS1_14partition_implILS5_8ELb0ES3_jN6thrust23THRUST_200600_302600_NS6detail15normal_iteratorINSA_10device_ptrIdEEEEPS6_PKS6_NS0_5tupleIJSF_S6_EEENSJ_IJSG_SG_EEENS0_18inequality_wrapperI22is_equal_div_10_uniqueIdEEEPmJS6_EEE10hipError_tPvRmT3_T4_T5_T6_T7_T9_mT8_P12ihipStream_tbDpT10_ENKUlT_T0_E_clISt17integral_constantIbLb0EES1A_EEDaS15_S16_EUlS15_E_NS1_11comp_targetILNS1_3genE2ELNS1_11target_archE906ELNS1_3gpuE6ELNS1_3repE0EEENS1_30default_config_static_selectorELNS0_4arch9wavefront6targetE1EEEvT1_.has_indirect_call, 0
	.section	.AMDGPU.csdata,"",@progbits
; Kernel info:
; codeLenInByte = 6132
; TotalNumSgprs: 44
; NumVgprs: 58
; ScratchSize: 0
; MemoryBound: 0
; FloatMode: 240
; IeeeMode: 1
; LDSByteSize: 14344 bytes/workgroup (compile time only)
; SGPRBlocks: 12
; VGPRBlocks: 14
; NumSGPRsForWavesPerEU: 102
; NumVGPRsForWavesPerEU: 58
; Occupancy: 4
; WaveLimiterHint : 1
; COMPUTE_PGM_RSRC2:SCRATCH_EN: 0
; COMPUTE_PGM_RSRC2:USER_SGPR: 6
; COMPUTE_PGM_RSRC2:TRAP_HANDLER: 0
; COMPUTE_PGM_RSRC2:TGID_X_EN: 1
; COMPUTE_PGM_RSRC2:TGID_Y_EN: 0
; COMPUTE_PGM_RSRC2:TGID_Z_EN: 0
; COMPUTE_PGM_RSRC2:TIDIG_COMP_CNT: 0
	.section	.text._ZN7rocprim17ROCPRIM_400000_NS6detail17trampoline_kernelINS0_14default_configENS1_25partition_config_selectorILNS1_17partition_subalgoE8EdNS0_10empty_typeEbEEZZNS1_14partition_implILS5_8ELb0ES3_jN6thrust23THRUST_200600_302600_NS6detail15normal_iteratorINSA_10device_ptrIdEEEEPS6_PKS6_NS0_5tupleIJSF_S6_EEENSJ_IJSG_SG_EEENS0_18inequality_wrapperI22is_equal_div_10_uniqueIdEEEPmJS6_EEE10hipError_tPvRmT3_T4_T5_T6_T7_T9_mT8_P12ihipStream_tbDpT10_ENKUlT_T0_E_clISt17integral_constantIbLb0EES1A_EEDaS15_S16_EUlS15_E_NS1_11comp_targetILNS1_3genE10ELNS1_11target_archE1200ELNS1_3gpuE4ELNS1_3repE0EEENS1_30default_config_static_selectorELNS0_4arch9wavefront6targetE1EEEvT1_,"axG",@progbits,_ZN7rocprim17ROCPRIM_400000_NS6detail17trampoline_kernelINS0_14default_configENS1_25partition_config_selectorILNS1_17partition_subalgoE8EdNS0_10empty_typeEbEEZZNS1_14partition_implILS5_8ELb0ES3_jN6thrust23THRUST_200600_302600_NS6detail15normal_iteratorINSA_10device_ptrIdEEEEPS6_PKS6_NS0_5tupleIJSF_S6_EEENSJ_IJSG_SG_EEENS0_18inequality_wrapperI22is_equal_div_10_uniqueIdEEEPmJS6_EEE10hipError_tPvRmT3_T4_T5_T6_T7_T9_mT8_P12ihipStream_tbDpT10_ENKUlT_T0_E_clISt17integral_constantIbLb0EES1A_EEDaS15_S16_EUlS15_E_NS1_11comp_targetILNS1_3genE10ELNS1_11target_archE1200ELNS1_3gpuE4ELNS1_3repE0EEENS1_30default_config_static_selectorELNS0_4arch9wavefront6targetE1EEEvT1_,comdat
	.protected	_ZN7rocprim17ROCPRIM_400000_NS6detail17trampoline_kernelINS0_14default_configENS1_25partition_config_selectorILNS1_17partition_subalgoE8EdNS0_10empty_typeEbEEZZNS1_14partition_implILS5_8ELb0ES3_jN6thrust23THRUST_200600_302600_NS6detail15normal_iteratorINSA_10device_ptrIdEEEEPS6_PKS6_NS0_5tupleIJSF_S6_EEENSJ_IJSG_SG_EEENS0_18inequality_wrapperI22is_equal_div_10_uniqueIdEEEPmJS6_EEE10hipError_tPvRmT3_T4_T5_T6_T7_T9_mT8_P12ihipStream_tbDpT10_ENKUlT_T0_E_clISt17integral_constantIbLb0EES1A_EEDaS15_S16_EUlS15_E_NS1_11comp_targetILNS1_3genE10ELNS1_11target_archE1200ELNS1_3gpuE4ELNS1_3repE0EEENS1_30default_config_static_selectorELNS0_4arch9wavefront6targetE1EEEvT1_ ; -- Begin function _ZN7rocprim17ROCPRIM_400000_NS6detail17trampoline_kernelINS0_14default_configENS1_25partition_config_selectorILNS1_17partition_subalgoE8EdNS0_10empty_typeEbEEZZNS1_14partition_implILS5_8ELb0ES3_jN6thrust23THRUST_200600_302600_NS6detail15normal_iteratorINSA_10device_ptrIdEEEEPS6_PKS6_NS0_5tupleIJSF_S6_EEENSJ_IJSG_SG_EEENS0_18inequality_wrapperI22is_equal_div_10_uniqueIdEEEPmJS6_EEE10hipError_tPvRmT3_T4_T5_T6_T7_T9_mT8_P12ihipStream_tbDpT10_ENKUlT_T0_E_clISt17integral_constantIbLb0EES1A_EEDaS15_S16_EUlS15_E_NS1_11comp_targetILNS1_3genE10ELNS1_11target_archE1200ELNS1_3gpuE4ELNS1_3repE0EEENS1_30default_config_static_selectorELNS0_4arch9wavefront6targetE1EEEvT1_
	.globl	_ZN7rocprim17ROCPRIM_400000_NS6detail17trampoline_kernelINS0_14default_configENS1_25partition_config_selectorILNS1_17partition_subalgoE8EdNS0_10empty_typeEbEEZZNS1_14partition_implILS5_8ELb0ES3_jN6thrust23THRUST_200600_302600_NS6detail15normal_iteratorINSA_10device_ptrIdEEEEPS6_PKS6_NS0_5tupleIJSF_S6_EEENSJ_IJSG_SG_EEENS0_18inequality_wrapperI22is_equal_div_10_uniqueIdEEEPmJS6_EEE10hipError_tPvRmT3_T4_T5_T6_T7_T9_mT8_P12ihipStream_tbDpT10_ENKUlT_T0_E_clISt17integral_constantIbLb0EES1A_EEDaS15_S16_EUlS15_E_NS1_11comp_targetILNS1_3genE10ELNS1_11target_archE1200ELNS1_3gpuE4ELNS1_3repE0EEENS1_30default_config_static_selectorELNS0_4arch9wavefront6targetE1EEEvT1_
	.p2align	8
	.type	_ZN7rocprim17ROCPRIM_400000_NS6detail17trampoline_kernelINS0_14default_configENS1_25partition_config_selectorILNS1_17partition_subalgoE8EdNS0_10empty_typeEbEEZZNS1_14partition_implILS5_8ELb0ES3_jN6thrust23THRUST_200600_302600_NS6detail15normal_iteratorINSA_10device_ptrIdEEEEPS6_PKS6_NS0_5tupleIJSF_S6_EEENSJ_IJSG_SG_EEENS0_18inequality_wrapperI22is_equal_div_10_uniqueIdEEEPmJS6_EEE10hipError_tPvRmT3_T4_T5_T6_T7_T9_mT8_P12ihipStream_tbDpT10_ENKUlT_T0_E_clISt17integral_constantIbLb0EES1A_EEDaS15_S16_EUlS15_E_NS1_11comp_targetILNS1_3genE10ELNS1_11target_archE1200ELNS1_3gpuE4ELNS1_3repE0EEENS1_30default_config_static_selectorELNS0_4arch9wavefront6targetE1EEEvT1_,@function
_ZN7rocprim17ROCPRIM_400000_NS6detail17trampoline_kernelINS0_14default_configENS1_25partition_config_selectorILNS1_17partition_subalgoE8EdNS0_10empty_typeEbEEZZNS1_14partition_implILS5_8ELb0ES3_jN6thrust23THRUST_200600_302600_NS6detail15normal_iteratorINSA_10device_ptrIdEEEEPS6_PKS6_NS0_5tupleIJSF_S6_EEENSJ_IJSG_SG_EEENS0_18inequality_wrapperI22is_equal_div_10_uniqueIdEEEPmJS6_EEE10hipError_tPvRmT3_T4_T5_T6_T7_T9_mT8_P12ihipStream_tbDpT10_ENKUlT_T0_E_clISt17integral_constantIbLb0EES1A_EEDaS15_S16_EUlS15_E_NS1_11comp_targetILNS1_3genE10ELNS1_11target_archE1200ELNS1_3gpuE4ELNS1_3repE0EEENS1_30default_config_static_selectorELNS0_4arch9wavefront6targetE1EEEvT1_: ; @_ZN7rocprim17ROCPRIM_400000_NS6detail17trampoline_kernelINS0_14default_configENS1_25partition_config_selectorILNS1_17partition_subalgoE8EdNS0_10empty_typeEbEEZZNS1_14partition_implILS5_8ELb0ES3_jN6thrust23THRUST_200600_302600_NS6detail15normal_iteratorINSA_10device_ptrIdEEEEPS6_PKS6_NS0_5tupleIJSF_S6_EEENSJ_IJSG_SG_EEENS0_18inequality_wrapperI22is_equal_div_10_uniqueIdEEEPmJS6_EEE10hipError_tPvRmT3_T4_T5_T6_T7_T9_mT8_P12ihipStream_tbDpT10_ENKUlT_T0_E_clISt17integral_constantIbLb0EES1A_EEDaS15_S16_EUlS15_E_NS1_11comp_targetILNS1_3genE10ELNS1_11target_archE1200ELNS1_3gpuE4ELNS1_3repE0EEENS1_30default_config_static_selectorELNS0_4arch9wavefront6targetE1EEEvT1_
; %bb.0:
	.section	.rodata,"a",@progbits
	.p2align	6, 0x0
	.amdhsa_kernel _ZN7rocprim17ROCPRIM_400000_NS6detail17trampoline_kernelINS0_14default_configENS1_25partition_config_selectorILNS1_17partition_subalgoE8EdNS0_10empty_typeEbEEZZNS1_14partition_implILS5_8ELb0ES3_jN6thrust23THRUST_200600_302600_NS6detail15normal_iteratorINSA_10device_ptrIdEEEEPS6_PKS6_NS0_5tupleIJSF_S6_EEENSJ_IJSG_SG_EEENS0_18inequality_wrapperI22is_equal_div_10_uniqueIdEEEPmJS6_EEE10hipError_tPvRmT3_T4_T5_T6_T7_T9_mT8_P12ihipStream_tbDpT10_ENKUlT_T0_E_clISt17integral_constantIbLb0EES1A_EEDaS15_S16_EUlS15_E_NS1_11comp_targetILNS1_3genE10ELNS1_11target_archE1200ELNS1_3gpuE4ELNS1_3repE0EEENS1_30default_config_static_selectorELNS0_4arch9wavefront6targetE1EEEvT1_
		.amdhsa_group_segment_fixed_size 0
		.amdhsa_private_segment_fixed_size 0
		.amdhsa_kernarg_size 112
		.amdhsa_user_sgpr_count 6
		.amdhsa_user_sgpr_private_segment_buffer 1
		.amdhsa_user_sgpr_dispatch_ptr 0
		.amdhsa_user_sgpr_queue_ptr 0
		.amdhsa_user_sgpr_kernarg_segment_ptr 1
		.amdhsa_user_sgpr_dispatch_id 0
		.amdhsa_user_sgpr_flat_scratch_init 0
		.amdhsa_user_sgpr_private_segment_size 0
		.amdhsa_uses_dynamic_stack 0
		.amdhsa_system_sgpr_private_segment_wavefront_offset 0
		.amdhsa_system_sgpr_workgroup_id_x 1
		.amdhsa_system_sgpr_workgroup_id_y 0
		.amdhsa_system_sgpr_workgroup_id_z 0
		.amdhsa_system_sgpr_workgroup_info 0
		.amdhsa_system_vgpr_workitem_id 0
		.amdhsa_next_free_vgpr 1
		.amdhsa_next_free_sgpr 0
		.amdhsa_reserve_vcc 0
		.amdhsa_reserve_flat_scratch 0
		.amdhsa_float_round_mode_32 0
		.amdhsa_float_round_mode_16_64 0
		.amdhsa_float_denorm_mode_32 3
		.amdhsa_float_denorm_mode_16_64 3
		.amdhsa_dx10_clamp 1
		.amdhsa_ieee_mode 1
		.amdhsa_fp16_overflow 0
		.amdhsa_exception_fp_ieee_invalid_op 0
		.amdhsa_exception_fp_denorm_src 0
		.amdhsa_exception_fp_ieee_div_zero 0
		.amdhsa_exception_fp_ieee_overflow 0
		.amdhsa_exception_fp_ieee_underflow 0
		.amdhsa_exception_fp_ieee_inexact 0
		.amdhsa_exception_int_div_zero 0
	.end_amdhsa_kernel
	.section	.text._ZN7rocprim17ROCPRIM_400000_NS6detail17trampoline_kernelINS0_14default_configENS1_25partition_config_selectorILNS1_17partition_subalgoE8EdNS0_10empty_typeEbEEZZNS1_14partition_implILS5_8ELb0ES3_jN6thrust23THRUST_200600_302600_NS6detail15normal_iteratorINSA_10device_ptrIdEEEEPS6_PKS6_NS0_5tupleIJSF_S6_EEENSJ_IJSG_SG_EEENS0_18inequality_wrapperI22is_equal_div_10_uniqueIdEEEPmJS6_EEE10hipError_tPvRmT3_T4_T5_T6_T7_T9_mT8_P12ihipStream_tbDpT10_ENKUlT_T0_E_clISt17integral_constantIbLb0EES1A_EEDaS15_S16_EUlS15_E_NS1_11comp_targetILNS1_3genE10ELNS1_11target_archE1200ELNS1_3gpuE4ELNS1_3repE0EEENS1_30default_config_static_selectorELNS0_4arch9wavefront6targetE1EEEvT1_,"axG",@progbits,_ZN7rocprim17ROCPRIM_400000_NS6detail17trampoline_kernelINS0_14default_configENS1_25partition_config_selectorILNS1_17partition_subalgoE8EdNS0_10empty_typeEbEEZZNS1_14partition_implILS5_8ELb0ES3_jN6thrust23THRUST_200600_302600_NS6detail15normal_iteratorINSA_10device_ptrIdEEEEPS6_PKS6_NS0_5tupleIJSF_S6_EEENSJ_IJSG_SG_EEENS0_18inequality_wrapperI22is_equal_div_10_uniqueIdEEEPmJS6_EEE10hipError_tPvRmT3_T4_T5_T6_T7_T9_mT8_P12ihipStream_tbDpT10_ENKUlT_T0_E_clISt17integral_constantIbLb0EES1A_EEDaS15_S16_EUlS15_E_NS1_11comp_targetILNS1_3genE10ELNS1_11target_archE1200ELNS1_3gpuE4ELNS1_3repE0EEENS1_30default_config_static_selectorELNS0_4arch9wavefront6targetE1EEEvT1_,comdat
.Lfunc_end52:
	.size	_ZN7rocprim17ROCPRIM_400000_NS6detail17trampoline_kernelINS0_14default_configENS1_25partition_config_selectorILNS1_17partition_subalgoE8EdNS0_10empty_typeEbEEZZNS1_14partition_implILS5_8ELb0ES3_jN6thrust23THRUST_200600_302600_NS6detail15normal_iteratorINSA_10device_ptrIdEEEEPS6_PKS6_NS0_5tupleIJSF_S6_EEENSJ_IJSG_SG_EEENS0_18inequality_wrapperI22is_equal_div_10_uniqueIdEEEPmJS6_EEE10hipError_tPvRmT3_T4_T5_T6_T7_T9_mT8_P12ihipStream_tbDpT10_ENKUlT_T0_E_clISt17integral_constantIbLb0EES1A_EEDaS15_S16_EUlS15_E_NS1_11comp_targetILNS1_3genE10ELNS1_11target_archE1200ELNS1_3gpuE4ELNS1_3repE0EEENS1_30default_config_static_selectorELNS0_4arch9wavefront6targetE1EEEvT1_, .Lfunc_end52-_ZN7rocprim17ROCPRIM_400000_NS6detail17trampoline_kernelINS0_14default_configENS1_25partition_config_selectorILNS1_17partition_subalgoE8EdNS0_10empty_typeEbEEZZNS1_14partition_implILS5_8ELb0ES3_jN6thrust23THRUST_200600_302600_NS6detail15normal_iteratorINSA_10device_ptrIdEEEEPS6_PKS6_NS0_5tupleIJSF_S6_EEENSJ_IJSG_SG_EEENS0_18inequality_wrapperI22is_equal_div_10_uniqueIdEEEPmJS6_EEE10hipError_tPvRmT3_T4_T5_T6_T7_T9_mT8_P12ihipStream_tbDpT10_ENKUlT_T0_E_clISt17integral_constantIbLb0EES1A_EEDaS15_S16_EUlS15_E_NS1_11comp_targetILNS1_3genE10ELNS1_11target_archE1200ELNS1_3gpuE4ELNS1_3repE0EEENS1_30default_config_static_selectorELNS0_4arch9wavefront6targetE1EEEvT1_
                                        ; -- End function
	.set _ZN7rocprim17ROCPRIM_400000_NS6detail17trampoline_kernelINS0_14default_configENS1_25partition_config_selectorILNS1_17partition_subalgoE8EdNS0_10empty_typeEbEEZZNS1_14partition_implILS5_8ELb0ES3_jN6thrust23THRUST_200600_302600_NS6detail15normal_iteratorINSA_10device_ptrIdEEEEPS6_PKS6_NS0_5tupleIJSF_S6_EEENSJ_IJSG_SG_EEENS0_18inequality_wrapperI22is_equal_div_10_uniqueIdEEEPmJS6_EEE10hipError_tPvRmT3_T4_T5_T6_T7_T9_mT8_P12ihipStream_tbDpT10_ENKUlT_T0_E_clISt17integral_constantIbLb0EES1A_EEDaS15_S16_EUlS15_E_NS1_11comp_targetILNS1_3genE10ELNS1_11target_archE1200ELNS1_3gpuE4ELNS1_3repE0EEENS1_30default_config_static_selectorELNS0_4arch9wavefront6targetE1EEEvT1_.num_vgpr, 0
	.set _ZN7rocprim17ROCPRIM_400000_NS6detail17trampoline_kernelINS0_14default_configENS1_25partition_config_selectorILNS1_17partition_subalgoE8EdNS0_10empty_typeEbEEZZNS1_14partition_implILS5_8ELb0ES3_jN6thrust23THRUST_200600_302600_NS6detail15normal_iteratorINSA_10device_ptrIdEEEEPS6_PKS6_NS0_5tupleIJSF_S6_EEENSJ_IJSG_SG_EEENS0_18inequality_wrapperI22is_equal_div_10_uniqueIdEEEPmJS6_EEE10hipError_tPvRmT3_T4_T5_T6_T7_T9_mT8_P12ihipStream_tbDpT10_ENKUlT_T0_E_clISt17integral_constantIbLb0EES1A_EEDaS15_S16_EUlS15_E_NS1_11comp_targetILNS1_3genE10ELNS1_11target_archE1200ELNS1_3gpuE4ELNS1_3repE0EEENS1_30default_config_static_selectorELNS0_4arch9wavefront6targetE1EEEvT1_.num_agpr, 0
	.set _ZN7rocprim17ROCPRIM_400000_NS6detail17trampoline_kernelINS0_14default_configENS1_25partition_config_selectorILNS1_17partition_subalgoE8EdNS0_10empty_typeEbEEZZNS1_14partition_implILS5_8ELb0ES3_jN6thrust23THRUST_200600_302600_NS6detail15normal_iteratorINSA_10device_ptrIdEEEEPS6_PKS6_NS0_5tupleIJSF_S6_EEENSJ_IJSG_SG_EEENS0_18inequality_wrapperI22is_equal_div_10_uniqueIdEEEPmJS6_EEE10hipError_tPvRmT3_T4_T5_T6_T7_T9_mT8_P12ihipStream_tbDpT10_ENKUlT_T0_E_clISt17integral_constantIbLb0EES1A_EEDaS15_S16_EUlS15_E_NS1_11comp_targetILNS1_3genE10ELNS1_11target_archE1200ELNS1_3gpuE4ELNS1_3repE0EEENS1_30default_config_static_selectorELNS0_4arch9wavefront6targetE1EEEvT1_.numbered_sgpr, 0
	.set _ZN7rocprim17ROCPRIM_400000_NS6detail17trampoline_kernelINS0_14default_configENS1_25partition_config_selectorILNS1_17partition_subalgoE8EdNS0_10empty_typeEbEEZZNS1_14partition_implILS5_8ELb0ES3_jN6thrust23THRUST_200600_302600_NS6detail15normal_iteratorINSA_10device_ptrIdEEEEPS6_PKS6_NS0_5tupleIJSF_S6_EEENSJ_IJSG_SG_EEENS0_18inequality_wrapperI22is_equal_div_10_uniqueIdEEEPmJS6_EEE10hipError_tPvRmT3_T4_T5_T6_T7_T9_mT8_P12ihipStream_tbDpT10_ENKUlT_T0_E_clISt17integral_constantIbLb0EES1A_EEDaS15_S16_EUlS15_E_NS1_11comp_targetILNS1_3genE10ELNS1_11target_archE1200ELNS1_3gpuE4ELNS1_3repE0EEENS1_30default_config_static_selectorELNS0_4arch9wavefront6targetE1EEEvT1_.num_named_barrier, 0
	.set _ZN7rocprim17ROCPRIM_400000_NS6detail17trampoline_kernelINS0_14default_configENS1_25partition_config_selectorILNS1_17partition_subalgoE8EdNS0_10empty_typeEbEEZZNS1_14partition_implILS5_8ELb0ES3_jN6thrust23THRUST_200600_302600_NS6detail15normal_iteratorINSA_10device_ptrIdEEEEPS6_PKS6_NS0_5tupleIJSF_S6_EEENSJ_IJSG_SG_EEENS0_18inequality_wrapperI22is_equal_div_10_uniqueIdEEEPmJS6_EEE10hipError_tPvRmT3_T4_T5_T6_T7_T9_mT8_P12ihipStream_tbDpT10_ENKUlT_T0_E_clISt17integral_constantIbLb0EES1A_EEDaS15_S16_EUlS15_E_NS1_11comp_targetILNS1_3genE10ELNS1_11target_archE1200ELNS1_3gpuE4ELNS1_3repE0EEENS1_30default_config_static_selectorELNS0_4arch9wavefront6targetE1EEEvT1_.private_seg_size, 0
	.set _ZN7rocprim17ROCPRIM_400000_NS6detail17trampoline_kernelINS0_14default_configENS1_25partition_config_selectorILNS1_17partition_subalgoE8EdNS0_10empty_typeEbEEZZNS1_14partition_implILS5_8ELb0ES3_jN6thrust23THRUST_200600_302600_NS6detail15normal_iteratorINSA_10device_ptrIdEEEEPS6_PKS6_NS0_5tupleIJSF_S6_EEENSJ_IJSG_SG_EEENS0_18inequality_wrapperI22is_equal_div_10_uniqueIdEEEPmJS6_EEE10hipError_tPvRmT3_T4_T5_T6_T7_T9_mT8_P12ihipStream_tbDpT10_ENKUlT_T0_E_clISt17integral_constantIbLb0EES1A_EEDaS15_S16_EUlS15_E_NS1_11comp_targetILNS1_3genE10ELNS1_11target_archE1200ELNS1_3gpuE4ELNS1_3repE0EEENS1_30default_config_static_selectorELNS0_4arch9wavefront6targetE1EEEvT1_.uses_vcc, 0
	.set _ZN7rocprim17ROCPRIM_400000_NS6detail17trampoline_kernelINS0_14default_configENS1_25partition_config_selectorILNS1_17partition_subalgoE8EdNS0_10empty_typeEbEEZZNS1_14partition_implILS5_8ELb0ES3_jN6thrust23THRUST_200600_302600_NS6detail15normal_iteratorINSA_10device_ptrIdEEEEPS6_PKS6_NS0_5tupleIJSF_S6_EEENSJ_IJSG_SG_EEENS0_18inequality_wrapperI22is_equal_div_10_uniqueIdEEEPmJS6_EEE10hipError_tPvRmT3_T4_T5_T6_T7_T9_mT8_P12ihipStream_tbDpT10_ENKUlT_T0_E_clISt17integral_constantIbLb0EES1A_EEDaS15_S16_EUlS15_E_NS1_11comp_targetILNS1_3genE10ELNS1_11target_archE1200ELNS1_3gpuE4ELNS1_3repE0EEENS1_30default_config_static_selectorELNS0_4arch9wavefront6targetE1EEEvT1_.uses_flat_scratch, 0
	.set _ZN7rocprim17ROCPRIM_400000_NS6detail17trampoline_kernelINS0_14default_configENS1_25partition_config_selectorILNS1_17partition_subalgoE8EdNS0_10empty_typeEbEEZZNS1_14partition_implILS5_8ELb0ES3_jN6thrust23THRUST_200600_302600_NS6detail15normal_iteratorINSA_10device_ptrIdEEEEPS6_PKS6_NS0_5tupleIJSF_S6_EEENSJ_IJSG_SG_EEENS0_18inequality_wrapperI22is_equal_div_10_uniqueIdEEEPmJS6_EEE10hipError_tPvRmT3_T4_T5_T6_T7_T9_mT8_P12ihipStream_tbDpT10_ENKUlT_T0_E_clISt17integral_constantIbLb0EES1A_EEDaS15_S16_EUlS15_E_NS1_11comp_targetILNS1_3genE10ELNS1_11target_archE1200ELNS1_3gpuE4ELNS1_3repE0EEENS1_30default_config_static_selectorELNS0_4arch9wavefront6targetE1EEEvT1_.has_dyn_sized_stack, 0
	.set _ZN7rocprim17ROCPRIM_400000_NS6detail17trampoline_kernelINS0_14default_configENS1_25partition_config_selectorILNS1_17partition_subalgoE8EdNS0_10empty_typeEbEEZZNS1_14partition_implILS5_8ELb0ES3_jN6thrust23THRUST_200600_302600_NS6detail15normal_iteratorINSA_10device_ptrIdEEEEPS6_PKS6_NS0_5tupleIJSF_S6_EEENSJ_IJSG_SG_EEENS0_18inequality_wrapperI22is_equal_div_10_uniqueIdEEEPmJS6_EEE10hipError_tPvRmT3_T4_T5_T6_T7_T9_mT8_P12ihipStream_tbDpT10_ENKUlT_T0_E_clISt17integral_constantIbLb0EES1A_EEDaS15_S16_EUlS15_E_NS1_11comp_targetILNS1_3genE10ELNS1_11target_archE1200ELNS1_3gpuE4ELNS1_3repE0EEENS1_30default_config_static_selectorELNS0_4arch9wavefront6targetE1EEEvT1_.has_recursion, 0
	.set _ZN7rocprim17ROCPRIM_400000_NS6detail17trampoline_kernelINS0_14default_configENS1_25partition_config_selectorILNS1_17partition_subalgoE8EdNS0_10empty_typeEbEEZZNS1_14partition_implILS5_8ELb0ES3_jN6thrust23THRUST_200600_302600_NS6detail15normal_iteratorINSA_10device_ptrIdEEEEPS6_PKS6_NS0_5tupleIJSF_S6_EEENSJ_IJSG_SG_EEENS0_18inequality_wrapperI22is_equal_div_10_uniqueIdEEEPmJS6_EEE10hipError_tPvRmT3_T4_T5_T6_T7_T9_mT8_P12ihipStream_tbDpT10_ENKUlT_T0_E_clISt17integral_constantIbLb0EES1A_EEDaS15_S16_EUlS15_E_NS1_11comp_targetILNS1_3genE10ELNS1_11target_archE1200ELNS1_3gpuE4ELNS1_3repE0EEENS1_30default_config_static_selectorELNS0_4arch9wavefront6targetE1EEEvT1_.has_indirect_call, 0
	.section	.AMDGPU.csdata,"",@progbits
; Kernel info:
; codeLenInByte = 0
; TotalNumSgprs: 4
; NumVgprs: 0
; ScratchSize: 0
; MemoryBound: 0
; FloatMode: 240
; IeeeMode: 1
; LDSByteSize: 0 bytes/workgroup (compile time only)
; SGPRBlocks: 0
; VGPRBlocks: 0
; NumSGPRsForWavesPerEU: 4
; NumVGPRsForWavesPerEU: 1
; Occupancy: 10
; WaveLimiterHint : 0
; COMPUTE_PGM_RSRC2:SCRATCH_EN: 0
; COMPUTE_PGM_RSRC2:USER_SGPR: 6
; COMPUTE_PGM_RSRC2:TRAP_HANDLER: 0
; COMPUTE_PGM_RSRC2:TGID_X_EN: 1
; COMPUTE_PGM_RSRC2:TGID_Y_EN: 0
; COMPUTE_PGM_RSRC2:TGID_Z_EN: 0
; COMPUTE_PGM_RSRC2:TIDIG_COMP_CNT: 0
	.section	.text._ZN7rocprim17ROCPRIM_400000_NS6detail17trampoline_kernelINS0_14default_configENS1_25partition_config_selectorILNS1_17partition_subalgoE8EdNS0_10empty_typeEbEEZZNS1_14partition_implILS5_8ELb0ES3_jN6thrust23THRUST_200600_302600_NS6detail15normal_iteratorINSA_10device_ptrIdEEEEPS6_PKS6_NS0_5tupleIJSF_S6_EEENSJ_IJSG_SG_EEENS0_18inequality_wrapperI22is_equal_div_10_uniqueIdEEEPmJS6_EEE10hipError_tPvRmT3_T4_T5_T6_T7_T9_mT8_P12ihipStream_tbDpT10_ENKUlT_T0_E_clISt17integral_constantIbLb0EES1A_EEDaS15_S16_EUlS15_E_NS1_11comp_targetILNS1_3genE9ELNS1_11target_archE1100ELNS1_3gpuE3ELNS1_3repE0EEENS1_30default_config_static_selectorELNS0_4arch9wavefront6targetE1EEEvT1_,"axG",@progbits,_ZN7rocprim17ROCPRIM_400000_NS6detail17trampoline_kernelINS0_14default_configENS1_25partition_config_selectorILNS1_17partition_subalgoE8EdNS0_10empty_typeEbEEZZNS1_14partition_implILS5_8ELb0ES3_jN6thrust23THRUST_200600_302600_NS6detail15normal_iteratorINSA_10device_ptrIdEEEEPS6_PKS6_NS0_5tupleIJSF_S6_EEENSJ_IJSG_SG_EEENS0_18inequality_wrapperI22is_equal_div_10_uniqueIdEEEPmJS6_EEE10hipError_tPvRmT3_T4_T5_T6_T7_T9_mT8_P12ihipStream_tbDpT10_ENKUlT_T0_E_clISt17integral_constantIbLb0EES1A_EEDaS15_S16_EUlS15_E_NS1_11comp_targetILNS1_3genE9ELNS1_11target_archE1100ELNS1_3gpuE3ELNS1_3repE0EEENS1_30default_config_static_selectorELNS0_4arch9wavefront6targetE1EEEvT1_,comdat
	.protected	_ZN7rocprim17ROCPRIM_400000_NS6detail17trampoline_kernelINS0_14default_configENS1_25partition_config_selectorILNS1_17partition_subalgoE8EdNS0_10empty_typeEbEEZZNS1_14partition_implILS5_8ELb0ES3_jN6thrust23THRUST_200600_302600_NS6detail15normal_iteratorINSA_10device_ptrIdEEEEPS6_PKS6_NS0_5tupleIJSF_S6_EEENSJ_IJSG_SG_EEENS0_18inequality_wrapperI22is_equal_div_10_uniqueIdEEEPmJS6_EEE10hipError_tPvRmT3_T4_T5_T6_T7_T9_mT8_P12ihipStream_tbDpT10_ENKUlT_T0_E_clISt17integral_constantIbLb0EES1A_EEDaS15_S16_EUlS15_E_NS1_11comp_targetILNS1_3genE9ELNS1_11target_archE1100ELNS1_3gpuE3ELNS1_3repE0EEENS1_30default_config_static_selectorELNS0_4arch9wavefront6targetE1EEEvT1_ ; -- Begin function _ZN7rocprim17ROCPRIM_400000_NS6detail17trampoline_kernelINS0_14default_configENS1_25partition_config_selectorILNS1_17partition_subalgoE8EdNS0_10empty_typeEbEEZZNS1_14partition_implILS5_8ELb0ES3_jN6thrust23THRUST_200600_302600_NS6detail15normal_iteratorINSA_10device_ptrIdEEEEPS6_PKS6_NS0_5tupleIJSF_S6_EEENSJ_IJSG_SG_EEENS0_18inequality_wrapperI22is_equal_div_10_uniqueIdEEEPmJS6_EEE10hipError_tPvRmT3_T4_T5_T6_T7_T9_mT8_P12ihipStream_tbDpT10_ENKUlT_T0_E_clISt17integral_constantIbLb0EES1A_EEDaS15_S16_EUlS15_E_NS1_11comp_targetILNS1_3genE9ELNS1_11target_archE1100ELNS1_3gpuE3ELNS1_3repE0EEENS1_30default_config_static_selectorELNS0_4arch9wavefront6targetE1EEEvT1_
	.globl	_ZN7rocprim17ROCPRIM_400000_NS6detail17trampoline_kernelINS0_14default_configENS1_25partition_config_selectorILNS1_17partition_subalgoE8EdNS0_10empty_typeEbEEZZNS1_14partition_implILS5_8ELb0ES3_jN6thrust23THRUST_200600_302600_NS6detail15normal_iteratorINSA_10device_ptrIdEEEEPS6_PKS6_NS0_5tupleIJSF_S6_EEENSJ_IJSG_SG_EEENS0_18inequality_wrapperI22is_equal_div_10_uniqueIdEEEPmJS6_EEE10hipError_tPvRmT3_T4_T5_T6_T7_T9_mT8_P12ihipStream_tbDpT10_ENKUlT_T0_E_clISt17integral_constantIbLb0EES1A_EEDaS15_S16_EUlS15_E_NS1_11comp_targetILNS1_3genE9ELNS1_11target_archE1100ELNS1_3gpuE3ELNS1_3repE0EEENS1_30default_config_static_selectorELNS0_4arch9wavefront6targetE1EEEvT1_
	.p2align	8
	.type	_ZN7rocprim17ROCPRIM_400000_NS6detail17trampoline_kernelINS0_14default_configENS1_25partition_config_selectorILNS1_17partition_subalgoE8EdNS0_10empty_typeEbEEZZNS1_14partition_implILS5_8ELb0ES3_jN6thrust23THRUST_200600_302600_NS6detail15normal_iteratorINSA_10device_ptrIdEEEEPS6_PKS6_NS0_5tupleIJSF_S6_EEENSJ_IJSG_SG_EEENS0_18inequality_wrapperI22is_equal_div_10_uniqueIdEEEPmJS6_EEE10hipError_tPvRmT3_T4_T5_T6_T7_T9_mT8_P12ihipStream_tbDpT10_ENKUlT_T0_E_clISt17integral_constantIbLb0EES1A_EEDaS15_S16_EUlS15_E_NS1_11comp_targetILNS1_3genE9ELNS1_11target_archE1100ELNS1_3gpuE3ELNS1_3repE0EEENS1_30default_config_static_selectorELNS0_4arch9wavefront6targetE1EEEvT1_,@function
_ZN7rocprim17ROCPRIM_400000_NS6detail17trampoline_kernelINS0_14default_configENS1_25partition_config_selectorILNS1_17partition_subalgoE8EdNS0_10empty_typeEbEEZZNS1_14partition_implILS5_8ELb0ES3_jN6thrust23THRUST_200600_302600_NS6detail15normal_iteratorINSA_10device_ptrIdEEEEPS6_PKS6_NS0_5tupleIJSF_S6_EEENSJ_IJSG_SG_EEENS0_18inequality_wrapperI22is_equal_div_10_uniqueIdEEEPmJS6_EEE10hipError_tPvRmT3_T4_T5_T6_T7_T9_mT8_P12ihipStream_tbDpT10_ENKUlT_T0_E_clISt17integral_constantIbLb0EES1A_EEDaS15_S16_EUlS15_E_NS1_11comp_targetILNS1_3genE9ELNS1_11target_archE1100ELNS1_3gpuE3ELNS1_3repE0EEENS1_30default_config_static_selectorELNS0_4arch9wavefront6targetE1EEEvT1_: ; @_ZN7rocprim17ROCPRIM_400000_NS6detail17trampoline_kernelINS0_14default_configENS1_25partition_config_selectorILNS1_17partition_subalgoE8EdNS0_10empty_typeEbEEZZNS1_14partition_implILS5_8ELb0ES3_jN6thrust23THRUST_200600_302600_NS6detail15normal_iteratorINSA_10device_ptrIdEEEEPS6_PKS6_NS0_5tupleIJSF_S6_EEENSJ_IJSG_SG_EEENS0_18inequality_wrapperI22is_equal_div_10_uniqueIdEEEPmJS6_EEE10hipError_tPvRmT3_T4_T5_T6_T7_T9_mT8_P12ihipStream_tbDpT10_ENKUlT_T0_E_clISt17integral_constantIbLb0EES1A_EEDaS15_S16_EUlS15_E_NS1_11comp_targetILNS1_3genE9ELNS1_11target_archE1100ELNS1_3gpuE3ELNS1_3repE0EEENS1_30default_config_static_selectorELNS0_4arch9wavefront6targetE1EEEvT1_
; %bb.0:
	.section	.rodata,"a",@progbits
	.p2align	6, 0x0
	.amdhsa_kernel _ZN7rocprim17ROCPRIM_400000_NS6detail17trampoline_kernelINS0_14default_configENS1_25partition_config_selectorILNS1_17partition_subalgoE8EdNS0_10empty_typeEbEEZZNS1_14partition_implILS5_8ELb0ES3_jN6thrust23THRUST_200600_302600_NS6detail15normal_iteratorINSA_10device_ptrIdEEEEPS6_PKS6_NS0_5tupleIJSF_S6_EEENSJ_IJSG_SG_EEENS0_18inequality_wrapperI22is_equal_div_10_uniqueIdEEEPmJS6_EEE10hipError_tPvRmT3_T4_T5_T6_T7_T9_mT8_P12ihipStream_tbDpT10_ENKUlT_T0_E_clISt17integral_constantIbLb0EES1A_EEDaS15_S16_EUlS15_E_NS1_11comp_targetILNS1_3genE9ELNS1_11target_archE1100ELNS1_3gpuE3ELNS1_3repE0EEENS1_30default_config_static_selectorELNS0_4arch9wavefront6targetE1EEEvT1_
		.amdhsa_group_segment_fixed_size 0
		.amdhsa_private_segment_fixed_size 0
		.amdhsa_kernarg_size 112
		.amdhsa_user_sgpr_count 6
		.amdhsa_user_sgpr_private_segment_buffer 1
		.amdhsa_user_sgpr_dispatch_ptr 0
		.amdhsa_user_sgpr_queue_ptr 0
		.amdhsa_user_sgpr_kernarg_segment_ptr 1
		.amdhsa_user_sgpr_dispatch_id 0
		.amdhsa_user_sgpr_flat_scratch_init 0
		.amdhsa_user_sgpr_private_segment_size 0
		.amdhsa_uses_dynamic_stack 0
		.amdhsa_system_sgpr_private_segment_wavefront_offset 0
		.amdhsa_system_sgpr_workgroup_id_x 1
		.amdhsa_system_sgpr_workgroup_id_y 0
		.amdhsa_system_sgpr_workgroup_id_z 0
		.amdhsa_system_sgpr_workgroup_info 0
		.amdhsa_system_vgpr_workitem_id 0
		.amdhsa_next_free_vgpr 1
		.amdhsa_next_free_sgpr 0
		.amdhsa_reserve_vcc 0
		.amdhsa_reserve_flat_scratch 0
		.amdhsa_float_round_mode_32 0
		.amdhsa_float_round_mode_16_64 0
		.amdhsa_float_denorm_mode_32 3
		.amdhsa_float_denorm_mode_16_64 3
		.amdhsa_dx10_clamp 1
		.amdhsa_ieee_mode 1
		.amdhsa_fp16_overflow 0
		.amdhsa_exception_fp_ieee_invalid_op 0
		.amdhsa_exception_fp_denorm_src 0
		.amdhsa_exception_fp_ieee_div_zero 0
		.amdhsa_exception_fp_ieee_overflow 0
		.amdhsa_exception_fp_ieee_underflow 0
		.amdhsa_exception_fp_ieee_inexact 0
		.amdhsa_exception_int_div_zero 0
	.end_amdhsa_kernel
	.section	.text._ZN7rocprim17ROCPRIM_400000_NS6detail17trampoline_kernelINS0_14default_configENS1_25partition_config_selectorILNS1_17partition_subalgoE8EdNS0_10empty_typeEbEEZZNS1_14partition_implILS5_8ELb0ES3_jN6thrust23THRUST_200600_302600_NS6detail15normal_iteratorINSA_10device_ptrIdEEEEPS6_PKS6_NS0_5tupleIJSF_S6_EEENSJ_IJSG_SG_EEENS0_18inequality_wrapperI22is_equal_div_10_uniqueIdEEEPmJS6_EEE10hipError_tPvRmT3_T4_T5_T6_T7_T9_mT8_P12ihipStream_tbDpT10_ENKUlT_T0_E_clISt17integral_constantIbLb0EES1A_EEDaS15_S16_EUlS15_E_NS1_11comp_targetILNS1_3genE9ELNS1_11target_archE1100ELNS1_3gpuE3ELNS1_3repE0EEENS1_30default_config_static_selectorELNS0_4arch9wavefront6targetE1EEEvT1_,"axG",@progbits,_ZN7rocprim17ROCPRIM_400000_NS6detail17trampoline_kernelINS0_14default_configENS1_25partition_config_selectorILNS1_17partition_subalgoE8EdNS0_10empty_typeEbEEZZNS1_14partition_implILS5_8ELb0ES3_jN6thrust23THRUST_200600_302600_NS6detail15normal_iteratorINSA_10device_ptrIdEEEEPS6_PKS6_NS0_5tupleIJSF_S6_EEENSJ_IJSG_SG_EEENS0_18inequality_wrapperI22is_equal_div_10_uniqueIdEEEPmJS6_EEE10hipError_tPvRmT3_T4_T5_T6_T7_T9_mT8_P12ihipStream_tbDpT10_ENKUlT_T0_E_clISt17integral_constantIbLb0EES1A_EEDaS15_S16_EUlS15_E_NS1_11comp_targetILNS1_3genE9ELNS1_11target_archE1100ELNS1_3gpuE3ELNS1_3repE0EEENS1_30default_config_static_selectorELNS0_4arch9wavefront6targetE1EEEvT1_,comdat
.Lfunc_end53:
	.size	_ZN7rocprim17ROCPRIM_400000_NS6detail17trampoline_kernelINS0_14default_configENS1_25partition_config_selectorILNS1_17partition_subalgoE8EdNS0_10empty_typeEbEEZZNS1_14partition_implILS5_8ELb0ES3_jN6thrust23THRUST_200600_302600_NS6detail15normal_iteratorINSA_10device_ptrIdEEEEPS6_PKS6_NS0_5tupleIJSF_S6_EEENSJ_IJSG_SG_EEENS0_18inequality_wrapperI22is_equal_div_10_uniqueIdEEEPmJS6_EEE10hipError_tPvRmT3_T4_T5_T6_T7_T9_mT8_P12ihipStream_tbDpT10_ENKUlT_T0_E_clISt17integral_constantIbLb0EES1A_EEDaS15_S16_EUlS15_E_NS1_11comp_targetILNS1_3genE9ELNS1_11target_archE1100ELNS1_3gpuE3ELNS1_3repE0EEENS1_30default_config_static_selectorELNS0_4arch9wavefront6targetE1EEEvT1_, .Lfunc_end53-_ZN7rocprim17ROCPRIM_400000_NS6detail17trampoline_kernelINS0_14default_configENS1_25partition_config_selectorILNS1_17partition_subalgoE8EdNS0_10empty_typeEbEEZZNS1_14partition_implILS5_8ELb0ES3_jN6thrust23THRUST_200600_302600_NS6detail15normal_iteratorINSA_10device_ptrIdEEEEPS6_PKS6_NS0_5tupleIJSF_S6_EEENSJ_IJSG_SG_EEENS0_18inequality_wrapperI22is_equal_div_10_uniqueIdEEEPmJS6_EEE10hipError_tPvRmT3_T4_T5_T6_T7_T9_mT8_P12ihipStream_tbDpT10_ENKUlT_T0_E_clISt17integral_constantIbLb0EES1A_EEDaS15_S16_EUlS15_E_NS1_11comp_targetILNS1_3genE9ELNS1_11target_archE1100ELNS1_3gpuE3ELNS1_3repE0EEENS1_30default_config_static_selectorELNS0_4arch9wavefront6targetE1EEEvT1_
                                        ; -- End function
	.set _ZN7rocprim17ROCPRIM_400000_NS6detail17trampoline_kernelINS0_14default_configENS1_25partition_config_selectorILNS1_17partition_subalgoE8EdNS0_10empty_typeEbEEZZNS1_14partition_implILS5_8ELb0ES3_jN6thrust23THRUST_200600_302600_NS6detail15normal_iteratorINSA_10device_ptrIdEEEEPS6_PKS6_NS0_5tupleIJSF_S6_EEENSJ_IJSG_SG_EEENS0_18inequality_wrapperI22is_equal_div_10_uniqueIdEEEPmJS6_EEE10hipError_tPvRmT3_T4_T5_T6_T7_T9_mT8_P12ihipStream_tbDpT10_ENKUlT_T0_E_clISt17integral_constantIbLb0EES1A_EEDaS15_S16_EUlS15_E_NS1_11comp_targetILNS1_3genE9ELNS1_11target_archE1100ELNS1_3gpuE3ELNS1_3repE0EEENS1_30default_config_static_selectorELNS0_4arch9wavefront6targetE1EEEvT1_.num_vgpr, 0
	.set _ZN7rocprim17ROCPRIM_400000_NS6detail17trampoline_kernelINS0_14default_configENS1_25partition_config_selectorILNS1_17partition_subalgoE8EdNS0_10empty_typeEbEEZZNS1_14partition_implILS5_8ELb0ES3_jN6thrust23THRUST_200600_302600_NS6detail15normal_iteratorINSA_10device_ptrIdEEEEPS6_PKS6_NS0_5tupleIJSF_S6_EEENSJ_IJSG_SG_EEENS0_18inequality_wrapperI22is_equal_div_10_uniqueIdEEEPmJS6_EEE10hipError_tPvRmT3_T4_T5_T6_T7_T9_mT8_P12ihipStream_tbDpT10_ENKUlT_T0_E_clISt17integral_constantIbLb0EES1A_EEDaS15_S16_EUlS15_E_NS1_11comp_targetILNS1_3genE9ELNS1_11target_archE1100ELNS1_3gpuE3ELNS1_3repE0EEENS1_30default_config_static_selectorELNS0_4arch9wavefront6targetE1EEEvT1_.num_agpr, 0
	.set _ZN7rocprim17ROCPRIM_400000_NS6detail17trampoline_kernelINS0_14default_configENS1_25partition_config_selectorILNS1_17partition_subalgoE8EdNS0_10empty_typeEbEEZZNS1_14partition_implILS5_8ELb0ES3_jN6thrust23THRUST_200600_302600_NS6detail15normal_iteratorINSA_10device_ptrIdEEEEPS6_PKS6_NS0_5tupleIJSF_S6_EEENSJ_IJSG_SG_EEENS0_18inequality_wrapperI22is_equal_div_10_uniqueIdEEEPmJS6_EEE10hipError_tPvRmT3_T4_T5_T6_T7_T9_mT8_P12ihipStream_tbDpT10_ENKUlT_T0_E_clISt17integral_constantIbLb0EES1A_EEDaS15_S16_EUlS15_E_NS1_11comp_targetILNS1_3genE9ELNS1_11target_archE1100ELNS1_3gpuE3ELNS1_3repE0EEENS1_30default_config_static_selectorELNS0_4arch9wavefront6targetE1EEEvT1_.numbered_sgpr, 0
	.set _ZN7rocprim17ROCPRIM_400000_NS6detail17trampoline_kernelINS0_14default_configENS1_25partition_config_selectorILNS1_17partition_subalgoE8EdNS0_10empty_typeEbEEZZNS1_14partition_implILS5_8ELb0ES3_jN6thrust23THRUST_200600_302600_NS6detail15normal_iteratorINSA_10device_ptrIdEEEEPS6_PKS6_NS0_5tupleIJSF_S6_EEENSJ_IJSG_SG_EEENS0_18inequality_wrapperI22is_equal_div_10_uniqueIdEEEPmJS6_EEE10hipError_tPvRmT3_T4_T5_T6_T7_T9_mT8_P12ihipStream_tbDpT10_ENKUlT_T0_E_clISt17integral_constantIbLb0EES1A_EEDaS15_S16_EUlS15_E_NS1_11comp_targetILNS1_3genE9ELNS1_11target_archE1100ELNS1_3gpuE3ELNS1_3repE0EEENS1_30default_config_static_selectorELNS0_4arch9wavefront6targetE1EEEvT1_.num_named_barrier, 0
	.set _ZN7rocprim17ROCPRIM_400000_NS6detail17trampoline_kernelINS0_14default_configENS1_25partition_config_selectorILNS1_17partition_subalgoE8EdNS0_10empty_typeEbEEZZNS1_14partition_implILS5_8ELb0ES3_jN6thrust23THRUST_200600_302600_NS6detail15normal_iteratorINSA_10device_ptrIdEEEEPS6_PKS6_NS0_5tupleIJSF_S6_EEENSJ_IJSG_SG_EEENS0_18inequality_wrapperI22is_equal_div_10_uniqueIdEEEPmJS6_EEE10hipError_tPvRmT3_T4_T5_T6_T7_T9_mT8_P12ihipStream_tbDpT10_ENKUlT_T0_E_clISt17integral_constantIbLb0EES1A_EEDaS15_S16_EUlS15_E_NS1_11comp_targetILNS1_3genE9ELNS1_11target_archE1100ELNS1_3gpuE3ELNS1_3repE0EEENS1_30default_config_static_selectorELNS0_4arch9wavefront6targetE1EEEvT1_.private_seg_size, 0
	.set _ZN7rocprim17ROCPRIM_400000_NS6detail17trampoline_kernelINS0_14default_configENS1_25partition_config_selectorILNS1_17partition_subalgoE8EdNS0_10empty_typeEbEEZZNS1_14partition_implILS5_8ELb0ES3_jN6thrust23THRUST_200600_302600_NS6detail15normal_iteratorINSA_10device_ptrIdEEEEPS6_PKS6_NS0_5tupleIJSF_S6_EEENSJ_IJSG_SG_EEENS0_18inequality_wrapperI22is_equal_div_10_uniqueIdEEEPmJS6_EEE10hipError_tPvRmT3_T4_T5_T6_T7_T9_mT8_P12ihipStream_tbDpT10_ENKUlT_T0_E_clISt17integral_constantIbLb0EES1A_EEDaS15_S16_EUlS15_E_NS1_11comp_targetILNS1_3genE9ELNS1_11target_archE1100ELNS1_3gpuE3ELNS1_3repE0EEENS1_30default_config_static_selectorELNS0_4arch9wavefront6targetE1EEEvT1_.uses_vcc, 0
	.set _ZN7rocprim17ROCPRIM_400000_NS6detail17trampoline_kernelINS0_14default_configENS1_25partition_config_selectorILNS1_17partition_subalgoE8EdNS0_10empty_typeEbEEZZNS1_14partition_implILS5_8ELb0ES3_jN6thrust23THRUST_200600_302600_NS6detail15normal_iteratorINSA_10device_ptrIdEEEEPS6_PKS6_NS0_5tupleIJSF_S6_EEENSJ_IJSG_SG_EEENS0_18inequality_wrapperI22is_equal_div_10_uniqueIdEEEPmJS6_EEE10hipError_tPvRmT3_T4_T5_T6_T7_T9_mT8_P12ihipStream_tbDpT10_ENKUlT_T0_E_clISt17integral_constantIbLb0EES1A_EEDaS15_S16_EUlS15_E_NS1_11comp_targetILNS1_3genE9ELNS1_11target_archE1100ELNS1_3gpuE3ELNS1_3repE0EEENS1_30default_config_static_selectorELNS0_4arch9wavefront6targetE1EEEvT1_.uses_flat_scratch, 0
	.set _ZN7rocprim17ROCPRIM_400000_NS6detail17trampoline_kernelINS0_14default_configENS1_25partition_config_selectorILNS1_17partition_subalgoE8EdNS0_10empty_typeEbEEZZNS1_14partition_implILS5_8ELb0ES3_jN6thrust23THRUST_200600_302600_NS6detail15normal_iteratorINSA_10device_ptrIdEEEEPS6_PKS6_NS0_5tupleIJSF_S6_EEENSJ_IJSG_SG_EEENS0_18inequality_wrapperI22is_equal_div_10_uniqueIdEEEPmJS6_EEE10hipError_tPvRmT3_T4_T5_T6_T7_T9_mT8_P12ihipStream_tbDpT10_ENKUlT_T0_E_clISt17integral_constantIbLb0EES1A_EEDaS15_S16_EUlS15_E_NS1_11comp_targetILNS1_3genE9ELNS1_11target_archE1100ELNS1_3gpuE3ELNS1_3repE0EEENS1_30default_config_static_selectorELNS0_4arch9wavefront6targetE1EEEvT1_.has_dyn_sized_stack, 0
	.set _ZN7rocprim17ROCPRIM_400000_NS6detail17trampoline_kernelINS0_14default_configENS1_25partition_config_selectorILNS1_17partition_subalgoE8EdNS0_10empty_typeEbEEZZNS1_14partition_implILS5_8ELb0ES3_jN6thrust23THRUST_200600_302600_NS6detail15normal_iteratorINSA_10device_ptrIdEEEEPS6_PKS6_NS0_5tupleIJSF_S6_EEENSJ_IJSG_SG_EEENS0_18inequality_wrapperI22is_equal_div_10_uniqueIdEEEPmJS6_EEE10hipError_tPvRmT3_T4_T5_T6_T7_T9_mT8_P12ihipStream_tbDpT10_ENKUlT_T0_E_clISt17integral_constantIbLb0EES1A_EEDaS15_S16_EUlS15_E_NS1_11comp_targetILNS1_3genE9ELNS1_11target_archE1100ELNS1_3gpuE3ELNS1_3repE0EEENS1_30default_config_static_selectorELNS0_4arch9wavefront6targetE1EEEvT1_.has_recursion, 0
	.set _ZN7rocprim17ROCPRIM_400000_NS6detail17trampoline_kernelINS0_14default_configENS1_25partition_config_selectorILNS1_17partition_subalgoE8EdNS0_10empty_typeEbEEZZNS1_14partition_implILS5_8ELb0ES3_jN6thrust23THRUST_200600_302600_NS6detail15normal_iteratorINSA_10device_ptrIdEEEEPS6_PKS6_NS0_5tupleIJSF_S6_EEENSJ_IJSG_SG_EEENS0_18inequality_wrapperI22is_equal_div_10_uniqueIdEEEPmJS6_EEE10hipError_tPvRmT3_T4_T5_T6_T7_T9_mT8_P12ihipStream_tbDpT10_ENKUlT_T0_E_clISt17integral_constantIbLb0EES1A_EEDaS15_S16_EUlS15_E_NS1_11comp_targetILNS1_3genE9ELNS1_11target_archE1100ELNS1_3gpuE3ELNS1_3repE0EEENS1_30default_config_static_selectorELNS0_4arch9wavefront6targetE1EEEvT1_.has_indirect_call, 0
	.section	.AMDGPU.csdata,"",@progbits
; Kernel info:
; codeLenInByte = 0
; TotalNumSgprs: 4
; NumVgprs: 0
; ScratchSize: 0
; MemoryBound: 0
; FloatMode: 240
; IeeeMode: 1
; LDSByteSize: 0 bytes/workgroup (compile time only)
; SGPRBlocks: 0
; VGPRBlocks: 0
; NumSGPRsForWavesPerEU: 4
; NumVGPRsForWavesPerEU: 1
; Occupancy: 10
; WaveLimiterHint : 0
; COMPUTE_PGM_RSRC2:SCRATCH_EN: 0
; COMPUTE_PGM_RSRC2:USER_SGPR: 6
; COMPUTE_PGM_RSRC2:TRAP_HANDLER: 0
; COMPUTE_PGM_RSRC2:TGID_X_EN: 1
; COMPUTE_PGM_RSRC2:TGID_Y_EN: 0
; COMPUTE_PGM_RSRC2:TGID_Z_EN: 0
; COMPUTE_PGM_RSRC2:TIDIG_COMP_CNT: 0
	.section	.text._ZN7rocprim17ROCPRIM_400000_NS6detail17trampoline_kernelINS0_14default_configENS1_25partition_config_selectorILNS1_17partition_subalgoE8EdNS0_10empty_typeEbEEZZNS1_14partition_implILS5_8ELb0ES3_jN6thrust23THRUST_200600_302600_NS6detail15normal_iteratorINSA_10device_ptrIdEEEEPS6_PKS6_NS0_5tupleIJSF_S6_EEENSJ_IJSG_SG_EEENS0_18inequality_wrapperI22is_equal_div_10_uniqueIdEEEPmJS6_EEE10hipError_tPvRmT3_T4_T5_T6_T7_T9_mT8_P12ihipStream_tbDpT10_ENKUlT_T0_E_clISt17integral_constantIbLb0EES1A_EEDaS15_S16_EUlS15_E_NS1_11comp_targetILNS1_3genE8ELNS1_11target_archE1030ELNS1_3gpuE2ELNS1_3repE0EEENS1_30default_config_static_selectorELNS0_4arch9wavefront6targetE1EEEvT1_,"axG",@progbits,_ZN7rocprim17ROCPRIM_400000_NS6detail17trampoline_kernelINS0_14default_configENS1_25partition_config_selectorILNS1_17partition_subalgoE8EdNS0_10empty_typeEbEEZZNS1_14partition_implILS5_8ELb0ES3_jN6thrust23THRUST_200600_302600_NS6detail15normal_iteratorINSA_10device_ptrIdEEEEPS6_PKS6_NS0_5tupleIJSF_S6_EEENSJ_IJSG_SG_EEENS0_18inequality_wrapperI22is_equal_div_10_uniqueIdEEEPmJS6_EEE10hipError_tPvRmT3_T4_T5_T6_T7_T9_mT8_P12ihipStream_tbDpT10_ENKUlT_T0_E_clISt17integral_constantIbLb0EES1A_EEDaS15_S16_EUlS15_E_NS1_11comp_targetILNS1_3genE8ELNS1_11target_archE1030ELNS1_3gpuE2ELNS1_3repE0EEENS1_30default_config_static_selectorELNS0_4arch9wavefront6targetE1EEEvT1_,comdat
	.protected	_ZN7rocprim17ROCPRIM_400000_NS6detail17trampoline_kernelINS0_14default_configENS1_25partition_config_selectorILNS1_17partition_subalgoE8EdNS0_10empty_typeEbEEZZNS1_14partition_implILS5_8ELb0ES3_jN6thrust23THRUST_200600_302600_NS6detail15normal_iteratorINSA_10device_ptrIdEEEEPS6_PKS6_NS0_5tupleIJSF_S6_EEENSJ_IJSG_SG_EEENS0_18inequality_wrapperI22is_equal_div_10_uniqueIdEEEPmJS6_EEE10hipError_tPvRmT3_T4_T5_T6_T7_T9_mT8_P12ihipStream_tbDpT10_ENKUlT_T0_E_clISt17integral_constantIbLb0EES1A_EEDaS15_S16_EUlS15_E_NS1_11comp_targetILNS1_3genE8ELNS1_11target_archE1030ELNS1_3gpuE2ELNS1_3repE0EEENS1_30default_config_static_selectorELNS0_4arch9wavefront6targetE1EEEvT1_ ; -- Begin function _ZN7rocprim17ROCPRIM_400000_NS6detail17trampoline_kernelINS0_14default_configENS1_25partition_config_selectorILNS1_17partition_subalgoE8EdNS0_10empty_typeEbEEZZNS1_14partition_implILS5_8ELb0ES3_jN6thrust23THRUST_200600_302600_NS6detail15normal_iteratorINSA_10device_ptrIdEEEEPS6_PKS6_NS0_5tupleIJSF_S6_EEENSJ_IJSG_SG_EEENS0_18inequality_wrapperI22is_equal_div_10_uniqueIdEEEPmJS6_EEE10hipError_tPvRmT3_T4_T5_T6_T7_T9_mT8_P12ihipStream_tbDpT10_ENKUlT_T0_E_clISt17integral_constantIbLb0EES1A_EEDaS15_S16_EUlS15_E_NS1_11comp_targetILNS1_3genE8ELNS1_11target_archE1030ELNS1_3gpuE2ELNS1_3repE0EEENS1_30default_config_static_selectorELNS0_4arch9wavefront6targetE1EEEvT1_
	.globl	_ZN7rocprim17ROCPRIM_400000_NS6detail17trampoline_kernelINS0_14default_configENS1_25partition_config_selectorILNS1_17partition_subalgoE8EdNS0_10empty_typeEbEEZZNS1_14partition_implILS5_8ELb0ES3_jN6thrust23THRUST_200600_302600_NS6detail15normal_iteratorINSA_10device_ptrIdEEEEPS6_PKS6_NS0_5tupleIJSF_S6_EEENSJ_IJSG_SG_EEENS0_18inequality_wrapperI22is_equal_div_10_uniqueIdEEEPmJS6_EEE10hipError_tPvRmT3_T4_T5_T6_T7_T9_mT8_P12ihipStream_tbDpT10_ENKUlT_T0_E_clISt17integral_constantIbLb0EES1A_EEDaS15_S16_EUlS15_E_NS1_11comp_targetILNS1_3genE8ELNS1_11target_archE1030ELNS1_3gpuE2ELNS1_3repE0EEENS1_30default_config_static_selectorELNS0_4arch9wavefront6targetE1EEEvT1_
	.p2align	8
	.type	_ZN7rocprim17ROCPRIM_400000_NS6detail17trampoline_kernelINS0_14default_configENS1_25partition_config_selectorILNS1_17partition_subalgoE8EdNS0_10empty_typeEbEEZZNS1_14partition_implILS5_8ELb0ES3_jN6thrust23THRUST_200600_302600_NS6detail15normal_iteratorINSA_10device_ptrIdEEEEPS6_PKS6_NS0_5tupleIJSF_S6_EEENSJ_IJSG_SG_EEENS0_18inequality_wrapperI22is_equal_div_10_uniqueIdEEEPmJS6_EEE10hipError_tPvRmT3_T4_T5_T6_T7_T9_mT8_P12ihipStream_tbDpT10_ENKUlT_T0_E_clISt17integral_constantIbLb0EES1A_EEDaS15_S16_EUlS15_E_NS1_11comp_targetILNS1_3genE8ELNS1_11target_archE1030ELNS1_3gpuE2ELNS1_3repE0EEENS1_30default_config_static_selectorELNS0_4arch9wavefront6targetE1EEEvT1_,@function
_ZN7rocprim17ROCPRIM_400000_NS6detail17trampoline_kernelINS0_14default_configENS1_25partition_config_selectorILNS1_17partition_subalgoE8EdNS0_10empty_typeEbEEZZNS1_14partition_implILS5_8ELb0ES3_jN6thrust23THRUST_200600_302600_NS6detail15normal_iteratorINSA_10device_ptrIdEEEEPS6_PKS6_NS0_5tupleIJSF_S6_EEENSJ_IJSG_SG_EEENS0_18inequality_wrapperI22is_equal_div_10_uniqueIdEEEPmJS6_EEE10hipError_tPvRmT3_T4_T5_T6_T7_T9_mT8_P12ihipStream_tbDpT10_ENKUlT_T0_E_clISt17integral_constantIbLb0EES1A_EEDaS15_S16_EUlS15_E_NS1_11comp_targetILNS1_3genE8ELNS1_11target_archE1030ELNS1_3gpuE2ELNS1_3repE0EEENS1_30default_config_static_selectorELNS0_4arch9wavefront6targetE1EEEvT1_: ; @_ZN7rocprim17ROCPRIM_400000_NS6detail17trampoline_kernelINS0_14default_configENS1_25partition_config_selectorILNS1_17partition_subalgoE8EdNS0_10empty_typeEbEEZZNS1_14partition_implILS5_8ELb0ES3_jN6thrust23THRUST_200600_302600_NS6detail15normal_iteratorINSA_10device_ptrIdEEEEPS6_PKS6_NS0_5tupleIJSF_S6_EEENSJ_IJSG_SG_EEENS0_18inequality_wrapperI22is_equal_div_10_uniqueIdEEEPmJS6_EEE10hipError_tPvRmT3_T4_T5_T6_T7_T9_mT8_P12ihipStream_tbDpT10_ENKUlT_T0_E_clISt17integral_constantIbLb0EES1A_EEDaS15_S16_EUlS15_E_NS1_11comp_targetILNS1_3genE8ELNS1_11target_archE1030ELNS1_3gpuE2ELNS1_3repE0EEENS1_30default_config_static_selectorELNS0_4arch9wavefront6targetE1EEEvT1_
; %bb.0:
	.section	.rodata,"a",@progbits
	.p2align	6, 0x0
	.amdhsa_kernel _ZN7rocprim17ROCPRIM_400000_NS6detail17trampoline_kernelINS0_14default_configENS1_25partition_config_selectorILNS1_17partition_subalgoE8EdNS0_10empty_typeEbEEZZNS1_14partition_implILS5_8ELb0ES3_jN6thrust23THRUST_200600_302600_NS6detail15normal_iteratorINSA_10device_ptrIdEEEEPS6_PKS6_NS0_5tupleIJSF_S6_EEENSJ_IJSG_SG_EEENS0_18inequality_wrapperI22is_equal_div_10_uniqueIdEEEPmJS6_EEE10hipError_tPvRmT3_T4_T5_T6_T7_T9_mT8_P12ihipStream_tbDpT10_ENKUlT_T0_E_clISt17integral_constantIbLb0EES1A_EEDaS15_S16_EUlS15_E_NS1_11comp_targetILNS1_3genE8ELNS1_11target_archE1030ELNS1_3gpuE2ELNS1_3repE0EEENS1_30default_config_static_selectorELNS0_4arch9wavefront6targetE1EEEvT1_
		.amdhsa_group_segment_fixed_size 0
		.amdhsa_private_segment_fixed_size 0
		.amdhsa_kernarg_size 112
		.amdhsa_user_sgpr_count 6
		.amdhsa_user_sgpr_private_segment_buffer 1
		.amdhsa_user_sgpr_dispatch_ptr 0
		.amdhsa_user_sgpr_queue_ptr 0
		.amdhsa_user_sgpr_kernarg_segment_ptr 1
		.amdhsa_user_sgpr_dispatch_id 0
		.amdhsa_user_sgpr_flat_scratch_init 0
		.amdhsa_user_sgpr_private_segment_size 0
		.amdhsa_uses_dynamic_stack 0
		.amdhsa_system_sgpr_private_segment_wavefront_offset 0
		.amdhsa_system_sgpr_workgroup_id_x 1
		.amdhsa_system_sgpr_workgroup_id_y 0
		.amdhsa_system_sgpr_workgroup_id_z 0
		.amdhsa_system_sgpr_workgroup_info 0
		.amdhsa_system_vgpr_workitem_id 0
		.amdhsa_next_free_vgpr 1
		.amdhsa_next_free_sgpr 0
		.amdhsa_reserve_vcc 0
		.amdhsa_reserve_flat_scratch 0
		.amdhsa_float_round_mode_32 0
		.amdhsa_float_round_mode_16_64 0
		.amdhsa_float_denorm_mode_32 3
		.amdhsa_float_denorm_mode_16_64 3
		.amdhsa_dx10_clamp 1
		.amdhsa_ieee_mode 1
		.amdhsa_fp16_overflow 0
		.amdhsa_exception_fp_ieee_invalid_op 0
		.amdhsa_exception_fp_denorm_src 0
		.amdhsa_exception_fp_ieee_div_zero 0
		.amdhsa_exception_fp_ieee_overflow 0
		.amdhsa_exception_fp_ieee_underflow 0
		.amdhsa_exception_fp_ieee_inexact 0
		.amdhsa_exception_int_div_zero 0
	.end_amdhsa_kernel
	.section	.text._ZN7rocprim17ROCPRIM_400000_NS6detail17trampoline_kernelINS0_14default_configENS1_25partition_config_selectorILNS1_17partition_subalgoE8EdNS0_10empty_typeEbEEZZNS1_14partition_implILS5_8ELb0ES3_jN6thrust23THRUST_200600_302600_NS6detail15normal_iteratorINSA_10device_ptrIdEEEEPS6_PKS6_NS0_5tupleIJSF_S6_EEENSJ_IJSG_SG_EEENS0_18inequality_wrapperI22is_equal_div_10_uniqueIdEEEPmJS6_EEE10hipError_tPvRmT3_T4_T5_T6_T7_T9_mT8_P12ihipStream_tbDpT10_ENKUlT_T0_E_clISt17integral_constantIbLb0EES1A_EEDaS15_S16_EUlS15_E_NS1_11comp_targetILNS1_3genE8ELNS1_11target_archE1030ELNS1_3gpuE2ELNS1_3repE0EEENS1_30default_config_static_selectorELNS0_4arch9wavefront6targetE1EEEvT1_,"axG",@progbits,_ZN7rocprim17ROCPRIM_400000_NS6detail17trampoline_kernelINS0_14default_configENS1_25partition_config_selectorILNS1_17partition_subalgoE8EdNS0_10empty_typeEbEEZZNS1_14partition_implILS5_8ELb0ES3_jN6thrust23THRUST_200600_302600_NS6detail15normal_iteratorINSA_10device_ptrIdEEEEPS6_PKS6_NS0_5tupleIJSF_S6_EEENSJ_IJSG_SG_EEENS0_18inequality_wrapperI22is_equal_div_10_uniqueIdEEEPmJS6_EEE10hipError_tPvRmT3_T4_T5_T6_T7_T9_mT8_P12ihipStream_tbDpT10_ENKUlT_T0_E_clISt17integral_constantIbLb0EES1A_EEDaS15_S16_EUlS15_E_NS1_11comp_targetILNS1_3genE8ELNS1_11target_archE1030ELNS1_3gpuE2ELNS1_3repE0EEENS1_30default_config_static_selectorELNS0_4arch9wavefront6targetE1EEEvT1_,comdat
.Lfunc_end54:
	.size	_ZN7rocprim17ROCPRIM_400000_NS6detail17trampoline_kernelINS0_14default_configENS1_25partition_config_selectorILNS1_17partition_subalgoE8EdNS0_10empty_typeEbEEZZNS1_14partition_implILS5_8ELb0ES3_jN6thrust23THRUST_200600_302600_NS6detail15normal_iteratorINSA_10device_ptrIdEEEEPS6_PKS6_NS0_5tupleIJSF_S6_EEENSJ_IJSG_SG_EEENS0_18inequality_wrapperI22is_equal_div_10_uniqueIdEEEPmJS6_EEE10hipError_tPvRmT3_T4_T5_T6_T7_T9_mT8_P12ihipStream_tbDpT10_ENKUlT_T0_E_clISt17integral_constantIbLb0EES1A_EEDaS15_S16_EUlS15_E_NS1_11comp_targetILNS1_3genE8ELNS1_11target_archE1030ELNS1_3gpuE2ELNS1_3repE0EEENS1_30default_config_static_selectorELNS0_4arch9wavefront6targetE1EEEvT1_, .Lfunc_end54-_ZN7rocprim17ROCPRIM_400000_NS6detail17trampoline_kernelINS0_14default_configENS1_25partition_config_selectorILNS1_17partition_subalgoE8EdNS0_10empty_typeEbEEZZNS1_14partition_implILS5_8ELb0ES3_jN6thrust23THRUST_200600_302600_NS6detail15normal_iteratorINSA_10device_ptrIdEEEEPS6_PKS6_NS0_5tupleIJSF_S6_EEENSJ_IJSG_SG_EEENS0_18inequality_wrapperI22is_equal_div_10_uniqueIdEEEPmJS6_EEE10hipError_tPvRmT3_T4_T5_T6_T7_T9_mT8_P12ihipStream_tbDpT10_ENKUlT_T0_E_clISt17integral_constantIbLb0EES1A_EEDaS15_S16_EUlS15_E_NS1_11comp_targetILNS1_3genE8ELNS1_11target_archE1030ELNS1_3gpuE2ELNS1_3repE0EEENS1_30default_config_static_selectorELNS0_4arch9wavefront6targetE1EEEvT1_
                                        ; -- End function
	.set _ZN7rocprim17ROCPRIM_400000_NS6detail17trampoline_kernelINS0_14default_configENS1_25partition_config_selectorILNS1_17partition_subalgoE8EdNS0_10empty_typeEbEEZZNS1_14partition_implILS5_8ELb0ES3_jN6thrust23THRUST_200600_302600_NS6detail15normal_iteratorINSA_10device_ptrIdEEEEPS6_PKS6_NS0_5tupleIJSF_S6_EEENSJ_IJSG_SG_EEENS0_18inequality_wrapperI22is_equal_div_10_uniqueIdEEEPmJS6_EEE10hipError_tPvRmT3_T4_T5_T6_T7_T9_mT8_P12ihipStream_tbDpT10_ENKUlT_T0_E_clISt17integral_constantIbLb0EES1A_EEDaS15_S16_EUlS15_E_NS1_11comp_targetILNS1_3genE8ELNS1_11target_archE1030ELNS1_3gpuE2ELNS1_3repE0EEENS1_30default_config_static_selectorELNS0_4arch9wavefront6targetE1EEEvT1_.num_vgpr, 0
	.set _ZN7rocprim17ROCPRIM_400000_NS6detail17trampoline_kernelINS0_14default_configENS1_25partition_config_selectorILNS1_17partition_subalgoE8EdNS0_10empty_typeEbEEZZNS1_14partition_implILS5_8ELb0ES3_jN6thrust23THRUST_200600_302600_NS6detail15normal_iteratorINSA_10device_ptrIdEEEEPS6_PKS6_NS0_5tupleIJSF_S6_EEENSJ_IJSG_SG_EEENS0_18inequality_wrapperI22is_equal_div_10_uniqueIdEEEPmJS6_EEE10hipError_tPvRmT3_T4_T5_T6_T7_T9_mT8_P12ihipStream_tbDpT10_ENKUlT_T0_E_clISt17integral_constantIbLb0EES1A_EEDaS15_S16_EUlS15_E_NS1_11comp_targetILNS1_3genE8ELNS1_11target_archE1030ELNS1_3gpuE2ELNS1_3repE0EEENS1_30default_config_static_selectorELNS0_4arch9wavefront6targetE1EEEvT1_.num_agpr, 0
	.set _ZN7rocprim17ROCPRIM_400000_NS6detail17trampoline_kernelINS0_14default_configENS1_25partition_config_selectorILNS1_17partition_subalgoE8EdNS0_10empty_typeEbEEZZNS1_14partition_implILS5_8ELb0ES3_jN6thrust23THRUST_200600_302600_NS6detail15normal_iteratorINSA_10device_ptrIdEEEEPS6_PKS6_NS0_5tupleIJSF_S6_EEENSJ_IJSG_SG_EEENS0_18inequality_wrapperI22is_equal_div_10_uniqueIdEEEPmJS6_EEE10hipError_tPvRmT3_T4_T5_T6_T7_T9_mT8_P12ihipStream_tbDpT10_ENKUlT_T0_E_clISt17integral_constantIbLb0EES1A_EEDaS15_S16_EUlS15_E_NS1_11comp_targetILNS1_3genE8ELNS1_11target_archE1030ELNS1_3gpuE2ELNS1_3repE0EEENS1_30default_config_static_selectorELNS0_4arch9wavefront6targetE1EEEvT1_.numbered_sgpr, 0
	.set _ZN7rocprim17ROCPRIM_400000_NS6detail17trampoline_kernelINS0_14default_configENS1_25partition_config_selectorILNS1_17partition_subalgoE8EdNS0_10empty_typeEbEEZZNS1_14partition_implILS5_8ELb0ES3_jN6thrust23THRUST_200600_302600_NS6detail15normal_iteratorINSA_10device_ptrIdEEEEPS6_PKS6_NS0_5tupleIJSF_S6_EEENSJ_IJSG_SG_EEENS0_18inequality_wrapperI22is_equal_div_10_uniqueIdEEEPmJS6_EEE10hipError_tPvRmT3_T4_T5_T6_T7_T9_mT8_P12ihipStream_tbDpT10_ENKUlT_T0_E_clISt17integral_constantIbLb0EES1A_EEDaS15_S16_EUlS15_E_NS1_11comp_targetILNS1_3genE8ELNS1_11target_archE1030ELNS1_3gpuE2ELNS1_3repE0EEENS1_30default_config_static_selectorELNS0_4arch9wavefront6targetE1EEEvT1_.num_named_barrier, 0
	.set _ZN7rocprim17ROCPRIM_400000_NS6detail17trampoline_kernelINS0_14default_configENS1_25partition_config_selectorILNS1_17partition_subalgoE8EdNS0_10empty_typeEbEEZZNS1_14partition_implILS5_8ELb0ES3_jN6thrust23THRUST_200600_302600_NS6detail15normal_iteratorINSA_10device_ptrIdEEEEPS6_PKS6_NS0_5tupleIJSF_S6_EEENSJ_IJSG_SG_EEENS0_18inequality_wrapperI22is_equal_div_10_uniqueIdEEEPmJS6_EEE10hipError_tPvRmT3_T4_T5_T6_T7_T9_mT8_P12ihipStream_tbDpT10_ENKUlT_T0_E_clISt17integral_constantIbLb0EES1A_EEDaS15_S16_EUlS15_E_NS1_11comp_targetILNS1_3genE8ELNS1_11target_archE1030ELNS1_3gpuE2ELNS1_3repE0EEENS1_30default_config_static_selectorELNS0_4arch9wavefront6targetE1EEEvT1_.private_seg_size, 0
	.set _ZN7rocprim17ROCPRIM_400000_NS6detail17trampoline_kernelINS0_14default_configENS1_25partition_config_selectorILNS1_17partition_subalgoE8EdNS0_10empty_typeEbEEZZNS1_14partition_implILS5_8ELb0ES3_jN6thrust23THRUST_200600_302600_NS6detail15normal_iteratorINSA_10device_ptrIdEEEEPS6_PKS6_NS0_5tupleIJSF_S6_EEENSJ_IJSG_SG_EEENS0_18inequality_wrapperI22is_equal_div_10_uniqueIdEEEPmJS6_EEE10hipError_tPvRmT3_T4_T5_T6_T7_T9_mT8_P12ihipStream_tbDpT10_ENKUlT_T0_E_clISt17integral_constantIbLb0EES1A_EEDaS15_S16_EUlS15_E_NS1_11comp_targetILNS1_3genE8ELNS1_11target_archE1030ELNS1_3gpuE2ELNS1_3repE0EEENS1_30default_config_static_selectorELNS0_4arch9wavefront6targetE1EEEvT1_.uses_vcc, 0
	.set _ZN7rocprim17ROCPRIM_400000_NS6detail17trampoline_kernelINS0_14default_configENS1_25partition_config_selectorILNS1_17partition_subalgoE8EdNS0_10empty_typeEbEEZZNS1_14partition_implILS5_8ELb0ES3_jN6thrust23THRUST_200600_302600_NS6detail15normal_iteratorINSA_10device_ptrIdEEEEPS6_PKS6_NS0_5tupleIJSF_S6_EEENSJ_IJSG_SG_EEENS0_18inequality_wrapperI22is_equal_div_10_uniqueIdEEEPmJS6_EEE10hipError_tPvRmT3_T4_T5_T6_T7_T9_mT8_P12ihipStream_tbDpT10_ENKUlT_T0_E_clISt17integral_constantIbLb0EES1A_EEDaS15_S16_EUlS15_E_NS1_11comp_targetILNS1_3genE8ELNS1_11target_archE1030ELNS1_3gpuE2ELNS1_3repE0EEENS1_30default_config_static_selectorELNS0_4arch9wavefront6targetE1EEEvT1_.uses_flat_scratch, 0
	.set _ZN7rocprim17ROCPRIM_400000_NS6detail17trampoline_kernelINS0_14default_configENS1_25partition_config_selectorILNS1_17partition_subalgoE8EdNS0_10empty_typeEbEEZZNS1_14partition_implILS5_8ELb0ES3_jN6thrust23THRUST_200600_302600_NS6detail15normal_iteratorINSA_10device_ptrIdEEEEPS6_PKS6_NS0_5tupleIJSF_S6_EEENSJ_IJSG_SG_EEENS0_18inequality_wrapperI22is_equal_div_10_uniqueIdEEEPmJS6_EEE10hipError_tPvRmT3_T4_T5_T6_T7_T9_mT8_P12ihipStream_tbDpT10_ENKUlT_T0_E_clISt17integral_constantIbLb0EES1A_EEDaS15_S16_EUlS15_E_NS1_11comp_targetILNS1_3genE8ELNS1_11target_archE1030ELNS1_3gpuE2ELNS1_3repE0EEENS1_30default_config_static_selectorELNS0_4arch9wavefront6targetE1EEEvT1_.has_dyn_sized_stack, 0
	.set _ZN7rocprim17ROCPRIM_400000_NS6detail17trampoline_kernelINS0_14default_configENS1_25partition_config_selectorILNS1_17partition_subalgoE8EdNS0_10empty_typeEbEEZZNS1_14partition_implILS5_8ELb0ES3_jN6thrust23THRUST_200600_302600_NS6detail15normal_iteratorINSA_10device_ptrIdEEEEPS6_PKS6_NS0_5tupleIJSF_S6_EEENSJ_IJSG_SG_EEENS0_18inequality_wrapperI22is_equal_div_10_uniqueIdEEEPmJS6_EEE10hipError_tPvRmT3_T4_T5_T6_T7_T9_mT8_P12ihipStream_tbDpT10_ENKUlT_T0_E_clISt17integral_constantIbLb0EES1A_EEDaS15_S16_EUlS15_E_NS1_11comp_targetILNS1_3genE8ELNS1_11target_archE1030ELNS1_3gpuE2ELNS1_3repE0EEENS1_30default_config_static_selectorELNS0_4arch9wavefront6targetE1EEEvT1_.has_recursion, 0
	.set _ZN7rocprim17ROCPRIM_400000_NS6detail17trampoline_kernelINS0_14default_configENS1_25partition_config_selectorILNS1_17partition_subalgoE8EdNS0_10empty_typeEbEEZZNS1_14partition_implILS5_8ELb0ES3_jN6thrust23THRUST_200600_302600_NS6detail15normal_iteratorINSA_10device_ptrIdEEEEPS6_PKS6_NS0_5tupleIJSF_S6_EEENSJ_IJSG_SG_EEENS0_18inequality_wrapperI22is_equal_div_10_uniqueIdEEEPmJS6_EEE10hipError_tPvRmT3_T4_T5_T6_T7_T9_mT8_P12ihipStream_tbDpT10_ENKUlT_T0_E_clISt17integral_constantIbLb0EES1A_EEDaS15_S16_EUlS15_E_NS1_11comp_targetILNS1_3genE8ELNS1_11target_archE1030ELNS1_3gpuE2ELNS1_3repE0EEENS1_30default_config_static_selectorELNS0_4arch9wavefront6targetE1EEEvT1_.has_indirect_call, 0
	.section	.AMDGPU.csdata,"",@progbits
; Kernel info:
; codeLenInByte = 0
; TotalNumSgprs: 4
; NumVgprs: 0
; ScratchSize: 0
; MemoryBound: 0
; FloatMode: 240
; IeeeMode: 1
; LDSByteSize: 0 bytes/workgroup (compile time only)
; SGPRBlocks: 0
; VGPRBlocks: 0
; NumSGPRsForWavesPerEU: 4
; NumVGPRsForWavesPerEU: 1
; Occupancy: 10
; WaveLimiterHint : 0
; COMPUTE_PGM_RSRC2:SCRATCH_EN: 0
; COMPUTE_PGM_RSRC2:USER_SGPR: 6
; COMPUTE_PGM_RSRC2:TRAP_HANDLER: 0
; COMPUTE_PGM_RSRC2:TGID_X_EN: 1
; COMPUTE_PGM_RSRC2:TGID_Y_EN: 0
; COMPUTE_PGM_RSRC2:TGID_Z_EN: 0
; COMPUTE_PGM_RSRC2:TIDIG_COMP_CNT: 0
	.section	.text._ZN7rocprim17ROCPRIM_400000_NS6detail17trampoline_kernelINS0_14default_configENS1_25partition_config_selectorILNS1_17partition_subalgoE8EdNS0_10empty_typeEbEEZZNS1_14partition_implILS5_8ELb0ES3_jN6thrust23THRUST_200600_302600_NS6detail15normal_iteratorINSA_10device_ptrIdEEEEPS6_PKS6_NS0_5tupleIJSF_S6_EEENSJ_IJSG_SG_EEENS0_18inequality_wrapperI22is_equal_div_10_uniqueIdEEEPmJS6_EEE10hipError_tPvRmT3_T4_T5_T6_T7_T9_mT8_P12ihipStream_tbDpT10_ENKUlT_T0_E_clISt17integral_constantIbLb1EES1A_EEDaS15_S16_EUlS15_E_NS1_11comp_targetILNS1_3genE0ELNS1_11target_archE4294967295ELNS1_3gpuE0ELNS1_3repE0EEENS1_30default_config_static_selectorELNS0_4arch9wavefront6targetE1EEEvT1_,"axG",@progbits,_ZN7rocprim17ROCPRIM_400000_NS6detail17trampoline_kernelINS0_14default_configENS1_25partition_config_selectorILNS1_17partition_subalgoE8EdNS0_10empty_typeEbEEZZNS1_14partition_implILS5_8ELb0ES3_jN6thrust23THRUST_200600_302600_NS6detail15normal_iteratorINSA_10device_ptrIdEEEEPS6_PKS6_NS0_5tupleIJSF_S6_EEENSJ_IJSG_SG_EEENS0_18inequality_wrapperI22is_equal_div_10_uniqueIdEEEPmJS6_EEE10hipError_tPvRmT3_T4_T5_T6_T7_T9_mT8_P12ihipStream_tbDpT10_ENKUlT_T0_E_clISt17integral_constantIbLb1EES1A_EEDaS15_S16_EUlS15_E_NS1_11comp_targetILNS1_3genE0ELNS1_11target_archE4294967295ELNS1_3gpuE0ELNS1_3repE0EEENS1_30default_config_static_selectorELNS0_4arch9wavefront6targetE1EEEvT1_,comdat
	.protected	_ZN7rocprim17ROCPRIM_400000_NS6detail17trampoline_kernelINS0_14default_configENS1_25partition_config_selectorILNS1_17partition_subalgoE8EdNS0_10empty_typeEbEEZZNS1_14partition_implILS5_8ELb0ES3_jN6thrust23THRUST_200600_302600_NS6detail15normal_iteratorINSA_10device_ptrIdEEEEPS6_PKS6_NS0_5tupleIJSF_S6_EEENSJ_IJSG_SG_EEENS0_18inequality_wrapperI22is_equal_div_10_uniqueIdEEEPmJS6_EEE10hipError_tPvRmT3_T4_T5_T6_T7_T9_mT8_P12ihipStream_tbDpT10_ENKUlT_T0_E_clISt17integral_constantIbLb1EES1A_EEDaS15_S16_EUlS15_E_NS1_11comp_targetILNS1_3genE0ELNS1_11target_archE4294967295ELNS1_3gpuE0ELNS1_3repE0EEENS1_30default_config_static_selectorELNS0_4arch9wavefront6targetE1EEEvT1_ ; -- Begin function _ZN7rocprim17ROCPRIM_400000_NS6detail17trampoline_kernelINS0_14default_configENS1_25partition_config_selectorILNS1_17partition_subalgoE8EdNS0_10empty_typeEbEEZZNS1_14partition_implILS5_8ELb0ES3_jN6thrust23THRUST_200600_302600_NS6detail15normal_iteratorINSA_10device_ptrIdEEEEPS6_PKS6_NS0_5tupleIJSF_S6_EEENSJ_IJSG_SG_EEENS0_18inequality_wrapperI22is_equal_div_10_uniqueIdEEEPmJS6_EEE10hipError_tPvRmT3_T4_T5_T6_T7_T9_mT8_P12ihipStream_tbDpT10_ENKUlT_T0_E_clISt17integral_constantIbLb1EES1A_EEDaS15_S16_EUlS15_E_NS1_11comp_targetILNS1_3genE0ELNS1_11target_archE4294967295ELNS1_3gpuE0ELNS1_3repE0EEENS1_30default_config_static_selectorELNS0_4arch9wavefront6targetE1EEEvT1_
	.globl	_ZN7rocprim17ROCPRIM_400000_NS6detail17trampoline_kernelINS0_14default_configENS1_25partition_config_selectorILNS1_17partition_subalgoE8EdNS0_10empty_typeEbEEZZNS1_14partition_implILS5_8ELb0ES3_jN6thrust23THRUST_200600_302600_NS6detail15normal_iteratorINSA_10device_ptrIdEEEEPS6_PKS6_NS0_5tupleIJSF_S6_EEENSJ_IJSG_SG_EEENS0_18inequality_wrapperI22is_equal_div_10_uniqueIdEEEPmJS6_EEE10hipError_tPvRmT3_T4_T5_T6_T7_T9_mT8_P12ihipStream_tbDpT10_ENKUlT_T0_E_clISt17integral_constantIbLb1EES1A_EEDaS15_S16_EUlS15_E_NS1_11comp_targetILNS1_3genE0ELNS1_11target_archE4294967295ELNS1_3gpuE0ELNS1_3repE0EEENS1_30default_config_static_selectorELNS0_4arch9wavefront6targetE1EEEvT1_
	.p2align	8
	.type	_ZN7rocprim17ROCPRIM_400000_NS6detail17trampoline_kernelINS0_14default_configENS1_25partition_config_selectorILNS1_17partition_subalgoE8EdNS0_10empty_typeEbEEZZNS1_14partition_implILS5_8ELb0ES3_jN6thrust23THRUST_200600_302600_NS6detail15normal_iteratorINSA_10device_ptrIdEEEEPS6_PKS6_NS0_5tupleIJSF_S6_EEENSJ_IJSG_SG_EEENS0_18inequality_wrapperI22is_equal_div_10_uniqueIdEEEPmJS6_EEE10hipError_tPvRmT3_T4_T5_T6_T7_T9_mT8_P12ihipStream_tbDpT10_ENKUlT_T0_E_clISt17integral_constantIbLb1EES1A_EEDaS15_S16_EUlS15_E_NS1_11comp_targetILNS1_3genE0ELNS1_11target_archE4294967295ELNS1_3gpuE0ELNS1_3repE0EEENS1_30default_config_static_selectorELNS0_4arch9wavefront6targetE1EEEvT1_,@function
_ZN7rocprim17ROCPRIM_400000_NS6detail17trampoline_kernelINS0_14default_configENS1_25partition_config_selectorILNS1_17partition_subalgoE8EdNS0_10empty_typeEbEEZZNS1_14partition_implILS5_8ELb0ES3_jN6thrust23THRUST_200600_302600_NS6detail15normal_iteratorINSA_10device_ptrIdEEEEPS6_PKS6_NS0_5tupleIJSF_S6_EEENSJ_IJSG_SG_EEENS0_18inequality_wrapperI22is_equal_div_10_uniqueIdEEEPmJS6_EEE10hipError_tPvRmT3_T4_T5_T6_T7_T9_mT8_P12ihipStream_tbDpT10_ENKUlT_T0_E_clISt17integral_constantIbLb1EES1A_EEDaS15_S16_EUlS15_E_NS1_11comp_targetILNS1_3genE0ELNS1_11target_archE4294967295ELNS1_3gpuE0ELNS1_3repE0EEENS1_30default_config_static_selectorELNS0_4arch9wavefront6targetE1EEEvT1_: ; @_ZN7rocprim17ROCPRIM_400000_NS6detail17trampoline_kernelINS0_14default_configENS1_25partition_config_selectorILNS1_17partition_subalgoE8EdNS0_10empty_typeEbEEZZNS1_14partition_implILS5_8ELb0ES3_jN6thrust23THRUST_200600_302600_NS6detail15normal_iteratorINSA_10device_ptrIdEEEEPS6_PKS6_NS0_5tupleIJSF_S6_EEENSJ_IJSG_SG_EEENS0_18inequality_wrapperI22is_equal_div_10_uniqueIdEEEPmJS6_EEE10hipError_tPvRmT3_T4_T5_T6_T7_T9_mT8_P12ihipStream_tbDpT10_ENKUlT_T0_E_clISt17integral_constantIbLb1EES1A_EEDaS15_S16_EUlS15_E_NS1_11comp_targetILNS1_3genE0ELNS1_11target_archE4294967295ELNS1_3gpuE0ELNS1_3repE0EEENS1_30default_config_static_selectorELNS0_4arch9wavefront6targetE1EEEvT1_
; %bb.0:
	.section	.rodata,"a",@progbits
	.p2align	6, 0x0
	.amdhsa_kernel _ZN7rocprim17ROCPRIM_400000_NS6detail17trampoline_kernelINS0_14default_configENS1_25partition_config_selectorILNS1_17partition_subalgoE8EdNS0_10empty_typeEbEEZZNS1_14partition_implILS5_8ELb0ES3_jN6thrust23THRUST_200600_302600_NS6detail15normal_iteratorINSA_10device_ptrIdEEEEPS6_PKS6_NS0_5tupleIJSF_S6_EEENSJ_IJSG_SG_EEENS0_18inequality_wrapperI22is_equal_div_10_uniqueIdEEEPmJS6_EEE10hipError_tPvRmT3_T4_T5_T6_T7_T9_mT8_P12ihipStream_tbDpT10_ENKUlT_T0_E_clISt17integral_constantIbLb1EES1A_EEDaS15_S16_EUlS15_E_NS1_11comp_targetILNS1_3genE0ELNS1_11target_archE4294967295ELNS1_3gpuE0ELNS1_3repE0EEENS1_30default_config_static_selectorELNS0_4arch9wavefront6targetE1EEEvT1_
		.amdhsa_group_segment_fixed_size 0
		.amdhsa_private_segment_fixed_size 0
		.amdhsa_kernarg_size 128
		.amdhsa_user_sgpr_count 6
		.amdhsa_user_sgpr_private_segment_buffer 1
		.amdhsa_user_sgpr_dispatch_ptr 0
		.amdhsa_user_sgpr_queue_ptr 0
		.amdhsa_user_sgpr_kernarg_segment_ptr 1
		.amdhsa_user_sgpr_dispatch_id 0
		.amdhsa_user_sgpr_flat_scratch_init 0
		.amdhsa_user_sgpr_private_segment_size 0
		.amdhsa_uses_dynamic_stack 0
		.amdhsa_system_sgpr_private_segment_wavefront_offset 0
		.amdhsa_system_sgpr_workgroup_id_x 1
		.amdhsa_system_sgpr_workgroup_id_y 0
		.amdhsa_system_sgpr_workgroup_id_z 0
		.amdhsa_system_sgpr_workgroup_info 0
		.amdhsa_system_vgpr_workitem_id 0
		.amdhsa_next_free_vgpr 1
		.amdhsa_next_free_sgpr 0
		.amdhsa_reserve_vcc 0
		.amdhsa_reserve_flat_scratch 0
		.amdhsa_float_round_mode_32 0
		.amdhsa_float_round_mode_16_64 0
		.amdhsa_float_denorm_mode_32 3
		.amdhsa_float_denorm_mode_16_64 3
		.amdhsa_dx10_clamp 1
		.amdhsa_ieee_mode 1
		.amdhsa_fp16_overflow 0
		.amdhsa_exception_fp_ieee_invalid_op 0
		.amdhsa_exception_fp_denorm_src 0
		.amdhsa_exception_fp_ieee_div_zero 0
		.amdhsa_exception_fp_ieee_overflow 0
		.amdhsa_exception_fp_ieee_underflow 0
		.amdhsa_exception_fp_ieee_inexact 0
		.amdhsa_exception_int_div_zero 0
	.end_amdhsa_kernel
	.section	.text._ZN7rocprim17ROCPRIM_400000_NS6detail17trampoline_kernelINS0_14default_configENS1_25partition_config_selectorILNS1_17partition_subalgoE8EdNS0_10empty_typeEbEEZZNS1_14partition_implILS5_8ELb0ES3_jN6thrust23THRUST_200600_302600_NS6detail15normal_iteratorINSA_10device_ptrIdEEEEPS6_PKS6_NS0_5tupleIJSF_S6_EEENSJ_IJSG_SG_EEENS0_18inequality_wrapperI22is_equal_div_10_uniqueIdEEEPmJS6_EEE10hipError_tPvRmT3_T4_T5_T6_T7_T9_mT8_P12ihipStream_tbDpT10_ENKUlT_T0_E_clISt17integral_constantIbLb1EES1A_EEDaS15_S16_EUlS15_E_NS1_11comp_targetILNS1_3genE0ELNS1_11target_archE4294967295ELNS1_3gpuE0ELNS1_3repE0EEENS1_30default_config_static_selectorELNS0_4arch9wavefront6targetE1EEEvT1_,"axG",@progbits,_ZN7rocprim17ROCPRIM_400000_NS6detail17trampoline_kernelINS0_14default_configENS1_25partition_config_selectorILNS1_17partition_subalgoE8EdNS0_10empty_typeEbEEZZNS1_14partition_implILS5_8ELb0ES3_jN6thrust23THRUST_200600_302600_NS6detail15normal_iteratorINSA_10device_ptrIdEEEEPS6_PKS6_NS0_5tupleIJSF_S6_EEENSJ_IJSG_SG_EEENS0_18inequality_wrapperI22is_equal_div_10_uniqueIdEEEPmJS6_EEE10hipError_tPvRmT3_T4_T5_T6_T7_T9_mT8_P12ihipStream_tbDpT10_ENKUlT_T0_E_clISt17integral_constantIbLb1EES1A_EEDaS15_S16_EUlS15_E_NS1_11comp_targetILNS1_3genE0ELNS1_11target_archE4294967295ELNS1_3gpuE0ELNS1_3repE0EEENS1_30default_config_static_selectorELNS0_4arch9wavefront6targetE1EEEvT1_,comdat
.Lfunc_end55:
	.size	_ZN7rocprim17ROCPRIM_400000_NS6detail17trampoline_kernelINS0_14default_configENS1_25partition_config_selectorILNS1_17partition_subalgoE8EdNS0_10empty_typeEbEEZZNS1_14partition_implILS5_8ELb0ES3_jN6thrust23THRUST_200600_302600_NS6detail15normal_iteratorINSA_10device_ptrIdEEEEPS6_PKS6_NS0_5tupleIJSF_S6_EEENSJ_IJSG_SG_EEENS0_18inequality_wrapperI22is_equal_div_10_uniqueIdEEEPmJS6_EEE10hipError_tPvRmT3_T4_T5_T6_T7_T9_mT8_P12ihipStream_tbDpT10_ENKUlT_T0_E_clISt17integral_constantIbLb1EES1A_EEDaS15_S16_EUlS15_E_NS1_11comp_targetILNS1_3genE0ELNS1_11target_archE4294967295ELNS1_3gpuE0ELNS1_3repE0EEENS1_30default_config_static_selectorELNS0_4arch9wavefront6targetE1EEEvT1_, .Lfunc_end55-_ZN7rocprim17ROCPRIM_400000_NS6detail17trampoline_kernelINS0_14default_configENS1_25partition_config_selectorILNS1_17partition_subalgoE8EdNS0_10empty_typeEbEEZZNS1_14partition_implILS5_8ELb0ES3_jN6thrust23THRUST_200600_302600_NS6detail15normal_iteratorINSA_10device_ptrIdEEEEPS6_PKS6_NS0_5tupleIJSF_S6_EEENSJ_IJSG_SG_EEENS0_18inequality_wrapperI22is_equal_div_10_uniqueIdEEEPmJS6_EEE10hipError_tPvRmT3_T4_T5_T6_T7_T9_mT8_P12ihipStream_tbDpT10_ENKUlT_T0_E_clISt17integral_constantIbLb1EES1A_EEDaS15_S16_EUlS15_E_NS1_11comp_targetILNS1_3genE0ELNS1_11target_archE4294967295ELNS1_3gpuE0ELNS1_3repE0EEENS1_30default_config_static_selectorELNS0_4arch9wavefront6targetE1EEEvT1_
                                        ; -- End function
	.set _ZN7rocprim17ROCPRIM_400000_NS6detail17trampoline_kernelINS0_14default_configENS1_25partition_config_selectorILNS1_17partition_subalgoE8EdNS0_10empty_typeEbEEZZNS1_14partition_implILS5_8ELb0ES3_jN6thrust23THRUST_200600_302600_NS6detail15normal_iteratorINSA_10device_ptrIdEEEEPS6_PKS6_NS0_5tupleIJSF_S6_EEENSJ_IJSG_SG_EEENS0_18inequality_wrapperI22is_equal_div_10_uniqueIdEEEPmJS6_EEE10hipError_tPvRmT3_T4_T5_T6_T7_T9_mT8_P12ihipStream_tbDpT10_ENKUlT_T0_E_clISt17integral_constantIbLb1EES1A_EEDaS15_S16_EUlS15_E_NS1_11comp_targetILNS1_3genE0ELNS1_11target_archE4294967295ELNS1_3gpuE0ELNS1_3repE0EEENS1_30default_config_static_selectorELNS0_4arch9wavefront6targetE1EEEvT1_.num_vgpr, 0
	.set _ZN7rocprim17ROCPRIM_400000_NS6detail17trampoline_kernelINS0_14default_configENS1_25partition_config_selectorILNS1_17partition_subalgoE8EdNS0_10empty_typeEbEEZZNS1_14partition_implILS5_8ELb0ES3_jN6thrust23THRUST_200600_302600_NS6detail15normal_iteratorINSA_10device_ptrIdEEEEPS6_PKS6_NS0_5tupleIJSF_S6_EEENSJ_IJSG_SG_EEENS0_18inequality_wrapperI22is_equal_div_10_uniqueIdEEEPmJS6_EEE10hipError_tPvRmT3_T4_T5_T6_T7_T9_mT8_P12ihipStream_tbDpT10_ENKUlT_T0_E_clISt17integral_constantIbLb1EES1A_EEDaS15_S16_EUlS15_E_NS1_11comp_targetILNS1_3genE0ELNS1_11target_archE4294967295ELNS1_3gpuE0ELNS1_3repE0EEENS1_30default_config_static_selectorELNS0_4arch9wavefront6targetE1EEEvT1_.num_agpr, 0
	.set _ZN7rocprim17ROCPRIM_400000_NS6detail17trampoline_kernelINS0_14default_configENS1_25partition_config_selectorILNS1_17partition_subalgoE8EdNS0_10empty_typeEbEEZZNS1_14partition_implILS5_8ELb0ES3_jN6thrust23THRUST_200600_302600_NS6detail15normal_iteratorINSA_10device_ptrIdEEEEPS6_PKS6_NS0_5tupleIJSF_S6_EEENSJ_IJSG_SG_EEENS0_18inequality_wrapperI22is_equal_div_10_uniqueIdEEEPmJS6_EEE10hipError_tPvRmT3_T4_T5_T6_T7_T9_mT8_P12ihipStream_tbDpT10_ENKUlT_T0_E_clISt17integral_constantIbLb1EES1A_EEDaS15_S16_EUlS15_E_NS1_11comp_targetILNS1_3genE0ELNS1_11target_archE4294967295ELNS1_3gpuE0ELNS1_3repE0EEENS1_30default_config_static_selectorELNS0_4arch9wavefront6targetE1EEEvT1_.numbered_sgpr, 0
	.set _ZN7rocprim17ROCPRIM_400000_NS6detail17trampoline_kernelINS0_14default_configENS1_25partition_config_selectorILNS1_17partition_subalgoE8EdNS0_10empty_typeEbEEZZNS1_14partition_implILS5_8ELb0ES3_jN6thrust23THRUST_200600_302600_NS6detail15normal_iteratorINSA_10device_ptrIdEEEEPS6_PKS6_NS0_5tupleIJSF_S6_EEENSJ_IJSG_SG_EEENS0_18inequality_wrapperI22is_equal_div_10_uniqueIdEEEPmJS6_EEE10hipError_tPvRmT3_T4_T5_T6_T7_T9_mT8_P12ihipStream_tbDpT10_ENKUlT_T0_E_clISt17integral_constantIbLb1EES1A_EEDaS15_S16_EUlS15_E_NS1_11comp_targetILNS1_3genE0ELNS1_11target_archE4294967295ELNS1_3gpuE0ELNS1_3repE0EEENS1_30default_config_static_selectorELNS0_4arch9wavefront6targetE1EEEvT1_.num_named_barrier, 0
	.set _ZN7rocprim17ROCPRIM_400000_NS6detail17trampoline_kernelINS0_14default_configENS1_25partition_config_selectorILNS1_17partition_subalgoE8EdNS0_10empty_typeEbEEZZNS1_14partition_implILS5_8ELb0ES3_jN6thrust23THRUST_200600_302600_NS6detail15normal_iteratorINSA_10device_ptrIdEEEEPS6_PKS6_NS0_5tupleIJSF_S6_EEENSJ_IJSG_SG_EEENS0_18inequality_wrapperI22is_equal_div_10_uniqueIdEEEPmJS6_EEE10hipError_tPvRmT3_T4_T5_T6_T7_T9_mT8_P12ihipStream_tbDpT10_ENKUlT_T0_E_clISt17integral_constantIbLb1EES1A_EEDaS15_S16_EUlS15_E_NS1_11comp_targetILNS1_3genE0ELNS1_11target_archE4294967295ELNS1_3gpuE0ELNS1_3repE0EEENS1_30default_config_static_selectorELNS0_4arch9wavefront6targetE1EEEvT1_.private_seg_size, 0
	.set _ZN7rocprim17ROCPRIM_400000_NS6detail17trampoline_kernelINS0_14default_configENS1_25partition_config_selectorILNS1_17partition_subalgoE8EdNS0_10empty_typeEbEEZZNS1_14partition_implILS5_8ELb0ES3_jN6thrust23THRUST_200600_302600_NS6detail15normal_iteratorINSA_10device_ptrIdEEEEPS6_PKS6_NS0_5tupleIJSF_S6_EEENSJ_IJSG_SG_EEENS0_18inequality_wrapperI22is_equal_div_10_uniqueIdEEEPmJS6_EEE10hipError_tPvRmT3_T4_T5_T6_T7_T9_mT8_P12ihipStream_tbDpT10_ENKUlT_T0_E_clISt17integral_constantIbLb1EES1A_EEDaS15_S16_EUlS15_E_NS1_11comp_targetILNS1_3genE0ELNS1_11target_archE4294967295ELNS1_3gpuE0ELNS1_3repE0EEENS1_30default_config_static_selectorELNS0_4arch9wavefront6targetE1EEEvT1_.uses_vcc, 0
	.set _ZN7rocprim17ROCPRIM_400000_NS6detail17trampoline_kernelINS0_14default_configENS1_25partition_config_selectorILNS1_17partition_subalgoE8EdNS0_10empty_typeEbEEZZNS1_14partition_implILS5_8ELb0ES3_jN6thrust23THRUST_200600_302600_NS6detail15normal_iteratorINSA_10device_ptrIdEEEEPS6_PKS6_NS0_5tupleIJSF_S6_EEENSJ_IJSG_SG_EEENS0_18inequality_wrapperI22is_equal_div_10_uniqueIdEEEPmJS6_EEE10hipError_tPvRmT3_T4_T5_T6_T7_T9_mT8_P12ihipStream_tbDpT10_ENKUlT_T0_E_clISt17integral_constantIbLb1EES1A_EEDaS15_S16_EUlS15_E_NS1_11comp_targetILNS1_3genE0ELNS1_11target_archE4294967295ELNS1_3gpuE0ELNS1_3repE0EEENS1_30default_config_static_selectorELNS0_4arch9wavefront6targetE1EEEvT1_.uses_flat_scratch, 0
	.set _ZN7rocprim17ROCPRIM_400000_NS6detail17trampoline_kernelINS0_14default_configENS1_25partition_config_selectorILNS1_17partition_subalgoE8EdNS0_10empty_typeEbEEZZNS1_14partition_implILS5_8ELb0ES3_jN6thrust23THRUST_200600_302600_NS6detail15normal_iteratorINSA_10device_ptrIdEEEEPS6_PKS6_NS0_5tupleIJSF_S6_EEENSJ_IJSG_SG_EEENS0_18inequality_wrapperI22is_equal_div_10_uniqueIdEEEPmJS6_EEE10hipError_tPvRmT3_T4_T5_T6_T7_T9_mT8_P12ihipStream_tbDpT10_ENKUlT_T0_E_clISt17integral_constantIbLb1EES1A_EEDaS15_S16_EUlS15_E_NS1_11comp_targetILNS1_3genE0ELNS1_11target_archE4294967295ELNS1_3gpuE0ELNS1_3repE0EEENS1_30default_config_static_selectorELNS0_4arch9wavefront6targetE1EEEvT1_.has_dyn_sized_stack, 0
	.set _ZN7rocprim17ROCPRIM_400000_NS6detail17trampoline_kernelINS0_14default_configENS1_25partition_config_selectorILNS1_17partition_subalgoE8EdNS0_10empty_typeEbEEZZNS1_14partition_implILS5_8ELb0ES3_jN6thrust23THRUST_200600_302600_NS6detail15normal_iteratorINSA_10device_ptrIdEEEEPS6_PKS6_NS0_5tupleIJSF_S6_EEENSJ_IJSG_SG_EEENS0_18inequality_wrapperI22is_equal_div_10_uniqueIdEEEPmJS6_EEE10hipError_tPvRmT3_T4_T5_T6_T7_T9_mT8_P12ihipStream_tbDpT10_ENKUlT_T0_E_clISt17integral_constantIbLb1EES1A_EEDaS15_S16_EUlS15_E_NS1_11comp_targetILNS1_3genE0ELNS1_11target_archE4294967295ELNS1_3gpuE0ELNS1_3repE0EEENS1_30default_config_static_selectorELNS0_4arch9wavefront6targetE1EEEvT1_.has_recursion, 0
	.set _ZN7rocprim17ROCPRIM_400000_NS6detail17trampoline_kernelINS0_14default_configENS1_25partition_config_selectorILNS1_17partition_subalgoE8EdNS0_10empty_typeEbEEZZNS1_14partition_implILS5_8ELb0ES3_jN6thrust23THRUST_200600_302600_NS6detail15normal_iteratorINSA_10device_ptrIdEEEEPS6_PKS6_NS0_5tupleIJSF_S6_EEENSJ_IJSG_SG_EEENS0_18inequality_wrapperI22is_equal_div_10_uniqueIdEEEPmJS6_EEE10hipError_tPvRmT3_T4_T5_T6_T7_T9_mT8_P12ihipStream_tbDpT10_ENKUlT_T0_E_clISt17integral_constantIbLb1EES1A_EEDaS15_S16_EUlS15_E_NS1_11comp_targetILNS1_3genE0ELNS1_11target_archE4294967295ELNS1_3gpuE0ELNS1_3repE0EEENS1_30default_config_static_selectorELNS0_4arch9wavefront6targetE1EEEvT1_.has_indirect_call, 0
	.section	.AMDGPU.csdata,"",@progbits
; Kernel info:
; codeLenInByte = 0
; TotalNumSgprs: 4
; NumVgprs: 0
; ScratchSize: 0
; MemoryBound: 0
; FloatMode: 240
; IeeeMode: 1
; LDSByteSize: 0 bytes/workgroup (compile time only)
; SGPRBlocks: 0
; VGPRBlocks: 0
; NumSGPRsForWavesPerEU: 4
; NumVGPRsForWavesPerEU: 1
; Occupancy: 10
; WaveLimiterHint : 0
; COMPUTE_PGM_RSRC2:SCRATCH_EN: 0
; COMPUTE_PGM_RSRC2:USER_SGPR: 6
; COMPUTE_PGM_RSRC2:TRAP_HANDLER: 0
; COMPUTE_PGM_RSRC2:TGID_X_EN: 1
; COMPUTE_PGM_RSRC2:TGID_Y_EN: 0
; COMPUTE_PGM_RSRC2:TGID_Z_EN: 0
; COMPUTE_PGM_RSRC2:TIDIG_COMP_CNT: 0
	.section	.text._ZN7rocprim17ROCPRIM_400000_NS6detail17trampoline_kernelINS0_14default_configENS1_25partition_config_selectorILNS1_17partition_subalgoE8EdNS0_10empty_typeEbEEZZNS1_14partition_implILS5_8ELb0ES3_jN6thrust23THRUST_200600_302600_NS6detail15normal_iteratorINSA_10device_ptrIdEEEEPS6_PKS6_NS0_5tupleIJSF_S6_EEENSJ_IJSG_SG_EEENS0_18inequality_wrapperI22is_equal_div_10_uniqueIdEEEPmJS6_EEE10hipError_tPvRmT3_T4_T5_T6_T7_T9_mT8_P12ihipStream_tbDpT10_ENKUlT_T0_E_clISt17integral_constantIbLb1EES1A_EEDaS15_S16_EUlS15_E_NS1_11comp_targetILNS1_3genE5ELNS1_11target_archE942ELNS1_3gpuE9ELNS1_3repE0EEENS1_30default_config_static_selectorELNS0_4arch9wavefront6targetE1EEEvT1_,"axG",@progbits,_ZN7rocprim17ROCPRIM_400000_NS6detail17trampoline_kernelINS0_14default_configENS1_25partition_config_selectorILNS1_17partition_subalgoE8EdNS0_10empty_typeEbEEZZNS1_14partition_implILS5_8ELb0ES3_jN6thrust23THRUST_200600_302600_NS6detail15normal_iteratorINSA_10device_ptrIdEEEEPS6_PKS6_NS0_5tupleIJSF_S6_EEENSJ_IJSG_SG_EEENS0_18inequality_wrapperI22is_equal_div_10_uniqueIdEEEPmJS6_EEE10hipError_tPvRmT3_T4_T5_T6_T7_T9_mT8_P12ihipStream_tbDpT10_ENKUlT_T0_E_clISt17integral_constantIbLb1EES1A_EEDaS15_S16_EUlS15_E_NS1_11comp_targetILNS1_3genE5ELNS1_11target_archE942ELNS1_3gpuE9ELNS1_3repE0EEENS1_30default_config_static_selectorELNS0_4arch9wavefront6targetE1EEEvT1_,comdat
	.protected	_ZN7rocprim17ROCPRIM_400000_NS6detail17trampoline_kernelINS0_14default_configENS1_25partition_config_selectorILNS1_17partition_subalgoE8EdNS0_10empty_typeEbEEZZNS1_14partition_implILS5_8ELb0ES3_jN6thrust23THRUST_200600_302600_NS6detail15normal_iteratorINSA_10device_ptrIdEEEEPS6_PKS6_NS0_5tupleIJSF_S6_EEENSJ_IJSG_SG_EEENS0_18inequality_wrapperI22is_equal_div_10_uniqueIdEEEPmJS6_EEE10hipError_tPvRmT3_T4_T5_T6_T7_T9_mT8_P12ihipStream_tbDpT10_ENKUlT_T0_E_clISt17integral_constantIbLb1EES1A_EEDaS15_S16_EUlS15_E_NS1_11comp_targetILNS1_3genE5ELNS1_11target_archE942ELNS1_3gpuE9ELNS1_3repE0EEENS1_30default_config_static_selectorELNS0_4arch9wavefront6targetE1EEEvT1_ ; -- Begin function _ZN7rocprim17ROCPRIM_400000_NS6detail17trampoline_kernelINS0_14default_configENS1_25partition_config_selectorILNS1_17partition_subalgoE8EdNS0_10empty_typeEbEEZZNS1_14partition_implILS5_8ELb0ES3_jN6thrust23THRUST_200600_302600_NS6detail15normal_iteratorINSA_10device_ptrIdEEEEPS6_PKS6_NS0_5tupleIJSF_S6_EEENSJ_IJSG_SG_EEENS0_18inequality_wrapperI22is_equal_div_10_uniqueIdEEEPmJS6_EEE10hipError_tPvRmT3_T4_T5_T6_T7_T9_mT8_P12ihipStream_tbDpT10_ENKUlT_T0_E_clISt17integral_constantIbLb1EES1A_EEDaS15_S16_EUlS15_E_NS1_11comp_targetILNS1_3genE5ELNS1_11target_archE942ELNS1_3gpuE9ELNS1_3repE0EEENS1_30default_config_static_selectorELNS0_4arch9wavefront6targetE1EEEvT1_
	.globl	_ZN7rocprim17ROCPRIM_400000_NS6detail17trampoline_kernelINS0_14default_configENS1_25partition_config_selectorILNS1_17partition_subalgoE8EdNS0_10empty_typeEbEEZZNS1_14partition_implILS5_8ELb0ES3_jN6thrust23THRUST_200600_302600_NS6detail15normal_iteratorINSA_10device_ptrIdEEEEPS6_PKS6_NS0_5tupleIJSF_S6_EEENSJ_IJSG_SG_EEENS0_18inequality_wrapperI22is_equal_div_10_uniqueIdEEEPmJS6_EEE10hipError_tPvRmT3_T4_T5_T6_T7_T9_mT8_P12ihipStream_tbDpT10_ENKUlT_T0_E_clISt17integral_constantIbLb1EES1A_EEDaS15_S16_EUlS15_E_NS1_11comp_targetILNS1_3genE5ELNS1_11target_archE942ELNS1_3gpuE9ELNS1_3repE0EEENS1_30default_config_static_selectorELNS0_4arch9wavefront6targetE1EEEvT1_
	.p2align	8
	.type	_ZN7rocprim17ROCPRIM_400000_NS6detail17trampoline_kernelINS0_14default_configENS1_25partition_config_selectorILNS1_17partition_subalgoE8EdNS0_10empty_typeEbEEZZNS1_14partition_implILS5_8ELb0ES3_jN6thrust23THRUST_200600_302600_NS6detail15normal_iteratorINSA_10device_ptrIdEEEEPS6_PKS6_NS0_5tupleIJSF_S6_EEENSJ_IJSG_SG_EEENS0_18inequality_wrapperI22is_equal_div_10_uniqueIdEEEPmJS6_EEE10hipError_tPvRmT3_T4_T5_T6_T7_T9_mT8_P12ihipStream_tbDpT10_ENKUlT_T0_E_clISt17integral_constantIbLb1EES1A_EEDaS15_S16_EUlS15_E_NS1_11comp_targetILNS1_3genE5ELNS1_11target_archE942ELNS1_3gpuE9ELNS1_3repE0EEENS1_30default_config_static_selectorELNS0_4arch9wavefront6targetE1EEEvT1_,@function
_ZN7rocprim17ROCPRIM_400000_NS6detail17trampoline_kernelINS0_14default_configENS1_25partition_config_selectorILNS1_17partition_subalgoE8EdNS0_10empty_typeEbEEZZNS1_14partition_implILS5_8ELb0ES3_jN6thrust23THRUST_200600_302600_NS6detail15normal_iteratorINSA_10device_ptrIdEEEEPS6_PKS6_NS0_5tupleIJSF_S6_EEENSJ_IJSG_SG_EEENS0_18inequality_wrapperI22is_equal_div_10_uniqueIdEEEPmJS6_EEE10hipError_tPvRmT3_T4_T5_T6_T7_T9_mT8_P12ihipStream_tbDpT10_ENKUlT_T0_E_clISt17integral_constantIbLb1EES1A_EEDaS15_S16_EUlS15_E_NS1_11comp_targetILNS1_3genE5ELNS1_11target_archE942ELNS1_3gpuE9ELNS1_3repE0EEENS1_30default_config_static_selectorELNS0_4arch9wavefront6targetE1EEEvT1_: ; @_ZN7rocprim17ROCPRIM_400000_NS6detail17trampoline_kernelINS0_14default_configENS1_25partition_config_selectorILNS1_17partition_subalgoE8EdNS0_10empty_typeEbEEZZNS1_14partition_implILS5_8ELb0ES3_jN6thrust23THRUST_200600_302600_NS6detail15normal_iteratorINSA_10device_ptrIdEEEEPS6_PKS6_NS0_5tupleIJSF_S6_EEENSJ_IJSG_SG_EEENS0_18inequality_wrapperI22is_equal_div_10_uniqueIdEEEPmJS6_EEE10hipError_tPvRmT3_T4_T5_T6_T7_T9_mT8_P12ihipStream_tbDpT10_ENKUlT_T0_E_clISt17integral_constantIbLb1EES1A_EEDaS15_S16_EUlS15_E_NS1_11comp_targetILNS1_3genE5ELNS1_11target_archE942ELNS1_3gpuE9ELNS1_3repE0EEENS1_30default_config_static_selectorELNS0_4arch9wavefront6targetE1EEEvT1_
; %bb.0:
	.section	.rodata,"a",@progbits
	.p2align	6, 0x0
	.amdhsa_kernel _ZN7rocprim17ROCPRIM_400000_NS6detail17trampoline_kernelINS0_14default_configENS1_25partition_config_selectorILNS1_17partition_subalgoE8EdNS0_10empty_typeEbEEZZNS1_14partition_implILS5_8ELb0ES3_jN6thrust23THRUST_200600_302600_NS6detail15normal_iteratorINSA_10device_ptrIdEEEEPS6_PKS6_NS0_5tupleIJSF_S6_EEENSJ_IJSG_SG_EEENS0_18inequality_wrapperI22is_equal_div_10_uniqueIdEEEPmJS6_EEE10hipError_tPvRmT3_T4_T5_T6_T7_T9_mT8_P12ihipStream_tbDpT10_ENKUlT_T0_E_clISt17integral_constantIbLb1EES1A_EEDaS15_S16_EUlS15_E_NS1_11comp_targetILNS1_3genE5ELNS1_11target_archE942ELNS1_3gpuE9ELNS1_3repE0EEENS1_30default_config_static_selectorELNS0_4arch9wavefront6targetE1EEEvT1_
		.amdhsa_group_segment_fixed_size 0
		.amdhsa_private_segment_fixed_size 0
		.amdhsa_kernarg_size 128
		.amdhsa_user_sgpr_count 6
		.amdhsa_user_sgpr_private_segment_buffer 1
		.amdhsa_user_sgpr_dispatch_ptr 0
		.amdhsa_user_sgpr_queue_ptr 0
		.amdhsa_user_sgpr_kernarg_segment_ptr 1
		.amdhsa_user_sgpr_dispatch_id 0
		.amdhsa_user_sgpr_flat_scratch_init 0
		.amdhsa_user_sgpr_private_segment_size 0
		.amdhsa_uses_dynamic_stack 0
		.amdhsa_system_sgpr_private_segment_wavefront_offset 0
		.amdhsa_system_sgpr_workgroup_id_x 1
		.amdhsa_system_sgpr_workgroup_id_y 0
		.amdhsa_system_sgpr_workgroup_id_z 0
		.amdhsa_system_sgpr_workgroup_info 0
		.amdhsa_system_vgpr_workitem_id 0
		.amdhsa_next_free_vgpr 1
		.amdhsa_next_free_sgpr 0
		.amdhsa_reserve_vcc 0
		.amdhsa_reserve_flat_scratch 0
		.amdhsa_float_round_mode_32 0
		.amdhsa_float_round_mode_16_64 0
		.amdhsa_float_denorm_mode_32 3
		.amdhsa_float_denorm_mode_16_64 3
		.amdhsa_dx10_clamp 1
		.amdhsa_ieee_mode 1
		.amdhsa_fp16_overflow 0
		.amdhsa_exception_fp_ieee_invalid_op 0
		.amdhsa_exception_fp_denorm_src 0
		.amdhsa_exception_fp_ieee_div_zero 0
		.amdhsa_exception_fp_ieee_overflow 0
		.amdhsa_exception_fp_ieee_underflow 0
		.amdhsa_exception_fp_ieee_inexact 0
		.amdhsa_exception_int_div_zero 0
	.end_amdhsa_kernel
	.section	.text._ZN7rocprim17ROCPRIM_400000_NS6detail17trampoline_kernelINS0_14default_configENS1_25partition_config_selectorILNS1_17partition_subalgoE8EdNS0_10empty_typeEbEEZZNS1_14partition_implILS5_8ELb0ES3_jN6thrust23THRUST_200600_302600_NS6detail15normal_iteratorINSA_10device_ptrIdEEEEPS6_PKS6_NS0_5tupleIJSF_S6_EEENSJ_IJSG_SG_EEENS0_18inequality_wrapperI22is_equal_div_10_uniqueIdEEEPmJS6_EEE10hipError_tPvRmT3_T4_T5_T6_T7_T9_mT8_P12ihipStream_tbDpT10_ENKUlT_T0_E_clISt17integral_constantIbLb1EES1A_EEDaS15_S16_EUlS15_E_NS1_11comp_targetILNS1_3genE5ELNS1_11target_archE942ELNS1_3gpuE9ELNS1_3repE0EEENS1_30default_config_static_selectorELNS0_4arch9wavefront6targetE1EEEvT1_,"axG",@progbits,_ZN7rocprim17ROCPRIM_400000_NS6detail17trampoline_kernelINS0_14default_configENS1_25partition_config_selectorILNS1_17partition_subalgoE8EdNS0_10empty_typeEbEEZZNS1_14partition_implILS5_8ELb0ES3_jN6thrust23THRUST_200600_302600_NS6detail15normal_iteratorINSA_10device_ptrIdEEEEPS6_PKS6_NS0_5tupleIJSF_S6_EEENSJ_IJSG_SG_EEENS0_18inequality_wrapperI22is_equal_div_10_uniqueIdEEEPmJS6_EEE10hipError_tPvRmT3_T4_T5_T6_T7_T9_mT8_P12ihipStream_tbDpT10_ENKUlT_T0_E_clISt17integral_constantIbLb1EES1A_EEDaS15_S16_EUlS15_E_NS1_11comp_targetILNS1_3genE5ELNS1_11target_archE942ELNS1_3gpuE9ELNS1_3repE0EEENS1_30default_config_static_selectorELNS0_4arch9wavefront6targetE1EEEvT1_,comdat
.Lfunc_end56:
	.size	_ZN7rocprim17ROCPRIM_400000_NS6detail17trampoline_kernelINS0_14default_configENS1_25partition_config_selectorILNS1_17partition_subalgoE8EdNS0_10empty_typeEbEEZZNS1_14partition_implILS5_8ELb0ES3_jN6thrust23THRUST_200600_302600_NS6detail15normal_iteratorINSA_10device_ptrIdEEEEPS6_PKS6_NS0_5tupleIJSF_S6_EEENSJ_IJSG_SG_EEENS0_18inequality_wrapperI22is_equal_div_10_uniqueIdEEEPmJS6_EEE10hipError_tPvRmT3_T4_T5_T6_T7_T9_mT8_P12ihipStream_tbDpT10_ENKUlT_T0_E_clISt17integral_constantIbLb1EES1A_EEDaS15_S16_EUlS15_E_NS1_11comp_targetILNS1_3genE5ELNS1_11target_archE942ELNS1_3gpuE9ELNS1_3repE0EEENS1_30default_config_static_selectorELNS0_4arch9wavefront6targetE1EEEvT1_, .Lfunc_end56-_ZN7rocprim17ROCPRIM_400000_NS6detail17trampoline_kernelINS0_14default_configENS1_25partition_config_selectorILNS1_17partition_subalgoE8EdNS0_10empty_typeEbEEZZNS1_14partition_implILS5_8ELb0ES3_jN6thrust23THRUST_200600_302600_NS6detail15normal_iteratorINSA_10device_ptrIdEEEEPS6_PKS6_NS0_5tupleIJSF_S6_EEENSJ_IJSG_SG_EEENS0_18inequality_wrapperI22is_equal_div_10_uniqueIdEEEPmJS6_EEE10hipError_tPvRmT3_T4_T5_T6_T7_T9_mT8_P12ihipStream_tbDpT10_ENKUlT_T0_E_clISt17integral_constantIbLb1EES1A_EEDaS15_S16_EUlS15_E_NS1_11comp_targetILNS1_3genE5ELNS1_11target_archE942ELNS1_3gpuE9ELNS1_3repE0EEENS1_30default_config_static_selectorELNS0_4arch9wavefront6targetE1EEEvT1_
                                        ; -- End function
	.set _ZN7rocprim17ROCPRIM_400000_NS6detail17trampoline_kernelINS0_14default_configENS1_25partition_config_selectorILNS1_17partition_subalgoE8EdNS0_10empty_typeEbEEZZNS1_14partition_implILS5_8ELb0ES3_jN6thrust23THRUST_200600_302600_NS6detail15normal_iteratorINSA_10device_ptrIdEEEEPS6_PKS6_NS0_5tupleIJSF_S6_EEENSJ_IJSG_SG_EEENS0_18inequality_wrapperI22is_equal_div_10_uniqueIdEEEPmJS6_EEE10hipError_tPvRmT3_T4_T5_T6_T7_T9_mT8_P12ihipStream_tbDpT10_ENKUlT_T0_E_clISt17integral_constantIbLb1EES1A_EEDaS15_S16_EUlS15_E_NS1_11comp_targetILNS1_3genE5ELNS1_11target_archE942ELNS1_3gpuE9ELNS1_3repE0EEENS1_30default_config_static_selectorELNS0_4arch9wavefront6targetE1EEEvT1_.num_vgpr, 0
	.set _ZN7rocprim17ROCPRIM_400000_NS6detail17trampoline_kernelINS0_14default_configENS1_25partition_config_selectorILNS1_17partition_subalgoE8EdNS0_10empty_typeEbEEZZNS1_14partition_implILS5_8ELb0ES3_jN6thrust23THRUST_200600_302600_NS6detail15normal_iteratorINSA_10device_ptrIdEEEEPS6_PKS6_NS0_5tupleIJSF_S6_EEENSJ_IJSG_SG_EEENS0_18inequality_wrapperI22is_equal_div_10_uniqueIdEEEPmJS6_EEE10hipError_tPvRmT3_T4_T5_T6_T7_T9_mT8_P12ihipStream_tbDpT10_ENKUlT_T0_E_clISt17integral_constantIbLb1EES1A_EEDaS15_S16_EUlS15_E_NS1_11comp_targetILNS1_3genE5ELNS1_11target_archE942ELNS1_3gpuE9ELNS1_3repE0EEENS1_30default_config_static_selectorELNS0_4arch9wavefront6targetE1EEEvT1_.num_agpr, 0
	.set _ZN7rocprim17ROCPRIM_400000_NS6detail17trampoline_kernelINS0_14default_configENS1_25partition_config_selectorILNS1_17partition_subalgoE8EdNS0_10empty_typeEbEEZZNS1_14partition_implILS5_8ELb0ES3_jN6thrust23THRUST_200600_302600_NS6detail15normal_iteratorINSA_10device_ptrIdEEEEPS6_PKS6_NS0_5tupleIJSF_S6_EEENSJ_IJSG_SG_EEENS0_18inequality_wrapperI22is_equal_div_10_uniqueIdEEEPmJS6_EEE10hipError_tPvRmT3_T4_T5_T6_T7_T9_mT8_P12ihipStream_tbDpT10_ENKUlT_T0_E_clISt17integral_constantIbLb1EES1A_EEDaS15_S16_EUlS15_E_NS1_11comp_targetILNS1_3genE5ELNS1_11target_archE942ELNS1_3gpuE9ELNS1_3repE0EEENS1_30default_config_static_selectorELNS0_4arch9wavefront6targetE1EEEvT1_.numbered_sgpr, 0
	.set _ZN7rocprim17ROCPRIM_400000_NS6detail17trampoline_kernelINS0_14default_configENS1_25partition_config_selectorILNS1_17partition_subalgoE8EdNS0_10empty_typeEbEEZZNS1_14partition_implILS5_8ELb0ES3_jN6thrust23THRUST_200600_302600_NS6detail15normal_iteratorINSA_10device_ptrIdEEEEPS6_PKS6_NS0_5tupleIJSF_S6_EEENSJ_IJSG_SG_EEENS0_18inequality_wrapperI22is_equal_div_10_uniqueIdEEEPmJS6_EEE10hipError_tPvRmT3_T4_T5_T6_T7_T9_mT8_P12ihipStream_tbDpT10_ENKUlT_T0_E_clISt17integral_constantIbLb1EES1A_EEDaS15_S16_EUlS15_E_NS1_11comp_targetILNS1_3genE5ELNS1_11target_archE942ELNS1_3gpuE9ELNS1_3repE0EEENS1_30default_config_static_selectorELNS0_4arch9wavefront6targetE1EEEvT1_.num_named_barrier, 0
	.set _ZN7rocprim17ROCPRIM_400000_NS6detail17trampoline_kernelINS0_14default_configENS1_25partition_config_selectorILNS1_17partition_subalgoE8EdNS0_10empty_typeEbEEZZNS1_14partition_implILS5_8ELb0ES3_jN6thrust23THRUST_200600_302600_NS6detail15normal_iteratorINSA_10device_ptrIdEEEEPS6_PKS6_NS0_5tupleIJSF_S6_EEENSJ_IJSG_SG_EEENS0_18inequality_wrapperI22is_equal_div_10_uniqueIdEEEPmJS6_EEE10hipError_tPvRmT3_T4_T5_T6_T7_T9_mT8_P12ihipStream_tbDpT10_ENKUlT_T0_E_clISt17integral_constantIbLb1EES1A_EEDaS15_S16_EUlS15_E_NS1_11comp_targetILNS1_3genE5ELNS1_11target_archE942ELNS1_3gpuE9ELNS1_3repE0EEENS1_30default_config_static_selectorELNS0_4arch9wavefront6targetE1EEEvT1_.private_seg_size, 0
	.set _ZN7rocprim17ROCPRIM_400000_NS6detail17trampoline_kernelINS0_14default_configENS1_25partition_config_selectorILNS1_17partition_subalgoE8EdNS0_10empty_typeEbEEZZNS1_14partition_implILS5_8ELb0ES3_jN6thrust23THRUST_200600_302600_NS6detail15normal_iteratorINSA_10device_ptrIdEEEEPS6_PKS6_NS0_5tupleIJSF_S6_EEENSJ_IJSG_SG_EEENS0_18inequality_wrapperI22is_equal_div_10_uniqueIdEEEPmJS6_EEE10hipError_tPvRmT3_T4_T5_T6_T7_T9_mT8_P12ihipStream_tbDpT10_ENKUlT_T0_E_clISt17integral_constantIbLb1EES1A_EEDaS15_S16_EUlS15_E_NS1_11comp_targetILNS1_3genE5ELNS1_11target_archE942ELNS1_3gpuE9ELNS1_3repE0EEENS1_30default_config_static_selectorELNS0_4arch9wavefront6targetE1EEEvT1_.uses_vcc, 0
	.set _ZN7rocprim17ROCPRIM_400000_NS6detail17trampoline_kernelINS0_14default_configENS1_25partition_config_selectorILNS1_17partition_subalgoE8EdNS0_10empty_typeEbEEZZNS1_14partition_implILS5_8ELb0ES3_jN6thrust23THRUST_200600_302600_NS6detail15normal_iteratorINSA_10device_ptrIdEEEEPS6_PKS6_NS0_5tupleIJSF_S6_EEENSJ_IJSG_SG_EEENS0_18inequality_wrapperI22is_equal_div_10_uniqueIdEEEPmJS6_EEE10hipError_tPvRmT3_T4_T5_T6_T7_T9_mT8_P12ihipStream_tbDpT10_ENKUlT_T0_E_clISt17integral_constantIbLb1EES1A_EEDaS15_S16_EUlS15_E_NS1_11comp_targetILNS1_3genE5ELNS1_11target_archE942ELNS1_3gpuE9ELNS1_3repE0EEENS1_30default_config_static_selectorELNS0_4arch9wavefront6targetE1EEEvT1_.uses_flat_scratch, 0
	.set _ZN7rocprim17ROCPRIM_400000_NS6detail17trampoline_kernelINS0_14default_configENS1_25partition_config_selectorILNS1_17partition_subalgoE8EdNS0_10empty_typeEbEEZZNS1_14partition_implILS5_8ELb0ES3_jN6thrust23THRUST_200600_302600_NS6detail15normal_iteratorINSA_10device_ptrIdEEEEPS6_PKS6_NS0_5tupleIJSF_S6_EEENSJ_IJSG_SG_EEENS0_18inequality_wrapperI22is_equal_div_10_uniqueIdEEEPmJS6_EEE10hipError_tPvRmT3_T4_T5_T6_T7_T9_mT8_P12ihipStream_tbDpT10_ENKUlT_T0_E_clISt17integral_constantIbLb1EES1A_EEDaS15_S16_EUlS15_E_NS1_11comp_targetILNS1_3genE5ELNS1_11target_archE942ELNS1_3gpuE9ELNS1_3repE0EEENS1_30default_config_static_selectorELNS0_4arch9wavefront6targetE1EEEvT1_.has_dyn_sized_stack, 0
	.set _ZN7rocprim17ROCPRIM_400000_NS6detail17trampoline_kernelINS0_14default_configENS1_25partition_config_selectorILNS1_17partition_subalgoE8EdNS0_10empty_typeEbEEZZNS1_14partition_implILS5_8ELb0ES3_jN6thrust23THRUST_200600_302600_NS6detail15normal_iteratorINSA_10device_ptrIdEEEEPS6_PKS6_NS0_5tupleIJSF_S6_EEENSJ_IJSG_SG_EEENS0_18inequality_wrapperI22is_equal_div_10_uniqueIdEEEPmJS6_EEE10hipError_tPvRmT3_T4_T5_T6_T7_T9_mT8_P12ihipStream_tbDpT10_ENKUlT_T0_E_clISt17integral_constantIbLb1EES1A_EEDaS15_S16_EUlS15_E_NS1_11comp_targetILNS1_3genE5ELNS1_11target_archE942ELNS1_3gpuE9ELNS1_3repE0EEENS1_30default_config_static_selectorELNS0_4arch9wavefront6targetE1EEEvT1_.has_recursion, 0
	.set _ZN7rocprim17ROCPRIM_400000_NS6detail17trampoline_kernelINS0_14default_configENS1_25partition_config_selectorILNS1_17partition_subalgoE8EdNS0_10empty_typeEbEEZZNS1_14partition_implILS5_8ELb0ES3_jN6thrust23THRUST_200600_302600_NS6detail15normal_iteratorINSA_10device_ptrIdEEEEPS6_PKS6_NS0_5tupleIJSF_S6_EEENSJ_IJSG_SG_EEENS0_18inequality_wrapperI22is_equal_div_10_uniqueIdEEEPmJS6_EEE10hipError_tPvRmT3_T4_T5_T6_T7_T9_mT8_P12ihipStream_tbDpT10_ENKUlT_T0_E_clISt17integral_constantIbLb1EES1A_EEDaS15_S16_EUlS15_E_NS1_11comp_targetILNS1_3genE5ELNS1_11target_archE942ELNS1_3gpuE9ELNS1_3repE0EEENS1_30default_config_static_selectorELNS0_4arch9wavefront6targetE1EEEvT1_.has_indirect_call, 0
	.section	.AMDGPU.csdata,"",@progbits
; Kernel info:
; codeLenInByte = 0
; TotalNumSgprs: 4
; NumVgprs: 0
; ScratchSize: 0
; MemoryBound: 0
; FloatMode: 240
; IeeeMode: 1
; LDSByteSize: 0 bytes/workgroup (compile time only)
; SGPRBlocks: 0
; VGPRBlocks: 0
; NumSGPRsForWavesPerEU: 4
; NumVGPRsForWavesPerEU: 1
; Occupancy: 10
; WaveLimiterHint : 0
; COMPUTE_PGM_RSRC2:SCRATCH_EN: 0
; COMPUTE_PGM_RSRC2:USER_SGPR: 6
; COMPUTE_PGM_RSRC2:TRAP_HANDLER: 0
; COMPUTE_PGM_RSRC2:TGID_X_EN: 1
; COMPUTE_PGM_RSRC2:TGID_Y_EN: 0
; COMPUTE_PGM_RSRC2:TGID_Z_EN: 0
; COMPUTE_PGM_RSRC2:TIDIG_COMP_CNT: 0
	.section	.text._ZN7rocprim17ROCPRIM_400000_NS6detail17trampoline_kernelINS0_14default_configENS1_25partition_config_selectorILNS1_17partition_subalgoE8EdNS0_10empty_typeEbEEZZNS1_14partition_implILS5_8ELb0ES3_jN6thrust23THRUST_200600_302600_NS6detail15normal_iteratorINSA_10device_ptrIdEEEEPS6_PKS6_NS0_5tupleIJSF_S6_EEENSJ_IJSG_SG_EEENS0_18inequality_wrapperI22is_equal_div_10_uniqueIdEEEPmJS6_EEE10hipError_tPvRmT3_T4_T5_T6_T7_T9_mT8_P12ihipStream_tbDpT10_ENKUlT_T0_E_clISt17integral_constantIbLb1EES1A_EEDaS15_S16_EUlS15_E_NS1_11comp_targetILNS1_3genE4ELNS1_11target_archE910ELNS1_3gpuE8ELNS1_3repE0EEENS1_30default_config_static_selectorELNS0_4arch9wavefront6targetE1EEEvT1_,"axG",@progbits,_ZN7rocprim17ROCPRIM_400000_NS6detail17trampoline_kernelINS0_14default_configENS1_25partition_config_selectorILNS1_17partition_subalgoE8EdNS0_10empty_typeEbEEZZNS1_14partition_implILS5_8ELb0ES3_jN6thrust23THRUST_200600_302600_NS6detail15normal_iteratorINSA_10device_ptrIdEEEEPS6_PKS6_NS0_5tupleIJSF_S6_EEENSJ_IJSG_SG_EEENS0_18inequality_wrapperI22is_equal_div_10_uniqueIdEEEPmJS6_EEE10hipError_tPvRmT3_T4_T5_T6_T7_T9_mT8_P12ihipStream_tbDpT10_ENKUlT_T0_E_clISt17integral_constantIbLb1EES1A_EEDaS15_S16_EUlS15_E_NS1_11comp_targetILNS1_3genE4ELNS1_11target_archE910ELNS1_3gpuE8ELNS1_3repE0EEENS1_30default_config_static_selectorELNS0_4arch9wavefront6targetE1EEEvT1_,comdat
	.protected	_ZN7rocprim17ROCPRIM_400000_NS6detail17trampoline_kernelINS0_14default_configENS1_25partition_config_selectorILNS1_17partition_subalgoE8EdNS0_10empty_typeEbEEZZNS1_14partition_implILS5_8ELb0ES3_jN6thrust23THRUST_200600_302600_NS6detail15normal_iteratorINSA_10device_ptrIdEEEEPS6_PKS6_NS0_5tupleIJSF_S6_EEENSJ_IJSG_SG_EEENS0_18inequality_wrapperI22is_equal_div_10_uniqueIdEEEPmJS6_EEE10hipError_tPvRmT3_T4_T5_T6_T7_T9_mT8_P12ihipStream_tbDpT10_ENKUlT_T0_E_clISt17integral_constantIbLb1EES1A_EEDaS15_S16_EUlS15_E_NS1_11comp_targetILNS1_3genE4ELNS1_11target_archE910ELNS1_3gpuE8ELNS1_3repE0EEENS1_30default_config_static_selectorELNS0_4arch9wavefront6targetE1EEEvT1_ ; -- Begin function _ZN7rocprim17ROCPRIM_400000_NS6detail17trampoline_kernelINS0_14default_configENS1_25partition_config_selectorILNS1_17partition_subalgoE8EdNS0_10empty_typeEbEEZZNS1_14partition_implILS5_8ELb0ES3_jN6thrust23THRUST_200600_302600_NS6detail15normal_iteratorINSA_10device_ptrIdEEEEPS6_PKS6_NS0_5tupleIJSF_S6_EEENSJ_IJSG_SG_EEENS0_18inequality_wrapperI22is_equal_div_10_uniqueIdEEEPmJS6_EEE10hipError_tPvRmT3_T4_T5_T6_T7_T9_mT8_P12ihipStream_tbDpT10_ENKUlT_T0_E_clISt17integral_constantIbLb1EES1A_EEDaS15_S16_EUlS15_E_NS1_11comp_targetILNS1_3genE4ELNS1_11target_archE910ELNS1_3gpuE8ELNS1_3repE0EEENS1_30default_config_static_selectorELNS0_4arch9wavefront6targetE1EEEvT1_
	.globl	_ZN7rocprim17ROCPRIM_400000_NS6detail17trampoline_kernelINS0_14default_configENS1_25partition_config_selectorILNS1_17partition_subalgoE8EdNS0_10empty_typeEbEEZZNS1_14partition_implILS5_8ELb0ES3_jN6thrust23THRUST_200600_302600_NS6detail15normal_iteratorINSA_10device_ptrIdEEEEPS6_PKS6_NS0_5tupleIJSF_S6_EEENSJ_IJSG_SG_EEENS0_18inequality_wrapperI22is_equal_div_10_uniqueIdEEEPmJS6_EEE10hipError_tPvRmT3_T4_T5_T6_T7_T9_mT8_P12ihipStream_tbDpT10_ENKUlT_T0_E_clISt17integral_constantIbLb1EES1A_EEDaS15_S16_EUlS15_E_NS1_11comp_targetILNS1_3genE4ELNS1_11target_archE910ELNS1_3gpuE8ELNS1_3repE0EEENS1_30default_config_static_selectorELNS0_4arch9wavefront6targetE1EEEvT1_
	.p2align	8
	.type	_ZN7rocprim17ROCPRIM_400000_NS6detail17trampoline_kernelINS0_14default_configENS1_25partition_config_selectorILNS1_17partition_subalgoE8EdNS0_10empty_typeEbEEZZNS1_14partition_implILS5_8ELb0ES3_jN6thrust23THRUST_200600_302600_NS6detail15normal_iteratorINSA_10device_ptrIdEEEEPS6_PKS6_NS0_5tupleIJSF_S6_EEENSJ_IJSG_SG_EEENS0_18inequality_wrapperI22is_equal_div_10_uniqueIdEEEPmJS6_EEE10hipError_tPvRmT3_T4_T5_T6_T7_T9_mT8_P12ihipStream_tbDpT10_ENKUlT_T0_E_clISt17integral_constantIbLb1EES1A_EEDaS15_S16_EUlS15_E_NS1_11comp_targetILNS1_3genE4ELNS1_11target_archE910ELNS1_3gpuE8ELNS1_3repE0EEENS1_30default_config_static_selectorELNS0_4arch9wavefront6targetE1EEEvT1_,@function
_ZN7rocprim17ROCPRIM_400000_NS6detail17trampoline_kernelINS0_14default_configENS1_25partition_config_selectorILNS1_17partition_subalgoE8EdNS0_10empty_typeEbEEZZNS1_14partition_implILS5_8ELb0ES3_jN6thrust23THRUST_200600_302600_NS6detail15normal_iteratorINSA_10device_ptrIdEEEEPS6_PKS6_NS0_5tupleIJSF_S6_EEENSJ_IJSG_SG_EEENS0_18inequality_wrapperI22is_equal_div_10_uniqueIdEEEPmJS6_EEE10hipError_tPvRmT3_T4_T5_T6_T7_T9_mT8_P12ihipStream_tbDpT10_ENKUlT_T0_E_clISt17integral_constantIbLb1EES1A_EEDaS15_S16_EUlS15_E_NS1_11comp_targetILNS1_3genE4ELNS1_11target_archE910ELNS1_3gpuE8ELNS1_3repE0EEENS1_30default_config_static_selectorELNS0_4arch9wavefront6targetE1EEEvT1_: ; @_ZN7rocprim17ROCPRIM_400000_NS6detail17trampoline_kernelINS0_14default_configENS1_25partition_config_selectorILNS1_17partition_subalgoE8EdNS0_10empty_typeEbEEZZNS1_14partition_implILS5_8ELb0ES3_jN6thrust23THRUST_200600_302600_NS6detail15normal_iteratorINSA_10device_ptrIdEEEEPS6_PKS6_NS0_5tupleIJSF_S6_EEENSJ_IJSG_SG_EEENS0_18inequality_wrapperI22is_equal_div_10_uniqueIdEEEPmJS6_EEE10hipError_tPvRmT3_T4_T5_T6_T7_T9_mT8_P12ihipStream_tbDpT10_ENKUlT_T0_E_clISt17integral_constantIbLb1EES1A_EEDaS15_S16_EUlS15_E_NS1_11comp_targetILNS1_3genE4ELNS1_11target_archE910ELNS1_3gpuE8ELNS1_3repE0EEENS1_30default_config_static_selectorELNS0_4arch9wavefront6targetE1EEEvT1_
; %bb.0:
	.section	.rodata,"a",@progbits
	.p2align	6, 0x0
	.amdhsa_kernel _ZN7rocprim17ROCPRIM_400000_NS6detail17trampoline_kernelINS0_14default_configENS1_25partition_config_selectorILNS1_17partition_subalgoE8EdNS0_10empty_typeEbEEZZNS1_14partition_implILS5_8ELb0ES3_jN6thrust23THRUST_200600_302600_NS6detail15normal_iteratorINSA_10device_ptrIdEEEEPS6_PKS6_NS0_5tupleIJSF_S6_EEENSJ_IJSG_SG_EEENS0_18inequality_wrapperI22is_equal_div_10_uniqueIdEEEPmJS6_EEE10hipError_tPvRmT3_T4_T5_T6_T7_T9_mT8_P12ihipStream_tbDpT10_ENKUlT_T0_E_clISt17integral_constantIbLb1EES1A_EEDaS15_S16_EUlS15_E_NS1_11comp_targetILNS1_3genE4ELNS1_11target_archE910ELNS1_3gpuE8ELNS1_3repE0EEENS1_30default_config_static_selectorELNS0_4arch9wavefront6targetE1EEEvT1_
		.amdhsa_group_segment_fixed_size 0
		.amdhsa_private_segment_fixed_size 0
		.amdhsa_kernarg_size 128
		.amdhsa_user_sgpr_count 6
		.amdhsa_user_sgpr_private_segment_buffer 1
		.amdhsa_user_sgpr_dispatch_ptr 0
		.amdhsa_user_sgpr_queue_ptr 0
		.amdhsa_user_sgpr_kernarg_segment_ptr 1
		.amdhsa_user_sgpr_dispatch_id 0
		.amdhsa_user_sgpr_flat_scratch_init 0
		.amdhsa_user_sgpr_private_segment_size 0
		.amdhsa_uses_dynamic_stack 0
		.amdhsa_system_sgpr_private_segment_wavefront_offset 0
		.amdhsa_system_sgpr_workgroup_id_x 1
		.amdhsa_system_sgpr_workgroup_id_y 0
		.amdhsa_system_sgpr_workgroup_id_z 0
		.amdhsa_system_sgpr_workgroup_info 0
		.amdhsa_system_vgpr_workitem_id 0
		.amdhsa_next_free_vgpr 1
		.amdhsa_next_free_sgpr 0
		.amdhsa_reserve_vcc 0
		.amdhsa_reserve_flat_scratch 0
		.amdhsa_float_round_mode_32 0
		.amdhsa_float_round_mode_16_64 0
		.amdhsa_float_denorm_mode_32 3
		.amdhsa_float_denorm_mode_16_64 3
		.amdhsa_dx10_clamp 1
		.amdhsa_ieee_mode 1
		.amdhsa_fp16_overflow 0
		.amdhsa_exception_fp_ieee_invalid_op 0
		.amdhsa_exception_fp_denorm_src 0
		.amdhsa_exception_fp_ieee_div_zero 0
		.amdhsa_exception_fp_ieee_overflow 0
		.amdhsa_exception_fp_ieee_underflow 0
		.amdhsa_exception_fp_ieee_inexact 0
		.amdhsa_exception_int_div_zero 0
	.end_amdhsa_kernel
	.section	.text._ZN7rocprim17ROCPRIM_400000_NS6detail17trampoline_kernelINS0_14default_configENS1_25partition_config_selectorILNS1_17partition_subalgoE8EdNS0_10empty_typeEbEEZZNS1_14partition_implILS5_8ELb0ES3_jN6thrust23THRUST_200600_302600_NS6detail15normal_iteratorINSA_10device_ptrIdEEEEPS6_PKS6_NS0_5tupleIJSF_S6_EEENSJ_IJSG_SG_EEENS0_18inequality_wrapperI22is_equal_div_10_uniqueIdEEEPmJS6_EEE10hipError_tPvRmT3_T4_T5_T6_T7_T9_mT8_P12ihipStream_tbDpT10_ENKUlT_T0_E_clISt17integral_constantIbLb1EES1A_EEDaS15_S16_EUlS15_E_NS1_11comp_targetILNS1_3genE4ELNS1_11target_archE910ELNS1_3gpuE8ELNS1_3repE0EEENS1_30default_config_static_selectorELNS0_4arch9wavefront6targetE1EEEvT1_,"axG",@progbits,_ZN7rocprim17ROCPRIM_400000_NS6detail17trampoline_kernelINS0_14default_configENS1_25partition_config_selectorILNS1_17partition_subalgoE8EdNS0_10empty_typeEbEEZZNS1_14partition_implILS5_8ELb0ES3_jN6thrust23THRUST_200600_302600_NS6detail15normal_iteratorINSA_10device_ptrIdEEEEPS6_PKS6_NS0_5tupleIJSF_S6_EEENSJ_IJSG_SG_EEENS0_18inequality_wrapperI22is_equal_div_10_uniqueIdEEEPmJS6_EEE10hipError_tPvRmT3_T4_T5_T6_T7_T9_mT8_P12ihipStream_tbDpT10_ENKUlT_T0_E_clISt17integral_constantIbLb1EES1A_EEDaS15_S16_EUlS15_E_NS1_11comp_targetILNS1_3genE4ELNS1_11target_archE910ELNS1_3gpuE8ELNS1_3repE0EEENS1_30default_config_static_selectorELNS0_4arch9wavefront6targetE1EEEvT1_,comdat
.Lfunc_end57:
	.size	_ZN7rocprim17ROCPRIM_400000_NS6detail17trampoline_kernelINS0_14default_configENS1_25partition_config_selectorILNS1_17partition_subalgoE8EdNS0_10empty_typeEbEEZZNS1_14partition_implILS5_8ELb0ES3_jN6thrust23THRUST_200600_302600_NS6detail15normal_iteratorINSA_10device_ptrIdEEEEPS6_PKS6_NS0_5tupleIJSF_S6_EEENSJ_IJSG_SG_EEENS0_18inequality_wrapperI22is_equal_div_10_uniqueIdEEEPmJS6_EEE10hipError_tPvRmT3_T4_T5_T6_T7_T9_mT8_P12ihipStream_tbDpT10_ENKUlT_T0_E_clISt17integral_constantIbLb1EES1A_EEDaS15_S16_EUlS15_E_NS1_11comp_targetILNS1_3genE4ELNS1_11target_archE910ELNS1_3gpuE8ELNS1_3repE0EEENS1_30default_config_static_selectorELNS0_4arch9wavefront6targetE1EEEvT1_, .Lfunc_end57-_ZN7rocprim17ROCPRIM_400000_NS6detail17trampoline_kernelINS0_14default_configENS1_25partition_config_selectorILNS1_17partition_subalgoE8EdNS0_10empty_typeEbEEZZNS1_14partition_implILS5_8ELb0ES3_jN6thrust23THRUST_200600_302600_NS6detail15normal_iteratorINSA_10device_ptrIdEEEEPS6_PKS6_NS0_5tupleIJSF_S6_EEENSJ_IJSG_SG_EEENS0_18inequality_wrapperI22is_equal_div_10_uniqueIdEEEPmJS6_EEE10hipError_tPvRmT3_T4_T5_T6_T7_T9_mT8_P12ihipStream_tbDpT10_ENKUlT_T0_E_clISt17integral_constantIbLb1EES1A_EEDaS15_S16_EUlS15_E_NS1_11comp_targetILNS1_3genE4ELNS1_11target_archE910ELNS1_3gpuE8ELNS1_3repE0EEENS1_30default_config_static_selectorELNS0_4arch9wavefront6targetE1EEEvT1_
                                        ; -- End function
	.set _ZN7rocprim17ROCPRIM_400000_NS6detail17trampoline_kernelINS0_14default_configENS1_25partition_config_selectorILNS1_17partition_subalgoE8EdNS0_10empty_typeEbEEZZNS1_14partition_implILS5_8ELb0ES3_jN6thrust23THRUST_200600_302600_NS6detail15normal_iteratorINSA_10device_ptrIdEEEEPS6_PKS6_NS0_5tupleIJSF_S6_EEENSJ_IJSG_SG_EEENS0_18inequality_wrapperI22is_equal_div_10_uniqueIdEEEPmJS6_EEE10hipError_tPvRmT3_T4_T5_T6_T7_T9_mT8_P12ihipStream_tbDpT10_ENKUlT_T0_E_clISt17integral_constantIbLb1EES1A_EEDaS15_S16_EUlS15_E_NS1_11comp_targetILNS1_3genE4ELNS1_11target_archE910ELNS1_3gpuE8ELNS1_3repE0EEENS1_30default_config_static_selectorELNS0_4arch9wavefront6targetE1EEEvT1_.num_vgpr, 0
	.set _ZN7rocprim17ROCPRIM_400000_NS6detail17trampoline_kernelINS0_14default_configENS1_25partition_config_selectorILNS1_17partition_subalgoE8EdNS0_10empty_typeEbEEZZNS1_14partition_implILS5_8ELb0ES3_jN6thrust23THRUST_200600_302600_NS6detail15normal_iteratorINSA_10device_ptrIdEEEEPS6_PKS6_NS0_5tupleIJSF_S6_EEENSJ_IJSG_SG_EEENS0_18inequality_wrapperI22is_equal_div_10_uniqueIdEEEPmJS6_EEE10hipError_tPvRmT3_T4_T5_T6_T7_T9_mT8_P12ihipStream_tbDpT10_ENKUlT_T0_E_clISt17integral_constantIbLb1EES1A_EEDaS15_S16_EUlS15_E_NS1_11comp_targetILNS1_3genE4ELNS1_11target_archE910ELNS1_3gpuE8ELNS1_3repE0EEENS1_30default_config_static_selectorELNS0_4arch9wavefront6targetE1EEEvT1_.num_agpr, 0
	.set _ZN7rocprim17ROCPRIM_400000_NS6detail17trampoline_kernelINS0_14default_configENS1_25partition_config_selectorILNS1_17partition_subalgoE8EdNS0_10empty_typeEbEEZZNS1_14partition_implILS5_8ELb0ES3_jN6thrust23THRUST_200600_302600_NS6detail15normal_iteratorINSA_10device_ptrIdEEEEPS6_PKS6_NS0_5tupleIJSF_S6_EEENSJ_IJSG_SG_EEENS0_18inequality_wrapperI22is_equal_div_10_uniqueIdEEEPmJS6_EEE10hipError_tPvRmT3_T4_T5_T6_T7_T9_mT8_P12ihipStream_tbDpT10_ENKUlT_T0_E_clISt17integral_constantIbLb1EES1A_EEDaS15_S16_EUlS15_E_NS1_11comp_targetILNS1_3genE4ELNS1_11target_archE910ELNS1_3gpuE8ELNS1_3repE0EEENS1_30default_config_static_selectorELNS0_4arch9wavefront6targetE1EEEvT1_.numbered_sgpr, 0
	.set _ZN7rocprim17ROCPRIM_400000_NS6detail17trampoline_kernelINS0_14default_configENS1_25partition_config_selectorILNS1_17partition_subalgoE8EdNS0_10empty_typeEbEEZZNS1_14partition_implILS5_8ELb0ES3_jN6thrust23THRUST_200600_302600_NS6detail15normal_iteratorINSA_10device_ptrIdEEEEPS6_PKS6_NS0_5tupleIJSF_S6_EEENSJ_IJSG_SG_EEENS0_18inequality_wrapperI22is_equal_div_10_uniqueIdEEEPmJS6_EEE10hipError_tPvRmT3_T4_T5_T6_T7_T9_mT8_P12ihipStream_tbDpT10_ENKUlT_T0_E_clISt17integral_constantIbLb1EES1A_EEDaS15_S16_EUlS15_E_NS1_11comp_targetILNS1_3genE4ELNS1_11target_archE910ELNS1_3gpuE8ELNS1_3repE0EEENS1_30default_config_static_selectorELNS0_4arch9wavefront6targetE1EEEvT1_.num_named_barrier, 0
	.set _ZN7rocprim17ROCPRIM_400000_NS6detail17trampoline_kernelINS0_14default_configENS1_25partition_config_selectorILNS1_17partition_subalgoE8EdNS0_10empty_typeEbEEZZNS1_14partition_implILS5_8ELb0ES3_jN6thrust23THRUST_200600_302600_NS6detail15normal_iteratorINSA_10device_ptrIdEEEEPS6_PKS6_NS0_5tupleIJSF_S6_EEENSJ_IJSG_SG_EEENS0_18inequality_wrapperI22is_equal_div_10_uniqueIdEEEPmJS6_EEE10hipError_tPvRmT3_T4_T5_T6_T7_T9_mT8_P12ihipStream_tbDpT10_ENKUlT_T0_E_clISt17integral_constantIbLb1EES1A_EEDaS15_S16_EUlS15_E_NS1_11comp_targetILNS1_3genE4ELNS1_11target_archE910ELNS1_3gpuE8ELNS1_3repE0EEENS1_30default_config_static_selectorELNS0_4arch9wavefront6targetE1EEEvT1_.private_seg_size, 0
	.set _ZN7rocprim17ROCPRIM_400000_NS6detail17trampoline_kernelINS0_14default_configENS1_25partition_config_selectorILNS1_17partition_subalgoE8EdNS0_10empty_typeEbEEZZNS1_14partition_implILS5_8ELb0ES3_jN6thrust23THRUST_200600_302600_NS6detail15normal_iteratorINSA_10device_ptrIdEEEEPS6_PKS6_NS0_5tupleIJSF_S6_EEENSJ_IJSG_SG_EEENS0_18inequality_wrapperI22is_equal_div_10_uniqueIdEEEPmJS6_EEE10hipError_tPvRmT3_T4_T5_T6_T7_T9_mT8_P12ihipStream_tbDpT10_ENKUlT_T0_E_clISt17integral_constantIbLb1EES1A_EEDaS15_S16_EUlS15_E_NS1_11comp_targetILNS1_3genE4ELNS1_11target_archE910ELNS1_3gpuE8ELNS1_3repE0EEENS1_30default_config_static_selectorELNS0_4arch9wavefront6targetE1EEEvT1_.uses_vcc, 0
	.set _ZN7rocprim17ROCPRIM_400000_NS6detail17trampoline_kernelINS0_14default_configENS1_25partition_config_selectorILNS1_17partition_subalgoE8EdNS0_10empty_typeEbEEZZNS1_14partition_implILS5_8ELb0ES3_jN6thrust23THRUST_200600_302600_NS6detail15normal_iteratorINSA_10device_ptrIdEEEEPS6_PKS6_NS0_5tupleIJSF_S6_EEENSJ_IJSG_SG_EEENS0_18inequality_wrapperI22is_equal_div_10_uniqueIdEEEPmJS6_EEE10hipError_tPvRmT3_T4_T5_T6_T7_T9_mT8_P12ihipStream_tbDpT10_ENKUlT_T0_E_clISt17integral_constantIbLb1EES1A_EEDaS15_S16_EUlS15_E_NS1_11comp_targetILNS1_3genE4ELNS1_11target_archE910ELNS1_3gpuE8ELNS1_3repE0EEENS1_30default_config_static_selectorELNS0_4arch9wavefront6targetE1EEEvT1_.uses_flat_scratch, 0
	.set _ZN7rocprim17ROCPRIM_400000_NS6detail17trampoline_kernelINS0_14default_configENS1_25partition_config_selectorILNS1_17partition_subalgoE8EdNS0_10empty_typeEbEEZZNS1_14partition_implILS5_8ELb0ES3_jN6thrust23THRUST_200600_302600_NS6detail15normal_iteratorINSA_10device_ptrIdEEEEPS6_PKS6_NS0_5tupleIJSF_S6_EEENSJ_IJSG_SG_EEENS0_18inequality_wrapperI22is_equal_div_10_uniqueIdEEEPmJS6_EEE10hipError_tPvRmT3_T4_T5_T6_T7_T9_mT8_P12ihipStream_tbDpT10_ENKUlT_T0_E_clISt17integral_constantIbLb1EES1A_EEDaS15_S16_EUlS15_E_NS1_11comp_targetILNS1_3genE4ELNS1_11target_archE910ELNS1_3gpuE8ELNS1_3repE0EEENS1_30default_config_static_selectorELNS0_4arch9wavefront6targetE1EEEvT1_.has_dyn_sized_stack, 0
	.set _ZN7rocprim17ROCPRIM_400000_NS6detail17trampoline_kernelINS0_14default_configENS1_25partition_config_selectorILNS1_17partition_subalgoE8EdNS0_10empty_typeEbEEZZNS1_14partition_implILS5_8ELb0ES3_jN6thrust23THRUST_200600_302600_NS6detail15normal_iteratorINSA_10device_ptrIdEEEEPS6_PKS6_NS0_5tupleIJSF_S6_EEENSJ_IJSG_SG_EEENS0_18inequality_wrapperI22is_equal_div_10_uniqueIdEEEPmJS6_EEE10hipError_tPvRmT3_T4_T5_T6_T7_T9_mT8_P12ihipStream_tbDpT10_ENKUlT_T0_E_clISt17integral_constantIbLb1EES1A_EEDaS15_S16_EUlS15_E_NS1_11comp_targetILNS1_3genE4ELNS1_11target_archE910ELNS1_3gpuE8ELNS1_3repE0EEENS1_30default_config_static_selectorELNS0_4arch9wavefront6targetE1EEEvT1_.has_recursion, 0
	.set _ZN7rocprim17ROCPRIM_400000_NS6detail17trampoline_kernelINS0_14default_configENS1_25partition_config_selectorILNS1_17partition_subalgoE8EdNS0_10empty_typeEbEEZZNS1_14partition_implILS5_8ELb0ES3_jN6thrust23THRUST_200600_302600_NS6detail15normal_iteratorINSA_10device_ptrIdEEEEPS6_PKS6_NS0_5tupleIJSF_S6_EEENSJ_IJSG_SG_EEENS0_18inequality_wrapperI22is_equal_div_10_uniqueIdEEEPmJS6_EEE10hipError_tPvRmT3_T4_T5_T6_T7_T9_mT8_P12ihipStream_tbDpT10_ENKUlT_T0_E_clISt17integral_constantIbLb1EES1A_EEDaS15_S16_EUlS15_E_NS1_11comp_targetILNS1_3genE4ELNS1_11target_archE910ELNS1_3gpuE8ELNS1_3repE0EEENS1_30default_config_static_selectorELNS0_4arch9wavefront6targetE1EEEvT1_.has_indirect_call, 0
	.section	.AMDGPU.csdata,"",@progbits
; Kernel info:
; codeLenInByte = 0
; TotalNumSgprs: 4
; NumVgprs: 0
; ScratchSize: 0
; MemoryBound: 0
; FloatMode: 240
; IeeeMode: 1
; LDSByteSize: 0 bytes/workgroup (compile time only)
; SGPRBlocks: 0
; VGPRBlocks: 0
; NumSGPRsForWavesPerEU: 4
; NumVGPRsForWavesPerEU: 1
; Occupancy: 10
; WaveLimiterHint : 0
; COMPUTE_PGM_RSRC2:SCRATCH_EN: 0
; COMPUTE_PGM_RSRC2:USER_SGPR: 6
; COMPUTE_PGM_RSRC2:TRAP_HANDLER: 0
; COMPUTE_PGM_RSRC2:TGID_X_EN: 1
; COMPUTE_PGM_RSRC2:TGID_Y_EN: 0
; COMPUTE_PGM_RSRC2:TGID_Z_EN: 0
; COMPUTE_PGM_RSRC2:TIDIG_COMP_CNT: 0
	.section	.text._ZN7rocprim17ROCPRIM_400000_NS6detail17trampoline_kernelINS0_14default_configENS1_25partition_config_selectorILNS1_17partition_subalgoE8EdNS0_10empty_typeEbEEZZNS1_14partition_implILS5_8ELb0ES3_jN6thrust23THRUST_200600_302600_NS6detail15normal_iteratorINSA_10device_ptrIdEEEEPS6_PKS6_NS0_5tupleIJSF_S6_EEENSJ_IJSG_SG_EEENS0_18inequality_wrapperI22is_equal_div_10_uniqueIdEEEPmJS6_EEE10hipError_tPvRmT3_T4_T5_T6_T7_T9_mT8_P12ihipStream_tbDpT10_ENKUlT_T0_E_clISt17integral_constantIbLb1EES1A_EEDaS15_S16_EUlS15_E_NS1_11comp_targetILNS1_3genE3ELNS1_11target_archE908ELNS1_3gpuE7ELNS1_3repE0EEENS1_30default_config_static_selectorELNS0_4arch9wavefront6targetE1EEEvT1_,"axG",@progbits,_ZN7rocprim17ROCPRIM_400000_NS6detail17trampoline_kernelINS0_14default_configENS1_25partition_config_selectorILNS1_17partition_subalgoE8EdNS0_10empty_typeEbEEZZNS1_14partition_implILS5_8ELb0ES3_jN6thrust23THRUST_200600_302600_NS6detail15normal_iteratorINSA_10device_ptrIdEEEEPS6_PKS6_NS0_5tupleIJSF_S6_EEENSJ_IJSG_SG_EEENS0_18inequality_wrapperI22is_equal_div_10_uniqueIdEEEPmJS6_EEE10hipError_tPvRmT3_T4_T5_T6_T7_T9_mT8_P12ihipStream_tbDpT10_ENKUlT_T0_E_clISt17integral_constantIbLb1EES1A_EEDaS15_S16_EUlS15_E_NS1_11comp_targetILNS1_3genE3ELNS1_11target_archE908ELNS1_3gpuE7ELNS1_3repE0EEENS1_30default_config_static_selectorELNS0_4arch9wavefront6targetE1EEEvT1_,comdat
	.protected	_ZN7rocprim17ROCPRIM_400000_NS6detail17trampoline_kernelINS0_14default_configENS1_25partition_config_selectorILNS1_17partition_subalgoE8EdNS0_10empty_typeEbEEZZNS1_14partition_implILS5_8ELb0ES3_jN6thrust23THRUST_200600_302600_NS6detail15normal_iteratorINSA_10device_ptrIdEEEEPS6_PKS6_NS0_5tupleIJSF_S6_EEENSJ_IJSG_SG_EEENS0_18inequality_wrapperI22is_equal_div_10_uniqueIdEEEPmJS6_EEE10hipError_tPvRmT3_T4_T5_T6_T7_T9_mT8_P12ihipStream_tbDpT10_ENKUlT_T0_E_clISt17integral_constantIbLb1EES1A_EEDaS15_S16_EUlS15_E_NS1_11comp_targetILNS1_3genE3ELNS1_11target_archE908ELNS1_3gpuE7ELNS1_3repE0EEENS1_30default_config_static_selectorELNS0_4arch9wavefront6targetE1EEEvT1_ ; -- Begin function _ZN7rocprim17ROCPRIM_400000_NS6detail17trampoline_kernelINS0_14default_configENS1_25partition_config_selectorILNS1_17partition_subalgoE8EdNS0_10empty_typeEbEEZZNS1_14partition_implILS5_8ELb0ES3_jN6thrust23THRUST_200600_302600_NS6detail15normal_iteratorINSA_10device_ptrIdEEEEPS6_PKS6_NS0_5tupleIJSF_S6_EEENSJ_IJSG_SG_EEENS0_18inequality_wrapperI22is_equal_div_10_uniqueIdEEEPmJS6_EEE10hipError_tPvRmT3_T4_T5_T6_T7_T9_mT8_P12ihipStream_tbDpT10_ENKUlT_T0_E_clISt17integral_constantIbLb1EES1A_EEDaS15_S16_EUlS15_E_NS1_11comp_targetILNS1_3genE3ELNS1_11target_archE908ELNS1_3gpuE7ELNS1_3repE0EEENS1_30default_config_static_selectorELNS0_4arch9wavefront6targetE1EEEvT1_
	.globl	_ZN7rocprim17ROCPRIM_400000_NS6detail17trampoline_kernelINS0_14default_configENS1_25partition_config_selectorILNS1_17partition_subalgoE8EdNS0_10empty_typeEbEEZZNS1_14partition_implILS5_8ELb0ES3_jN6thrust23THRUST_200600_302600_NS6detail15normal_iteratorINSA_10device_ptrIdEEEEPS6_PKS6_NS0_5tupleIJSF_S6_EEENSJ_IJSG_SG_EEENS0_18inequality_wrapperI22is_equal_div_10_uniqueIdEEEPmJS6_EEE10hipError_tPvRmT3_T4_T5_T6_T7_T9_mT8_P12ihipStream_tbDpT10_ENKUlT_T0_E_clISt17integral_constantIbLb1EES1A_EEDaS15_S16_EUlS15_E_NS1_11comp_targetILNS1_3genE3ELNS1_11target_archE908ELNS1_3gpuE7ELNS1_3repE0EEENS1_30default_config_static_selectorELNS0_4arch9wavefront6targetE1EEEvT1_
	.p2align	8
	.type	_ZN7rocprim17ROCPRIM_400000_NS6detail17trampoline_kernelINS0_14default_configENS1_25partition_config_selectorILNS1_17partition_subalgoE8EdNS0_10empty_typeEbEEZZNS1_14partition_implILS5_8ELb0ES3_jN6thrust23THRUST_200600_302600_NS6detail15normal_iteratorINSA_10device_ptrIdEEEEPS6_PKS6_NS0_5tupleIJSF_S6_EEENSJ_IJSG_SG_EEENS0_18inequality_wrapperI22is_equal_div_10_uniqueIdEEEPmJS6_EEE10hipError_tPvRmT3_T4_T5_T6_T7_T9_mT8_P12ihipStream_tbDpT10_ENKUlT_T0_E_clISt17integral_constantIbLb1EES1A_EEDaS15_S16_EUlS15_E_NS1_11comp_targetILNS1_3genE3ELNS1_11target_archE908ELNS1_3gpuE7ELNS1_3repE0EEENS1_30default_config_static_selectorELNS0_4arch9wavefront6targetE1EEEvT1_,@function
_ZN7rocprim17ROCPRIM_400000_NS6detail17trampoline_kernelINS0_14default_configENS1_25partition_config_selectorILNS1_17partition_subalgoE8EdNS0_10empty_typeEbEEZZNS1_14partition_implILS5_8ELb0ES3_jN6thrust23THRUST_200600_302600_NS6detail15normal_iteratorINSA_10device_ptrIdEEEEPS6_PKS6_NS0_5tupleIJSF_S6_EEENSJ_IJSG_SG_EEENS0_18inequality_wrapperI22is_equal_div_10_uniqueIdEEEPmJS6_EEE10hipError_tPvRmT3_T4_T5_T6_T7_T9_mT8_P12ihipStream_tbDpT10_ENKUlT_T0_E_clISt17integral_constantIbLb1EES1A_EEDaS15_S16_EUlS15_E_NS1_11comp_targetILNS1_3genE3ELNS1_11target_archE908ELNS1_3gpuE7ELNS1_3repE0EEENS1_30default_config_static_selectorELNS0_4arch9wavefront6targetE1EEEvT1_: ; @_ZN7rocprim17ROCPRIM_400000_NS6detail17trampoline_kernelINS0_14default_configENS1_25partition_config_selectorILNS1_17partition_subalgoE8EdNS0_10empty_typeEbEEZZNS1_14partition_implILS5_8ELb0ES3_jN6thrust23THRUST_200600_302600_NS6detail15normal_iteratorINSA_10device_ptrIdEEEEPS6_PKS6_NS0_5tupleIJSF_S6_EEENSJ_IJSG_SG_EEENS0_18inequality_wrapperI22is_equal_div_10_uniqueIdEEEPmJS6_EEE10hipError_tPvRmT3_T4_T5_T6_T7_T9_mT8_P12ihipStream_tbDpT10_ENKUlT_T0_E_clISt17integral_constantIbLb1EES1A_EEDaS15_S16_EUlS15_E_NS1_11comp_targetILNS1_3genE3ELNS1_11target_archE908ELNS1_3gpuE7ELNS1_3repE0EEENS1_30default_config_static_selectorELNS0_4arch9wavefront6targetE1EEEvT1_
; %bb.0:
	.section	.rodata,"a",@progbits
	.p2align	6, 0x0
	.amdhsa_kernel _ZN7rocprim17ROCPRIM_400000_NS6detail17trampoline_kernelINS0_14default_configENS1_25partition_config_selectorILNS1_17partition_subalgoE8EdNS0_10empty_typeEbEEZZNS1_14partition_implILS5_8ELb0ES3_jN6thrust23THRUST_200600_302600_NS6detail15normal_iteratorINSA_10device_ptrIdEEEEPS6_PKS6_NS0_5tupleIJSF_S6_EEENSJ_IJSG_SG_EEENS0_18inequality_wrapperI22is_equal_div_10_uniqueIdEEEPmJS6_EEE10hipError_tPvRmT3_T4_T5_T6_T7_T9_mT8_P12ihipStream_tbDpT10_ENKUlT_T0_E_clISt17integral_constantIbLb1EES1A_EEDaS15_S16_EUlS15_E_NS1_11comp_targetILNS1_3genE3ELNS1_11target_archE908ELNS1_3gpuE7ELNS1_3repE0EEENS1_30default_config_static_selectorELNS0_4arch9wavefront6targetE1EEEvT1_
		.amdhsa_group_segment_fixed_size 0
		.amdhsa_private_segment_fixed_size 0
		.amdhsa_kernarg_size 128
		.amdhsa_user_sgpr_count 6
		.amdhsa_user_sgpr_private_segment_buffer 1
		.amdhsa_user_sgpr_dispatch_ptr 0
		.amdhsa_user_sgpr_queue_ptr 0
		.amdhsa_user_sgpr_kernarg_segment_ptr 1
		.amdhsa_user_sgpr_dispatch_id 0
		.amdhsa_user_sgpr_flat_scratch_init 0
		.amdhsa_user_sgpr_private_segment_size 0
		.amdhsa_uses_dynamic_stack 0
		.amdhsa_system_sgpr_private_segment_wavefront_offset 0
		.amdhsa_system_sgpr_workgroup_id_x 1
		.amdhsa_system_sgpr_workgroup_id_y 0
		.amdhsa_system_sgpr_workgroup_id_z 0
		.amdhsa_system_sgpr_workgroup_info 0
		.amdhsa_system_vgpr_workitem_id 0
		.amdhsa_next_free_vgpr 1
		.amdhsa_next_free_sgpr 0
		.amdhsa_reserve_vcc 0
		.amdhsa_reserve_flat_scratch 0
		.amdhsa_float_round_mode_32 0
		.amdhsa_float_round_mode_16_64 0
		.amdhsa_float_denorm_mode_32 3
		.amdhsa_float_denorm_mode_16_64 3
		.amdhsa_dx10_clamp 1
		.amdhsa_ieee_mode 1
		.amdhsa_fp16_overflow 0
		.amdhsa_exception_fp_ieee_invalid_op 0
		.amdhsa_exception_fp_denorm_src 0
		.amdhsa_exception_fp_ieee_div_zero 0
		.amdhsa_exception_fp_ieee_overflow 0
		.amdhsa_exception_fp_ieee_underflow 0
		.amdhsa_exception_fp_ieee_inexact 0
		.amdhsa_exception_int_div_zero 0
	.end_amdhsa_kernel
	.section	.text._ZN7rocprim17ROCPRIM_400000_NS6detail17trampoline_kernelINS0_14default_configENS1_25partition_config_selectorILNS1_17partition_subalgoE8EdNS0_10empty_typeEbEEZZNS1_14partition_implILS5_8ELb0ES3_jN6thrust23THRUST_200600_302600_NS6detail15normal_iteratorINSA_10device_ptrIdEEEEPS6_PKS6_NS0_5tupleIJSF_S6_EEENSJ_IJSG_SG_EEENS0_18inequality_wrapperI22is_equal_div_10_uniqueIdEEEPmJS6_EEE10hipError_tPvRmT3_T4_T5_T6_T7_T9_mT8_P12ihipStream_tbDpT10_ENKUlT_T0_E_clISt17integral_constantIbLb1EES1A_EEDaS15_S16_EUlS15_E_NS1_11comp_targetILNS1_3genE3ELNS1_11target_archE908ELNS1_3gpuE7ELNS1_3repE0EEENS1_30default_config_static_selectorELNS0_4arch9wavefront6targetE1EEEvT1_,"axG",@progbits,_ZN7rocprim17ROCPRIM_400000_NS6detail17trampoline_kernelINS0_14default_configENS1_25partition_config_selectorILNS1_17partition_subalgoE8EdNS0_10empty_typeEbEEZZNS1_14partition_implILS5_8ELb0ES3_jN6thrust23THRUST_200600_302600_NS6detail15normal_iteratorINSA_10device_ptrIdEEEEPS6_PKS6_NS0_5tupleIJSF_S6_EEENSJ_IJSG_SG_EEENS0_18inequality_wrapperI22is_equal_div_10_uniqueIdEEEPmJS6_EEE10hipError_tPvRmT3_T4_T5_T6_T7_T9_mT8_P12ihipStream_tbDpT10_ENKUlT_T0_E_clISt17integral_constantIbLb1EES1A_EEDaS15_S16_EUlS15_E_NS1_11comp_targetILNS1_3genE3ELNS1_11target_archE908ELNS1_3gpuE7ELNS1_3repE0EEENS1_30default_config_static_selectorELNS0_4arch9wavefront6targetE1EEEvT1_,comdat
.Lfunc_end58:
	.size	_ZN7rocprim17ROCPRIM_400000_NS6detail17trampoline_kernelINS0_14default_configENS1_25partition_config_selectorILNS1_17partition_subalgoE8EdNS0_10empty_typeEbEEZZNS1_14partition_implILS5_8ELb0ES3_jN6thrust23THRUST_200600_302600_NS6detail15normal_iteratorINSA_10device_ptrIdEEEEPS6_PKS6_NS0_5tupleIJSF_S6_EEENSJ_IJSG_SG_EEENS0_18inequality_wrapperI22is_equal_div_10_uniqueIdEEEPmJS6_EEE10hipError_tPvRmT3_T4_T5_T6_T7_T9_mT8_P12ihipStream_tbDpT10_ENKUlT_T0_E_clISt17integral_constantIbLb1EES1A_EEDaS15_S16_EUlS15_E_NS1_11comp_targetILNS1_3genE3ELNS1_11target_archE908ELNS1_3gpuE7ELNS1_3repE0EEENS1_30default_config_static_selectorELNS0_4arch9wavefront6targetE1EEEvT1_, .Lfunc_end58-_ZN7rocprim17ROCPRIM_400000_NS6detail17trampoline_kernelINS0_14default_configENS1_25partition_config_selectorILNS1_17partition_subalgoE8EdNS0_10empty_typeEbEEZZNS1_14partition_implILS5_8ELb0ES3_jN6thrust23THRUST_200600_302600_NS6detail15normal_iteratorINSA_10device_ptrIdEEEEPS6_PKS6_NS0_5tupleIJSF_S6_EEENSJ_IJSG_SG_EEENS0_18inequality_wrapperI22is_equal_div_10_uniqueIdEEEPmJS6_EEE10hipError_tPvRmT3_T4_T5_T6_T7_T9_mT8_P12ihipStream_tbDpT10_ENKUlT_T0_E_clISt17integral_constantIbLb1EES1A_EEDaS15_S16_EUlS15_E_NS1_11comp_targetILNS1_3genE3ELNS1_11target_archE908ELNS1_3gpuE7ELNS1_3repE0EEENS1_30default_config_static_selectorELNS0_4arch9wavefront6targetE1EEEvT1_
                                        ; -- End function
	.set _ZN7rocprim17ROCPRIM_400000_NS6detail17trampoline_kernelINS0_14default_configENS1_25partition_config_selectorILNS1_17partition_subalgoE8EdNS0_10empty_typeEbEEZZNS1_14partition_implILS5_8ELb0ES3_jN6thrust23THRUST_200600_302600_NS6detail15normal_iteratorINSA_10device_ptrIdEEEEPS6_PKS6_NS0_5tupleIJSF_S6_EEENSJ_IJSG_SG_EEENS0_18inequality_wrapperI22is_equal_div_10_uniqueIdEEEPmJS6_EEE10hipError_tPvRmT3_T4_T5_T6_T7_T9_mT8_P12ihipStream_tbDpT10_ENKUlT_T0_E_clISt17integral_constantIbLb1EES1A_EEDaS15_S16_EUlS15_E_NS1_11comp_targetILNS1_3genE3ELNS1_11target_archE908ELNS1_3gpuE7ELNS1_3repE0EEENS1_30default_config_static_selectorELNS0_4arch9wavefront6targetE1EEEvT1_.num_vgpr, 0
	.set _ZN7rocprim17ROCPRIM_400000_NS6detail17trampoline_kernelINS0_14default_configENS1_25partition_config_selectorILNS1_17partition_subalgoE8EdNS0_10empty_typeEbEEZZNS1_14partition_implILS5_8ELb0ES3_jN6thrust23THRUST_200600_302600_NS6detail15normal_iteratorINSA_10device_ptrIdEEEEPS6_PKS6_NS0_5tupleIJSF_S6_EEENSJ_IJSG_SG_EEENS0_18inequality_wrapperI22is_equal_div_10_uniqueIdEEEPmJS6_EEE10hipError_tPvRmT3_T4_T5_T6_T7_T9_mT8_P12ihipStream_tbDpT10_ENKUlT_T0_E_clISt17integral_constantIbLb1EES1A_EEDaS15_S16_EUlS15_E_NS1_11comp_targetILNS1_3genE3ELNS1_11target_archE908ELNS1_3gpuE7ELNS1_3repE0EEENS1_30default_config_static_selectorELNS0_4arch9wavefront6targetE1EEEvT1_.num_agpr, 0
	.set _ZN7rocprim17ROCPRIM_400000_NS6detail17trampoline_kernelINS0_14default_configENS1_25partition_config_selectorILNS1_17partition_subalgoE8EdNS0_10empty_typeEbEEZZNS1_14partition_implILS5_8ELb0ES3_jN6thrust23THRUST_200600_302600_NS6detail15normal_iteratorINSA_10device_ptrIdEEEEPS6_PKS6_NS0_5tupleIJSF_S6_EEENSJ_IJSG_SG_EEENS0_18inequality_wrapperI22is_equal_div_10_uniqueIdEEEPmJS6_EEE10hipError_tPvRmT3_T4_T5_T6_T7_T9_mT8_P12ihipStream_tbDpT10_ENKUlT_T0_E_clISt17integral_constantIbLb1EES1A_EEDaS15_S16_EUlS15_E_NS1_11comp_targetILNS1_3genE3ELNS1_11target_archE908ELNS1_3gpuE7ELNS1_3repE0EEENS1_30default_config_static_selectorELNS0_4arch9wavefront6targetE1EEEvT1_.numbered_sgpr, 0
	.set _ZN7rocprim17ROCPRIM_400000_NS6detail17trampoline_kernelINS0_14default_configENS1_25partition_config_selectorILNS1_17partition_subalgoE8EdNS0_10empty_typeEbEEZZNS1_14partition_implILS5_8ELb0ES3_jN6thrust23THRUST_200600_302600_NS6detail15normal_iteratorINSA_10device_ptrIdEEEEPS6_PKS6_NS0_5tupleIJSF_S6_EEENSJ_IJSG_SG_EEENS0_18inequality_wrapperI22is_equal_div_10_uniqueIdEEEPmJS6_EEE10hipError_tPvRmT3_T4_T5_T6_T7_T9_mT8_P12ihipStream_tbDpT10_ENKUlT_T0_E_clISt17integral_constantIbLb1EES1A_EEDaS15_S16_EUlS15_E_NS1_11comp_targetILNS1_3genE3ELNS1_11target_archE908ELNS1_3gpuE7ELNS1_3repE0EEENS1_30default_config_static_selectorELNS0_4arch9wavefront6targetE1EEEvT1_.num_named_barrier, 0
	.set _ZN7rocprim17ROCPRIM_400000_NS6detail17trampoline_kernelINS0_14default_configENS1_25partition_config_selectorILNS1_17partition_subalgoE8EdNS0_10empty_typeEbEEZZNS1_14partition_implILS5_8ELb0ES3_jN6thrust23THRUST_200600_302600_NS6detail15normal_iteratorINSA_10device_ptrIdEEEEPS6_PKS6_NS0_5tupleIJSF_S6_EEENSJ_IJSG_SG_EEENS0_18inequality_wrapperI22is_equal_div_10_uniqueIdEEEPmJS6_EEE10hipError_tPvRmT3_T4_T5_T6_T7_T9_mT8_P12ihipStream_tbDpT10_ENKUlT_T0_E_clISt17integral_constantIbLb1EES1A_EEDaS15_S16_EUlS15_E_NS1_11comp_targetILNS1_3genE3ELNS1_11target_archE908ELNS1_3gpuE7ELNS1_3repE0EEENS1_30default_config_static_selectorELNS0_4arch9wavefront6targetE1EEEvT1_.private_seg_size, 0
	.set _ZN7rocprim17ROCPRIM_400000_NS6detail17trampoline_kernelINS0_14default_configENS1_25partition_config_selectorILNS1_17partition_subalgoE8EdNS0_10empty_typeEbEEZZNS1_14partition_implILS5_8ELb0ES3_jN6thrust23THRUST_200600_302600_NS6detail15normal_iteratorINSA_10device_ptrIdEEEEPS6_PKS6_NS0_5tupleIJSF_S6_EEENSJ_IJSG_SG_EEENS0_18inequality_wrapperI22is_equal_div_10_uniqueIdEEEPmJS6_EEE10hipError_tPvRmT3_T4_T5_T6_T7_T9_mT8_P12ihipStream_tbDpT10_ENKUlT_T0_E_clISt17integral_constantIbLb1EES1A_EEDaS15_S16_EUlS15_E_NS1_11comp_targetILNS1_3genE3ELNS1_11target_archE908ELNS1_3gpuE7ELNS1_3repE0EEENS1_30default_config_static_selectorELNS0_4arch9wavefront6targetE1EEEvT1_.uses_vcc, 0
	.set _ZN7rocprim17ROCPRIM_400000_NS6detail17trampoline_kernelINS0_14default_configENS1_25partition_config_selectorILNS1_17partition_subalgoE8EdNS0_10empty_typeEbEEZZNS1_14partition_implILS5_8ELb0ES3_jN6thrust23THRUST_200600_302600_NS6detail15normal_iteratorINSA_10device_ptrIdEEEEPS6_PKS6_NS0_5tupleIJSF_S6_EEENSJ_IJSG_SG_EEENS0_18inequality_wrapperI22is_equal_div_10_uniqueIdEEEPmJS6_EEE10hipError_tPvRmT3_T4_T5_T6_T7_T9_mT8_P12ihipStream_tbDpT10_ENKUlT_T0_E_clISt17integral_constantIbLb1EES1A_EEDaS15_S16_EUlS15_E_NS1_11comp_targetILNS1_3genE3ELNS1_11target_archE908ELNS1_3gpuE7ELNS1_3repE0EEENS1_30default_config_static_selectorELNS0_4arch9wavefront6targetE1EEEvT1_.uses_flat_scratch, 0
	.set _ZN7rocprim17ROCPRIM_400000_NS6detail17trampoline_kernelINS0_14default_configENS1_25partition_config_selectorILNS1_17partition_subalgoE8EdNS0_10empty_typeEbEEZZNS1_14partition_implILS5_8ELb0ES3_jN6thrust23THRUST_200600_302600_NS6detail15normal_iteratorINSA_10device_ptrIdEEEEPS6_PKS6_NS0_5tupleIJSF_S6_EEENSJ_IJSG_SG_EEENS0_18inequality_wrapperI22is_equal_div_10_uniqueIdEEEPmJS6_EEE10hipError_tPvRmT3_T4_T5_T6_T7_T9_mT8_P12ihipStream_tbDpT10_ENKUlT_T0_E_clISt17integral_constantIbLb1EES1A_EEDaS15_S16_EUlS15_E_NS1_11comp_targetILNS1_3genE3ELNS1_11target_archE908ELNS1_3gpuE7ELNS1_3repE0EEENS1_30default_config_static_selectorELNS0_4arch9wavefront6targetE1EEEvT1_.has_dyn_sized_stack, 0
	.set _ZN7rocprim17ROCPRIM_400000_NS6detail17trampoline_kernelINS0_14default_configENS1_25partition_config_selectorILNS1_17partition_subalgoE8EdNS0_10empty_typeEbEEZZNS1_14partition_implILS5_8ELb0ES3_jN6thrust23THRUST_200600_302600_NS6detail15normal_iteratorINSA_10device_ptrIdEEEEPS6_PKS6_NS0_5tupleIJSF_S6_EEENSJ_IJSG_SG_EEENS0_18inequality_wrapperI22is_equal_div_10_uniqueIdEEEPmJS6_EEE10hipError_tPvRmT3_T4_T5_T6_T7_T9_mT8_P12ihipStream_tbDpT10_ENKUlT_T0_E_clISt17integral_constantIbLb1EES1A_EEDaS15_S16_EUlS15_E_NS1_11comp_targetILNS1_3genE3ELNS1_11target_archE908ELNS1_3gpuE7ELNS1_3repE0EEENS1_30default_config_static_selectorELNS0_4arch9wavefront6targetE1EEEvT1_.has_recursion, 0
	.set _ZN7rocprim17ROCPRIM_400000_NS6detail17trampoline_kernelINS0_14default_configENS1_25partition_config_selectorILNS1_17partition_subalgoE8EdNS0_10empty_typeEbEEZZNS1_14partition_implILS5_8ELb0ES3_jN6thrust23THRUST_200600_302600_NS6detail15normal_iteratorINSA_10device_ptrIdEEEEPS6_PKS6_NS0_5tupleIJSF_S6_EEENSJ_IJSG_SG_EEENS0_18inequality_wrapperI22is_equal_div_10_uniqueIdEEEPmJS6_EEE10hipError_tPvRmT3_T4_T5_T6_T7_T9_mT8_P12ihipStream_tbDpT10_ENKUlT_T0_E_clISt17integral_constantIbLb1EES1A_EEDaS15_S16_EUlS15_E_NS1_11comp_targetILNS1_3genE3ELNS1_11target_archE908ELNS1_3gpuE7ELNS1_3repE0EEENS1_30default_config_static_selectorELNS0_4arch9wavefront6targetE1EEEvT1_.has_indirect_call, 0
	.section	.AMDGPU.csdata,"",@progbits
; Kernel info:
; codeLenInByte = 0
; TotalNumSgprs: 4
; NumVgprs: 0
; ScratchSize: 0
; MemoryBound: 0
; FloatMode: 240
; IeeeMode: 1
; LDSByteSize: 0 bytes/workgroup (compile time only)
; SGPRBlocks: 0
; VGPRBlocks: 0
; NumSGPRsForWavesPerEU: 4
; NumVGPRsForWavesPerEU: 1
; Occupancy: 10
; WaveLimiterHint : 0
; COMPUTE_PGM_RSRC2:SCRATCH_EN: 0
; COMPUTE_PGM_RSRC2:USER_SGPR: 6
; COMPUTE_PGM_RSRC2:TRAP_HANDLER: 0
; COMPUTE_PGM_RSRC2:TGID_X_EN: 1
; COMPUTE_PGM_RSRC2:TGID_Y_EN: 0
; COMPUTE_PGM_RSRC2:TGID_Z_EN: 0
; COMPUTE_PGM_RSRC2:TIDIG_COMP_CNT: 0
	.section	.text._ZN7rocprim17ROCPRIM_400000_NS6detail17trampoline_kernelINS0_14default_configENS1_25partition_config_selectorILNS1_17partition_subalgoE8EdNS0_10empty_typeEbEEZZNS1_14partition_implILS5_8ELb0ES3_jN6thrust23THRUST_200600_302600_NS6detail15normal_iteratorINSA_10device_ptrIdEEEEPS6_PKS6_NS0_5tupleIJSF_S6_EEENSJ_IJSG_SG_EEENS0_18inequality_wrapperI22is_equal_div_10_uniqueIdEEEPmJS6_EEE10hipError_tPvRmT3_T4_T5_T6_T7_T9_mT8_P12ihipStream_tbDpT10_ENKUlT_T0_E_clISt17integral_constantIbLb1EES1A_EEDaS15_S16_EUlS15_E_NS1_11comp_targetILNS1_3genE2ELNS1_11target_archE906ELNS1_3gpuE6ELNS1_3repE0EEENS1_30default_config_static_selectorELNS0_4arch9wavefront6targetE1EEEvT1_,"axG",@progbits,_ZN7rocprim17ROCPRIM_400000_NS6detail17trampoline_kernelINS0_14default_configENS1_25partition_config_selectorILNS1_17partition_subalgoE8EdNS0_10empty_typeEbEEZZNS1_14partition_implILS5_8ELb0ES3_jN6thrust23THRUST_200600_302600_NS6detail15normal_iteratorINSA_10device_ptrIdEEEEPS6_PKS6_NS0_5tupleIJSF_S6_EEENSJ_IJSG_SG_EEENS0_18inequality_wrapperI22is_equal_div_10_uniqueIdEEEPmJS6_EEE10hipError_tPvRmT3_T4_T5_T6_T7_T9_mT8_P12ihipStream_tbDpT10_ENKUlT_T0_E_clISt17integral_constantIbLb1EES1A_EEDaS15_S16_EUlS15_E_NS1_11comp_targetILNS1_3genE2ELNS1_11target_archE906ELNS1_3gpuE6ELNS1_3repE0EEENS1_30default_config_static_selectorELNS0_4arch9wavefront6targetE1EEEvT1_,comdat
	.protected	_ZN7rocprim17ROCPRIM_400000_NS6detail17trampoline_kernelINS0_14default_configENS1_25partition_config_selectorILNS1_17partition_subalgoE8EdNS0_10empty_typeEbEEZZNS1_14partition_implILS5_8ELb0ES3_jN6thrust23THRUST_200600_302600_NS6detail15normal_iteratorINSA_10device_ptrIdEEEEPS6_PKS6_NS0_5tupleIJSF_S6_EEENSJ_IJSG_SG_EEENS0_18inequality_wrapperI22is_equal_div_10_uniqueIdEEEPmJS6_EEE10hipError_tPvRmT3_T4_T5_T6_T7_T9_mT8_P12ihipStream_tbDpT10_ENKUlT_T0_E_clISt17integral_constantIbLb1EES1A_EEDaS15_S16_EUlS15_E_NS1_11comp_targetILNS1_3genE2ELNS1_11target_archE906ELNS1_3gpuE6ELNS1_3repE0EEENS1_30default_config_static_selectorELNS0_4arch9wavefront6targetE1EEEvT1_ ; -- Begin function _ZN7rocprim17ROCPRIM_400000_NS6detail17trampoline_kernelINS0_14default_configENS1_25partition_config_selectorILNS1_17partition_subalgoE8EdNS0_10empty_typeEbEEZZNS1_14partition_implILS5_8ELb0ES3_jN6thrust23THRUST_200600_302600_NS6detail15normal_iteratorINSA_10device_ptrIdEEEEPS6_PKS6_NS0_5tupleIJSF_S6_EEENSJ_IJSG_SG_EEENS0_18inequality_wrapperI22is_equal_div_10_uniqueIdEEEPmJS6_EEE10hipError_tPvRmT3_T4_T5_T6_T7_T9_mT8_P12ihipStream_tbDpT10_ENKUlT_T0_E_clISt17integral_constantIbLb1EES1A_EEDaS15_S16_EUlS15_E_NS1_11comp_targetILNS1_3genE2ELNS1_11target_archE906ELNS1_3gpuE6ELNS1_3repE0EEENS1_30default_config_static_selectorELNS0_4arch9wavefront6targetE1EEEvT1_
	.globl	_ZN7rocprim17ROCPRIM_400000_NS6detail17trampoline_kernelINS0_14default_configENS1_25partition_config_selectorILNS1_17partition_subalgoE8EdNS0_10empty_typeEbEEZZNS1_14partition_implILS5_8ELb0ES3_jN6thrust23THRUST_200600_302600_NS6detail15normal_iteratorINSA_10device_ptrIdEEEEPS6_PKS6_NS0_5tupleIJSF_S6_EEENSJ_IJSG_SG_EEENS0_18inequality_wrapperI22is_equal_div_10_uniqueIdEEEPmJS6_EEE10hipError_tPvRmT3_T4_T5_T6_T7_T9_mT8_P12ihipStream_tbDpT10_ENKUlT_T0_E_clISt17integral_constantIbLb1EES1A_EEDaS15_S16_EUlS15_E_NS1_11comp_targetILNS1_3genE2ELNS1_11target_archE906ELNS1_3gpuE6ELNS1_3repE0EEENS1_30default_config_static_selectorELNS0_4arch9wavefront6targetE1EEEvT1_
	.p2align	8
	.type	_ZN7rocprim17ROCPRIM_400000_NS6detail17trampoline_kernelINS0_14default_configENS1_25partition_config_selectorILNS1_17partition_subalgoE8EdNS0_10empty_typeEbEEZZNS1_14partition_implILS5_8ELb0ES3_jN6thrust23THRUST_200600_302600_NS6detail15normal_iteratorINSA_10device_ptrIdEEEEPS6_PKS6_NS0_5tupleIJSF_S6_EEENSJ_IJSG_SG_EEENS0_18inequality_wrapperI22is_equal_div_10_uniqueIdEEEPmJS6_EEE10hipError_tPvRmT3_T4_T5_T6_T7_T9_mT8_P12ihipStream_tbDpT10_ENKUlT_T0_E_clISt17integral_constantIbLb1EES1A_EEDaS15_S16_EUlS15_E_NS1_11comp_targetILNS1_3genE2ELNS1_11target_archE906ELNS1_3gpuE6ELNS1_3repE0EEENS1_30default_config_static_selectorELNS0_4arch9wavefront6targetE1EEEvT1_,@function
_ZN7rocprim17ROCPRIM_400000_NS6detail17trampoline_kernelINS0_14default_configENS1_25partition_config_selectorILNS1_17partition_subalgoE8EdNS0_10empty_typeEbEEZZNS1_14partition_implILS5_8ELb0ES3_jN6thrust23THRUST_200600_302600_NS6detail15normal_iteratorINSA_10device_ptrIdEEEEPS6_PKS6_NS0_5tupleIJSF_S6_EEENSJ_IJSG_SG_EEENS0_18inequality_wrapperI22is_equal_div_10_uniqueIdEEEPmJS6_EEE10hipError_tPvRmT3_T4_T5_T6_T7_T9_mT8_P12ihipStream_tbDpT10_ENKUlT_T0_E_clISt17integral_constantIbLb1EES1A_EEDaS15_S16_EUlS15_E_NS1_11comp_targetILNS1_3genE2ELNS1_11target_archE906ELNS1_3gpuE6ELNS1_3repE0EEENS1_30default_config_static_selectorELNS0_4arch9wavefront6targetE1EEEvT1_: ; @_ZN7rocprim17ROCPRIM_400000_NS6detail17trampoline_kernelINS0_14default_configENS1_25partition_config_selectorILNS1_17partition_subalgoE8EdNS0_10empty_typeEbEEZZNS1_14partition_implILS5_8ELb0ES3_jN6thrust23THRUST_200600_302600_NS6detail15normal_iteratorINSA_10device_ptrIdEEEEPS6_PKS6_NS0_5tupleIJSF_S6_EEENSJ_IJSG_SG_EEENS0_18inequality_wrapperI22is_equal_div_10_uniqueIdEEEPmJS6_EEE10hipError_tPvRmT3_T4_T5_T6_T7_T9_mT8_P12ihipStream_tbDpT10_ENKUlT_T0_E_clISt17integral_constantIbLb1EES1A_EEDaS15_S16_EUlS15_E_NS1_11comp_targetILNS1_3genE2ELNS1_11target_archE906ELNS1_3gpuE6ELNS1_3repE0EEENS1_30default_config_static_selectorELNS0_4arch9wavefront6targetE1EEEvT1_
; %bb.0:
	s_endpgm
	.section	.rodata,"a",@progbits
	.p2align	6, 0x0
	.amdhsa_kernel _ZN7rocprim17ROCPRIM_400000_NS6detail17trampoline_kernelINS0_14default_configENS1_25partition_config_selectorILNS1_17partition_subalgoE8EdNS0_10empty_typeEbEEZZNS1_14partition_implILS5_8ELb0ES3_jN6thrust23THRUST_200600_302600_NS6detail15normal_iteratorINSA_10device_ptrIdEEEEPS6_PKS6_NS0_5tupleIJSF_S6_EEENSJ_IJSG_SG_EEENS0_18inequality_wrapperI22is_equal_div_10_uniqueIdEEEPmJS6_EEE10hipError_tPvRmT3_T4_T5_T6_T7_T9_mT8_P12ihipStream_tbDpT10_ENKUlT_T0_E_clISt17integral_constantIbLb1EES1A_EEDaS15_S16_EUlS15_E_NS1_11comp_targetILNS1_3genE2ELNS1_11target_archE906ELNS1_3gpuE6ELNS1_3repE0EEENS1_30default_config_static_selectorELNS0_4arch9wavefront6targetE1EEEvT1_
		.amdhsa_group_segment_fixed_size 0
		.amdhsa_private_segment_fixed_size 0
		.amdhsa_kernarg_size 128
		.amdhsa_user_sgpr_count 6
		.amdhsa_user_sgpr_private_segment_buffer 1
		.amdhsa_user_sgpr_dispatch_ptr 0
		.amdhsa_user_sgpr_queue_ptr 0
		.amdhsa_user_sgpr_kernarg_segment_ptr 1
		.amdhsa_user_sgpr_dispatch_id 0
		.amdhsa_user_sgpr_flat_scratch_init 0
		.amdhsa_user_sgpr_private_segment_size 0
		.amdhsa_uses_dynamic_stack 0
		.amdhsa_system_sgpr_private_segment_wavefront_offset 0
		.amdhsa_system_sgpr_workgroup_id_x 1
		.amdhsa_system_sgpr_workgroup_id_y 0
		.amdhsa_system_sgpr_workgroup_id_z 0
		.amdhsa_system_sgpr_workgroup_info 0
		.amdhsa_system_vgpr_workitem_id 0
		.amdhsa_next_free_vgpr 1
		.amdhsa_next_free_sgpr 0
		.amdhsa_reserve_vcc 0
		.amdhsa_reserve_flat_scratch 0
		.amdhsa_float_round_mode_32 0
		.amdhsa_float_round_mode_16_64 0
		.amdhsa_float_denorm_mode_32 3
		.amdhsa_float_denorm_mode_16_64 3
		.amdhsa_dx10_clamp 1
		.amdhsa_ieee_mode 1
		.amdhsa_fp16_overflow 0
		.amdhsa_exception_fp_ieee_invalid_op 0
		.amdhsa_exception_fp_denorm_src 0
		.amdhsa_exception_fp_ieee_div_zero 0
		.amdhsa_exception_fp_ieee_overflow 0
		.amdhsa_exception_fp_ieee_underflow 0
		.amdhsa_exception_fp_ieee_inexact 0
		.amdhsa_exception_int_div_zero 0
	.end_amdhsa_kernel
	.section	.text._ZN7rocprim17ROCPRIM_400000_NS6detail17trampoline_kernelINS0_14default_configENS1_25partition_config_selectorILNS1_17partition_subalgoE8EdNS0_10empty_typeEbEEZZNS1_14partition_implILS5_8ELb0ES3_jN6thrust23THRUST_200600_302600_NS6detail15normal_iteratorINSA_10device_ptrIdEEEEPS6_PKS6_NS0_5tupleIJSF_S6_EEENSJ_IJSG_SG_EEENS0_18inequality_wrapperI22is_equal_div_10_uniqueIdEEEPmJS6_EEE10hipError_tPvRmT3_T4_T5_T6_T7_T9_mT8_P12ihipStream_tbDpT10_ENKUlT_T0_E_clISt17integral_constantIbLb1EES1A_EEDaS15_S16_EUlS15_E_NS1_11comp_targetILNS1_3genE2ELNS1_11target_archE906ELNS1_3gpuE6ELNS1_3repE0EEENS1_30default_config_static_selectorELNS0_4arch9wavefront6targetE1EEEvT1_,"axG",@progbits,_ZN7rocprim17ROCPRIM_400000_NS6detail17trampoline_kernelINS0_14default_configENS1_25partition_config_selectorILNS1_17partition_subalgoE8EdNS0_10empty_typeEbEEZZNS1_14partition_implILS5_8ELb0ES3_jN6thrust23THRUST_200600_302600_NS6detail15normal_iteratorINSA_10device_ptrIdEEEEPS6_PKS6_NS0_5tupleIJSF_S6_EEENSJ_IJSG_SG_EEENS0_18inequality_wrapperI22is_equal_div_10_uniqueIdEEEPmJS6_EEE10hipError_tPvRmT3_T4_T5_T6_T7_T9_mT8_P12ihipStream_tbDpT10_ENKUlT_T0_E_clISt17integral_constantIbLb1EES1A_EEDaS15_S16_EUlS15_E_NS1_11comp_targetILNS1_3genE2ELNS1_11target_archE906ELNS1_3gpuE6ELNS1_3repE0EEENS1_30default_config_static_selectorELNS0_4arch9wavefront6targetE1EEEvT1_,comdat
.Lfunc_end59:
	.size	_ZN7rocprim17ROCPRIM_400000_NS6detail17trampoline_kernelINS0_14default_configENS1_25partition_config_selectorILNS1_17partition_subalgoE8EdNS0_10empty_typeEbEEZZNS1_14partition_implILS5_8ELb0ES3_jN6thrust23THRUST_200600_302600_NS6detail15normal_iteratorINSA_10device_ptrIdEEEEPS6_PKS6_NS0_5tupleIJSF_S6_EEENSJ_IJSG_SG_EEENS0_18inequality_wrapperI22is_equal_div_10_uniqueIdEEEPmJS6_EEE10hipError_tPvRmT3_T4_T5_T6_T7_T9_mT8_P12ihipStream_tbDpT10_ENKUlT_T0_E_clISt17integral_constantIbLb1EES1A_EEDaS15_S16_EUlS15_E_NS1_11comp_targetILNS1_3genE2ELNS1_11target_archE906ELNS1_3gpuE6ELNS1_3repE0EEENS1_30default_config_static_selectorELNS0_4arch9wavefront6targetE1EEEvT1_, .Lfunc_end59-_ZN7rocprim17ROCPRIM_400000_NS6detail17trampoline_kernelINS0_14default_configENS1_25partition_config_selectorILNS1_17partition_subalgoE8EdNS0_10empty_typeEbEEZZNS1_14partition_implILS5_8ELb0ES3_jN6thrust23THRUST_200600_302600_NS6detail15normal_iteratorINSA_10device_ptrIdEEEEPS6_PKS6_NS0_5tupleIJSF_S6_EEENSJ_IJSG_SG_EEENS0_18inequality_wrapperI22is_equal_div_10_uniqueIdEEEPmJS6_EEE10hipError_tPvRmT3_T4_T5_T6_T7_T9_mT8_P12ihipStream_tbDpT10_ENKUlT_T0_E_clISt17integral_constantIbLb1EES1A_EEDaS15_S16_EUlS15_E_NS1_11comp_targetILNS1_3genE2ELNS1_11target_archE906ELNS1_3gpuE6ELNS1_3repE0EEENS1_30default_config_static_selectorELNS0_4arch9wavefront6targetE1EEEvT1_
                                        ; -- End function
	.set _ZN7rocprim17ROCPRIM_400000_NS6detail17trampoline_kernelINS0_14default_configENS1_25partition_config_selectorILNS1_17partition_subalgoE8EdNS0_10empty_typeEbEEZZNS1_14partition_implILS5_8ELb0ES3_jN6thrust23THRUST_200600_302600_NS6detail15normal_iteratorINSA_10device_ptrIdEEEEPS6_PKS6_NS0_5tupleIJSF_S6_EEENSJ_IJSG_SG_EEENS0_18inequality_wrapperI22is_equal_div_10_uniqueIdEEEPmJS6_EEE10hipError_tPvRmT3_T4_T5_T6_T7_T9_mT8_P12ihipStream_tbDpT10_ENKUlT_T0_E_clISt17integral_constantIbLb1EES1A_EEDaS15_S16_EUlS15_E_NS1_11comp_targetILNS1_3genE2ELNS1_11target_archE906ELNS1_3gpuE6ELNS1_3repE0EEENS1_30default_config_static_selectorELNS0_4arch9wavefront6targetE1EEEvT1_.num_vgpr, 0
	.set _ZN7rocprim17ROCPRIM_400000_NS6detail17trampoline_kernelINS0_14default_configENS1_25partition_config_selectorILNS1_17partition_subalgoE8EdNS0_10empty_typeEbEEZZNS1_14partition_implILS5_8ELb0ES3_jN6thrust23THRUST_200600_302600_NS6detail15normal_iteratorINSA_10device_ptrIdEEEEPS6_PKS6_NS0_5tupleIJSF_S6_EEENSJ_IJSG_SG_EEENS0_18inequality_wrapperI22is_equal_div_10_uniqueIdEEEPmJS6_EEE10hipError_tPvRmT3_T4_T5_T6_T7_T9_mT8_P12ihipStream_tbDpT10_ENKUlT_T0_E_clISt17integral_constantIbLb1EES1A_EEDaS15_S16_EUlS15_E_NS1_11comp_targetILNS1_3genE2ELNS1_11target_archE906ELNS1_3gpuE6ELNS1_3repE0EEENS1_30default_config_static_selectorELNS0_4arch9wavefront6targetE1EEEvT1_.num_agpr, 0
	.set _ZN7rocprim17ROCPRIM_400000_NS6detail17trampoline_kernelINS0_14default_configENS1_25partition_config_selectorILNS1_17partition_subalgoE8EdNS0_10empty_typeEbEEZZNS1_14partition_implILS5_8ELb0ES3_jN6thrust23THRUST_200600_302600_NS6detail15normal_iteratorINSA_10device_ptrIdEEEEPS6_PKS6_NS0_5tupleIJSF_S6_EEENSJ_IJSG_SG_EEENS0_18inequality_wrapperI22is_equal_div_10_uniqueIdEEEPmJS6_EEE10hipError_tPvRmT3_T4_T5_T6_T7_T9_mT8_P12ihipStream_tbDpT10_ENKUlT_T0_E_clISt17integral_constantIbLb1EES1A_EEDaS15_S16_EUlS15_E_NS1_11comp_targetILNS1_3genE2ELNS1_11target_archE906ELNS1_3gpuE6ELNS1_3repE0EEENS1_30default_config_static_selectorELNS0_4arch9wavefront6targetE1EEEvT1_.numbered_sgpr, 0
	.set _ZN7rocprim17ROCPRIM_400000_NS6detail17trampoline_kernelINS0_14default_configENS1_25partition_config_selectorILNS1_17partition_subalgoE8EdNS0_10empty_typeEbEEZZNS1_14partition_implILS5_8ELb0ES3_jN6thrust23THRUST_200600_302600_NS6detail15normal_iteratorINSA_10device_ptrIdEEEEPS6_PKS6_NS0_5tupleIJSF_S6_EEENSJ_IJSG_SG_EEENS0_18inequality_wrapperI22is_equal_div_10_uniqueIdEEEPmJS6_EEE10hipError_tPvRmT3_T4_T5_T6_T7_T9_mT8_P12ihipStream_tbDpT10_ENKUlT_T0_E_clISt17integral_constantIbLb1EES1A_EEDaS15_S16_EUlS15_E_NS1_11comp_targetILNS1_3genE2ELNS1_11target_archE906ELNS1_3gpuE6ELNS1_3repE0EEENS1_30default_config_static_selectorELNS0_4arch9wavefront6targetE1EEEvT1_.num_named_barrier, 0
	.set _ZN7rocprim17ROCPRIM_400000_NS6detail17trampoline_kernelINS0_14default_configENS1_25partition_config_selectorILNS1_17partition_subalgoE8EdNS0_10empty_typeEbEEZZNS1_14partition_implILS5_8ELb0ES3_jN6thrust23THRUST_200600_302600_NS6detail15normal_iteratorINSA_10device_ptrIdEEEEPS6_PKS6_NS0_5tupleIJSF_S6_EEENSJ_IJSG_SG_EEENS0_18inequality_wrapperI22is_equal_div_10_uniqueIdEEEPmJS6_EEE10hipError_tPvRmT3_T4_T5_T6_T7_T9_mT8_P12ihipStream_tbDpT10_ENKUlT_T0_E_clISt17integral_constantIbLb1EES1A_EEDaS15_S16_EUlS15_E_NS1_11comp_targetILNS1_3genE2ELNS1_11target_archE906ELNS1_3gpuE6ELNS1_3repE0EEENS1_30default_config_static_selectorELNS0_4arch9wavefront6targetE1EEEvT1_.private_seg_size, 0
	.set _ZN7rocprim17ROCPRIM_400000_NS6detail17trampoline_kernelINS0_14default_configENS1_25partition_config_selectorILNS1_17partition_subalgoE8EdNS0_10empty_typeEbEEZZNS1_14partition_implILS5_8ELb0ES3_jN6thrust23THRUST_200600_302600_NS6detail15normal_iteratorINSA_10device_ptrIdEEEEPS6_PKS6_NS0_5tupleIJSF_S6_EEENSJ_IJSG_SG_EEENS0_18inequality_wrapperI22is_equal_div_10_uniqueIdEEEPmJS6_EEE10hipError_tPvRmT3_T4_T5_T6_T7_T9_mT8_P12ihipStream_tbDpT10_ENKUlT_T0_E_clISt17integral_constantIbLb1EES1A_EEDaS15_S16_EUlS15_E_NS1_11comp_targetILNS1_3genE2ELNS1_11target_archE906ELNS1_3gpuE6ELNS1_3repE0EEENS1_30default_config_static_selectorELNS0_4arch9wavefront6targetE1EEEvT1_.uses_vcc, 0
	.set _ZN7rocprim17ROCPRIM_400000_NS6detail17trampoline_kernelINS0_14default_configENS1_25partition_config_selectorILNS1_17partition_subalgoE8EdNS0_10empty_typeEbEEZZNS1_14partition_implILS5_8ELb0ES3_jN6thrust23THRUST_200600_302600_NS6detail15normal_iteratorINSA_10device_ptrIdEEEEPS6_PKS6_NS0_5tupleIJSF_S6_EEENSJ_IJSG_SG_EEENS0_18inequality_wrapperI22is_equal_div_10_uniqueIdEEEPmJS6_EEE10hipError_tPvRmT3_T4_T5_T6_T7_T9_mT8_P12ihipStream_tbDpT10_ENKUlT_T0_E_clISt17integral_constantIbLb1EES1A_EEDaS15_S16_EUlS15_E_NS1_11comp_targetILNS1_3genE2ELNS1_11target_archE906ELNS1_3gpuE6ELNS1_3repE0EEENS1_30default_config_static_selectorELNS0_4arch9wavefront6targetE1EEEvT1_.uses_flat_scratch, 0
	.set _ZN7rocprim17ROCPRIM_400000_NS6detail17trampoline_kernelINS0_14default_configENS1_25partition_config_selectorILNS1_17partition_subalgoE8EdNS0_10empty_typeEbEEZZNS1_14partition_implILS5_8ELb0ES3_jN6thrust23THRUST_200600_302600_NS6detail15normal_iteratorINSA_10device_ptrIdEEEEPS6_PKS6_NS0_5tupleIJSF_S6_EEENSJ_IJSG_SG_EEENS0_18inequality_wrapperI22is_equal_div_10_uniqueIdEEEPmJS6_EEE10hipError_tPvRmT3_T4_T5_T6_T7_T9_mT8_P12ihipStream_tbDpT10_ENKUlT_T0_E_clISt17integral_constantIbLb1EES1A_EEDaS15_S16_EUlS15_E_NS1_11comp_targetILNS1_3genE2ELNS1_11target_archE906ELNS1_3gpuE6ELNS1_3repE0EEENS1_30default_config_static_selectorELNS0_4arch9wavefront6targetE1EEEvT1_.has_dyn_sized_stack, 0
	.set _ZN7rocprim17ROCPRIM_400000_NS6detail17trampoline_kernelINS0_14default_configENS1_25partition_config_selectorILNS1_17partition_subalgoE8EdNS0_10empty_typeEbEEZZNS1_14partition_implILS5_8ELb0ES3_jN6thrust23THRUST_200600_302600_NS6detail15normal_iteratorINSA_10device_ptrIdEEEEPS6_PKS6_NS0_5tupleIJSF_S6_EEENSJ_IJSG_SG_EEENS0_18inequality_wrapperI22is_equal_div_10_uniqueIdEEEPmJS6_EEE10hipError_tPvRmT3_T4_T5_T6_T7_T9_mT8_P12ihipStream_tbDpT10_ENKUlT_T0_E_clISt17integral_constantIbLb1EES1A_EEDaS15_S16_EUlS15_E_NS1_11comp_targetILNS1_3genE2ELNS1_11target_archE906ELNS1_3gpuE6ELNS1_3repE0EEENS1_30default_config_static_selectorELNS0_4arch9wavefront6targetE1EEEvT1_.has_recursion, 0
	.set _ZN7rocprim17ROCPRIM_400000_NS6detail17trampoline_kernelINS0_14default_configENS1_25partition_config_selectorILNS1_17partition_subalgoE8EdNS0_10empty_typeEbEEZZNS1_14partition_implILS5_8ELb0ES3_jN6thrust23THRUST_200600_302600_NS6detail15normal_iteratorINSA_10device_ptrIdEEEEPS6_PKS6_NS0_5tupleIJSF_S6_EEENSJ_IJSG_SG_EEENS0_18inequality_wrapperI22is_equal_div_10_uniqueIdEEEPmJS6_EEE10hipError_tPvRmT3_T4_T5_T6_T7_T9_mT8_P12ihipStream_tbDpT10_ENKUlT_T0_E_clISt17integral_constantIbLb1EES1A_EEDaS15_S16_EUlS15_E_NS1_11comp_targetILNS1_3genE2ELNS1_11target_archE906ELNS1_3gpuE6ELNS1_3repE0EEENS1_30default_config_static_selectorELNS0_4arch9wavefront6targetE1EEEvT1_.has_indirect_call, 0
	.section	.AMDGPU.csdata,"",@progbits
; Kernel info:
; codeLenInByte = 4
; TotalNumSgprs: 4
; NumVgprs: 0
; ScratchSize: 0
; MemoryBound: 0
; FloatMode: 240
; IeeeMode: 1
; LDSByteSize: 0 bytes/workgroup (compile time only)
; SGPRBlocks: 0
; VGPRBlocks: 0
; NumSGPRsForWavesPerEU: 4
; NumVGPRsForWavesPerEU: 1
; Occupancy: 10
; WaveLimiterHint : 0
; COMPUTE_PGM_RSRC2:SCRATCH_EN: 0
; COMPUTE_PGM_RSRC2:USER_SGPR: 6
; COMPUTE_PGM_RSRC2:TRAP_HANDLER: 0
; COMPUTE_PGM_RSRC2:TGID_X_EN: 1
; COMPUTE_PGM_RSRC2:TGID_Y_EN: 0
; COMPUTE_PGM_RSRC2:TGID_Z_EN: 0
; COMPUTE_PGM_RSRC2:TIDIG_COMP_CNT: 0
	.section	.text._ZN7rocprim17ROCPRIM_400000_NS6detail17trampoline_kernelINS0_14default_configENS1_25partition_config_selectorILNS1_17partition_subalgoE8EdNS0_10empty_typeEbEEZZNS1_14partition_implILS5_8ELb0ES3_jN6thrust23THRUST_200600_302600_NS6detail15normal_iteratorINSA_10device_ptrIdEEEEPS6_PKS6_NS0_5tupleIJSF_S6_EEENSJ_IJSG_SG_EEENS0_18inequality_wrapperI22is_equal_div_10_uniqueIdEEEPmJS6_EEE10hipError_tPvRmT3_T4_T5_T6_T7_T9_mT8_P12ihipStream_tbDpT10_ENKUlT_T0_E_clISt17integral_constantIbLb1EES1A_EEDaS15_S16_EUlS15_E_NS1_11comp_targetILNS1_3genE10ELNS1_11target_archE1200ELNS1_3gpuE4ELNS1_3repE0EEENS1_30default_config_static_selectorELNS0_4arch9wavefront6targetE1EEEvT1_,"axG",@progbits,_ZN7rocprim17ROCPRIM_400000_NS6detail17trampoline_kernelINS0_14default_configENS1_25partition_config_selectorILNS1_17partition_subalgoE8EdNS0_10empty_typeEbEEZZNS1_14partition_implILS5_8ELb0ES3_jN6thrust23THRUST_200600_302600_NS6detail15normal_iteratorINSA_10device_ptrIdEEEEPS6_PKS6_NS0_5tupleIJSF_S6_EEENSJ_IJSG_SG_EEENS0_18inequality_wrapperI22is_equal_div_10_uniqueIdEEEPmJS6_EEE10hipError_tPvRmT3_T4_T5_T6_T7_T9_mT8_P12ihipStream_tbDpT10_ENKUlT_T0_E_clISt17integral_constantIbLb1EES1A_EEDaS15_S16_EUlS15_E_NS1_11comp_targetILNS1_3genE10ELNS1_11target_archE1200ELNS1_3gpuE4ELNS1_3repE0EEENS1_30default_config_static_selectorELNS0_4arch9wavefront6targetE1EEEvT1_,comdat
	.protected	_ZN7rocprim17ROCPRIM_400000_NS6detail17trampoline_kernelINS0_14default_configENS1_25partition_config_selectorILNS1_17partition_subalgoE8EdNS0_10empty_typeEbEEZZNS1_14partition_implILS5_8ELb0ES3_jN6thrust23THRUST_200600_302600_NS6detail15normal_iteratorINSA_10device_ptrIdEEEEPS6_PKS6_NS0_5tupleIJSF_S6_EEENSJ_IJSG_SG_EEENS0_18inequality_wrapperI22is_equal_div_10_uniqueIdEEEPmJS6_EEE10hipError_tPvRmT3_T4_T5_T6_T7_T9_mT8_P12ihipStream_tbDpT10_ENKUlT_T0_E_clISt17integral_constantIbLb1EES1A_EEDaS15_S16_EUlS15_E_NS1_11comp_targetILNS1_3genE10ELNS1_11target_archE1200ELNS1_3gpuE4ELNS1_3repE0EEENS1_30default_config_static_selectorELNS0_4arch9wavefront6targetE1EEEvT1_ ; -- Begin function _ZN7rocprim17ROCPRIM_400000_NS6detail17trampoline_kernelINS0_14default_configENS1_25partition_config_selectorILNS1_17partition_subalgoE8EdNS0_10empty_typeEbEEZZNS1_14partition_implILS5_8ELb0ES3_jN6thrust23THRUST_200600_302600_NS6detail15normal_iteratorINSA_10device_ptrIdEEEEPS6_PKS6_NS0_5tupleIJSF_S6_EEENSJ_IJSG_SG_EEENS0_18inequality_wrapperI22is_equal_div_10_uniqueIdEEEPmJS6_EEE10hipError_tPvRmT3_T4_T5_T6_T7_T9_mT8_P12ihipStream_tbDpT10_ENKUlT_T0_E_clISt17integral_constantIbLb1EES1A_EEDaS15_S16_EUlS15_E_NS1_11comp_targetILNS1_3genE10ELNS1_11target_archE1200ELNS1_3gpuE4ELNS1_3repE0EEENS1_30default_config_static_selectorELNS0_4arch9wavefront6targetE1EEEvT1_
	.globl	_ZN7rocprim17ROCPRIM_400000_NS6detail17trampoline_kernelINS0_14default_configENS1_25partition_config_selectorILNS1_17partition_subalgoE8EdNS0_10empty_typeEbEEZZNS1_14partition_implILS5_8ELb0ES3_jN6thrust23THRUST_200600_302600_NS6detail15normal_iteratorINSA_10device_ptrIdEEEEPS6_PKS6_NS0_5tupleIJSF_S6_EEENSJ_IJSG_SG_EEENS0_18inequality_wrapperI22is_equal_div_10_uniqueIdEEEPmJS6_EEE10hipError_tPvRmT3_T4_T5_T6_T7_T9_mT8_P12ihipStream_tbDpT10_ENKUlT_T0_E_clISt17integral_constantIbLb1EES1A_EEDaS15_S16_EUlS15_E_NS1_11comp_targetILNS1_3genE10ELNS1_11target_archE1200ELNS1_3gpuE4ELNS1_3repE0EEENS1_30default_config_static_selectorELNS0_4arch9wavefront6targetE1EEEvT1_
	.p2align	8
	.type	_ZN7rocprim17ROCPRIM_400000_NS6detail17trampoline_kernelINS0_14default_configENS1_25partition_config_selectorILNS1_17partition_subalgoE8EdNS0_10empty_typeEbEEZZNS1_14partition_implILS5_8ELb0ES3_jN6thrust23THRUST_200600_302600_NS6detail15normal_iteratorINSA_10device_ptrIdEEEEPS6_PKS6_NS0_5tupleIJSF_S6_EEENSJ_IJSG_SG_EEENS0_18inequality_wrapperI22is_equal_div_10_uniqueIdEEEPmJS6_EEE10hipError_tPvRmT3_T4_T5_T6_T7_T9_mT8_P12ihipStream_tbDpT10_ENKUlT_T0_E_clISt17integral_constantIbLb1EES1A_EEDaS15_S16_EUlS15_E_NS1_11comp_targetILNS1_3genE10ELNS1_11target_archE1200ELNS1_3gpuE4ELNS1_3repE0EEENS1_30default_config_static_selectorELNS0_4arch9wavefront6targetE1EEEvT1_,@function
_ZN7rocprim17ROCPRIM_400000_NS6detail17trampoline_kernelINS0_14default_configENS1_25partition_config_selectorILNS1_17partition_subalgoE8EdNS0_10empty_typeEbEEZZNS1_14partition_implILS5_8ELb0ES3_jN6thrust23THRUST_200600_302600_NS6detail15normal_iteratorINSA_10device_ptrIdEEEEPS6_PKS6_NS0_5tupleIJSF_S6_EEENSJ_IJSG_SG_EEENS0_18inequality_wrapperI22is_equal_div_10_uniqueIdEEEPmJS6_EEE10hipError_tPvRmT3_T4_T5_T6_T7_T9_mT8_P12ihipStream_tbDpT10_ENKUlT_T0_E_clISt17integral_constantIbLb1EES1A_EEDaS15_S16_EUlS15_E_NS1_11comp_targetILNS1_3genE10ELNS1_11target_archE1200ELNS1_3gpuE4ELNS1_3repE0EEENS1_30default_config_static_selectorELNS0_4arch9wavefront6targetE1EEEvT1_: ; @_ZN7rocprim17ROCPRIM_400000_NS6detail17trampoline_kernelINS0_14default_configENS1_25partition_config_selectorILNS1_17partition_subalgoE8EdNS0_10empty_typeEbEEZZNS1_14partition_implILS5_8ELb0ES3_jN6thrust23THRUST_200600_302600_NS6detail15normal_iteratorINSA_10device_ptrIdEEEEPS6_PKS6_NS0_5tupleIJSF_S6_EEENSJ_IJSG_SG_EEENS0_18inequality_wrapperI22is_equal_div_10_uniqueIdEEEPmJS6_EEE10hipError_tPvRmT3_T4_T5_T6_T7_T9_mT8_P12ihipStream_tbDpT10_ENKUlT_T0_E_clISt17integral_constantIbLb1EES1A_EEDaS15_S16_EUlS15_E_NS1_11comp_targetILNS1_3genE10ELNS1_11target_archE1200ELNS1_3gpuE4ELNS1_3repE0EEENS1_30default_config_static_selectorELNS0_4arch9wavefront6targetE1EEEvT1_
; %bb.0:
	.section	.rodata,"a",@progbits
	.p2align	6, 0x0
	.amdhsa_kernel _ZN7rocprim17ROCPRIM_400000_NS6detail17trampoline_kernelINS0_14default_configENS1_25partition_config_selectorILNS1_17partition_subalgoE8EdNS0_10empty_typeEbEEZZNS1_14partition_implILS5_8ELb0ES3_jN6thrust23THRUST_200600_302600_NS6detail15normal_iteratorINSA_10device_ptrIdEEEEPS6_PKS6_NS0_5tupleIJSF_S6_EEENSJ_IJSG_SG_EEENS0_18inequality_wrapperI22is_equal_div_10_uniqueIdEEEPmJS6_EEE10hipError_tPvRmT3_T4_T5_T6_T7_T9_mT8_P12ihipStream_tbDpT10_ENKUlT_T0_E_clISt17integral_constantIbLb1EES1A_EEDaS15_S16_EUlS15_E_NS1_11comp_targetILNS1_3genE10ELNS1_11target_archE1200ELNS1_3gpuE4ELNS1_3repE0EEENS1_30default_config_static_selectorELNS0_4arch9wavefront6targetE1EEEvT1_
		.amdhsa_group_segment_fixed_size 0
		.amdhsa_private_segment_fixed_size 0
		.amdhsa_kernarg_size 128
		.amdhsa_user_sgpr_count 6
		.amdhsa_user_sgpr_private_segment_buffer 1
		.amdhsa_user_sgpr_dispatch_ptr 0
		.amdhsa_user_sgpr_queue_ptr 0
		.amdhsa_user_sgpr_kernarg_segment_ptr 1
		.amdhsa_user_sgpr_dispatch_id 0
		.amdhsa_user_sgpr_flat_scratch_init 0
		.amdhsa_user_sgpr_private_segment_size 0
		.amdhsa_uses_dynamic_stack 0
		.amdhsa_system_sgpr_private_segment_wavefront_offset 0
		.amdhsa_system_sgpr_workgroup_id_x 1
		.amdhsa_system_sgpr_workgroup_id_y 0
		.amdhsa_system_sgpr_workgroup_id_z 0
		.amdhsa_system_sgpr_workgroup_info 0
		.amdhsa_system_vgpr_workitem_id 0
		.amdhsa_next_free_vgpr 1
		.amdhsa_next_free_sgpr 0
		.amdhsa_reserve_vcc 0
		.amdhsa_reserve_flat_scratch 0
		.amdhsa_float_round_mode_32 0
		.amdhsa_float_round_mode_16_64 0
		.amdhsa_float_denorm_mode_32 3
		.amdhsa_float_denorm_mode_16_64 3
		.amdhsa_dx10_clamp 1
		.amdhsa_ieee_mode 1
		.amdhsa_fp16_overflow 0
		.amdhsa_exception_fp_ieee_invalid_op 0
		.amdhsa_exception_fp_denorm_src 0
		.amdhsa_exception_fp_ieee_div_zero 0
		.amdhsa_exception_fp_ieee_overflow 0
		.amdhsa_exception_fp_ieee_underflow 0
		.amdhsa_exception_fp_ieee_inexact 0
		.amdhsa_exception_int_div_zero 0
	.end_amdhsa_kernel
	.section	.text._ZN7rocprim17ROCPRIM_400000_NS6detail17trampoline_kernelINS0_14default_configENS1_25partition_config_selectorILNS1_17partition_subalgoE8EdNS0_10empty_typeEbEEZZNS1_14partition_implILS5_8ELb0ES3_jN6thrust23THRUST_200600_302600_NS6detail15normal_iteratorINSA_10device_ptrIdEEEEPS6_PKS6_NS0_5tupleIJSF_S6_EEENSJ_IJSG_SG_EEENS0_18inequality_wrapperI22is_equal_div_10_uniqueIdEEEPmJS6_EEE10hipError_tPvRmT3_T4_T5_T6_T7_T9_mT8_P12ihipStream_tbDpT10_ENKUlT_T0_E_clISt17integral_constantIbLb1EES1A_EEDaS15_S16_EUlS15_E_NS1_11comp_targetILNS1_3genE10ELNS1_11target_archE1200ELNS1_3gpuE4ELNS1_3repE0EEENS1_30default_config_static_selectorELNS0_4arch9wavefront6targetE1EEEvT1_,"axG",@progbits,_ZN7rocprim17ROCPRIM_400000_NS6detail17trampoline_kernelINS0_14default_configENS1_25partition_config_selectorILNS1_17partition_subalgoE8EdNS0_10empty_typeEbEEZZNS1_14partition_implILS5_8ELb0ES3_jN6thrust23THRUST_200600_302600_NS6detail15normal_iteratorINSA_10device_ptrIdEEEEPS6_PKS6_NS0_5tupleIJSF_S6_EEENSJ_IJSG_SG_EEENS0_18inequality_wrapperI22is_equal_div_10_uniqueIdEEEPmJS6_EEE10hipError_tPvRmT3_T4_T5_T6_T7_T9_mT8_P12ihipStream_tbDpT10_ENKUlT_T0_E_clISt17integral_constantIbLb1EES1A_EEDaS15_S16_EUlS15_E_NS1_11comp_targetILNS1_3genE10ELNS1_11target_archE1200ELNS1_3gpuE4ELNS1_3repE0EEENS1_30default_config_static_selectorELNS0_4arch9wavefront6targetE1EEEvT1_,comdat
.Lfunc_end60:
	.size	_ZN7rocprim17ROCPRIM_400000_NS6detail17trampoline_kernelINS0_14default_configENS1_25partition_config_selectorILNS1_17partition_subalgoE8EdNS0_10empty_typeEbEEZZNS1_14partition_implILS5_8ELb0ES3_jN6thrust23THRUST_200600_302600_NS6detail15normal_iteratorINSA_10device_ptrIdEEEEPS6_PKS6_NS0_5tupleIJSF_S6_EEENSJ_IJSG_SG_EEENS0_18inequality_wrapperI22is_equal_div_10_uniqueIdEEEPmJS6_EEE10hipError_tPvRmT3_T4_T5_T6_T7_T9_mT8_P12ihipStream_tbDpT10_ENKUlT_T0_E_clISt17integral_constantIbLb1EES1A_EEDaS15_S16_EUlS15_E_NS1_11comp_targetILNS1_3genE10ELNS1_11target_archE1200ELNS1_3gpuE4ELNS1_3repE0EEENS1_30default_config_static_selectorELNS0_4arch9wavefront6targetE1EEEvT1_, .Lfunc_end60-_ZN7rocprim17ROCPRIM_400000_NS6detail17trampoline_kernelINS0_14default_configENS1_25partition_config_selectorILNS1_17partition_subalgoE8EdNS0_10empty_typeEbEEZZNS1_14partition_implILS5_8ELb0ES3_jN6thrust23THRUST_200600_302600_NS6detail15normal_iteratorINSA_10device_ptrIdEEEEPS6_PKS6_NS0_5tupleIJSF_S6_EEENSJ_IJSG_SG_EEENS0_18inequality_wrapperI22is_equal_div_10_uniqueIdEEEPmJS6_EEE10hipError_tPvRmT3_T4_T5_T6_T7_T9_mT8_P12ihipStream_tbDpT10_ENKUlT_T0_E_clISt17integral_constantIbLb1EES1A_EEDaS15_S16_EUlS15_E_NS1_11comp_targetILNS1_3genE10ELNS1_11target_archE1200ELNS1_3gpuE4ELNS1_3repE0EEENS1_30default_config_static_selectorELNS0_4arch9wavefront6targetE1EEEvT1_
                                        ; -- End function
	.set _ZN7rocprim17ROCPRIM_400000_NS6detail17trampoline_kernelINS0_14default_configENS1_25partition_config_selectorILNS1_17partition_subalgoE8EdNS0_10empty_typeEbEEZZNS1_14partition_implILS5_8ELb0ES3_jN6thrust23THRUST_200600_302600_NS6detail15normal_iteratorINSA_10device_ptrIdEEEEPS6_PKS6_NS0_5tupleIJSF_S6_EEENSJ_IJSG_SG_EEENS0_18inequality_wrapperI22is_equal_div_10_uniqueIdEEEPmJS6_EEE10hipError_tPvRmT3_T4_T5_T6_T7_T9_mT8_P12ihipStream_tbDpT10_ENKUlT_T0_E_clISt17integral_constantIbLb1EES1A_EEDaS15_S16_EUlS15_E_NS1_11comp_targetILNS1_3genE10ELNS1_11target_archE1200ELNS1_3gpuE4ELNS1_3repE0EEENS1_30default_config_static_selectorELNS0_4arch9wavefront6targetE1EEEvT1_.num_vgpr, 0
	.set _ZN7rocprim17ROCPRIM_400000_NS6detail17trampoline_kernelINS0_14default_configENS1_25partition_config_selectorILNS1_17partition_subalgoE8EdNS0_10empty_typeEbEEZZNS1_14partition_implILS5_8ELb0ES3_jN6thrust23THRUST_200600_302600_NS6detail15normal_iteratorINSA_10device_ptrIdEEEEPS6_PKS6_NS0_5tupleIJSF_S6_EEENSJ_IJSG_SG_EEENS0_18inequality_wrapperI22is_equal_div_10_uniqueIdEEEPmJS6_EEE10hipError_tPvRmT3_T4_T5_T6_T7_T9_mT8_P12ihipStream_tbDpT10_ENKUlT_T0_E_clISt17integral_constantIbLb1EES1A_EEDaS15_S16_EUlS15_E_NS1_11comp_targetILNS1_3genE10ELNS1_11target_archE1200ELNS1_3gpuE4ELNS1_3repE0EEENS1_30default_config_static_selectorELNS0_4arch9wavefront6targetE1EEEvT1_.num_agpr, 0
	.set _ZN7rocprim17ROCPRIM_400000_NS6detail17trampoline_kernelINS0_14default_configENS1_25partition_config_selectorILNS1_17partition_subalgoE8EdNS0_10empty_typeEbEEZZNS1_14partition_implILS5_8ELb0ES3_jN6thrust23THRUST_200600_302600_NS6detail15normal_iteratorINSA_10device_ptrIdEEEEPS6_PKS6_NS0_5tupleIJSF_S6_EEENSJ_IJSG_SG_EEENS0_18inequality_wrapperI22is_equal_div_10_uniqueIdEEEPmJS6_EEE10hipError_tPvRmT3_T4_T5_T6_T7_T9_mT8_P12ihipStream_tbDpT10_ENKUlT_T0_E_clISt17integral_constantIbLb1EES1A_EEDaS15_S16_EUlS15_E_NS1_11comp_targetILNS1_3genE10ELNS1_11target_archE1200ELNS1_3gpuE4ELNS1_3repE0EEENS1_30default_config_static_selectorELNS0_4arch9wavefront6targetE1EEEvT1_.numbered_sgpr, 0
	.set _ZN7rocprim17ROCPRIM_400000_NS6detail17trampoline_kernelINS0_14default_configENS1_25partition_config_selectorILNS1_17partition_subalgoE8EdNS0_10empty_typeEbEEZZNS1_14partition_implILS5_8ELb0ES3_jN6thrust23THRUST_200600_302600_NS6detail15normal_iteratorINSA_10device_ptrIdEEEEPS6_PKS6_NS0_5tupleIJSF_S6_EEENSJ_IJSG_SG_EEENS0_18inequality_wrapperI22is_equal_div_10_uniqueIdEEEPmJS6_EEE10hipError_tPvRmT3_T4_T5_T6_T7_T9_mT8_P12ihipStream_tbDpT10_ENKUlT_T0_E_clISt17integral_constantIbLb1EES1A_EEDaS15_S16_EUlS15_E_NS1_11comp_targetILNS1_3genE10ELNS1_11target_archE1200ELNS1_3gpuE4ELNS1_3repE0EEENS1_30default_config_static_selectorELNS0_4arch9wavefront6targetE1EEEvT1_.num_named_barrier, 0
	.set _ZN7rocprim17ROCPRIM_400000_NS6detail17trampoline_kernelINS0_14default_configENS1_25partition_config_selectorILNS1_17partition_subalgoE8EdNS0_10empty_typeEbEEZZNS1_14partition_implILS5_8ELb0ES3_jN6thrust23THRUST_200600_302600_NS6detail15normal_iteratorINSA_10device_ptrIdEEEEPS6_PKS6_NS0_5tupleIJSF_S6_EEENSJ_IJSG_SG_EEENS0_18inequality_wrapperI22is_equal_div_10_uniqueIdEEEPmJS6_EEE10hipError_tPvRmT3_T4_T5_T6_T7_T9_mT8_P12ihipStream_tbDpT10_ENKUlT_T0_E_clISt17integral_constantIbLb1EES1A_EEDaS15_S16_EUlS15_E_NS1_11comp_targetILNS1_3genE10ELNS1_11target_archE1200ELNS1_3gpuE4ELNS1_3repE0EEENS1_30default_config_static_selectorELNS0_4arch9wavefront6targetE1EEEvT1_.private_seg_size, 0
	.set _ZN7rocprim17ROCPRIM_400000_NS6detail17trampoline_kernelINS0_14default_configENS1_25partition_config_selectorILNS1_17partition_subalgoE8EdNS0_10empty_typeEbEEZZNS1_14partition_implILS5_8ELb0ES3_jN6thrust23THRUST_200600_302600_NS6detail15normal_iteratorINSA_10device_ptrIdEEEEPS6_PKS6_NS0_5tupleIJSF_S6_EEENSJ_IJSG_SG_EEENS0_18inequality_wrapperI22is_equal_div_10_uniqueIdEEEPmJS6_EEE10hipError_tPvRmT3_T4_T5_T6_T7_T9_mT8_P12ihipStream_tbDpT10_ENKUlT_T0_E_clISt17integral_constantIbLb1EES1A_EEDaS15_S16_EUlS15_E_NS1_11comp_targetILNS1_3genE10ELNS1_11target_archE1200ELNS1_3gpuE4ELNS1_3repE0EEENS1_30default_config_static_selectorELNS0_4arch9wavefront6targetE1EEEvT1_.uses_vcc, 0
	.set _ZN7rocprim17ROCPRIM_400000_NS6detail17trampoline_kernelINS0_14default_configENS1_25partition_config_selectorILNS1_17partition_subalgoE8EdNS0_10empty_typeEbEEZZNS1_14partition_implILS5_8ELb0ES3_jN6thrust23THRUST_200600_302600_NS6detail15normal_iteratorINSA_10device_ptrIdEEEEPS6_PKS6_NS0_5tupleIJSF_S6_EEENSJ_IJSG_SG_EEENS0_18inequality_wrapperI22is_equal_div_10_uniqueIdEEEPmJS6_EEE10hipError_tPvRmT3_T4_T5_T6_T7_T9_mT8_P12ihipStream_tbDpT10_ENKUlT_T0_E_clISt17integral_constantIbLb1EES1A_EEDaS15_S16_EUlS15_E_NS1_11comp_targetILNS1_3genE10ELNS1_11target_archE1200ELNS1_3gpuE4ELNS1_3repE0EEENS1_30default_config_static_selectorELNS0_4arch9wavefront6targetE1EEEvT1_.uses_flat_scratch, 0
	.set _ZN7rocprim17ROCPRIM_400000_NS6detail17trampoline_kernelINS0_14default_configENS1_25partition_config_selectorILNS1_17partition_subalgoE8EdNS0_10empty_typeEbEEZZNS1_14partition_implILS5_8ELb0ES3_jN6thrust23THRUST_200600_302600_NS6detail15normal_iteratorINSA_10device_ptrIdEEEEPS6_PKS6_NS0_5tupleIJSF_S6_EEENSJ_IJSG_SG_EEENS0_18inequality_wrapperI22is_equal_div_10_uniqueIdEEEPmJS6_EEE10hipError_tPvRmT3_T4_T5_T6_T7_T9_mT8_P12ihipStream_tbDpT10_ENKUlT_T0_E_clISt17integral_constantIbLb1EES1A_EEDaS15_S16_EUlS15_E_NS1_11comp_targetILNS1_3genE10ELNS1_11target_archE1200ELNS1_3gpuE4ELNS1_3repE0EEENS1_30default_config_static_selectorELNS0_4arch9wavefront6targetE1EEEvT1_.has_dyn_sized_stack, 0
	.set _ZN7rocprim17ROCPRIM_400000_NS6detail17trampoline_kernelINS0_14default_configENS1_25partition_config_selectorILNS1_17partition_subalgoE8EdNS0_10empty_typeEbEEZZNS1_14partition_implILS5_8ELb0ES3_jN6thrust23THRUST_200600_302600_NS6detail15normal_iteratorINSA_10device_ptrIdEEEEPS6_PKS6_NS0_5tupleIJSF_S6_EEENSJ_IJSG_SG_EEENS0_18inequality_wrapperI22is_equal_div_10_uniqueIdEEEPmJS6_EEE10hipError_tPvRmT3_T4_T5_T6_T7_T9_mT8_P12ihipStream_tbDpT10_ENKUlT_T0_E_clISt17integral_constantIbLb1EES1A_EEDaS15_S16_EUlS15_E_NS1_11comp_targetILNS1_3genE10ELNS1_11target_archE1200ELNS1_3gpuE4ELNS1_3repE0EEENS1_30default_config_static_selectorELNS0_4arch9wavefront6targetE1EEEvT1_.has_recursion, 0
	.set _ZN7rocprim17ROCPRIM_400000_NS6detail17trampoline_kernelINS0_14default_configENS1_25partition_config_selectorILNS1_17partition_subalgoE8EdNS0_10empty_typeEbEEZZNS1_14partition_implILS5_8ELb0ES3_jN6thrust23THRUST_200600_302600_NS6detail15normal_iteratorINSA_10device_ptrIdEEEEPS6_PKS6_NS0_5tupleIJSF_S6_EEENSJ_IJSG_SG_EEENS0_18inequality_wrapperI22is_equal_div_10_uniqueIdEEEPmJS6_EEE10hipError_tPvRmT3_T4_T5_T6_T7_T9_mT8_P12ihipStream_tbDpT10_ENKUlT_T0_E_clISt17integral_constantIbLb1EES1A_EEDaS15_S16_EUlS15_E_NS1_11comp_targetILNS1_3genE10ELNS1_11target_archE1200ELNS1_3gpuE4ELNS1_3repE0EEENS1_30default_config_static_selectorELNS0_4arch9wavefront6targetE1EEEvT1_.has_indirect_call, 0
	.section	.AMDGPU.csdata,"",@progbits
; Kernel info:
; codeLenInByte = 0
; TotalNumSgprs: 4
; NumVgprs: 0
; ScratchSize: 0
; MemoryBound: 0
; FloatMode: 240
; IeeeMode: 1
; LDSByteSize: 0 bytes/workgroup (compile time only)
; SGPRBlocks: 0
; VGPRBlocks: 0
; NumSGPRsForWavesPerEU: 4
; NumVGPRsForWavesPerEU: 1
; Occupancy: 10
; WaveLimiterHint : 0
; COMPUTE_PGM_RSRC2:SCRATCH_EN: 0
; COMPUTE_PGM_RSRC2:USER_SGPR: 6
; COMPUTE_PGM_RSRC2:TRAP_HANDLER: 0
; COMPUTE_PGM_RSRC2:TGID_X_EN: 1
; COMPUTE_PGM_RSRC2:TGID_Y_EN: 0
; COMPUTE_PGM_RSRC2:TGID_Z_EN: 0
; COMPUTE_PGM_RSRC2:TIDIG_COMP_CNT: 0
	.section	.text._ZN7rocprim17ROCPRIM_400000_NS6detail17trampoline_kernelINS0_14default_configENS1_25partition_config_selectorILNS1_17partition_subalgoE8EdNS0_10empty_typeEbEEZZNS1_14partition_implILS5_8ELb0ES3_jN6thrust23THRUST_200600_302600_NS6detail15normal_iteratorINSA_10device_ptrIdEEEEPS6_PKS6_NS0_5tupleIJSF_S6_EEENSJ_IJSG_SG_EEENS0_18inequality_wrapperI22is_equal_div_10_uniqueIdEEEPmJS6_EEE10hipError_tPvRmT3_T4_T5_T6_T7_T9_mT8_P12ihipStream_tbDpT10_ENKUlT_T0_E_clISt17integral_constantIbLb1EES1A_EEDaS15_S16_EUlS15_E_NS1_11comp_targetILNS1_3genE9ELNS1_11target_archE1100ELNS1_3gpuE3ELNS1_3repE0EEENS1_30default_config_static_selectorELNS0_4arch9wavefront6targetE1EEEvT1_,"axG",@progbits,_ZN7rocprim17ROCPRIM_400000_NS6detail17trampoline_kernelINS0_14default_configENS1_25partition_config_selectorILNS1_17partition_subalgoE8EdNS0_10empty_typeEbEEZZNS1_14partition_implILS5_8ELb0ES3_jN6thrust23THRUST_200600_302600_NS6detail15normal_iteratorINSA_10device_ptrIdEEEEPS6_PKS6_NS0_5tupleIJSF_S6_EEENSJ_IJSG_SG_EEENS0_18inequality_wrapperI22is_equal_div_10_uniqueIdEEEPmJS6_EEE10hipError_tPvRmT3_T4_T5_T6_T7_T9_mT8_P12ihipStream_tbDpT10_ENKUlT_T0_E_clISt17integral_constantIbLb1EES1A_EEDaS15_S16_EUlS15_E_NS1_11comp_targetILNS1_3genE9ELNS1_11target_archE1100ELNS1_3gpuE3ELNS1_3repE0EEENS1_30default_config_static_selectorELNS0_4arch9wavefront6targetE1EEEvT1_,comdat
	.protected	_ZN7rocprim17ROCPRIM_400000_NS6detail17trampoline_kernelINS0_14default_configENS1_25partition_config_selectorILNS1_17partition_subalgoE8EdNS0_10empty_typeEbEEZZNS1_14partition_implILS5_8ELb0ES3_jN6thrust23THRUST_200600_302600_NS6detail15normal_iteratorINSA_10device_ptrIdEEEEPS6_PKS6_NS0_5tupleIJSF_S6_EEENSJ_IJSG_SG_EEENS0_18inequality_wrapperI22is_equal_div_10_uniqueIdEEEPmJS6_EEE10hipError_tPvRmT3_T4_T5_T6_T7_T9_mT8_P12ihipStream_tbDpT10_ENKUlT_T0_E_clISt17integral_constantIbLb1EES1A_EEDaS15_S16_EUlS15_E_NS1_11comp_targetILNS1_3genE9ELNS1_11target_archE1100ELNS1_3gpuE3ELNS1_3repE0EEENS1_30default_config_static_selectorELNS0_4arch9wavefront6targetE1EEEvT1_ ; -- Begin function _ZN7rocprim17ROCPRIM_400000_NS6detail17trampoline_kernelINS0_14default_configENS1_25partition_config_selectorILNS1_17partition_subalgoE8EdNS0_10empty_typeEbEEZZNS1_14partition_implILS5_8ELb0ES3_jN6thrust23THRUST_200600_302600_NS6detail15normal_iteratorINSA_10device_ptrIdEEEEPS6_PKS6_NS0_5tupleIJSF_S6_EEENSJ_IJSG_SG_EEENS0_18inequality_wrapperI22is_equal_div_10_uniqueIdEEEPmJS6_EEE10hipError_tPvRmT3_T4_T5_T6_T7_T9_mT8_P12ihipStream_tbDpT10_ENKUlT_T0_E_clISt17integral_constantIbLb1EES1A_EEDaS15_S16_EUlS15_E_NS1_11comp_targetILNS1_3genE9ELNS1_11target_archE1100ELNS1_3gpuE3ELNS1_3repE0EEENS1_30default_config_static_selectorELNS0_4arch9wavefront6targetE1EEEvT1_
	.globl	_ZN7rocprim17ROCPRIM_400000_NS6detail17trampoline_kernelINS0_14default_configENS1_25partition_config_selectorILNS1_17partition_subalgoE8EdNS0_10empty_typeEbEEZZNS1_14partition_implILS5_8ELb0ES3_jN6thrust23THRUST_200600_302600_NS6detail15normal_iteratorINSA_10device_ptrIdEEEEPS6_PKS6_NS0_5tupleIJSF_S6_EEENSJ_IJSG_SG_EEENS0_18inequality_wrapperI22is_equal_div_10_uniqueIdEEEPmJS6_EEE10hipError_tPvRmT3_T4_T5_T6_T7_T9_mT8_P12ihipStream_tbDpT10_ENKUlT_T0_E_clISt17integral_constantIbLb1EES1A_EEDaS15_S16_EUlS15_E_NS1_11comp_targetILNS1_3genE9ELNS1_11target_archE1100ELNS1_3gpuE3ELNS1_3repE0EEENS1_30default_config_static_selectorELNS0_4arch9wavefront6targetE1EEEvT1_
	.p2align	8
	.type	_ZN7rocprim17ROCPRIM_400000_NS6detail17trampoline_kernelINS0_14default_configENS1_25partition_config_selectorILNS1_17partition_subalgoE8EdNS0_10empty_typeEbEEZZNS1_14partition_implILS5_8ELb0ES3_jN6thrust23THRUST_200600_302600_NS6detail15normal_iteratorINSA_10device_ptrIdEEEEPS6_PKS6_NS0_5tupleIJSF_S6_EEENSJ_IJSG_SG_EEENS0_18inequality_wrapperI22is_equal_div_10_uniqueIdEEEPmJS6_EEE10hipError_tPvRmT3_T4_T5_T6_T7_T9_mT8_P12ihipStream_tbDpT10_ENKUlT_T0_E_clISt17integral_constantIbLb1EES1A_EEDaS15_S16_EUlS15_E_NS1_11comp_targetILNS1_3genE9ELNS1_11target_archE1100ELNS1_3gpuE3ELNS1_3repE0EEENS1_30default_config_static_selectorELNS0_4arch9wavefront6targetE1EEEvT1_,@function
_ZN7rocprim17ROCPRIM_400000_NS6detail17trampoline_kernelINS0_14default_configENS1_25partition_config_selectorILNS1_17partition_subalgoE8EdNS0_10empty_typeEbEEZZNS1_14partition_implILS5_8ELb0ES3_jN6thrust23THRUST_200600_302600_NS6detail15normal_iteratorINSA_10device_ptrIdEEEEPS6_PKS6_NS0_5tupleIJSF_S6_EEENSJ_IJSG_SG_EEENS0_18inequality_wrapperI22is_equal_div_10_uniqueIdEEEPmJS6_EEE10hipError_tPvRmT3_T4_T5_T6_T7_T9_mT8_P12ihipStream_tbDpT10_ENKUlT_T0_E_clISt17integral_constantIbLb1EES1A_EEDaS15_S16_EUlS15_E_NS1_11comp_targetILNS1_3genE9ELNS1_11target_archE1100ELNS1_3gpuE3ELNS1_3repE0EEENS1_30default_config_static_selectorELNS0_4arch9wavefront6targetE1EEEvT1_: ; @_ZN7rocprim17ROCPRIM_400000_NS6detail17trampoline_kernelINS0_14default_configENS1_25partition_config_selectorILNS1_17partition_subalgoE8EdNS0_10empty_typeEbEEZZNS1_14partition_implILS5_8ELb0ES3_jN6thrust23THRUST_200600_302600_NS6detail15normal_iteratorINSA_10device_ptrIdEEEEPS6_PKS6_NS0_5tupleIJSF_S6_EEENSJ_IJSG_SG_EEENS0_18inequality_wrapperI22is_equal_div_10_uniqueIdEEEPmJS6_EEE10hipError_tPvRmT3_T4_T5_T6_T7_T9_mT8_P12ihipStream_tbDpT10_ENKUlT_T0_E_clISt17integral_constantIbLb1EES1A_EEDaS15_S16_EUlS15_E_NS1_11comp_targetILNS1_3genE9ELNS1_11target_archE1100ELNS1_3gpuE3ELNS1_3repE0EEENS1_30default_config_static_selectorELNS0_4arch9wavefront6targetE1EEEvT1_
; %bb.0:
	.section	.rodata,"a",@progbits
	.p2align	6, 0x0
	.amdhsa_kernel _ZN7rocprim17ROCPRIM_400000_NS6detail17trampoline_kernelINS0_14default_configENS1_25partition_config_selectorILNS1_17partition_subalgoE8EdNS0_10empty_typeEbEEZZNS1_14partition_implILS5_8ELb0ES3_jN6thrust23THRUST_200600_302600_NS6detail15normal_iteratorINSA_10device_ptrIdEEEEPS6_PKS6_NS0_5tupleIJSF_S6_EEENSJ_IJSG_SG_EEENS0_18inequality_wrapperI22is_equal_div_10_uniqueIdEEEPmJS6_EEE10hipError_tPvRmT3_T4_T5_T6_T7_T9_mT8_P12ihipStream_tbDpT10_ENKUlT_T0_E_clISt17integral_constantIbLb1EES1A_EEDaS15_S16_EUlS15_E_NS1_11comp_targetILNS1_3genE9ELNS1_11target_archE1100ELNS1_3gpuE3ELNS1_3repE0EEENS1_30default_config_static_selectorELNS0_4arch9wavefront6targetE1EEEvT1_
		.amdhsa_group_segment_fixed_size 0
		.amdhsa_private_segment_fixed_size 0
		.amdhsa_kernarg_size 128
		.amdhsa_user_sgpr_count 6
		.amdhsa_user_sgpr_private_segment_buffer 1
		.amdhsa_user_sgpr_dispatch_ptr 0
		.amdhsa_user_sgpr_queue_ptr 0
		.amdhsa_user_sgpr_kernarg_segment_ptr 1
		.amdhsa_user_sgpr_dispatch_id 0
		.amdhsa_user_sgpr_flat_scratch_init 0
		.amdhsa_user_sgpr_private_segment_size 0
		.amdhsa_uses_dynamic_stack 0
		.amdhsa_system_sgpr_private_segment_wavefront_offset 0
		.amdhsa_system_sgpr_workgroup_id_x 1
		.amdhsa_system_sgpr_workgroup_id_y 0
		.amdhsa_system_sgpr_workgroup_id_z 0
		.amdhsa_system_sgpr_workgroup_info 0
		.amdhsa_system_vgpr_workitem_id 0
		.amdhsa_next_free_vgpr 1
		.amdhsa_next_free_sgpr 0
		.amdhsa_reserve_vcc 0
		.amdhsa_reserve_flat_scratch 0
		.amdhsa_float_round_mode_32 0
		.amdhsa_float_round_mode_16_64 0
		.amdhsa_float_denorm_mode_32 3
		.amdhsa_float_denorm_mode_16_64 3
		.amdhsa_dx10_clamp 1
		.amdhsa_ieee_mode 1
		.amdhsa_fp16_overflow 0
		.amdhsa_exception_fp_ieee_invalid_op 0
		.amdhsa_exception_fp_denorm_src 0
		.amdhsa_exception_fp_ieee_div_zero 0
		.amdhsa_exception_fp_ieee_overflow 0
		.amdhsa_exception_fp_ieee_underflow 0
		.amdhsa_exception_fp_ieee_inexact 0
		.amdhsa_exception_int_div_zero 0
	.end_amdhsa_kernel
	.section	.text._ZN7rocprim17ROCPRIM_400000_NS6detail17trampoline_kernelINS0_14default_configENS1_25partition_config_selectorILNS1_17partition_subalgoE8EdNS0_10empty_typeEbEEZZNS1_14partition_implILS5_8ELb0ES3_jN6thrust23THRUST_200600_302600_NS6detail15normal_iteratorINSA_10device_ptrIdEEEEPS6_PKS6_NS0_5tupleIJSF_S6_EEENSJ_IJSG_SG_EEENS0_18inequality_wrapperI22is_equal_div_10_uniqueIdEEEPmJS6_EEE10hipError_tPvRmT3_T4_T5_T6_T7_T9_mT8_P12ihipStream_tbDpT10_ENKUlT_T0_E_clISt17integral_constantIbLb1EES1A_EEDaS15_S16_EUlS15_E_NS1_11comp_targetILNS1_3genE9ELNS1_11target_archE1100ELNS1_3gpuE3ELNS1_3repE0EEENS1_30default_config_static_selectorELNS0_4arch9wavefront6targetE1EEEvT1_,"axG",@progbits,_ZN7rocprim17ROCPRIM_400000_NS6detail17trampoline_kernelINS0_14default_configENS1_25partition_config_selectorILNS1_17partition_subalgoE8EdNS0_10empty_typeEbEEZZNS1_14partition_implILS5_8ELb0ES3_jN6thrust23THRUST_200600_302600_NS6detail15normal_iteratorINSA_10device_ptrIdEEEEPS6_PKS6_NS0_5tupleIJSF_S6_EEENSJ_IJSG_SG_EEENS0_18inequality_wrapperI22is_equal_div_10_uniqueIdEEEPmJS6_EEE10hipError_tPvRmT3_T4_T5_T6_T7_T9_mT8_P12ihipStream_tbDpT10_ENKUlT_T0_E_clISt17integral_constantIbLb1EES1A_EEDaS15_S16_EUlS15_E_NS1_11comp_targetILNS1_3genE9ELNS1_11target_archE1100ELNS1_3gpuE3ELNS1_3repE0EEENS1_30default_config_static_selectorELNS0_4arch9wavefront6targetE1EEEvT1_,comdat
.Lfunc_end61:
	.size	_ZN7rocprim17ROCPRIM_400000_NS6detail17trampoline_kernelINS0_14default_configENS1_25partition_config_selectorILNS1_17partition_subalgoE8EdNS0_10empty_typeEbEEZZNS1_14partition_implILS5_8ELb0ES3_jN6thrust23THRUST_200600_302600_NS6detail15normal_iteratorINSA_10device_ptrIdEEEEPS6_PKS6_NS0_5tupleIJSF_S6_EEENSJ_IJSG_SG_EEENS0_18inequality_wrapperI22is_equal_div_10_uniqueIdEEEPmJS6_EEE10hipError_tPvRmT3_T4_T5_T6_T7_T9_mT8_P12ihipStream_tbDpT10_ENKUlT_T0_E_clISt17integral_constantIbLb1EES1A_EEDaS15_S16_EUlS15_E_NS1_11comp_targetILNS1_3genE9ELNS1_11target_archE1100ELNS1_3gpuE3ELNS1_3repE0EEENS1_30default_config_static_selectorELNS0_4arch9wavefront6targetE1EEEvT1_, .Lfunc_end61-_ZN7rocprim17ROCPRIM_400000_NS6detail17trampoline_kernelINS0_14default_configENS1_25partition_config_selectorILNS1_17partition_subalgoE8EdNS0_10empty_typeEbEEZZNS1_14partition_implILS5_8ELb0ES3_jN6thrust23THRUST_200600_302600_NS6detail15normal_iteratorINSA_10device_ptrIdEEEEPS6_PKS6_NS0_5tupleIJSF_S6_EEENSJ_IJSG_SG_EEENS0_18inequality_wrapperI22is_equal_div_10_uniqueIdEEEPmJS6_EEE10hipError_tPvRmT3_T4_T5_T6_T7_T9_mT8_P12ihipStream_tbDpT10_ENKUlT_T0_E_clISt17integral_constantIbLb1EES1A_EEDaS15_S16_EUlS15_E_NS1_11comp_targetILNS1_3genE9ELNS1_11target_archE1100ELNS1_3gpuE3ELNS1_3repE0EEENS1_30default_config_static_selectorELNS0_4arch9wavefront6targetE1EEEvT1_
                                        ; -- End function
	.set _ZN7rocprim17ROCPRIM_400000_NS6detail17trampoline_kernelINS0_14default_configENS1_25partition_config_selectorILNS1_17partition_subalgoE8EdNS0_10empty_typeEbEEZZNS1_14partition_implILS5_8ELb0ES3_jN6thrust23THRUST_200600_302600_NS6detail15normal_iteratorINSA_10device_ptrIdEEEEPS6_PKS6_NS0_5tupleIJSF_S6_EEENSJ_IJSG_SG_EEENS0_18inequality_wrapperI22is_equal_div_10_uniqueIdEEEPmJS6_EEE10hipError_tPvRmT3_T4_T5_T6_T7_T9_mT8_P12ihipStream_tbDpT10_ENKUlT_T0_E_clISt17integral_constantIbLb1EES1A_EEDaS15_S16_EUlS15_E_NS1_11comp_targetILNS1_3genE9ELNS1_11target_archE1100ELNS1_3gpuE3ELNS1_3repE0EEENS1_30default_config_static_selectorELNS0_4arch9wavefront6targetE1EEEvT1_.num_vgpr, 0
	.set _ZN7rocprim17ROCPRIM_400000_NS6detail17trampoline_kernelINS0_14default_configENS1_25partition_config_selectorILNS1_17partition_subalgoE8EdNS0_10empty_typeEbEEZZNS1_14partition_implILS5_8ELb0ES3_jN6thrust23THRUST_200600_302600_NS6detail15normal_iteratorINSA_10device_ptrIdEEEEPS6_PKS6_NS0_5tupleIJSF_S6_EEENSJ_IJSG_SG_EEENS0_18inequality_wrapperI22is_equal_div_10_uniqueIdEEEPmJS6_EEE10hipError_tPvRmT3_T4_T5_T6_T7_T9_mT8_P12ihipStream_tbDpT10_ENKUlT_T0_E_clISt17integral_constantIbLb1EES1A_EEDaS15_S16_EUlS15_E_NS1_11comp_targetILNS1_3genE9ELNS1_11target_archE1100ELNS1_3gpuE3ELNS1_3repE0EEENS1_30default_config_static_selectorELNS0_4arch9wavefront6targetE1EEEvT1_.num_agpr, 0
	.set _ZN7rocprim17ROCPRIM_400000_NS6detail17trampoline_kernelINS0_14default_configENS1_25partition_config_selectorILNS1_17partition_subalgoE8EdNS0_10empty_typeEbEEZZNS1_14partition_implILS5_8ELb0ES3_jN6thrust23THRUST_200600_302600_NS6detail15normal_iteratorINSA_10device_ptrIdEEEEPS6_PKS6_NS0_5tupleIJSF_S6_EEENSJ_IJSG_SG_EEENS0_18inequality_wrapperI22is_equal_div_10_uniqueIdEEEPmJS6_EEE10hipError_tPvRmT3_T4_T5_T6_T7_T9_mT8_P12ihipStream_tbDpT10_ENKUlT_T0_E_clISt17integral_constantIbLb1EES1A_EEDaS15_S16_EUlS15_E_NS1_11comp_targetILNS1_3genE9ELNS1_11target_archE1100ELNS1_3gpuE3ELNS1_3repE0EEENS1_30default_config_static_selectorELNS0_4arch9wavefront6targetE1EEEvT1_.numbered_sgpr, 0
	.set _ZN7rocprim17ROCPRIM_400000_NS6detail17trampoline_kernelINS0_14default_configENS1_25partition_config_selectorILNS1_17partition_subalgoE8EdNS0_10empty_typeEbEEZZNS1_14partition_implILS5_8ELb0ES3_jN6thrust23THRUST_200600_302600_NS6detail15normal_iteratorINSA_10device_ptrIdEEEEPS6_PKS6_NS0_5tupleIJSF_S6_EEENSJ_IJSG_SG_EEENS0_18inequality_wrapperI22is_equal_div_10_uniqueIdEEEPmJS6_EEE10hipError_tPvRmT3_T4_T5_T6_T7_T9_mT8_P12ihipStream_tbDpT10_ENKUlT_T0_E_clISt17integral_constantIbLb1EES1A_EEDaS15_S16_EUlS15_E_NS1_11comp_targetILNS1_3genE9ELNS1_11target_archE1100ELNS1_3gpuE3ELNS1_3repE0EEENS1_30default_config_static_selectorELNS0_4arch9wavefront6targetE1EEEvT1_.num_named_barrier, 0
	.set _ZN7rocprim17ROCPRIM_400000_NS6detail17trampoline_kernelINS0_14default_configENS1_25partition_config_selectorILNS1_17partition_subalgoE8EdNS0_10empty_typeEbEEZZNS1_14partition_implILS5_8ELb0ES3_jN6thrust23THRUST_200600_302600_NS6detail15normal_iteratorINSA_10device_ptrIdEEEEPS6_PKS6_NS0_5tupleIJSF_S6_EEENSJ_IJSG_SG_EEENS0_18inequality_wrapperI22is_equal_div_10_uniqueIdEEEPmJS6_EEE10hipError_tPvRmT3_T4_T5_T6_T7_T9_mT8_P12ihipStream_tbDpT10_ENKUlT_T0_E_clISt17integral_constantIbLb1EES1A_EEDaS15_S16_EUlS15_E_NS1_11comp_targetILNS1_3genE9ELNS1_11target_archE1100ELNS1_3gpuE3ELNS1_3repE0EEENS1_30default_config_static_selectorELNS0_4arch9wavefront6targetE1EEEvT1_.private_seg_size, 0
	.set _ZN7rocprim17ROCPRIM_400000_NS6detail17trampoline_kernelINS0_14default_configENS1_25partition_config_selectorILNS1_17partition_subalgoE8EdNS0_10empty_typeEbEEZZNS1_14partition_implILS5_8ELb0ES3_jN6thrust23THRUST_200600_302600_NS6detail15normal_iteratorINSA_10device_ptrIdEEEEPS6_PKS6_NS0_5tupleIJSF_S6_EEENSJ_IJSG_SG_EEENS0_18inequality_wrapperI22is_equal_div_10_uniqueIdEEEPmJS6_EEE10hipError_tPvRmT3_T4_T5_T6_T7_T9_mT8_P12ihipStream_tbDpT10_ENKUlT_T0_E_clISt17integral_constantIbLb1EES1A_EEDaS15_S16_EUlS15_E_NS1_11comp_targetILNS1_3genE9ELNS1_11target_archE1100ELNS1_3gpuE3ELNS1_3repE0EEENS1_30default_config_static_selectorELNS0_4arch9wavefront6targetE1EEEvT1_.uses_vcc, 0
	.set _ZN7rocprim17ROCPRIM_400000_NS6detail17trampoline_kernelINS0_14default_configENS1_25partition_config_selectorILNS1_17partition_subalgoE8EdNS0_10empty_typeEbEEZZNS1_14partition_implILS5_8ELb0ES3_jN6thrust23THRUST_200600_302600_NS6detail15normal_iteratorINSA_10device_ptrIdEEEEPS6_PKS6_NS0_5tupleIJSF_S6_EEENSJ_IJSG_SG_EEENS0_18inequality_wrapperI22is_equal_div_10_uniqueIdEEEPmJS6_EEE10hipError_tPvRmT3_T4_T5_T6_T7_T9_mT8_P12ihipStream_tbDpT10_ENKUlT_T0_E_clISt17integral_constantIbLb1EES1A_EEDaS15_S16_EUlS15_E_NS1_11comp_targetILNS1_3genE9ELNS1_11target_archE1100ELNS1_3gpuE3ELNS1_3repE0EEENS1_30default_config_static_selectorELNS0_4arch9wavefront6targetE1EEEvT1_.uses_flat_scratch, 0
	.set _ZN7rocprim17ROCPRIM_400000_NS6detail17trampoline_kernelINS0_14default_configENS1_25partition_config_selectorILNS1_17partition_subalgoE8EdNS0_10empty_typeEbEEZZNS1_14partition_implILS5_8ELb0ES3_jN6thrust23THRUST_200600_302600_NS6detail15normal_iteratorINSA_10device_ptrIdEEEEPS6_PKS6_NS0_5tupleIJSF_S6_EEENSJ_IJSG_SG_EEENS0_18inequality_wrapperI22is_equal_div_10_uniqueIdEEEPmJS6_EEE10hipError_tPvRmT3_T4_T5_T6_T7_T9_mT8_P12ihipStream_tbDpT10_ENKUlT_T0_E_clISt17integral_constantIbLb1EES1A_EEDaS15_S16_EUlS15_E_NS1_11comp_targetILNS1_3genE9ELNS1_11target_archE1100ELNS1_3gpuE3ELNS1_3repE0EEENS1_30default_config_static_selectorELNS0_4arch9wavefront6targetE1EEEvT1_.has_dyn_sized_stack, 0
	.set _ZN7rocprim17ROCPRIM_400000_NS6detail17trampoline_kernelINS0_14default_configENS1_25partition_config_selectorILNS1_17partition_subalgoE8EdNS0_10empty_typeEbEEZZNS1_14partition_implILS5_8ELb0ES3_jN6thrust23THRUST_200600_302600_NS6detail15normal_iteratorINSA_10device_ptrIdEEEEPS6_PKS6_NS0_5tupleIJSF_S6_EEENSJ_IJSG_SG_EEENS0_18inequality_wrapperI22is_equal_div_10_uniqueIdEEEPmJS6_EEE10hipError_tPvRmT3_T4_T5_T6_T7_T9_mT8_P12ihipStream_tbDpT10_ENKUlT_T0_E_clISt17integral_constantIbLb1EES1A_EEDaS15_S16_EUlS15_E_NS1_11comp_targetILNS1_3genE9ELNS1_11target_archE1100ELNS1_3gpuE3ELNS1_3repE0EEENS1_30default_config_static_selectorELNS0_4arch9wavefront6targetE1EEEvT1_.has_recursion, 0
	.set _ZN7rocprim17ROCPRIM_400000_NS6detail17trampoline_kernelINS0_14default_configENS1_25partition_config_selectorILNS1_17partition_subalgoE8EdNS0_10empty_typeEbEEZZNS1_14partition_implILS5_8ELb0ES3_jN6thrust23THRUST_200600_302600_NS6detail15normal_iteratorINSA_10device_ptrIdEEEEPS6_PKS6_NS0_5tupleIJSF_S6_EEENSJ_IJSG_SG_EEENS0_18inequality_wrapperI22is_equal_div_10_uniqueIdEEEPmJS6_EEE10hipError_tPvRmT3_T4_T5_T6_T7_T9_mT8_P12ihipStream_tbDpT10_ENKUlT_T0_E_clISt17integral_constantIbLb1EES1A_EEDaS15_S16_EUlS15_E_NS1_11comp_targetILNS1_3genE9ELNS1_11target_archE1100ELNS1_3gpuE3ELNS1_3repE0EEENS1_30default_config_static_selectorELNS0_4arch9wavefront6targetE1EEEvT1_.has_indirect_call, 0
	.section	.AMDGPU.csdata,"",@progbits
; Kernel info:
; codeLenInByte = 0
; TotalNumSgprs: 4
; NumVgprs: 0
; ScratchSize: 0
; MemoryBound: 0
; FloatMode: 240
; IeeeMode: 1
; LDSByteSize: 0 bytes/workgroup (compile time only)
; SGPRBlocks: 0
; VGPRBlocks: 0
; NumSGPRsForWavesPerEU: 4
; NumVGPRsForWavesPerEU: 1
; Occupancy: 10
; WaveLimiterHint : 0
; COMPUTE_PGM_RSRC2:SCRATCH_EN: 0
; COMPUTE_PGM_RSRC2:USER_SGPR: 6
; COMPUTE_PGM_RSRC2:TRAP_HANDLER: 0
; COMPUTE_PGM_RSRC2:TGID_X_EN: 1
; COMPUTE_PGM_RSRC2:TGID_Y_EN: 0
; COMPUTE_PGM_RSRC2:TGID_Z_EN: 0
; COMPUTE_PGM_RSRC2:TIDIG_COMP_CNT: 0
	.section	.text._ZN7rocprim17ROCPRIM_400000_NS6detail17trampoline_kernelINS0_14default_configENS1_25partition_config_selectorILNS1_17partition_subalgoE8EdNS0_10empty_typeEbEEZZNS1_14partition_implILS5_8ELb0ES3_jN6thrust23THRUST_200600_302600_NS6detail15normal_iteratorINSA_10device_ptrIdEEEEPS6_PKS6_NS0_5tupleIJSF_S6_EEENSJ_IJSG_SG_EEENS0_18inequality_wrapperI22is_equal_div_10_uniqueIdEEEPmJS6_EEE10hipError_tPvRmT3_T4_T5_T6_T7_T9_mT8_P12ihipStream_tbDpT10_ENKUlT_T0_E_clISt17integral_constantIbLb1EES1A_EEDaS15_S16_EUlS15_E_NS1_11comp_targetILNS1_3genE8ELNS1_11target_archE1030ELNS1_3gpuE2ELNS1_3repE0EEENS1_30default_config_static_selectorELNS0_4arch9wavefront6targetE1EEEvT1_,"axG",@progbits,_ZN7rocprim17ROCPRIM_400000_NS6detail17trampoline_kernelINS0_14default_configENS1_25partition_config_selectorILNS1_17partition_subalgoE8EdNS0_10empty_typeEbEEZZNS1_14partition_implILS5_8ELb0ES3_jN6thrust23THRUST_200600_302600_NS6detail15normal_iteratorINSA_10device_ptrIdEEEEPS6_PKS6_NS0_5tupleIJSF_S6_EEENSJ_IJSG_SG_EEENS0_18inequality_wrapperI22is_equal_div_10_uniqueIdEEEPmJS6_EEE10hipError_tPvRmT3_T4_T5_T6_T7_T9_mT8_P12ihipStream_tbDpT10_ENKUlT_T0_E_clISt17integral_constantIbLb1EES1A_EEDaS15_S16_EUlS15_E_NS1_11comp_targetILNS1_3genE8ELNS1_11target_archE1030ELNS1_3gpuE2ELNS1_3repE0EEENS1_30default_config_static_selectorELNS0_4arch9wavefront6targetE1EEEvT1_,comdat
	.protected	_ZN7rocprim17ROCPRIM_400000_NS6detail17trampoline_kernelINS0_14default_configENS1_25partition_config_selectorILNS1_17partition_subalgoE8EdNS0_10empty_typeEbEEZZNS1_14partition_implILS5_8ELb0ES3_jN6thrust23THRUST_200600_302600_NS6detail15normal_iteratorINSA_10device_ptrIdEEEEPS6_PKS6_NS0_5tupleIJSF_S6_EEENSJ_IJSG_SG_EEENS0_18inequality_wrapperI22is_equal_div_10_uniqueIdEEEPmJS6_EEE10hipError_tPvRmT3_T4_T5_T6_T7_T9_mT8_P12ihipStream_tbDpT10_ENKUlT_T0_E_clISt17integral_constantIbLb1EES1A_EEDaS15_S16_EUlS15_E_NS1_11comp_targetILNS1_3genE8ELNS1_11target_archE1030ELNS1_3gpuE2ELNS1_3repE0EEENS1_30default_config_static_selectorELNS0_4arch9wavefront6targetE1EEEvT1_ ; -- Begin function _ZN7rocprim17ROCPRIM_400000_NS6detail17trampoline_kernelINS0_14default_configENS1_25partition_config_selectorILNS1_17partition_subalgoE8EdNS0_10empty_typeEbEEZZNS1_14partition_implILS5_8ELb0ES3_jN6thrust23THRUST_200600_302600_NS6detail15normal_iteratorINSA_10device_ptrIdEEEEPS6_PKS6_NS0_5tupleIJSF_S6_EEENSJ_IJSG_SG_EEENS0_18inequality_wrapperI22is_equal_div_10_uniqueIdEEEPmJS6_EEE10hipError_tPvRmT3_T4_T5_T6_T7_T9_mT8_P12ihipStream_tbDpT10_ENKUlT_T0_E_clISt17integral_constantIbLb1EES1A_EEDaS15_S16_EUlS15_E_NS1_11comp_targetILNS1_3genE8ELNS1_11target_archE1030ELNS1_3gpuE2ELNS1_3repE0EEENS1_30default_config_static_selectorELNS0_4arch9wavefront6targetE1EEEvT1_
	.globl	_ZN7rocprim17ROCPRIM_400000_NS6detail17trampoline_kernelINS0_14default_configENS1_25partition_config_selectorILNS1_17partition_subalgoE8EdNS0_10empty_typeEbEEZZNS1_14partition_implILS5_8ELb0ES3_jN6thrust23THRUST_200600_302600_NS6detail15normal_iteratorINSA_10device_ptrIdEEEEPS6_PKS6_NS0_5tupleIJSF_S6_EEENSJ_IJSG_SG_EEENS0_18inequality_wrapperI22is_equal_div_10_uniqueIdEEEPmJS6_EEE10hipError_tPvRmT3_T4_T5_T6_T7_T9_mT8_P12ihipStream_tbDpT10_ENKUlT_T0_E_clISt17integral_constantIbLb1EES1A_EEDaS15_S16_EUlS15_E_NS1_11comp_targetILNS1_3genE8ELNS1_11target_archE1030ELNS1_3gpuE2ELNS1_3repE0EEENS1_30default_config_static_selectorELNS0_4arch9wavefront6targetE1EEEvT1_
	.p2align	8
	.type	_ZN7rocprim17ROCPRIM_400000_NS6detail17trampoline_kernelINS0_14default_configENS1_25partition_config_selectorILNS1_17partition_subalgoE8EdNS0_10empty_typeEbEEZZNS1_14partition_implILS5_8ELb0ES3_jN6thrust23THRUST_200600_302600_NS6detail15normal_iteratorINSA_10device_ptrIdEEEEPS6_PKS6_NS0_5tupleIJSF_S6_EEENSJ_IJSG_SG_EEENS0_18inequality_wrapperI22is_equal_div_10_uniqueIdEEEPmJS6_EEE10hipError_tPvRmT3_T4_T5_T6_T7_T9_mT8_P12ihipStream_tbDpT10_ENKUlT_T0_E_clISt17integral_constantIbLb1EES1A_EEDaS15_S16_EUlS15_E_NS1_11comp_targetILNS1_3genE8ELNS1_11target_archE1030ELNS1_3gpuE2ELNS1_3repE0EEENS1_30default_config_static_selectorELNS0_4arch9wavefront6targetE1EEEvT1_,@function
_ZN7rocprim17ROCPRIM_400000_NS6detail17trampoline_kernelINS0_14default_configENS1_25partition_config_selectorILNS1_17partition_subalgoE8EdNS0_10empty_typeEbEEZZNS1_14partition_implILS5_8ELb0ES3_jN6thrust23THRUST_200600_302600_NS6detail15normal_iteratorINSA_10device_ptrIdEEEEPS6_PKS6_NS0_5tupleIJSF_S6_EEENSJ_IJSG_SG_EEENS0_18inequality_wrapperI22is_equal_div_10_uniqueIdEEEPmJS6_EEE10hipError_tPvRmT3_T4_T5_T6_T7_T9_mT8_P12ihipStream_tbDpT10_ENKUlT_T0_E_clISt17integral_constantIbLb1EES1A_EEDaS15_S16_EUlS15_E_NS1_11comp_targetILNS1_3genE8ELNS1_11target_archE1030ELNS1_3gpuE2ELNS1_3repE0EEENS1_30default_config_static_selectorELNS0_4arch9wavefront6targetE1EEEvT1_: ; @_ZN7rocprim17ROCPRIM_400000_NS6detail17trampoline_kernelINS0_14default_configENS1_25partition_config_selectorILNS1_17partition_subalgoE8EdNS0_10empty_typeEbEEZZNS1_14partition_implILS5_8ELb0ES3_jN6thrust23THRUST_200600_302600_NS6detail15normal_iteratorINSA_10device_ptrIdEEEEPS6_PKS6_NS0_5tupleIJSF_S6_EEENSJ_IJSG_SG_EEENS0_18inequality_wrapperI22is_equal_div_10_uniqueIdEEEPmJS6_EEE10hipError_tPvRmT3_T4_T5_T6_T7_T9_mT8_P12ihipStream_tbDpT10_ENKUlT_T0_E_clISt17integral_constantIbLb1EES1A_EEDaS15_S16_EUlS15_E_NS1_11comp_targetILNS1_3genE8ELNS1_11target_archE1030ELNS1_3gpuE2ELNS1_3repE0EEENS1_30default_config_static_selectorELNS0_4arch9wavefront6targetE1EEEvT1_
; %bb.0:
	.section	.rodata,"a",@progbits
	.p2align	6, 0x0
	.amdhsa_kernel _ZN7rocprim17ROCPRIM_400000_NS6detail17trampoline_kernelINS0_14default_configENS1_25partition_config_selectorILNS1_17partition_subalgoE8EdNS0_10empty_typeEbEEZZNS1_14partition_implILS5_8ELb0ES3_jN6thrust23THRUST_200600_302600_NS6detail15normal_iteratorINSA_10device_ptrIdEEEEPS6_PKS6_NS0_5tupleIJSF_S6_EEENSJ_IJSG_SG_EEENS0_18inequality_wrapperI22is_equal_div_10_uniqueIdEEEPmJS6_EEE10hipError_tPvRmT3_T4_T5_T6_T7_T9_mT8_P12ihipStream_tbDpT10_ENKUlT_T0_E_clISt17integral_constantIbLb1EES1A_EEDaS15_S16_EUlS15_E_NS1_11comp_targetILNS1_3genE8ELNS1_11target_archE1030ELNS1_3gpuE2ELNS1_3repE0EEENS1_30default_config_static_selectorELNS0_4arch9wavefront6targetE1EEEvT1_
		.amdhsa_group_segment_fixed_size 0
		.amdhsa_private_segment_fixed_size 0
		.amdhsa_kernarg_size 128
		.amdhsa_user_sgpr_count 6
		.amdhsa_user_sgpr_private_segment_buffer 1
		.amdhsa_user_sgpr_dispatch_ptr 0
		.amdhsa_user_sgpr_queue_ptr 0
		.amdhsa_user_sgpr_kernarg_segment_ptr 1
		.amdhsa_user_sgpr_dispatch_id 0
		.amdhsa_user_sgpr_flat_scratch_init 0
		.amdhsa_user_sgpr_private_segment_size 0
		.amdhsa_uses_dynamic_stack 0
		.amdhsa_system_sgpr_private_segment_wavefront_offset 0
		.amdhsa_system_sgpr_workgroup_id_x 1
		.amdhsa_system_sgpr_workgroup_id_y 0
		.amdhsa_system_sgpr_workgroup_id_z 0
		.amdhsa_system_sgpr_workgroup_info 0
		.amdhsa_system_vgpr_workitem_id 0
		.amdhsa_next_free_vgpr 1
		.amdhsa_next_free_sgpr 0
		.amdhsa_reserve_vcc 0
		.amdhsa_reserve_flat_scratch 0
		.amdhsa_float_round_mode_32 0
		.amdhsa_float_round_mode_16_64 0
		.amdhsa_float_denorm_mode_32 3
		.amdhsa_float_denorm_mode_16_64 3
		.amdhsa_dx10_clamp 1
		.amdhsa_ieee_mode 1
		.amdhsa_fp16_overflow 0
		.amdhsa_exception_fp_ieee_invalid_op 0
		.amdhsa_exception_fp_denorm_src 0
		.amdhsa_exception_fp_ieee_div_zero 0
		.amdhsa_exception_fp_ieee_overflow 0
		.amdhsa_exception_fp_ieee_underflow 0
		.amdhsa_exception_fp_ieee_inexact 0
		.amdhsa_exception_int_div_zero 0
	.end_amdhsa_kernel
	.section	.text._ZN7rocprim17ROCPRIM_400000_NS6detail17trampoline_kernelINS0_14default_configENS1_25partition_config_selectorILNS1_17partition_subalgoE8EdNS0_10empty_typeEbEEZZNS1_14partition_implILS5_8ELb0ES3_jN6thrust23THRUST_200600_302600_NS6detail15normal_iteratorINSA_10device_ptrIdEEEEPS6_PKS6_NS0_5tupleIJSF_S6_EEENSJ_IJSG_SG_EEENS0_18inequality_wrapperI22is_equal_div_10_uniqueIdEEEPmJS6_EEE10hipError_tPvRmT3_T4_T5_T6_T7_T9_mT8_P12ihipStream_tbDpT10_ENKUlT_T0_E_clISt17integral_constantIbLb1EES1A_EEDaS15_S16_EUlS15_E_NS1_11comp_targetILNS1_3genE8ELNS1_11target_archE1030ELNS1_3gpuE2ELNS1_3repE0EEENS1_30default_config_static_selectorELNS0_4arch9wavefront6targetE1EEEvT1_,"axG",@progbits,_ZN7rocprim17ROCPRIM_400000_NS6detail17trampoline_kernelINS0_14default_configENS1_25partition_config_selectorILNS1_17partition_subalgoE8EdNS0_10empty_typeEbEEZZNS1_14partition_implILS5_8ELb0ES3_jN6thrust23THRUST_200600_302600_NS6detail15normal_iteratorINSA_10device_ptrIdEEEEPS6_PKS6_NS0_5tupleIJSF_S6_EEENSJ_IJSG_SG_EEENS0_18inequality_wrapperI22is_equal_div_10_uniqueIdEEEPmJS6_EEE10hipError_tPvRmT3_T4_T5_T6_T7_T9_mT8_P12ihipStream_tbDpT10_ENKUlT_T0_E_clISt17integral_constantIbLb1EES1A_EEDaS15_S16_EUlS15_E_NS1_11comp_targetILNS1_3genE8ELNS1_11target_archE1030ELNS1_3gpuE2ELNS1_3repE0EEENS1_30default_config_static_selectorELNS0_4arch9wavefront6targetE1EEEvT1_,comdat
.Lfunc_end62:
	.size	_ZN7rocprim17ROCPRIM_400000_NS6detail17trampoline_kernelINS0_14default_configENS1_25partition_config_selectorILNS1_17partition_subalgoE8EdNS0_10empty_typeEbEEZZNS1_14partition_implILS5_8ELb0ES3_jN6thrust23THRUST_200600_302600_NS6detail15normal_iteratorINSA_10device_ptrIdEEEEPS6_PKS6_NS0_5tupleIJSF_S6_EEENSJ_IJSG_SG_EEENS0_18inequality_wrapperI22is_equal_div_10_uniqueIdEEEPmJS6_EEE10hipError_tPvRmT3_T4_T5_T6_T7_T9_mT8_P12ihipStream_tbDpT10_ENKUlT_T0_E_clISt17integral_constantIbLb1EES1A_EEDaS15_S16_EUlS15_E_NS1_11comp_targetILNS1_3genE8ELNS1_11target_archE1030ELNS1_3gpuE2ELNS1_3repE0EEENS1_30default_config_static_selectorELNS0_4arch9wavefront6targetE1EEEvT1_, .Lfunc_end62-_ZN7rocprim17ROCPRIM_400000_NS6detail17trampoline_kernelINS0_14default_configENS1_25partition_config_selectorILNS1_17partition_subalgoE8EdNS0_10empty_typeEbEEZZNS1_14partition_implILS5_8ELb0ES3_jN6thrust23THRUST_200600_302600_NS6detail15normal_iteratorINSA_10device_ptrIdEEEEPS6_PKS6_NS0_5tupleIJSF_S6_EEENSJ_IJSG_SG_EEENS0_18inequality_wrapperI22is_equal_div_10_uniqueIdEEEPmJS6_EEE10hipError_tPvRmT3_T4_T5_T6_T7_T9_mT8_P12ihipStream_tbDpT10_ENKUlT_T0_E_clISt17integral_constantIbLb1EES1A_EEDaS15_S16_EUlS15_E_NS1_11comp_targetILNS1_3genE8ELNS1_11target_archE1030ELNS1_3gpuE2ELNS1_3repE0EEENS1_30default_config_static_selectorELNS0_4arch9wavefront6targetE1EEEvT1_
                                        ; -- End function
	.set _ZN7rocprim17ROCPRIM_400000_NS6detail17trampoline_kernelINS0_14default_configENS1_25partition_config_selectorILNS1_17partition_subalgoE8EdNS0_10empty_typeEbEEZZNS1_14partition_implILS5_8ELb0ES3_jN6thrust23THRUST_200600_302600_NS6detail15normal_iteratorINSA_10device_ptrIdEEEEPS6_PKS6_NS0_5tupleIJSF_S6_EEENSJ_IJSG_SG_EEENS0_18inequality_wrapperI22is_equal_div_10_uniqueIdEEEPmJS6_EEE10hipError_tPvRmT3_T4_T5_T6_T7_T9_mT8_P12ihipStream_tbDpT10_ENKUlT_T0_E_clISt17integral_constantIbLb1EES1A_EEDaS15_S16_EUlS15_E_NS1_11comp_targetILNS1_3genE8ELNS1_11target_archE1030ELNS1_3gpuE2ELNS1_3repE0EEENS1_30default_config_static_selectorELNS0_4arch9wavefront6targetE1EEEvT1_.num_vgpr, 0
	.set _ZN7rocprim17ROCPRIM_400000_NS6detail17trampoline_kernelINS0_14default_configENS1_25partition_config_selectorILNS1_17partition_subalgoE8EdNS0_10empty_typeEbEEZZNS1_14partition_implILS5_8ELb0ES3_jN6thrust23THRUST_200600_302600_NS6detail15normal_iteratorINSA_10device_ptrIdEEEEPS6_PKS6_NS0_5tupleIJSF_S6_EEENSJ_IJSG_SG_EEENS0_18inequality_wrapperI22is_equal_div_10_uniqueIdEEEPmJS6_EEE10hipError_tPvRmT3_T4_T5_T6_T7_T9_mT8_P12ihipStream_tbDpT10_ENKUlT_T0_E_clISt17integral_constantIbLb1EES1A_EEDaS15_S16_EUlS15_E_NS1_11comp_targetILNS1_3genE8ELNS1_11target_archE1030ELNS1_3gpuE2ELNS1_3repE0EEENS1_30default_config_static_selectorELNS0_4arch9wavefront6targetE1EEEvT1_.num_agpr, 0
	.set _ZN7rocprim17ROCPRIM_400000_NS6detail17trampoline_kernelINS0_14default_configENS1_25partition_config_selectorILNS1_17partition_subalgoE8EdNS0_10empty_typeEbEEZZNS1_14partition_implILS5_8ELb0ES3_jN6thrust23THRUST_200600_302600_NS6detail15normal_iteratorINSA_10device_ptrIdEEEEPS6_PKS6_NS0_5tupleIJSF_S6_EEENSJ_IJSG_SG_EEENS0_18inequality_wrapperI22is_equal_div_10_uniqueIdEEEPmJS6_EEE10hipError_tPvRmT3_T4_T5_T6_T7_T9_mT8_P12ihipStream_tbDpT10_ENKUlT_T0_E_clISt17integral_constantIbLb1EES1A_EEDaS15_S16_EUlS15_E_NS1_11comp_targetILNS1_3genE8ELNS1_11target_archE1030ELNS1_3gpuE2ELNS1_3repE0EEENS1_30default_config_static_selectorELNS0_4arch9wavefront6targetE1EEEvT1_.numbered_sgpr, 0
	.set _ZN7rocprim17ROCPRIM_400000_NS6detail17trampoline_kernelINS0_14default_configENS1_25partition_config_selectorILNS1_17partition_subalgoE8EdNS0_10empty_typeEbEEZZNS1_14partition_implILS5_8ELb0ES3_jN6thrust23THRUST_200600_302600_NS6detail15normal_iteratorINSA_10device_ptrIdEEEEPS6_PKS6_NS0_5tupleIJSF_S6_EEENSJ_IJSG_SG_EEENS0_18inequality_wrapperI22is_equal_div_10_uniqueIdEEEPmJS6_EEE10hipError_tPvRmT3_T4_T5_T6_T7_T9_mT8_P12ihipStream_tbDpT10_ENKUlT_T0_E_clISt17integral_constantIbLb1EES1A_EEDaS15_S16_EUlS15_E_NS1_11comp_targetILNS1_3genE8ELNS1_11target_archE1030ELNS1_3gpuE2ELNS1_3repE0EEENS1_30default_config_static_selectorELNS0_4arch9wavefront6targetE1EEEvT1_.num_named_barrier, 0
	.set _ZN7rocprim17ROCPRIM_400000_NS6detail17trampoline_kernelINS0_14default_configENS1_25partition_config_selectorILNS1_17partition_subalgoE8EdNS0_10empty_typeEbEEZZNS1_14partition_implILS5_8ELb0ES3_jN6thrust23THRUST_200600_302600_NS6detail15normal_iteratorINSA_10device_ptrIdEEEEPS6_PKS6_NS0_5tupleIJSF_S6_EEENSJ_IJSG_SG_EEENS0_18inequality_wrapperI22is_equal_div_10_uniqueIdEEEPmJS6_EEE10hipError_tPvRmT3_T4_T5_T6_T7_T9_mT8_P12ihipStream_tbDpT10_ENKUlT_T0_E_clISt17integral_constantIbLb1EES1A_EEDaS15_S16_EUlS15_E_NS1_11comp_targetILNS1_3genE8ELNS1_11target_archE1030ELNS1_3gpuE2ELNS1_3repE0EEENS1_30default_config_static_selectorELNS0_4arch9wavefront6targetE1EEEvT1_.private_seg_size, 0
	.set _ZN7rocprim17ROCPRIM_400000_NS6detail17trampoline_kernelINS0_14default_configENS1_25partition_config_selectorILNS1_17partition_subalgoE8EdNS0_10empty_typeEbEEZZNS1_14partition_implILS5_8ELb0ES3_jN6thrust23THRUST_200600_302600_NS6detail15normal_iteratorINSA_10device_ptrIdEEEEPS6_PKS6_NS0_5tupleIJSF_S6_EEENSJ_IJSG_SG_EEENS0_18inequality_wrapperI22is_equal_div_10_uniqueIdEEEPmJS6_EEE10hipError_tPvRmT3_T4_T5_T6_T7_T9_mT8_P12ihipStream_tbDpT10_ENKUlT_T0_E_clISt17integral_constantIbLb1EES1A_EEDaS15_S16_EUlS15_E_NS1_11comp_targetILNS1_3genE8ELNS1_11target_archE1030ELNS1_3gpuE2ELNS1_3repE0EEENS1_30default_config_static_selectorELNS0_4arch9wavefront6targetE1EEEvT1_.uses_vcc, 0
	.set _ZN7rocprim17ROCPRIM_400000_NS6detail17trampoline_kernelINS0_14default_configENS1_25partition_config_selectorILNS1_17partition_subalgoE8EdNS0_10empty_typeEbEEZZNS1_14partition_implILS5_8ELb0ES3_jN6thrust23THRUST_200600_302600_NS6detail15normal_iteratorINSA_10device_ptrIdEEEEPS6_PKS6_NS0_5tupleIJSF_S6_EEENSJ_IJSG_SG_EEENS0_18inequality_wrapperI22is_equal_div_10_uniqueIdEEEPmJS6_EEE10hipError_tPvRmT3_T4_T5_T6_T7_T9_mT8_P12ihipStream_tbDpT10_ENKUlT_T0_E_clISt17integral_constantIbLb1EES1A_EEDaS15_S16_EUlS15_E_NS1_11comp_targetILNS1_3genE8ELNS1_11target_archE1030ELNS1_3gpuE2ELNS1_3repE0EEENS1_30default_config_static_selectorELNS0_4arch9wavefront6targetE1EEEvT1_.uses_flat_scratch, 0
	.set _ZN7rocprim17ROCPRIM_400000_NS6detail17trampoline_kernelINS0_14default_configENS1_25partition_config_selectorILNS1_17partition_subalgoE8EdNS0_10empty_typeEbEEZZNS1_14partition_implILS5_8ELb0ES3_jN6thrust23THRUST_200600_302600_NS6detail15normal_iteratorINSA_10device_ptrIdEEEEPS6_PKS6_NS0_5tupleIJSF_S6_EEENSJ_IJSG_SG_EEENS0_18inequality_wrapperI22is_equal_div_10_uniqueIdEEEPmJS6_EEE10hipError_tPvRmT3_T4_T5_T6_T7_T9_mT8_P12ihipStream_tbDpT10_ENKUlT_T0_E_clISt17integral_constantIbLb1EES1A_EEDaS15_S16_EUlS15_E_NS1_11comp_targetILNS1_3genE8ELNS1_11target_archE1030ELNS1_3gpuE2ELNS1_3repE0EEENS1_30default_config_static_selectorELNS0_4arch9wavefront6targetE1EEEvT1_.has_dyn_sized_stack, 0
	.set _ZN7rocprim17ROCPRIM_400000_NS6detail17trampoline_kernelINS0_14default_configENS1_25partition_config_selectorILNS1_17partition_subalgoE8EdNS0_10empty_typeEbEEZZNS1_14partition_implILS5_8ELb0ES3_jN6thrust23THRUST_200600_302600_NS6detail15normal_iteratorINSA_10device_ptrIdEEEEPS6_PKS6_NS0_5tupleIJSF_S6_EEENSJ_IJSG_SG_EEENS0_18inequality_wrapperI22is_equal_div_10_uniqueIdEEEPmJS6_EEE10hipError_tPvRmT3_T4_T5_T6_T7_T9_mT8_P12ihipStream_tbDpT10_ENKUlT_T0_E_clISt17integral_constantIbLb1EES1A_EEDaS15_S16_EUlS15_E_NS1_11comp_targetILNS1_3genE8ELNS1_11target_archE1030ELNS1_3gpuE2ELNS1_3repE0EEENS1_30default_config_static_selectorELNS0_4arch9wavefront6targetE1EEEvT1_.has_recursion, 0
	.set _ZN7rocprim17ROCPRIM_400000_NS6detail17trampoline_kernelINS0_14default_configENS1_25partition_config_selectorILNS1_17partition_subalgoE8EdNS0_10empty_typeEbEEZZNS1_14partition_implILS5_8ELb0ES3_jN6thrust23THRUST_200600_302600_NS6detail15normal_iteratorINSA_10device_ptrIdEEEEPS6_PKS6_NS0_5tupleIJSF_S6_EEENSJ_IJSG_SG_EEENS0_18inequality_wrapperI22is_equal_div_10_uniqueIdEEEPmJS6_EEE10hipError_tPvRmT3_T4_T5_T6_T7_T9_mT8_P12ihipStream_tbDpT10_ENKUlT_T0_E_clISt17integral_constantIbLb1EES1A_EEDaS15_S16_EUlS15_E_NS1_11comp_targetILNS1_3genE8ELNS1_11target_archE1030ELNS1_3gpuE2ELNS1_3repE0EEENS1_30default_config_static_selectorELNS0_4arch9wavefront6targetE1EEEvT1_.has_indirect_call, 0
	.section	.AMDGPU.csdata,"",@progbits
; Kernel info:
; codeLenInByte = 0
; TotalNumSgprs: 4
; NumVgprs: 0
; ScratchSize: 0
; MemoryBound: 0
; FloatMode: 240
; IeeeMode: 1
; LDSByteSize: 0 bytes/workgroup (compile time only)
; SGPRBlocks: 0
; VGPRBlocks: 0
; NumSGPRsForWavesPerEU: 4
; NumVGPRsForWavesPerEU: 1
; Occupancy: 10
; WaveLimiterHint : 0
; COMPUTE_PGM_RSRC2:SCRATCH_EN: 0
; COMPUTE_PGM_RSRC2:USER_SGPR: 6
; COMPUTE_PGM_RSRC2:TRAP_HANDLER: 0
; COMPUTE_PGM_RSRC2:TGID_X_EN: 1
; COMPUTE_PGM_RSRC2:TGID_Y_EN: 0
; COMPUTE_PGM_RSRC2:TGID_Z_EN: 0
; COMPUTE_PGM_RSRC2:TIDIG_COMP_CNT: 0
	.section	.text._ZN7rocprim17ROCPRIM_400000_NS6detail17trampoline_kernelINS0_14default_configENS1_25partition_config_selectorILNS1_17partition_subalgoE8EdNS0_10empty_typeEbEEZZNS1_14partition_implILS5_8ELb0ES3_jN6thrust23THRUST_200600_302600_NS6detail15normal_iteratorINSA_10device_ptrIdEEEEPS6_PKS6_NS0_5tupleIJSF_S6_EEENSJ_IJSG_SG_EEENS0_18inequality_wrapperI22is_equal_div_10_uniqueIdEEEPmJS6_EEE10hipError_tPvRmT3_T4_T5_T6_T7_T9_mT8_P12ihipStream_tbDpT10_ENKUlT_T0_E_clISt17integral_constantIbLb1EES19_IbLb0EEEEDaS15_S16_EUlS15_E_NS1_11comp_targetILNS1_3genE0ELNS1_11target_archE4294967295ELNS1_3gpuE0ELNS1_3repE0EEENS1_30default_config_static_selectorELNS0_4arch9wavefront6targetE1EEEvT1_,"axG",@progbits,_ZN7rocprim17ROCPRIM_400000_NS6detail17trampoline_kernelINS0_14default_configENS1_25partition_config_selectorILNS1_17partition_subalgoE8EdNS0_10empty_typeEbEEZZNS1_14partition_implILS5_8ELb0ES3_jN6thrust23THRUST_200600_302600_NS6detail15normal_iteratorINSA_10device_ptrIdEEEEPS6_PKS6_NS0_5tupleIJSF_S6_EEENSJ_IJSG_SG_EEENS0_18inequality_wrapperI22is_equal_div_10_uniqueIdEEEPmJS6_EEE10hipError_tPvRmT3_T4_T5_T6_T7_T9_mT8_P12ihipStream_tbDpT10_ENKUlT_T0_E_clISt17integral_constantIbLb1EES19_IbLb0EEEEDaS15_S16_EUlS15_E_NS1_11comp_targetILNS1_3genE0ELNS1_11target_archE4294967295ELNS1_3gpuE0ELNS1_3repE0EEENS1_30default_config_static_selectorELNS0_4arch9wavefront6targetE1EEEvT1_,comdat
	.protected	_ZN7rocprim17ROCPRIM_400000_NS6detail17trampoline_kernelINS0_14default_configENS1_25partition_config_selectorILNS1_17partition_subalgoE8EdNS0_10empty_typeEbEEZZNS1_14partition_implILS5_8ELb0ES3_jN6thrust23THRUST_200600_302600_NS6detail15normal_iteratorINSA_10device_ptrIdEEEEPS6_PKS6_NS0_5tupleIJSF_S6_EEENSJ_IJSG_SG_EEENS0_18inequality_wrapperI22is_equal_div_10_uniqueIdEEEPmJS6_EEE10hipError_tPvRmT3_T4_T5_T6_T7_T9_mT8_P12ihipStream_tbDpT10_ENKUlT_T0_E_clISt17integral_constantIbLb1EES19_IbLb0EEEEDaS15_S16_EUlS15_E_NS1_11comp_targetILNS1_3genE0ELNS1_11target_archE4294967295ELNS1_3gpuE0ELNS1_3repE0EEENS1_30default_config_static_selectorELNS0_4arch9wavefront6targetE1EEEvT1_ ; -- Begin function _ZN7rocprim17ROCPRIM_400000_NS6detail17trampoline_kernelINS0_14default_configENS1_25partition_config_selectorILNS1_17partition_subalgoE8EdNS0_10empty_typeEbEEZZNS1_14partition_implILS5_8ELb0ES3_jN6thrust23THRUST_200600_302600_NS6detail15normal_iteratorINSA_10device_ptrIdEEEEPS6_PKS6_NS0_5tupleIJSF_S6_EEENSJ_IJSG_SG_EEENS0_18inequality_wrapperI22is_equal_div_10_uniqueIdEEEPmJS6_EEE10hipError_tPvRmT3_T4_T5_T6_T7_T9_mT8_P12ihipStream_tbDpT10_ENKUlT_T0_E_clISt17integral_constantIbLb1EES19_IbLb0EEEEDaS15_S16_EUlS15_E_NS1_11comp_targetILNS1_3genE0ELNS1_11target_archE4294967295ELNS1_3gpuE0ELNS1_3repE0EEENS1_30default_config_static_selectorELNS0_4arch9wavefront6targetE1EEEvT1_
	.globl	_ZN7rocprim17ROCPRIM_400000_NS6detail17trampoline_kernelINS0_14default_configENS1_25partition_config_selectorILNS1_17partition_subalgoE8EdNS0_10empty_typeEbEEZZNS1_14partition_implILS5_8ELb0ES3_jN6thrust23THRUST_200600_302600_NS6detail15normal_iteratorINSA_10device_ptrIdEEEEPS6_PKS6_NS0_5tupleIJSF_S6_EEENSJ_IJSG_SG_EEENS0_18inequality_wrapperI22is_equal_div_10_uniqueIdEEEPmJS6_EEE10hipError_tPvRmT3_T4_T5_T6_T7_T9_mT8_P12ihipStream_tbDpT10_ENKUlT_T0_E_clISt17integral_constantIbLb1EES19_IbLb0EEEEDaS15_S16_EUlS15_E_NS1_11comp_targetILNS1_3genE0ELNS1_11target_archE4294967295ELNS1_3gpuE0ELNS1_3repE0EEENS1_30default_config_static_selectorELNS0_4arch9wavefront6targetE1EEEvT1_
	.p2align	8
	.type	_ZN7rocprim17ROCPRIM_400000_NS6detail17trampoline_kernelINS0_14default_configENS1_25partition_config_selectorILNS1_17partition_subalgoE8EdNS0_10empty_typeEbEEZZNS1_14partition_implILS5_8ELb0ES3_jN6thrust23THRUST_200600_302600_NS6detail15normal_iteratorINSA_10device_ptrIdEEEEPS6_PKS6_NS0_5tupleIJSF_S6_EEENSJ_IJSG_SG_EEENS0_18inequality_wrapperI22is_equal_div_10_uniqueIdEEEPmJS6_EEE10hipError_tPvRmT3_T4_T5_T6_T7_T9_mT8_P12ihipStream_tbDpT10_ENKUlT_T0_E_clISt17integral_constantIbLb1EES19_IbLb0EEEEDaS15_S16_EUlS15_E_NS1_11comp_targetILNS1_3genE0ELNS1_11target_archE4294967295ELNS1_3gpuE0ELNS1_3repE0EEENS1_30default_config_static_selectorELNS0_4arch9wavefront6targetE1EEEvT1_,@function
_ZN7rocprim17ROCPRIM_400000_NS6detail17trampoline_kernelINS0_14default_configENS1_25partition_config_selectorILNS1_17partition_subalgoE8EdNS0_10empty_typeEbEEZZNS1_14partition_implILS5_8ELb0ES3_jN6thrust23THRUST_200600_302600_NS6detail15normal_iteratorINSA_10device_ptrIdEEEEPS6_PKS6_NS0_5tupleIJSF_S6_EEENSJ_IJSG_SG_EEENS0_18inequality_wrapperI22is_equal_div_10_uniqueIdEEEPmJS6_EEE10hipError_tPvRmT3_T4_T5_T6_T7_T9_mT8_P12ihipStream_tbDpT10_ENKUlT_T0_E_clISt17integral_constantIbLb1EES19_IbLb0EEEEDaS15_S16_EUlS15_E_NS1_11comp_targetILNS1_3genE0ELNS1_11target_archE4294967295ELNS1_3gpuE0ELNS1_3repE0EEENS1_30default_config_static_selectorELNS0_4arch9wavefront6targetE1EEEvT1_: ; @_ZN7rocprim17ROCPRIM_400000_NS6detail17trampoline_kernelINS0_14default_configENS1_25partition_config_selectorILNS1_17partition_subalgoE8EdNS0_10empty_typeEbEEZZNS1_14partition_implILS5_8ELb0ES3_jN6thrust23THRUST_200600_302600_NS6detail15normal_iteratorINSA_10device_ptrIdEEEEPS6_PKS6_NS0_5tupleIJSF_S6_EEENSJ_IJSG_SG_EEENS0_18inequality_wrapperI22is_equal_div_10_uniqueIdEEEPmJS6_EEE10hipError_tPvRmT3_T4_T5_T6_T7_T9_mT8_P12ihipStream_tbDpT10_ENKUlT_T0_E_clISt17integral_constantIbLb1EES19_IbLb0EEEEDaS15_S16_EUlS15_E_NS1_11comp_targetILNS1_3genE0ELNS1_11target_archE4294967295ELNS1_3gpuE0ELNS1_3repE0EEENS1_30default_config_static_selectorELNS0_4arch9wavefront6targetE1EEEvT1_
; %bb.0:
	.section	.rodata,"a",@progbits
	.p2align	6, 0x0
	.amdhsa_kernel _ZN7rocprim17ROCPRIM_400000_NS6detail17trampoline_kernelINS0_14default_configENS1_25partition_config_selectorILNS1_17partition_subalgoE8EdNS0_10empty_typeEbEEZZNS1_14partition_implILS5_8ELb0ES3_jN6thrust23THRUST_200600_302600_NS6detail15normal_iteratorINSA_10device_ptrIdEEEEPS6_PKS6_NS0_5tupleIJSF_S6_EEENSJ_IJSG_SG_EEENS0_18inequality_wrapperI22is_equal_div_10_uniqueIdEEEPmJS6_EEE10hipError_tPvRmT3_T4_T5_T6_T7_T9_mT8_P12ihipStream_tbDpT10_ENKUlT_T0_E_clISt17integral_constantIbLb1EES19_IbLb0EEEEDaS15_S16_EUlS15_E_NS1_11comp_targetILNS1_3genE0ELNS1_11target_archE4294967295ELNS1_3gpuE0ELNS1_3repE0EEENS1_30default_config_static_selectorELNS0_4arch9wavefront6targetE1EEEvT1_
		.amdhsa_group_segment_fixed_size 0
		.amdhsa_private_segment_fixed_size 0
		.amdhsa_kernarg_size 112
		.amdhsa_user_sgpr_count 6
		.amdhsa_user_sgpr_private_segment_buffer 1
		.amdhsa_user_sgpr_dispatch_ptr 0
		.amdhsa_user_sgpr_queue_ptr 0
		.amdhsa_user_sgpr_kernarg_segment_ptr 1
		.amdhsa_user_sgpr_dispatch_id 0
		.amdhsa_user_sgpr_flat_scratch_init 0
		.amdhsa_user_sgpr_private_segment_size 0
		.amdhsa_uses_dynamic_stack 0
		.amdhsa_system_sgpr_private_segment_wavefront_offset 0
		.amdhsa_system_sgpr_workgroup_id_x 1
		.amdhsa_system_sgpr_workgroup_id_y 0
		.amdhsa_system_sgpr_workgroup_id_z 0
		.amdhsa_system_sgpr_workgroup_info 0
		.amdhsa_system_vgpr_workitem_id 0
		.amdhsa_next_free_vgpr 1
		.amdhsa_next_free_sgpr 0
		.amdhsa_reserve_vcc 0
		.amdhsa_reserve_flat_scratch 0
		.amdhsa_float_round_mode_32 0
		.amdhsa_float_round_mode_16_64 0
		.amdhsa_float_denorm_mode_32 3
		.amdhsa_float_denorm_mode_16_64 3
		.amdhsa_dx10_clamp 1
		.amdhsa_ieee_mode 1
		.amdhsa_fp16_overflow 0
		.amdhsa_exception_fp_ieee_invalid_op 0
		.amdhsa_exception_fp_denorm_src 0
		.amdhsa_exception_fp_ieee_div_zero 0
		.amdhsa_exception_fp_ieee_overflow 0
		.amdhsa_exception_fp_ieee_underflow 0
		.amdhsa_exception_fp_ieee_inexact 0
		.amdhsa_exception_int_div_zero 0
	.end_amdhsa_kernel
	.section	.text._ZN7rocprim17ROCPRIM_400000_NS6detail17trampoline_kernelINS0_14default_configENS1_25partition_config_selectorILNS1_17partition_subalgoE8EdNS0_10empty_typeEbEEZZNS1_14partition_implILS5_8ELb0ES3_jN6thrust23THRUST_200600_302600_NS6detail15normal_iteratorINSA_10device_ptrIdEEEEPS6_PKS6_NS0_5tupleIJSF_S6_EEENSJ_IJSG_SG_EEENS0_18inequality_wrapperI22is_equal_div_10_uniqueIdEEEPmJS6_EEE10hipError_tPvRmT3_T4_T5_T6_T7_T9_mT8_P12ihipStream_tbDpT10_ENKUlT_T0_E_clISt17integral_constantIbLb1EES19_IbLb0EEEEDaS15_S16_EUlS15_E_NS1_11comp_targetILNS1_3genE0ELNS1_11target_archE4294967295ELNS1_3gpuE0ELNS1_3repE0EEENS1_30default_config_static_selectorELNS0_4arch9wavefront6targetE1EEEvT1_,"axG",@progbits,_ZN7rocprim17ROCPRIM_400000_NS6detail17trampoline_kernelINS0_14default_configENS1_25partition_config_selectorILNS1_17partition_subalgoE8EdNS0_10empty_typeEbEEZZNS1_14partition_implILS5_8ELb0ES3_jN6thrust23THRUST_200600_302600_NS6detail15normal_iteratorINSA_10device_ptrIdEEEEPS6_PKS6_NS0_5tupleIJSF_S6_EEENSJ_IJSG_SG_EEENS0_18inequality_wrapperI22is_equal_div_10_uniqueIdEEEPmJS6_EEE10hipError_tPvRmT3_T4_T5_T6_T7_T9_mT8_P12ihipStream_tbDpT10_ENKUlT_T0_E_clISt17integral_constantIbLb1EES19_IbLb0EEEEDaS15_S16_EUlS15_E_NS1_11comp_targetILNS1_3genE0ELNS1_11target_archE4294967295ELNS1_3gpuE0ELNS1_3repE0EEENS1_30default_config_static_selectorELNS0_4arch9wavefront6targetE1EEEvT1_,comdat
.Lfunc_end63:
	.size	_ZN7rocprim17ROCPRIM_400000_NS6detail17trampoline_kernelINS0_14default_configENS1_25partition_config_selectorILNS1_17partition_subalgoE8EdNS0_10empty_typeEbEEZZNS1_14partition_implILS5_8ELb0ES3_jN6thrust23THRUST_200600_302600_NS6detail15normal_iteratorINSA_10device_ptrIdEEEEPS6_PKS6_NS0_5tupleIJSF_S6_EEENSJ_IJSG_SG_EEENS0_18inequality_wrapperI22is_equal_div_10_uniqueIdEEEPmJS6_EEE10hipError_tPvRmT3_T4_T5_T6_T7_T9_mT8_P12ihipStream_tbDpT10_ENKUlT_T0_E_clISt17integral_constantIbLb1EES19_IbLb0EEEEDaS15_S16_EUlS15_E_NS1_11comp_targetILNS1_3genE0ELNS1_11target_archE4294967295ELNS1_3gpuE0ELNS1_3repE0EEENS1_30default_config_static_selectorELNS0_4arch9wavefront6targetE1EEEvT1_, .Lfunc_end63-_ZN7rocprim17ROCPRIM_400000_NS6detail17trampoline_kernelINS0_14default_configENS1_25partition_config_selectorILNS1_17partition_subalgoE8EdNS0_10empty_typeEbEEZZNS1_14partition_implILS5_8ELb0ES3_jN6thrust23THRUST_200600_302600_NS6detail15normal_iteratorINSA_10device_ptrIdEEEEPS6_PKS6_NS0_5tupleIJSF_S6_EEENSJ_IJSG_SG_EEENS0_18inequality_wrapperI22is_equal_div_10_uniqueIdEEEPmJS6_EEE10hipError_tPvRmT3_T4_T5_T6_T7_T9_mT8_P12ihipStream_tbDpT10_ENKUlT_T0_E_clISt17integral_constantIbLb1EES19_IbLb0EEEEDaS15_S16_EUlS15_E_NS1_11comp_targetILNS1_3genE0ELNS1_11target_archE4294967295ELNS1_3gpuE0ELNS1_3repE0EEENS1_30default_config_static_selectorELNS0_4arch9wavefront6targetE1EEEvT1_
                                        ; -- End function
	.set _ZN7rocprim17ROCPRIM_400000_NS6detail17trampoline_kernelINS0_14default_configENS1_25partition_config_selectorILNS1_17partition_subalgoE8EdNS0_10empty_typeEbEEZZNS1_14partition_implILS5_8ELb0ES3_jN6thrust23THRUST_200600_302600_NS6detail15normal_iteratorINSA_10device_ptrIdEEEEPS6_PKS6_NS0_5tupleIJSF_S6_EEENSJ_IJSG_SG_EEENS0_18inequality_wrapperI22is_equal_div_10_uniqueIdEEEPmJS6_EEE10hipError_tPvRmT3_T4_T5_T6_T7_T9_mT8_P12ihipStream_tbDpT10_ENKUlT_T0_E_clISt17integral_constantIbLb1EES19_IbLb0EEEEDaS15_S16_EUlS15_E_NS1_11comp_targetILNS1_3genE0ELNS1_11target_archE4294967295ELNS1_3gpuE0ELNS1_3repE0EEENS1_30default_config_static_selectorELNS0_4arch9wavefront6targetE1EEEvT1_.num_vgpr, 0
	.set _ZN7rocprim17ROCPRIM_400000_NS6detail17trampoline_kernelINS0_14default_configENS1_25partition_config_selectorILNS1_17partition_subalgoE8EdNS0_10empty_typeEbEEZZNS1_14partition_implILS5_8ELb0ES3_jN6thrust23THRUST_200600_302600_NS6detail15normal_iteratorINSA_10device_ptrIdEEEEPS6_PKS6_NS0_5tupleIJSF_S6_EEENSJ_IJSG_SG_EEENS0_18inequality_wrapperI22is_equal_div_10_uniqueIdEEEPmJS6_EEE10hipError_tPvRmT3_T4_T5_T6_T7_T9_mT8_P12ihipStream_tbDpT10_ENKUlT_T0_E_clISt17integral_constantIbLb1EES19_IbLb0EEEEDaS15_S16_EUlS15_E_NS1_11comp_targetILNS1_3genE0ELNS1_11target_archE4294967295ELNS1_3gpuE0ELNS1_3repE0EEENS1_30default_config_static_selectorELNS0_4arch9wavefront6targetE1EEEvT1_.num_agpr, 0
	.set _ZN7rocprim17ROCPRIM_400000_NS6detail17trampoline_kernelINS0_14default_configENS1_25partition_config_selectorILNS1_17partition_subalgoE8EdNS0_10empty_typeEbEEZZNS1_14partition_implILS5_8ELb0ES3_jN6thrust23THRUST_200600_302600_NS6detail15normal_iteratorINSA_10device_ptrIdEEEEPS6_PKS6_NS0_5tupleIJSF_S6_EEENSJ_IJSG_SG_EEENS0_18inequality_wrapperI22is_equal_div_10_uniqueIdEEEPmJS6_EEE10hipError_tPvRmT3_T4_T5_T6_T7_T9_mT8_P12ihipStream_tbDpT10_ENKUlT_T0_E_clISt17integral_constantIbLb1EES19_IbLb0EEEEDaS15_S16_EUlS15_E_NS1_11comp_targetILNS1_3genE0ELNS1_11target_archE4294967295ELNS1_3gpuE0ELNS1_3repE0EEENS1_30default_config_static_selectorELNS0_4arch9wavefront6targetE1EEEvT1_.numbered_sgpr, 0
	.set _ZN7rocprim17ROCPRIM_400000_NS6detail17trampoline_kernelINS0_14default_configENS1_25partition_config_selectorILNS1_17partition_subalgoE8EdNS0_10empty_typeEbEEZZNS1_14partition_implILS5_8ELb0ES3_jN6thrust23THRUST_200600_302600_NS6detail15normal_iteratorINSA_10device_ptrIdEEEEPS6_PKS6_NS0_5tupleIJSF_S6_EEENSJ_IJSG_SG_EEENS0_18inequality_wrapperI22is_equal_div_10_uniqueIdEEEPmJS6_EEE10hipError_tPvRmT3_T4_T5_T6_T7_T9_mT8_P12ihipStream_tbDpT10_ENKUlT_T0_E_clISt17integral_constantIbLb1EES19_IbLb0EEEEDaS15_S16_EUlS15_E_NS1_11comp_targetILNS1_3genE0ELNS1_11target_archE4294967295ELNS1_3gpuE0ELNS1_3repE0EEENS1_30default_config_static_selectorELNS0_4arch9wavefront6targetE1EEEvT1_.num_named_barrier, 0
	.set _ZN7rocprim17ROCPRIM_400000_NS6detail17trampoline_kernelINS0_14default_configENS1_25partition_config_selectorILNS1_17partition_subalgoE8EdNS0_10empty_typeEbEEZZNS1_14partition_implILS5_8ELb0ES3_jN6thrust23THRUST_200600_302600_NS6detail15normal_iteratorINSA_10device_ptrIdEEEEPS6_PKS6_NS0_5tupleIJSF_S6_EEENSJ_IJSG_SG_EEENS0_18inequality_wrapperI22is_equal_div_10_uniqueIdEEEPmJS6_EEE10hipError_tPvRmT3_T4_T5_T6_T7_T9_mT8_P12ihipStream_tbDpT10_ENKUlT_T0_E_clISt17integral_constantIbLb1EES19_IbLb0EEEEDaS15_S16_EUlS15_E_NS1_11comp_targetILNS1_3genE0ELNS1_11target_archE4294967295ELNS1_3gpuE0ELNS1_3repE0EEENS1_30default_config_static_selectorELNS0_4arch9wavefront6targetE1EEEvT1_.private_seg_size, 0
	.set _ZN7rocprim17ROCPRIM_400000_NS6detail17trampoline_kernelINS0_14default_configENS1_25partition_config_selectorILNS1_17partition_subalgoE8EdNS0_10empty_typeEbEEZZNS1_14partition_implILS5_8ELb0ES3_jN6thrust23THRUST_200600_302600_NS6detail15normal_iteratorINSA_10device_ptrIdEEEEPS6_PKS6_NS0_5tupleIJSF_S6_EEENSJ_IJSG_SG_EEENS0_18inequality_wrapperI22is_equal_div_10_uniqueIdEEEPmJS6_EEE10hipError_tPvRmT3_T4_T5_T6_T7_T9_mT8_P12ihipStream_tbDpT10_ENKUlT_T0_E_clISt17integral_constantIbLb1EES19_IbLb0EEEEDaS15_S16_EUlS15_E_NS1_11comp_targetILNS1_3genE0ELNS1_11target_archE4294967295ELNS1_3gpuE0ELNS1_3repE0EEENS1_30default_config_static_selectorELNS0_4arch9wavefront6targetE1EEEvT1_.uses_vcc, 0
	.set _ZN7rocprim17ROCPRIM_400000_NS6detail17trampoline_kernelINS0_14default_configENS1_25partition_config_selectorILNS1_17partition_subalgoE8EdNS0_10empty_typeEbEEZZNS1_14partition_implILS5_8ELb0ES3_jN6thrust23THRUST_200600_302600_NS6detail15normal_iteratorINSA_10device_ptrIdEEEEPS6_PKS6_NS0_5tupleIJSF_S6_EEENSJ_IJSG_SG_EEENS0_18inequality_wrapperI22is_equal_div_10_uniqueIdEEEPmJS6_EEE10hipError_tPvRmT3_T4_T5_T6_T7_T9_mT8_P12ihipStream_tbDpT10_ENKUlT_T0_E_clISt17integral_constantIbLb1EES19_IbLb0EEEEDaS15_S16_EUlS15_E_NS1_11comp_targetILNS1_3genE0ELNS1_11target_archE4294967295ELNS1_3gpuE0ELNS1_3repE0EEENS1_30default_config_static_selectorELNS0_4arch9wavefront6targetE1EEEvT1_.uses_flat_scratch, 0
	.set _ZN7rocprim17ROCPRIM_400000_NS6detail17trampoline_kernelINS0_14default_configENS1_25partition_config_selectorILNS1_17partition_subalgoE8EdNS0_10empty_typeEbEEZZNS1_14partition_implILS5_8ELb0ES3_jN6thrust23THRUST_200600_302600_NS6detail15normal_iteratorINSA_10device_ptrIdEEEEPS6_PKS6_NS0_5tupleIJSF_S6_EEENSJ_IJSG_SG_EEENS0_18inequality_wrapperI22is_equal_div_10_uniqueIdEEEPmJS6_EEE10hipError_tPvRmT3_T4_T5_T6_T7_T9_mT8_P12ihipStream_tbDpT10_ENKUlT_T0_E_clISt17integral_constantIbLb1EES19_IbLb0EEEEDaS15_S16_EUlS15_E_NS1_11comp_targetILNS1_3genE0ELNS1_11target_archE4294967295ELNS1_3gpuE0ELNS1_3repE0EEENS1_30default_config_static_selectorELNS0_4arch9wavefront6targetE1EEEvT1_.has_dyn_sized_stack, 0
	.set _ZN7rocprim17ROCPRIM_400000_NS6detail17trampoline_kernelINS0_14default_configENS1_25partition_config_selectorILNS1_17partition_subalgoE8EdNS0_10empty_typeEbEEZZNS1_14partition_implILS5_8ELb0ES3_jN6thrust23THRUST_200600_302600_NS6detail15normal_iteratorINSA_10device_ptrIdEEEEPS6_PKS6_NS0_5tupleIJSF_S6_EEENSJ_IJSG_SG_EEENS0_18inequality_wrapperI22is_equal_div_10_uniqueIdEEEPmJS6_EEE10hipError_tPvRmT3_T4_T5_T6_T7_T9_mT8_P12ihipStream_tbDpT10_ENKUlT_T0_E_clISt17integral_constantIbLb1EES19_IbLb0EEEEDaS15_S16_EUlS15_E_NS1_11comp_targetILNS1_3genE0ELNS1_11target_archE4294967295ELNS1_3gpuE0ELNS1_3repE0EEENS1_30default_config_static_selectorELNS0_4arch9wavefront6targetE1EEEvT1_.has_recursion, 0
	.set _ZN7rocprim17ROCPRIM_400000_NS6detail17trampoline_kernelINS0_14default_configENS1_25partition_config_selectorILNS1_17partition_subalgoE8EdNS0_10empty_typeEbEEZZNS1_14partition_implILS5_8ELb0ES3_jN6thrust23THRUST_200600_302600_NS6detail15normal_iteratorINSA_10device_ptrIdEEEEPS6_PKS6_NS0_5tupleIJSF_S6_EEENSJ_IJSG_SG_EEENS0_18inequality_wrapperI22is_equal_div_10_uniqueIdEEEPmJS6_EEE10hipError_tPvRmT3_T4_T5_T6_T7_T9_mT8_P12ihipStream_tbDpT10_ENKUlT_T0_E_clISt17integral_constantIbLb1EES19_IbLb0EEEEDaS15_S16_EUlS15_E_NS1_11comp_targetILNS1_3genE0ELNS1_11target_archE4294967295ELNS1_3gpuE0ELNS1_3repE0EEENS1_30default_config_static_selectorELNS0_4arch9wavefront6targetE1EEEvT1_.has_indirect_call, 0
	.section	.AMDGPU.csdata,"",@progbits
; Kernel info:
; codeLenInByte = 0
; TotalNumSgprs: 4
; NumVgprs: 0
; ScratchSize: 0
; MemoryBound: 0
; FloatMode: 240
; IeeeMode: 1
; LDSByteSize: 0 bytes/workgroup (compile time only)
; SGPRBlocks: 0
; VGPRBlocks: 0
; NumSGPRsForWavesPerEU: 4
; NumVGPRsForWavesPerEU: 1
; Occupancy: 10
; WaveLimiterHint : 0
; COMPUTE_PGM_RSRC2:SCRATCH_EN: 0
; COMPUTE_PGM_RSRC2:USER_SGPR: 6
; COMPUTE_PGM_RSRC2:TRAP_HANDLER: 0
; COMPUTE_PGM_RSRC2:TGID_X_EN: 1
; COMPUTE_PGM_RSRC2:TGID_Y_EN: 0
; COMPUTE_PGM_RSRC2:TGID_Z_EN: 0
; COMPUTE_PGM_RSRC2:TIDIG_COMP_CNT: 0
	.section	.text._ZN7rocprim17ROCPRIM_400000_NS6detail17trampoline_kernelINS0_14default_configENS1_25partition_config_selectorILNS1_17partition_subalgoE8EdNS0_10empty_typeEbEEZZNS1_14partition_implILS5_8ELb0ES3_jN6thrust23THRUST_200600_302600_NS6detail15normal_iteratorINSA_10device_ptrIdEEEEPS6_PKS6_NS0_5tupleIJSF_S6_EEENSJ_IJSG_SG_EEENS0_18inequality_wrapperI22is_equal_div_10_uniqueIdEEEPmJS6_EEE10hipError_tPvRmT3_T4_T5_T6_T7_T9_mT8_P12ihipStream_tbDpT10_ENKUlT_T0_E_clISt17integral_constantIbLb1EES19_IbLb0EEEEDaS15_S16_EUlS15_E_NS1_11comp_targetILNS1_3genE5ELNS1_11target_archE942ELNS1_3gpuE9ELNS1_3repE0EEENS1_30default_config_static_selectorELNS0_4arch9wavefront6targetE1EEEvT1_,"axG",@progbits,_ZN7rocprim17ROCPRIM_400000_NS6detail17trampoline_kernelINS0_14default_configENS1_25partition_config_selectorILNS1_17partition_subalgoE8EdNS0_10empty_typeEbEEZZNS1_14partition_implILS5_8ELb0ES3_jN6thrust23THRUST_200600_302600_NS6detail15normal_iteratorINSA_10device_ptrIdEEEEPS6_PKS6_NS0_5tupleIJSF_S6_EEENSJ_IJSG_SG_EEENS0_18inequality_wrapperI22is_equal_div_10_uniqueIdEEEPmJS6_EEE10hipError_tPvRmT3_T4_T5_T6_T7_T9_mT8_P12ihipStream_tbDpT10_ENKUlT_T0_E_clISt17integral_constantIbLb1EES19_IbLb0EEEEDaS15_S16_EUlS15_E_NS1_11comp_targetILNS1_3genE5ELNS1_11target_archE942ELNS1_3gpuE9ELNS1_3repE0EEENS1_30default_config_static_selectorELNS0_4arch9wavefront6targetE1EEEvT1_,comdat
	.protected	_ZN7rocprim17ROCPRIM_400000_NS6detail17trampoline_kernelINS0_14default_configENS1_25partition_config_selectorILNS1_17partition_subalgoE8EdNS0_10empty_typeEbEEZZNS1_14partition_implILS5_8ELb0ES3_jN6thrust23THRUST_200600_302600_NS6detail15normal_iteratorINSA_10device_ptrIdEEEEPS6_PKS6_NS0_5tupleIJSF_S6_EEENSJ_IJSG_SG_EEENS0_18inequality_wrapperI22is_equal_div_10_uniqueIdEEEPmJS6_EEE10hipError_tPvRmT3_T4_T5_T6_T7_T9_mT8_P12ihipStream_tbDpT10_ENKUlT_T0_E_clISt17integral_constantIbLb1EES19_IbLb0EEEEDaS15_S16_EUlS15_E_NS1_11comp_targetILNS1_3genE5ELNS1_11target_archE942ELNS1_3gpuE9ELNS1_3repE0EEENS1_30default_config_static_selectorELNS0_4arch9wavefront6targetE1EEEvT1_ ; -- Begin function _ZN7rocprim17ROCPRIM_400000_NS6detail17trampoline_kernelINS0_14default_configENS1_25partition_config_selectorILNS1_17partition_subalgoE8EdNS0_10empty_typeEbEEZZNS1_14partition_implILS5_8ELb0ES3_jN6thrust23THRUST_200600_302600_NS6detail15normal_iteratorINSA_10device_ptrIdEEEEPS6_PKS6_NS0_5tupleIJSF_S6_EEENSJ_IJSG_SG_EEENS0_18inequality_wrapperI22is_equal_div_10_uniqueIdEEEPmJS6_EEE10hipError_tPvRmT3_T4_T5_T6_T7_T9_mT8_P12ihipStream_tbDpT10_ENKUlT_T0_E_clISt17integral_constantIbLb1EES19_IbLb0EEEEDaS15_S16_EUlS15_E_NS1_11comp_targetILNS1_3genE5ELNS1_11target_archE942ELNS1_3gpuE9ELNS1_3repE0EEENS1_30default_config_static_selectorELNS0_4arch9wavefront6targetE1EEEvT1_
	.globl	_ZN7rocprim17ROCPRIM_400000_NS6detail17trampoline_kernelINS0_14default_configENS1_25partition_config_selectorILNS1_17partition_subalgoE8EdNS0_10empty_typeEbEEZZNS1_14partition_implILS5_8ELb0ES3_jN6thrust23THRUST_200600_302600_NS6detail15normal_iteratorINSA_10device_ptrIdEEEEPS6_PKS6_NS0_5tupleIJSF_S6_EEENSJ_IJSG_SG_EEENS0_18inequality_wrapperI22is_equal_div_10_uniqueIdEEEPmJS6_EEE10hipError_tPvRmT3_T4_T5_T6_T7_T9_mT8_P12ihipStream_tbDpT10_ENKUlT_T0_E_clISt17integral_constantIbLb1EES19_IbLb0EEEEDaS15_S16_EUlS15_E_NS1_11comp_targetILNS1_3genE5ELNS1_11target_archE942ELNS1_3gpuE9ELNS1_3repE0EEENS1_30default_config_static_selectorELNS0_4arch9wavefront6targetE1EEEvT1_
	.p2align	8
	.type	_ZN7rocprim17ROCPRIM_400000_NS6detail17trampoline_kernelINS0_14default_configENS1_25partition_config_selectorILNS1_17partition_subalgoE8EdNS0_10empty_typeEbEEZZNS1_14partition_implILS5_8ELb0ES3_jN6thrust23THRUST_200600_302600_NS6detail15normal_iteratorINSA_10device_ptrIdEEEEPS6_PKS6_NS0_5tupleIJSF_S6_EEENSJ_IJSG_SG_EEENS0_18inequality_wrapperI22is_equal_div_10_uniqueIdEEEPmJS6_EEE10hipError_tPvRmT3_T4_T5_T6_T7_T9_mT8_P12ihipStream_tbDpT10_ENKUlT_T0_E_clISt17integral_constantIbLb1EES19_IbLb0EEEEDaS15_S16_EUlS15_E_NS1_11comp_targetILNS1_3genE5ELNS1_11target_archE942ELNS1_3gpuE9ELNS1_3repE0EEENS1_30default_config_static_selectorELNS0_4arch9wavefront6targetE1EEEvT1_,@function
_ZN7rocprim17ROCPRIM_400000_NS6detail17trampoline_kernelINS0_14default_configENS1_25partition_config_selectorILNS1_17partition_subalgoE8EdNS0_10empty_typeEbEEZZNS1_14partition_implILS5_8ELb0ES3_jN6thrust23THRUST_200600_302600_NS6detail15normal_iteratorINSA_10device_ptrIdEEEEPS6_PKS6_NS0_5tupleIJSF_S6_EEENSJ_IJSG_SG_EEENS0_18inequality_wrapperI22is_equal_div_10_uniqueIdEEEPmJS6_EEE10hipError_tPvRmT3_T4_T5_T6_T7_T9_mT8_P12ihipStream_tbDpT10_ENKUlT_T0_E_clISt17integral_constantIbLb1EES19_IbLb0EEEEDaS15_S16_EUlS15_E_NS1_11comp_targetILNS1_3genE5ELNS1_11target_archE942ELNS1_3gpuE9ELNS1_3repE0EEENS1_30default_config_static_selectorELNS0_4arch9wavefront6targetE1EEEvT1_: ; @_ZN7rocprim17ROCPRIM_400000_NS6detail17trampoline_kernelINS0_14default_configENS1_25partition_config_selectorILNS1_17partition_subalgoE8EdNS0_10empty_typeEbEEZZNS1_14partition_implILS5_8ELb0ES3_jN6thrust23THRUST_200600_302600_NS6detail15normal_iteratorINSA_10device_ptrIdEEEEPS6_PKS6_NS0_5tupleIJSF_S6_EEENSJ_IJSG_SG_EEENS0_18inequality_wrapperI22is_equal_div_10_uniqueIdEEEPmJS6_EEE10hipError_tPvRmT3_T4_T5_T6_T7_T9_mT8_P12ihipStream_tbDpT10_ENKUlT_T0_E_clISt17integral_constantIbLb1EES19_IbLb0EEEEDaS15_S16_EUlS15_E_NS1_11comp_targetILNS1_3genE5ELNS1_11target_archE942ELNS1_3gpuE9ELNS1_3repE0EEENS1_30default_config_static_selectorELNS0_4arch9wavefront6targetE1EEEvT1_
; %bb.0:
	.section	.rodata,"a",@progbits
	.p2align	6, 0x0
	.amdhsa_kernel _ZN7rocprim17ROCPRIM_400000_NS6detail17trampoline_kernelINS0_14default_configENS1_25partition_config_selectorILNS1_17partition_subalgoE8EdNS0_10empty_typeEbEEZZNS1_14partition_implILS5_8ELb0ES3_jN6thrust23THRUST_200600_302600_NS6detail15normal_iteratorINSA_10device_ptrIdEEEEPS6_PKS6_NS0_5tupleIJSF_S6_EEENSJ_IJSG_SG_EEENS0_18inequality_wrapperI22is_equal_div_10_uniqueIdEEEPmJS6_EEE10hipError_tPvRmT3_T4_T5_T6_T7_T9_mT8_P12ihipStream_tbDpT10_ENKUlT_T0_E_clISt17integral_constantIbLb1EES19_IbLb0EEEEDaS15_S16_EUlS15_E_NS1_11comp_targetILNS1_3genE5ELNS1_11target_archE942ELNS1_3gpuE9ELNS1_3repE0EEENS1_30default_config_static_selectorELNS0_4arch9wavefront6targetE1EEEvT1_
		.amdhsa_group_segment_fixed_size 0
		.amdhsa_private_segment_fixed_size 0
		.amdhsa_kernarg_size 112
		.amdhsa_user_sgpr_count 6
		.amdhsa_user_sgpr_private_segment_buffer 1
		.amdhsa_user_sgpr_dispatch_ptr 0
		.amdhsa_user_sgpr_queue_ptr 0
		.amdhsa_user_sgpr_kernarg_segment_ptr 1
		.amdhsa_user_sgpr_dispatch_id 0
		.amdhsa_user_sgpr_flat_scratch_init 0
		.amdhsa_user_sgpr_private_segment_size 0
		.amdhsa_uses_dynamic_stack 0
		.amdhsa_system_sgpr_private_segment_wavefront_offset 0
		.amdhsa_system_sgpr_workgroup_id_x 1
		.amdhsa_system_sgpr_workgroup_id_y 0
		.amdhsa_system_sgpr_workgroup_id_z 0
		.amdhsa_system_sgpr_workgroup_info 0
		.amdhsa_system_vgpr_workitem_id 0
		.amdhsa_next_free_vgpr 1
		.amdhsa_next_free_sgpr 0
		.amdhsa_reserve_vcc 0
		.amdhsa_reserve_flat_scratch 0
		.amdhsa_float_round_mode_32 0
		.amdhsa_float_round_mode_16_64 0
		.amdhsa_float_denorm_mode_32 3
		.amdhsa_float_denorm_mode_16_64 3
		.amdhsa_dx10_clamp 1
		.amdhsa_ieee_mode 1
		.amdhsa_fp16_overflow 0
		.amdhsa_exception_fp_ieee_invalid_op 0
		.amdhsa_exception_fp_denorm_src 0
		.amdhsa_exception_fp_ieee_div_zero 0
		.amdhsa_exception_fp_ieee_overflow 0
		.amdhsa_exception_fp_ieee_underflow 0
		.amdhsa_exception_fp_ieee_inexact 0
		.amdhsa_exception_int_div_zero 0
	.end_amdhsa_kernel
	.section	.text._ZN7rocprim17ROCPRIM_400000_NS6detail17trampoline_kernelINS0_14default_configENS1_25partition_config_selectorILNS1_17partition_subalgoE8EdNS0_10empty_typeEbEEZZNS1_14partition_implILS5_8ELb0ES3_jN6thrust23THRUST_200600_302600_NS6detail15normal_iteratorINSA_10device_ptrIdEEEEPS6_PKS6_NS0_5tupleIJSF_S6_EEENSJ_IJSG_SG_EEENS0_18inequality_wrapperI22is_equal_div_10_uniqueIdEEEPmJS6_EEE10hipError_tPvRmT3_T4_T5_T6_T7_T9_mT8_P12ihipStream_tbDpT10_ENKUlT_T0_E_clISt17integral_constantIbLb1EES19_IbLb0EEEEDaS15_S16_EUlS15_E_NS1_11comp_targetILNS1_3genE5ELNS1_11target_archE942ELNS1_3gpuE9ELNS1_3repE0EEENS1_30default_config_static_selectorELNS0_4arch9wavefront6targetE1EEEvT1_,"axG",@progbits,_ZN7rocprim17ROCPRIM_400000_NS6detail17trampoline_kernelINS0_14default_configENS1_25partition_config_selectorILNS1_17partition_subalgoE8EdNS0_10empty_typeEbEEZZNS1_14partition_implILS5_8ELb0ES3_jN6thrust23THRUST_200600_302600_NS6detail15normal_iteratorINSA_10device_ptrIdEEEEPS6_PKS6_NS0_5tupleIJSF_S6_EEENSJ_IJSG_SG_EEENS0_18inequality_wrapperI22is_equal_div_10_uniqueIdEEEPmJS6_EEE10hipError_tPvRmT3_T4_T5_T6_T7_T9_mT8_P12ihipStream_tbDpT10_ENKUlT_T0_E_clISt17integral_constantIbLb1EES19_IbLb0EEEEDaS15_S16_EUlS15_E_NS1_11comp_targetILNS1_3genE5ELNS1_11target_archE942ELNS1_3gpuE9ELNS1_3repE0EEENS1_30default_config_static_selectorELNS0_4arch9wavefront6targetE1EEEvT1_,comdat
.Lfunc_end64:
	.size	_ZN7rocprim17ROCPRIM_400000_NS6detail17trampoline_kernelINS0_14default_configENS1_25partition_config_selectorILNS1_17partition_subalgoE8EdNS0_10empty_typeEbEEZZNS1_14partition_implILS5_8ELb0ES3_jN6thrust23THRUST_200600_302600_NS6detail15normal_iteratorINSA_10device_ptrIdEEEEPS6_PKS6_NS0_5tupleIJSF_S6_EEENSJ_IJSG_SG_EEENS0_18inequality_wrapperI22is_equal_div_10_uniqueIdEEEPmJS6_EEE10hipError_tPvRmT3_T4_T5_T6_T7_T9_mT8_P12ihipStream_tbDpT10_ENKUlT_T0_E_clISt17integral_constantIbLb1EES19_IbLb0EEEEDaS15_S16_EUlS15_E_NS1_11comp_targetILNS1_3genE5ELNS1_11target_archE942ELNS1_3gpuE9ELNS1_3repE0EEENS1_30default_config_static_selectorELNS0_4arch9wavefront6targetE1EEEvT1_, .Lfunc_end64-_ZN7rocprim17ROCPRIM_400000_NS6detail17trampoline_kernelINS0_14default_configENS1_25partition_config_selectorILNS1_17partition_subalgoE8EdNS0_10empty_typeEbEEZZNS1_14partition_implILS5_8ELb0ES3_jN6thrust23THRUST_200600_302600_NS6detail15normal_iteratorINSA_10device_ptrIdEEEEPS6_PKS6_NS0_5tupleIJSF_S6_EEENSJ_IJSG_SG_EEENS0_18inequality_wrapperI22is_equal_div_10_uniqueIdEEEPmJS6_EEE10hipError_tPvRmT3_T4_T5_T6_T7_T9_mT8_P12ihipStream_tbDpT10_ENKUlT_T0_E_clISt17integral_constantIbLb1EES19_IbLb0EEEEDaS15_S16_EUlS15_E_NS1_11comp_targetILNS1_3genE5ELNS1_11target_archE942ELNS1_3gpuE9ELNS1_3repE0EEENS1_30default_config_static_selectorELNS0_4arch9wavefront6targetE1EEEvT1_
                                        ; -- End function
	.set _ZN7rocprim17ROCPRIM_400000_NS6detail17trampoline_kernelINS0_14default_configENS1_25partition_config_selectorILNS1_17partition_subalgoE8EdNS0_10empty_typeEbEEZZNS1_14partition_implILS5_8ELb0ES3_jN6thrust23THRUST_200600_302600_NS6detail15normal_iteratorINSA_10device_ptrIdEEEEPS6_PKS6_NS0_5tupleIJSF_S6_EEENSJ_IJSG_SG_EEENS0_18inequality_wrapperI22is_equal_div_10_uniqueIdEEEPmJS6_EEE10hipError_tPvRmT3_T4_T5_T6_T7_T9_mT8_P12ihipStream_tbDpT10_ENKUlT_T0_E_clISt17integral_constantIbLb1EES19_IbLb0EEEEDaS15_S16_EUlS15_E_NS1_11comp_targetILNS1_3genE5ELNS1_11target_archE942ELNS1_3gpuE9ELNS1_3repE0EEENS1_30default_config_static_selectorELNS0_4arch9wavefront6targetE1EEEvT1_.num_vgpr, 0
	.set _ZN7rocprim17ROCPRIM_400000_NS6detail17trampoline_kernelINS0_14default_configENS1_25partition_config_selectorILNS1_17partition_subalgoE8EdNS0_10empty_typeEbEEZZNS1_14partition_implILS5_8ELb0ES3_jN6thrust23THRUST_200600_302600_NS6detail15normal_iteratorINSA_10device_ptrIdEEEEPS6_PKS6_NS0_5tupleIJSF_S6_EEENSJ_IJSG_SG_EEENS0_18inequality_wrapperI22is_equal_div_10_uniqueIdEEEPmJS6_EEE10hipError_tPvRmT3_T4_T5_T6_T7_T9_mT8_P12ihipStream_tbDpT10_ENKUlT_T0_E_clISt17integral_constantIbLb1EES19_IbLb0EEEEDaS15_S16_EUlS15_E_NS1_11comp_targetILNS1_3genE5ELNS1_11target_archE942ELNS1_3gpuE9ELNS1_3repE0EEENS1_30default_config_static_selectorELNS0_4arch9wavefront6targetE1EEEvT1_.num_agpr, 0
	.set _ZN7rocprim17ROCPRIM_400000_NS6detail17trampoline_kernelINS0_14default_configENS1_25partition_config_selectorILNS1_17partition_subalgoE8EdNS0_10empty_typeEbEEZZNS1_14partition_implILS5_8ELb0ES3_jN6thrust23THRUST_200600_302600_NS6detail15normal_iteratorINSA_10device_ptrIdEEEEPS6_PKS6_NS0_5tupleIJSF_S6_EEENSJ_IJSG_SG_EEENS0_18inequality_wrapperI22is_equal_div_10_uniqueIdEEEPmJS6_EEE10hipError_tPvRmT3_T4_T5_T6_T7_T9_mT8_P12ihipStream_tbDpT10_ENKUlT_T0_E_clISt17integral_constantIbLb1EES19_IbLb0EEEEDaS15_S16_EUlS15_E_NS1_11comp_targetILNS1_3genE5ELNS1_11target_archE942ELNS1_3gpuE9ELNS1_3repE0EEENS1_30default_config_static_selectorELNS0_4arch9wavefront6targetE1EEEvT1_.numbered_sgpr, 0
	.set _ZN7rocprim17ROCPRIM_400000_NS6detail17trampoline_kernelINS0_14default_configENS1_25partition_config_selectorILNS1_17partition_subalgoE8EdNS0_10empty_typeEbEEZZNS1_14partition_implILS5_8ELb0ES3_jN6thrust23THRUST_200600_302600_NS6detail15normal_iteratorINSA_10device_ptrIdEEEEPS6_PKS6_NS0_5tupleIJSF_S6_EEENSJ_IJSG_SG_EEENS0_18inequality_wrapperI22is_equal_div_10_uniqueIdEEEPmJS6_EEE10hipError_tPvRmT3_T4_T5_T6_T7_T9_mT8_P12ihipStream_tbDpT10_ENKUlT_T0_E_clISt17integral_constantIbLb1EES19_IbLb0EEEEDaS15_S16_EUlS15_E_NS1_11comp_targetILNS1_3genE5ELNS1_11target_archE942ELNS1_3gpuE9ELNS1_3repE0EEENS1_30default_config_static_selectorELNS0_4arch9wavefront6targetE1EEEvT1_.num_named_barrier, 0
	.set _ZN7rocprim17ROCPRIM_400000_NS6detail17trampoline_kernelINS0_14default_configENS1_25partition_config_selectorILNS1_17partition_subalgoE8EdNS0_10empty_typeEbEEZZNS1_14partition_implILS5_8ELb0ES3_jN6thrust23THRUST_200600_302600_NS6detail15normal_iteratorINSA_10device_ptrIdEEEEPS6_PKS6_NS0_5tupleIJSF_S6_EEENSJ_IJSG_SG_EEENS0_18inequality_wrapperI22is_equal_div_10_uniqueIdEEEPmJS6_EEE10hipError_tPvRmT3_T4_T5_T6_T7_T9_mT8_P12ihipStream_tbDpT10_ENKUlT_T0_E_clISt17integral_constantIbLb1EES19_IbLb0EEEEDaS15_S16_EUlS15_E_NS1_11comp_targetILNS1_3genE5ELNS1_11target_archE942ELNS1_3gpuE9ELNS1_3repE0EEENS1_30default_config_static_selectorELNS0_4arch9wavefront6targetE1EEEvT1_.private_seg_size, 0
	.set _ZN7rocprim17ROCPRIM_400000_NS6detail17trampoline_kernelINS0_14default_configENS1_25partition_config_selectorILNS1_17partition_subalgoE8EdNS0_10empty_typeEbEEZZNS1_14partition_implILS5_8ELb0ES3_jN6thrust23THRUST_200600_302600_NS6detail15normal_iteratorINSA_10device_ptrIdEEEEPS6_PKS6_NS0_5tupleIJSF_S6_EEENSJ_IJSG_SG_EEENS0_18inequality_wrapperI22is_equal_div_10_uniqueIdEEEPmJS6_EEE10hipError_tPvRmT3_T4_T5_T6_T7_T9_mT8_P12ihipStream_tbDpT10_ENKUlT_T0_E_clISt17integral_constantIbLb1EES19_IbLb0EEEEDaS15_S16_EUlS15_E_NS1_11comp_targetILNS1_3genE5ELNS1_11target_archE942ELNS1_3gpuE9ELNS1_3repE0EEENS1_30default_config_static_selectorELNS0_4arch9wavefront6targetE1EEEvT1_.uses_vcc, 0
	.set _ZN7rocprim17ROCPRIM_400000_NS6detail17trampoline_kernelINS0_14default_configENS1_25partition_config_selectorILNS1_17partition_subalgoE8EdNS0_10empty_typeEbEEZZNS1_14partition_implILS5_8ELb0ES3_jN6thrust23THRUST_200600_302600_NS6detail15normal_iteratorINSA_10device_ptrIdEEEEPS6_PKS6_NS0_5tupleIJSF_S6_EEENSJ_IJSG_SG_EEENS0_18inequality_wrapperI22is_equal_div_10_uniqueIdEEEPmJS6_EEE10hipError_tPvRmT3_T4_T5_T6_T7_T9_mT8_P12ihipStream_tbDpT10_ENKUlT_T0_E_clISt17integral_constantIbLb1EES19_IbLb0EEEEDaS15_S16_EUlS15_E_NS1_11comp_targetILNS1_3genE5ELNS1_11target_archE942ELNS1_3gpuE9ELNS1_3repE0EEENS1_30default_config_static_selectorELNS0_4arch9wavefront6targetE1EEEvT1_.uses_flat_scratch, 0
	.set _ZN7rocprim17ROCPRIM_400000_NS6detail17trampoline_kernelINS0_14default_configENS1_25partition_config_selectorILNS1_17partition_subalgoE8EdNS0_10empty_typeEbEEZZNS1_14partition_implILS5_8ELb0ES3_jN6thrust23THRUST_200600_302600_NS6detail15normal_iteratorINSA_10device_ptrIdEEEEPS6_PKS6_NS0_5tupleIJSF_S6_EEENSJ_IJSG_SG_EEENS0_18inequality_wrapperI22is_equal_div_10_uniqueIdEEEPmJS6_EEE10hipError_tPvRmT3_T4_T5_T6_T7_T9_mT8_P12ihipStream_tbDpT10_ENKUlT_T0_E_clISt17integral_constantIbLb1EES19_IbLb0EEEEDaS15_S16_EUlS15_E_NS1_11comp_targetILNS1_3genE5ELNS1_11target_archE942ELNS1_3gpuE9ELNS1_3repE0EEENS1_30default_config_static_selectorELNS0_4arch9wavefront6targetE1EEEvT1_.has_dyn_sized_stack, 0
	.set _ZN7rocprim17ROCPRIM_400000_NS6detail17trampoline_kernelINS0_14default_configENS1_25partition_config_selectorILNS1_17partition_subalgoE8EdNS0_10empty_typeEbEEZZNS1_14partition_implILS5_8ELb0ES3_jN6thrust23THRUST_200600_302600_NS6detail15normal_iteratorINSA_10device_ptrIdEEEEPS6_PKS6_NS0_5tupleIJSF_S6_EEENSJ_IJSG_SG_EEENS0_18inequality_wrapperI22is_equal_div_10_uniqueIdEEEPmJS6_EEE10hipError_tPvRmT3_T4_T5_T6_T7_T9_mT8_P12ihipStream_tbDpT10_ENKUlT_T0_E_clISt17integral_constantIbLb1EES19_IbLb0EEEEDaS15_S16_EUlS15_E_NS1_11comp_targetILNS1_3genE5ELNS1_11target_archE942ELNS1_3gpuE9ELNS1_3repE0EEENS1_30default_config_static_selectorELNS0_4arch9wavefront6targetE1EEEvT1_.has_recursion, 0
	.set _ZN7rocprim17ROCPRIM_400000_NS6detail17trampoline_kernelINS0_14default_configENS1_25partition_config_selectorILNS1_17partition_subalgoE8EdNS0_10empty_typeEbEEZZNS1_14partition_implILS5_8ELb0ES3_jN6thrust23THRUST_200600_302600_NS6detail15normal_iteratorINSA_10device_ptrIdEEEEPS6_PKS6_NS0_5tupleIJSF_S6_EEENSJ_IJSG_SG_EEENS0_18inequality_wrapperI22is_equal_div_10_uniqueIdEEEPmJS6_EEE10hipError_tPvRmT3_T4_T5_T6_T7_T9_mT8_P12ihipStream_tbDpT10_ENKUlT_T0_E_clISt17integral_constantIbLb1EES19_IbLb0EEEEDaS15_S16_EUlS15_E_NS1_11comp_targetILNS1_3genE5ELNS1_11target_archE942ELNS1_3gpuE9ELNS1_3repE0EEENS1_30default_config_static_selectorELNS0_4arch9wavefront6targetE1EEEvT1_.has_indirect_call, 0
	.section	.AMDGPU.csdata,"",@progbits
; Kernel info:
; codeLenInByte = 0
; TotalNumSgprs: 4
; NumVgprs: 0
; ScratchSize: 0
; MemoryBound: 0
; FloatMode: 240
; IeeeMode: 1
; LDSByteSize: 0 bytes/workgroup (compile time only)
; SGPRBlocks: 0
; VGPRBlocks: 0
; NumSGPRsForWavesPerEU: 4
; NumVGPRsForWavesPerEU: 1
; Occupancy: 10
; WaveLimiterHint : 0
; COMPUTE_PGM_RSRC2:SCRATCH_EN: 0
; COMPUTE_PGM_RSRC2:USER_SGPR: 6
; COMPUTE_PGM_RSRC2:TRAP_HANDLER: 0
; COMPUTE_PGM_RSRC2:TGID_X_EN: 1
; COMPUTE_PGM_RSRC2:TGID_Y_EN: 0
; COMPUTE_PGM_RSRC2:TGID_Z_EN: 0
; COMPUTE_PGM_RSRC2:TIDIG_COMP_CNT: 0
	.section	.text._ZN7rocprim17ROCPRIM_400000_NS6detail17trampoline_kernelINS0_14default_configENS1_25partition_config_selectorILNS1_17partition_subalgoE8EdNS0_10empty_typeEbEEZZNS1_14partition_implILS5_8ELb0ES3_jN6thrust23THRUST_200600_302600_NS6detail15normal_iteratorINSA_10device_ptrIdEEEEPS6_PKS6_NS0_5tupleIJSF_S6_EEENSJ_IJSG_SG_EEENS0_18inequality_wrapperI22is_equal_div_10_uniqueIdEEEPmJS6_EEE10hipError_tPvRmT3_T4_T5_T6_T7_T9_mT8_P12ihipStream_tbDpT10_ENKUlT_T0_E_clISt17integral_constantIbLb1EES19_IbLb0EEEEDaS15_S16_EUlS15_E_NS1_11comp_targetILNS1_3genE4ELNS1_11target_archE910ELNS1_3gpuE8ELNS1_3repE0EEENS1_30default_config_static_selectorELNS0_4arch9wavefront6targetE1EEEvT1_,"axG",@progbits,_ZN7rocprim17ROCPRIM_400000_NS6detail17trampoline_kernelINS0_14default_configENS1_25partition_config_selectorILNS1_17partition_subalgoE8EdNS0_10empty_typeEbEEZZNS1_14partition_implILS5_8ELb0ES3_jN6thrust23THRUST_200600_302600_NS6detail15normal_iteratorINSA_10device_ptrIdEEEEPS6_PKS6_NS0_5tupleIJSF_S6_EEENSJ_IJSG_SG_EEENS0_18inequality_wrapperI22is_equal_div_10_uniqueIdEEEPmJS6_EEE10hipError_tPvRmT3_T4_T5_T6_T7_T9_mT8_P12ihipStream_tbDpT10_ENKUlT_T0_E_clISt17integral_constantIbLb1EES19_IbLb0EEEEDaS15_S16_EUlS15_E_NS1_11comp_targetILNS1_3genE4ELNS1_11target_archE910ELNS1_3gpuE8ELNS1_3repE0EEENS1_30default_config_static_selectorELNS0_4arch9wavefront6targetE1EEEvT1_,comdat
	.protected	_ZN7rocprim17ROCPRIM_400000_NS6detail17trampoline_kernelINS0_14default_configENS1_25partition_config_selectorILNS1_17partition_subalgoE8EdNS0_10empty_typeEbEEZZNS1_14partition_implILS5_8ELb0ES3_jN6thrust23THRUST_200600_302600_NS6detail15normal_iteratorINSA_10device_ptrIdEEEEPS6_PKS6_NS0_5tupleIJSF_S6_EEENSJ_IJSG_SG_EEENS0_18inequality_wrapperI22is_equal_div_10_uniqueIdEEEPmJS6_EEE10hipError_tPvRmT3_T4_T5_T6_T7_T9_mT8_P12ihipStream_tbDpT10_ENKUlT_T0_E_clISt17integral_constantIbLb1EES19_IbLb0EEEEDaS15_S16_EUlS15_E_NS1_11comp_targetILNS1_3genE4ELNS1_11target_archE910ELNS1_3gpuE8ELNS1_3repE0EEENS1_30default_config_static_selectorELNS0_4arch9wavefront6targetE1EEEvT1_ ; -- Begin function _ZN7rocprim17ROCPRIM_400000_NS6detail17trampoline_kernelINS0_14default_configENS1_25partition_config_selectorILNS1_17partition_subalgoE8EdNS0_10empty_typeEbEEZZNS1_14partition_implILS5_8ELb0ES3_jN6thrust23THRUST_200600_302600_NS6detail15normal_iteratorINSA_10device_ptrIdEEEEPS6_PKS6_NS0_5tupleIJSF_S6_EEENSJ_IJSG_SG_EEENS0_18inequality_wrapperI22is_equal_div_10_uniqueIdEEEPmJS6_EEE10hipError_tPvRmT3_T4_T5_T6_T7_T9_mT8_P12ihipStream_tbDpT10_ENKUlT_T0_E_clISt17integral_constantIbLb1EES19_IbLb0EEEEDaS15_S16_EUlS15_E_NS1_11comp_targetILNS1_3genE4ELNS1_11target_archE910ELNS1_3gpuE8ELNS1_3repE0EEENS1_30default_config_static_selectorELNS0_4arch9wavefront6targetE1EEEvT1_
	.globl	_ZN7rocprim17ROCPRIM_400000_NS6detail17trampoline_kernelINS0_14default_configENS1_25partition_config_selectorILNS1_17partition_subalgoE8EdNS0_10empty_typeEbEEZZNS1_14partition_implILS5_8ELb0ES3_jN6thrust23THRUST_200600_302600_NS6detail15normal_iteratorINSA_10device_ptrIdEEEEPS6_PKS6_NS0_5tupleIJSF_S6_EEENSJ_IJSG_SG_EEENS0_18inequality_wrapperI22is_equal_div_10_uniqueIdEEEPmJS6_EEE10hipError_tPvRmT3_T4_T5_T6_T7_T9_mT8_P12ihipStream_tbDpT10_ENKUlT_T0_E_clISt17integral_constantIbLb1EES19_IbLb0EEEEDaS15_S16_EUlS15_E_NS1_11comp_targetILNS1_3genE4ELNS1_11target_archE910ELNS1_3gpuE8ELNS1_3repE0EEENS1_30default_config_static_selectorELNS0_4arch9wavefront6targetE1EEEvT1_
	.p2align	8
	.type	_ZN7rocprim17ROCPRIM_400000_NS6detail17trampoline_kernelINS0_14default_configENS1_25partition_config_selectorILNS1_17partition_subalgoE8EdNS0_10empty_typeEbEEZZNS1_14partition_implILS5_8ELb0ES3_jN6thrust23THRUST_200600_302600_NS6detail15normal_iteratorINSA_10device_ptrIdEEEEPS6_PKS6_NS0_5tupleIJSF_S6_EEENSJ_IJSG_SG_EEENS0_18inequality_wrapperI22is_equal_div_10_uniqueIdEEEPmJS6_EEE10hipError_tPvRmT3_T4_T5_T6_T7_T9_mT8_P12ihipStream_tbDpT10_ENKUlT_T0_E_clISt17integral_constantIbLb1EES19_IbLb0EEEEDaS15_S16_EUlS15_E_NS1_11comp_targetILNS1_3genE4ELNS1_11target_archE910ELNS1_3gpuE8ELNS1_3repE0EEENS1_30default_config_static_selectorELNS0_4arch9wavefront6targetE1EEEvT1_,@function
_ZN7rocprim17ROCPRIM_400000_NS6detail17trampoline_kernelINS0_14default_configENS1_25partition_config_selectorILNS1_17partition_subalgoE8EdNS0_10empty_typeEbEEZZNS1_14partition_implILS5_8ELb0ES3_jN6thrust23THRUST_200600_302600_NS6detail15normal_iteratorINSA_10device_ptrIdEEEEPS6_PKS6_NS0_5tupleIJSF_S6_EEENSJ_IJSG_SG_EEENS0_18inequality_wrapperI22is_equal_div_10_uniqueIdEEEPmJS6_EEE10hipError_tPvRmT3_T4_T5_T6_T7_T9_mT8_P12ihipStream_tbDpT10_ENKUlT_T0_E_clISt17integral_constantIbLb1EES19_IbLb0EEEEDaS15_S16_EUlS15_E_NS1_11comp_targetILNS1_3genE4ELNS1_11target_archE910ELNS1_3gpuE8ELNS1_3repE0EEENS1_30default_config_static_selectorELNS0_4arch9wavefront6targetE1EEEvT1_: ; @_ZN7rocprim17ROCPRIM_400000_NS6detail17trampoline_kernelINS0_14default_configENS1_25partition_config_selectorILNS1_17partition_subalgoE8EdNS0_10empty_typeEbEEZZNS1_14partition_implILS5_8ELb0ES3_jN6thrust23THRUST_200600_302600_NS6detail15normal_iteratorINSA_10device_ptrIdEEEEPS6_PKS6_NS0_5tupleIJSF_S6_EEENSJ_IJSG_SG_EEENS0_18inequality_wrapperI22is_equal_div_10_uniqueIdEEEPmJS6_EEE10hipError_tPvRmT3_T4_T5_T6_T7_T9_mT8_P12ihipStream_tbDpT10_ENKUlT_T0_E_clISt17integral_constantIbLb1EES19_IbLb0EEEEDaS15_S16_EUlS15_E_NS1_11comp_targetILNS1_3genE4ELNS1_11target_archE910ELNS1_3gpuE8ELNS1_3repE0EEENS1_30default_config_static_selectorELNS0_4arch9wavefront6targetE1EEEvT1_
; %bb.0:
	.section	.rodata,"a",@progbits
	.p2align	6, 0x0
	.amdhsa_kernel _ZN7rocprim17ROCPRIM_400000_NS6detail17trampoline_kernelINS0_14default_configENS1_25partition_config_selectorILNS1_17partition_subalgoE8EdNS0_10empty_typeEbEEZZNS1_14partition_implILS5_8ELb0ES3_jN6thrust23THRUST_200600_302600_NS6detail15normal_iteratorINSA_10device_ptrIdEEEEPS6_PKS6_NS0_5tupleIJSF_S6_EEENSJ_IJSG_SG_EEENS0_18inequality_wrapperI22is_equal_div_10_uniqueIdEEEPmJS6_EEE10hipError_tPvRmT3_T4_T5_T6_T7_T9_mT8_P12ihipStream_tbDpT10_ENKUlT_T0_E_clISt17integral_constantIbLb1EES19_IbLb0EEEEDaS15_S16_EUlS15_E_NS1_11comp_targetILNS1_3genE4ELNS1_11target_archE910ELNS1_3gpuE8ELNS1_3repE0EEENS1_30default_config_static_selectorELNS0_4arch9wavefront6targetE1EEEvT1_
		.amdhsa_group_segment_fixed_size 0
		.amdhsa_private_segment_fixed_size 0
		.amdhsa_kernarg_size 112
		.amdhsa_user_sgpr_count 6
		.amdhsa_user_sgpr_private_segment_buffer 1
		.amdhsa_user_sgpr_dispatch_ptr 0
		.amdhsa_user_sgpr_queue_ptr 0
		.amdhsa_user_sgpr_kernarg_segment_ptr 1
		.amdhsa_user_sgpr_dispatch_id 0
		.amdhsa_user_sgpr_flat_scratch_init 0
		.amdhsa_user_sgpr_private_segment_size 0
		.amdhsa_uses_dynamic_stack 0
		.amdhsa_system_sgpr_private_segment_wavefront_offset 0
		.amdhsa_system_sgpr_workgroup_id_x 1
		.amdhsa_system_sgpr_workgroup_id_y 0
		.amdhsa_system_sgpr_workgroup_id_z 0
		.amdhsa_system_sgpr_workgroup_info 0
		.amdhsa_system_vgpr_workitem_id 0
		.amdhsa_next_free_vgpr 1
		.amdhsa_next_free_sgpr 0
		.amdhsa_reserve_vcc 0
		.amdhsa_reserve_flat_scratch 0
		.amdhsa_float_round_mode_32 0
		.amdhsa_float_round_mode_16_64 0
		.amdhsa_float_denorm_mode_32 3
		.amdhsa_float_denorm_mode_16_64 3
		.amdhsa_dx10_clamp 1
		.amdhsa_ieee_mode 1
		.amdhsa_fp16_overflow 0
		.amdhsa_exception_fp_ieee_invalid_op 0
		.amdhsa_exception_fp_denorm_src 0
		.amdhsa_exception_fp_ieee_div_zero 0
		.amdhsa_exception_fp_ieee_overflow 0
		.amdhsa_exception_fp_ieee_underflow 0
		.amdhsa_exception_fp_ieee_inexact 0
		.amdhsa_exception_int_div_zero 0
	.end_amdhsa_kernel
	.section	.text._ZN7rocprim17ROCPRIM_400000_NS6detail17trampoline_kernelINS0_14default_configENS1_25partition_config_selectorILNS1_17partition_subalgoE8EdNS0_10empty_typeEbEEZZNS1_14partition_implILS5_8ELb0ES3_jN6thrust23THRUST_200600_302600_NS6detail15normal_iteratorINSA_10device_ptrIdEEEEPS6_PKS6_NS0_5tupleIJSF_S6_EEENSJ_IJSG_SG_EEENS0_18inequality_wrapperI22is_equal_div_10_uniqueIdEEEPmJS6_EEE10hipError_tPvRmT3_T4_T5_T6_T7_T9_mT8_P12ihipStream_tbDpT10_ENKUlT_T0_E_clISt17integral_constantIbLb1EES19_IbLb0EEEEDaS15_S16_EUlS15_E_NS1_11comp_targetILNS1_3genE4ELNS1_11target_archE910ELNS1_3gpuE8ELNS1_3repE0EEENS1_30default_config_static_selectorELNS0_4arch9wavefront6targetE1EEEvT1_,"axG",@progbits,_ZN7rocprim17ROCPRIM_400000_NS6detail17trampoline_kernelINS0_14default_configENS1_25partition_config_selectorILNS1_17partition_subalgoE8EdNS0_10empty_typeEbEEZZNS1_14partition_implILS5_8ELb0ES3_jN6thrust23THRUST_200600_302600_NS6detail15normal_iteratorINSA_10device_ptrIdEEEEPS6_PKS6_NS0_5tupleIJSF_S6_EEENSJ_IJSG_SG_EEENS0_18inequality_wrapperI22is_equal_div_10_uniqueIdEEEPmJS6_EEE10hipError_tPvRmT3_T4_T5_T6_T7_T9_mT8_P12ihipStream_tbDpT10_ENKUlT_T0_E_clISt17integral_constantIbLb1EES19_IbLb0EEEEDaS15_S16_EUlS15_E_NS1_11comp_targetILNS1_3genE4ELNS1_11target_archE910ELNS1_3gpuE8ELNS1_3repE0EEENS1_30default_config_static_selectorELNS0_4arch9wavefront6targetE1EEEvT1_,comdat
.Lfunc_end65:
	.size	_ZN7rocprim17ROCPRIM_400000_NS6detail17trampoline_kernelINS0_14default_configENS1_25partition_config_selectorILNS1_17partition_subalgoE8EdNS0_10empty_typeEbEEZZNS1_14partition_implILS5_8ELb0ES3_jN6thrust23THRUST_200600_302600_NS6detail15normal_iteratorINSA_10device_ptrIdEEEEPS6_PKS6_NS0_5tupleIJSF_S6_EEENSJ_IJSG_SG_EEENS0_18inequality_wrapperI22is_equal_div_10_uniqueIdEEEPmJS6_EEE10hipError_tPvRmT3_T4_T5_T6_T7_T9_mT8_P12ihipStream_tbDpT10_ENKUlT_T0_E_clISt17integral_constantIbLb1EES19_IbLb0EEEEDaS15_S16_EUlS15_E_NS1_11comp_targetILNS1_3genE4ELNS1_11target_archE910ELNS1_3gpuE8ELNS1_3repE0EEENS1_30default_config_static_selectorELNS0_4arch9wavefront6targetE1EEEvT1_, .Lfunc_end65-_ZN7rocprim17ROCPRIM_400000_NS6detail17trampoline_kernelINS0_14default_configENS1_25partition_config_selectorILNS1_17partition_subalgoE8EdNS0_10empty_typeEbEEZZNS1_14partition_implILS5_8ELb0ES3_jN6thrust23THRUST_200600_302600_NS6detail15normal_iteratorINSA_10device_ptrIdEEEEPS6_PKS6_NS0_5tupleIJSF_S6_EEENSJ_IJSG_SG_EEENS0_18inequality_wrapperI22is_equal_div_10_uniqueIdEEEPmJS6_EEE10hipError_tPvRmT3_T4_T5_T6_T7_T9_mT8_P12ihipStream_tbDpT10_ENKUlT_T0_E_clISt17integral_constantIbLb1EES19_IbLb0EEEEDaS15_S16_EUlS15_E_NS1_11comp_targetILNS1_3genE4ELNS1_11target_archE910ELNS1_3gpuE8ELNS1_3repE0EEENS1_30default_config_static_selectorELNS0_4arch9wavefront6targetE1EEEvT1_
                                        ; -- End function
	.set _ZN7rocprim17ROCPRIM_400000_NS6detail17trampoline_kernelINS0_14default_configENS1_25partition_config_selectorILNS1_17partition_subalgoE8EdNS0_10empty_typeEbEEZZNS1_14partition_implILS5_8ELb0ES3_jN6thrust23THRUST_200600_302600_NS6detail15normal_iteratorINSA_10device_ptrIdEEEEPS6_PKS6_NS0_5tupleIJSF_S6_EEENSJ_IJSG_SG_EEENS0_18inequality_wrapperI22is_equal_div_10_uniqueIdEEEPmJS6_EEE10hipError_tPvRmT3_T4_T5_T6_T7_T9_mT8_P12ihipStream_tbDpT10_ENKUlT_T0_E_clISt17integral_constantIbLb1EES19_IbLb0EEEEDaS15_S16_EUlS15_E_NS1_11comp_targetILNS1_3genE4ELNS1_11target_archE910ELNS1_3gpuE8ELNS1_3repE0EEENS1_30default_config_static_selectorELNS0_4arch9wavefront6targetE1EEEvT1_.num_vgpr, 0
	.set _ZN7rocprim17ROCPRIM_400000_NS6detail17trampoline_kernelINS0_14default_configENS1_25partition_config_selectorILNS1_17partition_subalgoE8EdNS0_10empty_typeEbEEZZNS1_14partition_implILS5_8ELb0ES3_jN6thrust23THRUST_200600_302600_NS6detail15normal_iteratorINSA_10device_ptrIdEEEEPS6_PKS6_NS0_5tupleIJSF_S6_EEENSJ_IJSG_SG_EEENS0_18inequality_wrapperI22is_equal_div_10_uniqueIdEEEPmJS6_EEE10hipError_tPvRmT3_T4_T5_T6_T7_T9_mT8_P12ihipStream_tbDpT10_ENKUlT_T0_E_clISt17integral_constantIbLb1EES19_IbLb0EEEEDaS15_S16_EUlS15_E_NS1_11comp_targetILNS1_3genE4ELNS1_11target_archE910ELNS1_3gpuE8ELNS1_3repE0EEENS1_30default_config_static_selectorELNS0_4arch9wavefront6targetE1EEEvT1_.num_agpr, 0
	.set _ZN7rocprim17ROCPRIM_400000_NS6detail17trampoline_kernelINS0_14default_configENS1_25partition_config_selectorILNS1_17partition_subalgoE8EdNS0_10empty_typeEbEEZZNS1_14partition_implILS5_8ELb0ES3_jN6thrust23THRUST_200600_302600_NS6detail15normal_iteratorINSA_10device_ptrIdEEEEPS6_PKS6_NS0_5tupleIJSF_S6_EEENSJ_IJSG_SG_EEENS0_18inequality_wrapperI22is_equal_div_10_uniqueIdEEEPmJS6_EEE10hipError_tPvRmT3_T4_T5_T6_T7_T9_mT8_P12ihipStream_tbDpT10_ENKUlT_T0_E_clISt17integral_constantIbLb1EES19_IbLb0EEEEDaS15_S16_EUlS15_E_NS1_11comp_targetILNS1_3genE4ELNS1_11target_archE910ELNS1_3gpuE8ELNS1_3repE0EEENS1_30default_config_static_selectorELNS0_4arch9wavefront6targetE1EEEvT1_.numbered_sgpr, 0
	.set _ZN7rocprim17ROCPRIM_400000_NS6detail17trampoline_kernelINS0_14default_configENS1_25partition_config_selectorILNS1_17partition_subalgoE8EdNS0_10empty_typeEbEEZZNS1_14partition_implILS5_8ELb0ES3_jN6thrust23THRUST_200600_302600_NS6detail15normal_iteratorINSA_10device_ptrIdEEEEPS6_PKS6_NS0_5tupleIJSF_S6_EEENSJ_IJSG_SG_EEENS0_18inequality_wrapperI22is_equal_div_10_uniqueIdEEEPmJS6_EEE10hipError_tPvRmT3_T4_T5_T6_T7_T9_mT8_P12ihipStream_tbDpT10_ENKUlT_T0_E_clISt17integral_constantIbLb1EES19_IbLb0EEEEDaS15_S16_EUlS15_E_NS1_11comp_targetILNS1_3genE4ELNS1_11target_archE910ELNS1_3gpuE8ELNS1_3repE0EEENS1_30default_config_static_selectorELNS0_4arch9wavefront6targetE1EEEvT1_.num_named_barrier, 0
	.set _ZN7rocprim17ROCPRIM_400000_NS6detail17trampoline_kernelINS0_14default_configENS1_25partition_config_selectorILNS1_17partition_subalgoE8EdNS0_10empty_typeEbEEZZNS1_14partition_implILS5_8ELb0ES3_jN6thrust23THRUST_200600_302600_NS6detail15normal_iteratorINSA_10device_ptrIdEEEEPS6_PKS6_NS0_5tupleIJSF_S6_EEENSJ_IJSG_SG_EEENS0_18inequality_wrapperI22is_equal_div_10_uniqueIdEEEPmJS6_EEE10hipError_tPvRmT3_T4_T5_T6_T7_T9_mT8_P12ihipStream_tbDpT10_ENKUlT_T0_E_clISt17integral_constantIbLb1EES19_IbLb0EEEEDaS15_S16_EUlS15_E_NS1_11comp_targetILNS1_3genE4ELNS1_11target_archE910ELNS1_3gpuE8ELNS1_3repE0EEENS1_30default_config_static_selectorELNS0_4arch9wavefront6targetE1EEEvT1_.private_seg_size, 0
	.set _ZN7rocprim17ROCPRIM_400000_NS6detail17trampoline_kernelINS0_14default_configENS1_25partition_config_selectorILNS1_17partition_subalgoE8EdNS0_10empty_typeEbEEZZNS1_14partition_implILS5_8ELb0ES3_jN6thrust23THRUST_200600_302600_NS6detail15normal_iteratorINSA_10device_ptrIdEEEEPS6_PKS6_NS0_5tupleIJSF_S6_EEENSJ_IJSG_SG_EEENS0_18inequality_wrapperI22is_equal_div_10_uniqueIdEEEPmJS6_EEE10hipError_tPvRmT3_T4_T5_T6_T7_T9_mT8_P12ihipStream_tbDpT10_ENKUlT_T0_E_clISt17integral_constantIbLb1EES19_IbLb0EEEEDaS15_S16_EUlS15_E_NS1_11comp_targetILNS1_3genE4ELNS1_11target_archE910ELNS1_3gpuE8ELNS1_3repE0EEENS1_30default_config_static_selectorELNS0_4arch9wavefront6targetE1EEEvT1_.uses_vcc, 0
	.set _ZN7rocprim17ROCPRIM_400000_NS6detail17trampoline_kernelINS0_14default_configENS1_25partition_config_selectorILNS1_17partition_subalgoE8EdNS0_10empty_typeEbEEZZNS1_14partition_implILS5_8ELb0ES3_jN6thrust23THRUST_200600_302600_NS6detail15normal_iteratorINSA_10device_ptrIdEEEEPS6_PKS6_NS0_5tupleIJSF_S6_EEENSJ_IJSG_SG_EEENS0_18inequality_wrapperI22is_equal_div_10_uniqueIdEEEPmJS6_EEE10hipError_tPvRmT3_T4_T5_T6_T7_T9_mT8_P12ihipStream_tbDpT10_ENKUlT_T0_E_clISt17integral_constantIbLb1EES19_IbLb0EEEEDaS15_S16_EUlS15_E_NS1_11comp_targetILNS1_3genE4ELNS1_11target_archE910ELNS1_3gpuE8ELNS1_3repE0EEENS1_30default_config_static_selectorELNS0_4arch9wavefront6targetE1EEEvT1_.uses_flat_scratch, 0
	.set _ZN7rocprim17ROCPRIM_400000_NS6detail17trampoline_kernelINS0_14default_configENS1_25partition_config_selectorILNS1_17partition_subalgoE8EdNS0_10empty_typeEbEEZZNS1_14partition_implILS5_8ELb0ES3_jN6thrust23THRUST_200600_302600_NS6detail15normal_iteratorINSA_10device_ptrIdEEEEPS6_PKS6_NS0_5tupleIJSF_S6_EEENSJ_IJSG_SG_EEENS0_18inequality_wrapperI22is_equal_div_10_uniqueIdEEEPmJS6_EEE10hipError_tPvRmT3_T4_T5_T6_T7_T9_mT8_P12ihipStream_tbDpT10_ENKUlT_T0_E_clISt17integral_constantIbLb1EES19_IbLb0EEEEDaS15_S16_EUlS15_E_NS1_11comp_targetILNS1_3genE4ELNS1_11target_archE910ELNS1_3gpuE8ELNS1_3repE0EEENS1_30default_config_static_selectorELNS0_4arch9wavefront6targetE1EEEvT1_.has_dyn_sized_stack, 0
	.set _ZN7rocprim17ROCPRIM_400000_NS6detail17trampoline_kernelINS0_14default_configENS1_25partition_config_selectorILNS1_17partition_subalgoE8EdNS0_10empty_typeEbEEZZNS1_14partition_implILS5_8ELb0ES3_jN6thrust23THRUST_200600_302600_NS6detail15normal_iteratorINSA_10device_ptrIdEEEEPS6_PKS6_NS0_5tupleIJSF_S6_EEENSJ_IJSG_SG_EEENS0_18inequality_wrapperI22is_equal_div_10_uniqueIdEEEPmJS6_EEE10hipError_tPvRmT3_T4_T5_T6_T7_T9_mT8_P12ihipStream_tbDpT10_ENKUlT_T0_E_clISt17integral_constantIbLb1EES19_IbLb0EEEEDaS15_S16_EUlS15_E_NS1_11comp_targetILNS1_3genE4ELNS1_11target_archE910ELNS1_3gpuE8ELNS1_3repE0EEENS1_30default_config_static_selectorELNS0_4arch9wavefront6targetE1EEEvT1_.has_recursion, 0
	.set _ZN7rocprim17ROCPRIM_400000_NS6detail17trampoline_kernelINS0_14default_configENS1_25partition_config_selectorILNS1_17partition_subalgoE8EdNS0_10empty_typeEbEEZZNS1_14partition_implILS5_8ELb0ES3_jN6thrust23THRUST_200600_302600_NS6detail15normal_iteratorINSA_10device_ptrIdEEEEPS6_PKS6_NS0_5tupleIJSF_S6_EEENSJ_IJSG_SG_EEENS0_18inequality_wrapperI22is_equal_div_10_uniqueIdEEEPmJS6_EEE10hipError_tPvRmT3_T4_T5_T6_T7_T9_mT8_P12ihipStream_tbDpT10_ENKUlT_T0_E_clISt17integral_constantIbLb1EES19_IbLb0EEEEDaS15_S16_EUlS15_E_NS1_11comp_targetILNS1_3genE4ELNS1_11target_archE910ELNS1_3gpuE8ELNS1_3repE0EEENS1_30default_config_static_selectorELNS0_4arch9wavefront6targetE1EEEvT1_.has_indirect_call, 0
	.section	.AMDGPU.csdata,"",@progbits
; Kernel info:
; codeLenInByte = 0
; TotalNumSgprs: 4
; NumVgprs: 0
; ScratchSize: 0
; MemoryBound: 0
; FloatMode: 240
; IeeeMode: 1
; LDSByteSize: 0 bytes/workgroup (compile time only)
; SGPRBlocks: 0
; VGPRBlocks: 0
; NumSGPRsForWavesPerEU: 4
; NumVGPRsForWavesPerEU: 1
; Occupancy: 10
; WaveLimiterHint : 0
; COMPUTE_PGM_RSRC2:SCRATCH_EN: 0
; COMPUTE_PGM_RSRC2:USER_SGPR: 6
; COMPUTE_PGM_RSRC2:TRAP_HANDLER: 0
; COMPUTE_PGM_RSRC2:TGID_X_EN: 1
; COMPUTE_PGM_RSRC2:TGID_Y_EN: 0
; COMPUTE_PGM_RSRC2:TGID_Z_EN: 0
; COMPUTE_PGM_RSRC2:TIDIG_COMP_CNT: 0
	.section	.text._ZN7rocprim17ROCPRIM_400000_NS6detail17trampoline_kernelINS0_14default_configENS1_25partition_config_selectorILNS1_17partition_subalgoE8EdNS0_10empty_typeEbEEZZNS1_14partition_implILS5_8ELb0ES3_jN6thrust23THRUST_200600_302600_NS6detail15normal_iteratorINSA_10device_ptrIdEEEEPS6_PKS6_NS0_5tupleIJSF_S6_EEENSJ_IJSG_SG_EEENS0_18inequality_wrapperI22is_equal_div_10_uniqueIdEEEPmJS6_EEE10hipError_tPvRmT3_T4_T5_T6_T7_T9_mT8_P12ihipStream_tbDpT10_ENKUlT_T0_E_clISt17integral_constantIbLb1EES19_IbLb0EEEEDaS15_S16_EUlS15_E_NS1_11comp_targetILNS1_3genE3ELNS1_11target_archE908ELNS1_3gpuE7ELNS1_3repE0EEENS1_30default_config_static_selectorELNS0_4arch9wavefront6targetE1EEEvT1_,"axG",@progbits,_ZN7rocprim17ROCPRIM_400000_NS6detail17trampoline_kernelINS0_14default_configENS1_25partition_config_selectorILNS1_17partition_subalgoE8EdNS0_10empty_typeEbEEZZNS1_14partition_implILS5_8ELb0ES3_jN6thrust23THRUST_200600_302600_NS6detail15normal_iteratorINSA_10device_ptrIdEEEEPS6_PKS6_NS0_5tupleIJSF_S6_EEENSJ_IJSG_SG_EEENS0_18inequality_wrapperI22is_equal_div_10_uniqueIdEEEPmJS6_EEE10hipError_tPvRmT3_T4_T5_T6_T7_T9_mT8_P12ihipStream_tbDpT10_ENKUlT_T0_E_clISt17integral_constantIbLb1EES19_IbLb0EEEEDaS15_S16_EUlS15_E_NS1_11comp_targetILNS1_3genE3ELNS1_11target_archE908ELNS1_3gpuE7ELNS1_3repE0EEENS1_30default_config_static_selectorELNS0_4arch9wavefront6targetE1EEEvT1_,comdat
	.protected	_ZN7rocprim17ROCPRIM_400000_NS6detail17trampoline_kernelINS0_14default_configENS1_25partition_config_selectorILNS1_17partition_subalgoE8EdNS0_10empty_typeEbEEZZNS1_14partition_implILS5_8ELb0ES3_jN6thrust23THRUST_200600_302600_NS6detail15normal_iteratorINSA_10device_ptrIdEEEEPS6_PKS6_NS0_5tupleIJSF_S6_EEENSJ_IJSG_SG_EEENS0_18inequality_wrapperI22is_equal_div_10_uniqueIdEEEPmJS6_EEE10hipError_tPvRmT3_T4_T5_T6_T7_T9_mT8_P12ihipStream_tbDpT10_ENKUlT_T0_E_clISt17integral_constantIbLb1EES19_IbLb0EEEEDaS15_S16_EUlS15_E_NS1_11comp_targetILNS1_3genE3ELNS1_11target_archE908ELNS1_3gpuE7ELNS1_3repE0EEENS1_30default_config_static_selectorELNS0_4arch9wavefront6targetE1EEEvT1_ ; -- Begin function _ZN7rocprim17ROCPRIM_400000_NS6detail17trampoline_kernelINS0_14default_configENS1_25partition_config_selectorILNS1_17partition_subalgoE8EdNS0_10empty_typeEbEEZZNS1_14partition_implILS5_8ELb0ES3_jN6thrust23THRUST_200600_302600_NS6detail15normal_iteratorINSA_10device_ptrIdEEEEPS6_PKS6_NS0_5tupleIJSF_S6_EEENSJ_IJSG_SG_EEENS0_18inequality_wrapperI22is_equal_div_10_uniqueIdEEEPmJS6_EEE10hipError_tPvRmT3_T4_T5_T6_T7_T9_mT8_P12ihipStream_tbDpT10_ENKUlT_T0_E_clISt17integral_constantIbLb1EES19_IbLb0EEEEDaS15_S16_EUlS15_E_NS1_11comp_targetILNS1_3genE3ELNS1_11target_archE908ELNS1_3gpuE7ELNS1_3repE0EEENS1_30default_config_static_selectorELNS0_4arch9wavefront6targetE1EEEvT1_
	.globl	_ZN7rocprim17ROCPRIM_400000_NS6detail17trampoline_kernelINS0_14default_configENS1_25partition_config_selectorILNS1_17partition_subalgoE8EdNS0_10empty_typeEbEEZZNS1_14partition_implILS5_8ELb0ES3_jN6thrust23THRUST_200600_302600_NS6detail15normal_iteratorINSA_10device_ptrIdEEEEPS6_PKS6_NS0_5tupleIJSF_S6_EEENSJ_IJSG_SG_EEENS0_18inequality_wrapperI22is_equal_div_10_uniqueIdEEEPmJS6_EEE10hipError_tPvRmT3_T4_T5_T6_T7_T9_mT8_P12ihipStream_tbDpT10_ENKUlT_T0_E_clISt17integral_constantIbLb1EES19_IbLb0EEEEDaS15_S16_EUlS15_E_NS1_11comp_targetILNS1_3genE3ELNS1_11target_archE908ELNS1_3gpuE7ELNS1_3repE0EEENS1_30default_config_static_selectorELNS0_4arch9wavefront6targetE1EEEvT1_
	.p2align	8
	.type	_ZN7rocprim17ROCPRIM_400000_NS6detail17trampoline_kernelINS0_14default_configENS1_25partition_config_selectorILNS1_17partition_subalgoE8EdNS0_10empty_typeEbEEZZNS1_14partition_implILS5_8ELb0ES3_jN6thrust23THRUST_200600_302600_NS6detail15normal_iteratorINSA_10device_ptrIdEEEEPS6_PKS6_NS0_5tupleIJSF_S6_EEENSJ_IJSG_SG_EEENS0_18inequality_wrapperI22is_equal_div_10_uniqueIdEEEPmJS6_EEE10hipError_tPvRmT3_T4_T5_T6_T7_T9_mT8_P12ihipStream_tbDpT10_ENKUlT_T0_E_clISt17integral_constantIbLb1EES19_IbLb0EEEEDaS15_S16_EUlS15_E_NS1_11comp_targetILNS1_3genE3ELNS1_11target_archE908ELNS1_3gpuE7ELNS1_3repE0EEENS1_30default_config_static_selectorELNS0_4arch9wavefront6targetE1EEEvT1_,@function
_ZN7rocprim17ROCPRIM_400000_NS6detail17trampoline_kernelINS0_14default_configENS1_25partition_config_selectorILNS1_17partition_subalgoE8EdNS0_10empty_typeEbEEZZNS1_14partition_implILS5_8ELb0ES3_jN6thrust23THRUST_200600_302600_NS6detail15normal_iteratorINSA_10device_ptrIdEEEEPS6_PKS6_NS0_5tupleIJSF_S6_EEENSJ_IJSG_SG_EEENS0_18inequality_wrapperI22is_equal_div_10_uniqueIdEEEPmJS6_EEE10hipError_tPvRmT3_T4_T5_T6_T7_T9_mT8_P12ihipStream_tbDpT10_ENKUlT_T0_E_clISt17integral_constantIbLb1EES19_IbLb0EEEEDaS15_S16_EUlS15_E_NS1_11comp_targetILNS1_3genE3ELNS1_11target_archE908ELNS1_3gpuE7ELNS1_3repE0EEENS1_30default_config_static_selectorELNS0_4arch9wavefront6targetE1EEEvT1_: ; @_ZN7rocprim17ROCPRIM_400000_NS6detail17trampoline_kernelINS0_14default_configENS1_25partition_config_selectorILNS1_17partition_subalgoE8EdNS0_10empty_typeEbEEZZNS1_14partition_implILS5_8ELb0ES3_jN6thrust23THRUST_200600_302600_NS6detail15normal_iteratorINSA_10device_ptrIdEEEEPS6_PKS6_NS0_5tupleIJSF_S6_EEENSJ_IJSG_SG_EEENS0_18inequality_wrapperI22is_equal_div_10_uniqueIdEEEPmJS6_EEE10hipError_tPvRmT3_T4_T5_T6_T7_T9_mT8_P12ihipStream_tbDpT10_ENKUlT_T0_E_clISt17integral_constantIbLb1EES19_IbLb0EEEEDaS15_S16_EUlS15_E_NS1_11comp_targetILNS1_3genE3ELNS1_11target_archE908ELNS1_3gpuE7ELNS1_3repE0EEENS1_30default_config_static_selectorELNS0_4arch9wavefront6targetE1EEEvT1_
; %bb.0:
	.section	.rodata,"a",@progbits
	.p2align	6, 0x0
	.amdhsa_kernel _ZN7rocprim17ROCPRIM_400000_NS6detail17trampoline_kernelINS0_14default_configENS1_25partition_config_selectorILNS1_17partition_subalgoE8EdNS0_10empty_typeEbEEZZNS1_14partition_implILS5_8ELb0ES3_jN6thrust23THRUST_200600_302600_NS6detail15normal_iteratorINSA_10device_ptrIdEEEEPS6_PKS6_NS0_5tupleIJSF_S6_EEENSJ_IJSG_SG_EEENS0_18inequality_wrapperI22is_equal_div_10_uniqueIdEEEPmJS6_EEE10hipError_tPvRmT3_T4_T5_T6_T7_T9_mT8_P12ihipStream_tbDpT10_ENKUlT_T0_E_clISt17integral_constantIbLb1EES19_IbLb0EEEEDaS15_S16_EUlS15_E_NS1_11comp_targetILNS1_3genE3ELNS1_11target_archE908ELNS1_3gpuE7ELNS1_3repE0EEENS1_30default_config_static_selectorELNS0_4arch9wavefront6targetE1EEEvT1_
		.amdhsa_group_segment_fixed_size 0
		.amdhsa_private_segment_fixed_size 0
		.amdhsa_kernarg_size 112
		.amdhsa_user_sgpr_count 6
		.amdhsa_user_sgpr_private_segment_buffer 1
		.amdhsa_user_sgpr_dispatch_ptr 0
		.amdhsa_user_sgpr_queue_ptr 0
		.amdhsa_user_sgpr_kernarg_segment_ptr 1
		.amdhsa_user_sgpr_dispatch_id 0
		.amdhsa_user_sgpr_flat_scratch_init 0
		.amdhsa_user_sgpr_private_segment_size 0
		.amdhsa_uses_dynamic_stack 0
		.amdhsa_system_sgpr_private_segment_wavefront_offset 0
		.amdhsa_system_sgpr_workgroup_id_x 1
		.amdhsa_system_sgpr_workgroup_id_y 0
		.amdhsa_system_sgpr_workgroup_id_z 0
		.amdhsa_system_sgpr_workgroup_info 0
		.amdhsa_system_vgpr_workitem_id 0
		.amdhsa_next_free_vgpr 1
		.amdhsa_next_free_sgpr 0
		.amdhsa_reserve_vcc 0
		.amdhsa_reserve_flat_scratch 0
		.amdhsa_float_round_mode_32 0
		.amdhsa_float_round_mode_16_64 0
		.amdhsa_float_denorm_mode_32 3
		.amdhsa_float_denorm_mode_16_64 3
		.amdhsa_dx10_clamp 1
		.amdhsa_ieee_mode 1
		.amdhsa_fp16_overflow 0
		.amdhsa_exception_fp_ieee_invalid_op 0
		.amdhsa_exception_fp_denorm_src 0
		.amdhsa_exception_fp_ieee_div_zero 0
		.amdhsa_exception_fp_ieee_overflow 0
		.amdhsa_exception_fp_ieee_underflow 0
		.amdhsa_exception_fp_ieee_inexact 0
		.amdhsa_exception_int_div_zero 0
	.end_amdhsa_kernel
	.section	.text._ZN7rocprim17ROCPRIM_400000_NS6detail17trampoline_kernelINS0_14default_configENS1_25partition_config_selectorILNS1_17partition_subalgoE8EdNS0_10empty_typeEbEEZZNS1_14partition_implILS5_8ELb0ES3_jN6thrust23THRUST_200600_302600_NS6detail15normal_iteratorINSA_10device_ptrIdEEEEPS6_PKS6_NS0_5tupleIJSF_S6_EEENSJ_IJSG_SG_EEENS0_18inequality_wrapperI22is_equal_div_10_uniqueIdEEEPmJS6_EEE10hipError_tPvRmT3_T4_T5_T6_T7_T9_mT8_P12ihipStream_tbDpT10_ENKUlT_T0_E_clISt17integral_constantIbLb1EES19_IbLb0EEEEDaS15_S16_EUlS15_E_NS1_11comp_targetILNS1_3genE3ELNS1_11target_archE908ELNS1_3gpuE7ELNS1_3repE0EEENS1_30default_config_static_selectorELNS0_4arch9wavefront6targetE1EEEvT1_,"axG",@progbits,_ZN7rocprim17ROCPRIM_400000_NS6detail17trampoline_kernelINS0_14default_configENS1_25partition_config_selectorILNS1_17partition_subalgoE8EdNS0_10empty_typeEbEEZZNS1_14partition_implILS5_8ELb0ES3_jN6thrust23THRUST_200600_302600_NS6detail15normal_iteratorINSA_10device_ptrIdEEEEPS6_PKS6_NS0_5tupleIJSF_S6_EEENSJ_IJSG_SG_EEENS0_18inequality_wrapperI22is_equal_div_10_uniqueIdEEEPmJS6_EEE10hipError_tPvRmT3_T4_T5_T6_T7_T9_mT8_P12ihipStream_tbDpT10_ENKUlT_T0_E_clISt17integral_constantIbLb1EES19_IbLb0EEEEDaS15_S16_EUlS15_E_NS1_11comp_targetILNS1_3genE3ELNS1_11target_archE908ELNS1_3gpuE7ELNS1_3repE0EEENS1_30default_config_static_selectorELNS0_4arch9wavefront6targetE1EEEvT1_,comdat
.Lfunc_end66:
	.size	_ZN7rocprim17ROCPRIM_400000_NS6detail17trampoline_kernelINS0_14default_configENS1_25partition_config_selectorILNS1_17partition_subalgoE8EdNS0_10empty_typeEbEEZZNS1_14partition_implILS5_8ELb0ES3_jN6thrust23THRUST_200600_302600_NS6detail15normal_iteratorINSA_10device_ptrIdEEEEPS6_PKS6_NS0_5tupleIJSF_S6_EEENSJ_IJSG_SG_EEENS0_18inequality_wrapperI22is_equal_div_10_uniqueIdEEEPmJS6_EEE10hipError_tPvRmT3_T4_T5_T6_T7_T9_mT8_P12ihipStream_tbDpT10_ENKUlT_T0_E_clISt17integral_constantIbLb1EES19_IbLb0EEEEDaS15_S16_EUlS15_E_NS1_11comp_targetILNS1_3genE3ELNS1_11target_archE908ELNS1_3gpuE7ELNS1_3repE0EEENS1_30default_config_static_selectorELNS0_4arch9wavefront6targetE1EEEvT1_, .Lfunc_end66-_ZN7rocprim17ROCPRIM_400000_NS6detail17trampoline_kernelINS0_14default_configENS1_25partition_config_selectorILNS1_17partition_subalgoE8EdNS0_10empty_typeEbEEZZNS1_14partition_implILS5_8ELb0ES3_jN6thrust23THRUST_200600_302600_NS6detail15normal_iteratorINSA_10device_ptrIdEEEEPS6_PKS6_NS0_5tupleIJSF_S6_EEENSJ_IJSG_SG_EEENS0_18inequality_wrapperI22is_equal_div_10_uniqueIdEEEPmJS6_EEE10hipError_tPvRmT3_T4_T5_T6_T7_T9_mT8_P12ihipStream_tbDpT10_ENKUlT_T0_E_clISt17integral_constantIbLb1EES19_IbLb0EEEEDaS15_S16_EUlS15_E_NS1_11comp_targetILNS1_3genE3ELNS1_11target_archE908ELNS1_3gpuE7ELNS1_3repE0EEENS1_30default_config_static_selectorELNS0_4arch9wavefront6targetE1EEEvT1_
                                        ; -- End function
	.set _ZN7rocprim17ROCPRIM_400000_NS6detail17trampoline_kernelINS0_14default_configENS1_25partition_config_selectorILNS1_17partition_subalgoE8EdNS0_10empty_typeEbEEZZNS1_14partition_implILS5_8ELb0ES3_jN6thrust23THRUST_200600_302600_NS6detail15normal_iteratorINSA_10device_ptrIdEEEEPS6_PKS6_NS0_5tupleIJSF_S6_EEENSJ_IJSG_SG_EEENS0_18inequality_wrapperI22is_equal_div_10_uniqueIdEEEPmJS6_EEE10hipError_tPvRmT3_T4_T5_T6_T7_T9_mT8_P12ihipStream_tbDpT10_ENKUlT_T0_E_clISt17integral_constantIbLb1EES19_IbLb0EEEEDaS15_S16_EUlS15_E_NS1_11comp_targetILNS1_3genE3ELNS1_11target_archE908ELNS1_3gpuE7ELNS1_3repE0EEENS1_30default_config_static_selectorELNS0_4arch9wavefront6targetE1EEEvT1_.num_vgpr, 0
	.set _ZN7rocprim17ROCPRIM_400000_NS6detail17trampoline_kernelINS0_14default_configENS1_25partition_config_selectorILNS1_17partition_subalgoE8EdNS0_10empty_typeEbEEZZNS1_14partition_implILS5_8ELb0ES3_jN6thrust23THRUST_200600_302600_NS6detail15normal_iteratorINSA_10device_ptrIdEEEEPS6_PKS6_NS0_5tupleIJSF_S6_EEENSJ_IJSG_SG_EEENS0_18inequality_wrapperI22is_equal_div_10_uniqueIdEEEPmJS6_EEE10hipError_tPvRmT3_T4_T5_T6_T7_T9_mT8_P12ihipStream_tbDpT10_ENKUlT_T0_E_clISt17integral_constantIbLb1EES19_IbLb0EEEEDaS15_S16_EUlS15_E_NS1_11comp_targetILNS1_3genE3ELNS1_11target_archE908ELNS1_3gpuE7ELNS1_3repE0EEENS1_30default_config_static_selectorELNS0_4arch9wavefront6targetE1EEEvT1_.num_agpr, 0
	.set _ZN7rocprim17ROCPRIM_400000_NS6detail17trampoline_kernelINS0_14default_configENS1_25partition_config_selectorILNS1_17partition_subalgoE8EdNS0_10empty_typeEbEEZZNS1_14partition_implILS5_8ELb0ES3_jN6thrust23THRUST_200600_302600_NS6detail15normal_iteratorINSA_10device_ptrIdEEEEPS6_PKS6_NS0_5tupleIJSF_S6_EEENSJ_IJSG_SG_EEENS0_18inequality_wrapperI22is_equal_div_10_uniqueIdEEEPmJS6_EEE10hipError_tPvRmT3_T4_T5_T6_T7_T9_mT8_P12ihipStream_tbDpT10_ENKUlT_T0_E_clISt17integral_constantIbLb1EES19_IbLb0EEEEDaS15_S16_EUlS15_E_NS1_11comp_targetILNS1_3genE3ELNS1_11target_archE908ELNS1_3gpuE7ELNS1_3repE0EEENS1_30default_config_static_selectorELNS0_4arch9wavefront6targetE1EEEvT1_.numbered_sgpr, 0
	.set _ZN7rocprim17ROCPRIM_400000_NS6detail17trampoline_kernelINS0_14default_configENS1_25partition_config_selectorILNS1_17partition_subalgoE8EdNS0_10empty_typeEbEEZZNS1_14partition_implILS5_8ELb0ES3_jN6thrust23THRUST_200600_302600_NS6detail15normal_iteratorINSA_10device_ptrIdEEEEPS6_PKS6_NS0_5tupleIJSF_S6_EEENSJ_IJSG_SG_EEENS0_18inequality_wrapperI22is_equal_div_10_uniqueIdEEEPmJS6_EEE10hipError_tPvRmT3_T4_T5_T6_T7_T9_mT8_P12ihipStream_tbDpT10_ENKUlT_T0_E_clISt17integral_constantIbLb1EES19_IbLb0EEEEDaS15_S16_EUlS15_E_NS1_11comp_targetILNS1_3genE3ELNS1_11target_archE908ELNS1_3gpuE7ELNS1_3repE0EEENS1_30default_config_static_selectorELNS0_4arch9wavefront6targetE1EEEvT1_.num_named_barrier, 0
	.set _ZN7rocprim17ROCPRIM_400000_NS6detail17trampoline_kernelINS0_14default_configENS1_25partition_config_selectorILNS1_17partition_subalgoE8EdNS0_10empty_typeEbEEZZNS1_14partition_implILS5_8ELb0ES3_jN6thrust23THRUST_200600_302600_NS6detail15normal_iteratorINSA_10device_ptrIdEEEEPS6_PKS6_NS0_5tupleIJSF_S6_EEENSJ_IJSG_SG_EEENS0_18inequality_wrapperI22is_equal_div_10_uniqueIdEEEPmJS6_EEE10hipError_tPvRmT3_T4_T5_T6_T7_T9_mT8_P12ihipStream_tbDpT10_ENKUlT_T0_E_clISt17integral_constantIbLb1EES19_IbLb0EEEEDaS15_S16_EUlS15_E_NS1_11comp_targetILNS1_3genE3ELNS1_11target_archE908ELNS1_3gpuE7ELNS1_3repE0EEENS1_30default_config_static_selectorELNS0_4arch9wavefront6targetE1EEEvT1_.private_seg_size, 0
	.set _ZN7rocprim17ROCPRIM_400000_NS6detail17trampoline_kernelINS0_14default_configENS1_25partition_config_selectorILNS1_17partition_subalgoE8EdNS0_10empty_typeEbEEZZNS1_14partition_implILS5_8ELb0ES3_jN6thrust23THRUST_200600_302600_NS6detail15normal_iteratorINSA_10device_ptrIdEEEEPS6_PKS6_NS0_5tupleIJSF_S6_EEENSJ_IJSG_SG_EEENS0_18inequality_wrapperI22is_equal_div_10_uniqueIdEEEPmJS6_EEE10hipError_tPvRmT3_T4_T5_T6_T7_T9_mT8_P12ihipStream_tbDpT10_ENKUlT_T0_E_clISt17integral_constantIbLb1EES19_IbLb0EEEEDaS15_S16_EUlS15_E_NS1_11comp_targetILNS1_3genE3ELNS1_11target_archE908ELNS1_3gpuE7ELNS1_3repE0EEENS1_30default_config_static_selectorELNS0_4arch9wavefront6targetE1EEEvT1_.uses_vcc, 0
	.set _ZN7rocprim17ROCPRIM_400000_NS6detail17trampoline_kernelINS0_14default_configENS1_25partition_config_selectorILNS1_17partition_subalgoE8EdNS0_10empty_typeEbEEZZNS1_14partition_implILS5_8ELb0ES3_jN6thrust23THRUST_200600_302600_NS6detail15normal_iteratorINSA_10device_ptrIdEEEEPS6_PKS6_NS0_5tupleIJSF_S6_EEENSJ_IJSG_SG_EEENS0_18inequality_wrapperI22is_equal_div_10_uniqueIdEEEPmJS6_EEE10hipError_tPvRmT3_T4_T5_T6_T7_T9_mT8_P12ihipStream_tbDpT10_ENKUlT_T0_E_clISt17integral_constantIbLb1EES19_IbLb0EEEEDaS15_S16_EUlS15_E_NS1_11comp_targetILNS1_3genE3ELNS1_11target_archE908ELNS1_3gpuE7ELNS1_3repE0EEENS1_30default_config_static_selectorELNS0_4arch9wavefront6targetE1EEEvT1_.uses_flat_scratch, 0
	.set _ZN7rocprim17ROCPRIM_400000_NS6detail17trampoline_kernelINS0_14default_configENS1_25partition_config_selectorILNS1_17partition_subalgoE8EdNS0_10empty_typeEbEEZZNS1_14partition_implILS5_8ELb0ES3_jN6thrust23THRUST_200600_302600_NS6detail15normal_iteratorINSA_10device_ptrIdEEEEPS6_PKS6_NS0_5tupleIJSF_S6_EEENSJ_IJSG_SG_EEENS0_18inequality_wrapperI22is_equal_div_10_uniqueIdEEEPmJS6_EEE10hipError_tPvRmT3_T4_T5_T6_T7_T9_mT8_P12ihipStream_tbDpT10_ENKUlT_T0_E_clISt17integral_constantIbLb1EES19_IbLb0EEEEDaS15_S16_EUlS15_E_NS1_11comp_targetILNS1_3genE3ELNS1_11target_archE908ELNS1_3gpuE7ELNS1_3repE0EEENS1_30default_config_static_selectorELNS0_4arch9wavefront6targetE1EEEvT1_.has_dyn_sized_stack, 0
	.set _ZN7rocprim17ROCPRIM_400000_NS6detail17trampoline_kernelINS0_14default_configENS1_25partition_config_selectorILNS1_17partition_subalgoE8EdNS0_10empty_typeEbEEZZNS1_14partition_implILS5_8ELb0ES3_jN6thrust23THRUST_200600_302600_NS6detail15normal_iteratorINSA_10device_ptrIdEEEEPS6_PKS6_NS0_5tupleIJSF_S6_EEENSJ_IJSG_SG_EEENS0_18inequality_wrapperI22is_equal_div_10_uniqueIdEEEPmJS6_EEE10hipError_tPvRmT3_T4_T5_T6_T7_T9_mT8_P12ihipStream_tbDpT10_ENKUlT_T0_E_clISt17integral_constantIbLb1EES19_IbLb0EEEEDaS15_S16_EUlS15_E_NS1_11comp_targetILNS1_3genE3ELNS1_11target_archE908ELNS1_3gpuE7ELNS1_3repE0EEENS1_30default_config_static_selectorELNS0_4arch9wavefront6targetE1EEEvT1_.has_recursion, 0
	.set _ZN7rocprim17ROCPRIM_400000_NS6detail17trampoline_kernelINS0_14default_configENS1_25partition_config_selectorILNS1_17partition_subalgoE8EdNS0_10empty_typeEbEEZZNS1_14partition_implILS5_8ELb0ES3_jN6thrust23THRUST_200600_302600_NS6detail15normal_iteratorINSA_10device_ptrIdEEEEPS6_PKS6_NS0_5tupleIJSF_S6_EEENSJ_IJSG_SG_EEENS0_18inequality_wrapperI22is_equal_div_10_uniqueIdEEEPmJS6_EEE10hipError_tPvRmT3_T4_T5_T6_T7_T9_mT8_P12ihipStream_tbDpT10_ENKUlT_T0_E_clISt17integral_constantIbLb1EES19_IbLb0EEEEDaS15_S16_EUlS15_E_NS1_11comp_targetILNS1_3genE3ELNS1_11target_archE908ELNS1_3gpuE7ELNS1_3repE0EEENS1_30default_config_static_selectorELNS0_4arch9wavefront6targetE1EEEvT1_.has_indirect_call, 0
	.section	.AMDGPU.csdata,"",@progbits
; Kernel info:
; codeLenInByte = 0
; TotalNumSgprs: 4
; NumVgprs: 0
; ScratchSize: 0
; MemoryBound: 0
; FloatMode: 240
; IeeeMode: 1
; LDSByteSize: 0 bytes/workgroup (compile time only)
; SGPRBlocks: 0
; VGPRBlocks: 0
; NumSGPRsForWavesPerEU: 4
; NumVGPRsForWavesPerEU: 1
; Occupancy: 10
; WaveLimiterHint : 0
; COMPUTE_PGM_RSRC2:SCRATCH_EN: 0
; COMPUTE_PGM_RSRC2:USER_SGPR: 6
; COMPUTE_PGM_RSRC2:TRAP_HANDLER: 0
; COMPUTE_PGM_RSRC2:TGID_X_EN: 1
; COMPUTE_PGM_RSRC2:TGID_Y_EN: 0
; COMPUTE_PGM_RSRC2:TGID_Z_EN: 0
; COMPUTE_PGM_RSRC2:TIDIG_COMP_CNT: 0
	.section	.text._ZN7rocprim17ROCPRIM_400000_NS6detail17trampoline_kernelINS0_14default_configENS1_25partition_config_selectorILNS1_17partition_subalgoE8EdNS0_10empty_typeEbEEZZNS1_14partition_implILS5_8ELb0ES3_jN6thrust23THRUST_200600_302600_NS6detail15normal_iteratorINSA_10device_ptrIdEEEEPS6_PKS6_NS0_5tupleIJSF_S6_EEENSJ_IJSG_SG_EEENS0_18inequality_wrapperI22is_equal_div_10_uniqueIdEEEPmJS6_EEE10hipError_tPvRmT3_T4_T5_T6_T7_T9_mT8_P12ihipStream_tbDpT10_ENKUlT_T0_E_clISt17integral_constantIbLb1EES19_IbLb0EEEEDaS15_S16_EUlS15_E_NS1_11comp_targetILNS1_3genE2ELNS1_11target_archE906ELNS1_3gpuE6ELNS1_3repE0EEENS1_30default_config_static_selectorELNS0_4arch9wavefront6targetE1EEEvT1_,"axG",@progbits,_ZN7rocprim17ROCPRIM_400000_NS6detail17trampoline_kernelINS0_14default_configENS1_25partition_config_selectorILNS1_17partition_subalgoE8EdNS0_10empty_typeEbEEZZNS1_14partition_implILS5_8ELb0ES3_jN6thrust23THRUST_200600_302600_NS6detail15normal_iteratorINSA_10device_ptrIdEEEEPS6_PKS6_NS0_5tupleIJSF_S6_EEENSJ_IJSG_SG_EEENS0_18inequality_wrapperI22is_equal_div_10_uniqueIdEEEPmJS6_EEE10hipError_tPvRmT3_T4_T5_T6_T7_T9_mT8_P12ihipStream_tbDpT10_ENKUlT_T0_E_clISt17integral_constantIbLb1EES19_IbLb0EEEEDaS15_S16_EUlS15_E_NS1_11comp_targetILNS1_3genE2ELNS1_11target_archE906ELNS1_3gpuE6ELNS1_3repE0EEENS1_30default_config_static_selectorELNS0_4arch9wavefront6targetE1EEEvT1_,comdat
	.protected	_ZN7rocprim17ROCPRIM_400000_NS6detail17trampoline_kernelINS0_14default_configENS1_25partition_config_selectorILNS1_17partition_subalgoE8EdNS0_10empty_typeEbEEZZNS1_14partition_implILS5_8ELb0ES3_jN6thrust23THRUST_200600_302600_NS6detail15normal_iteratorINSA_10device_ptrIdEEEEPS6_PKS6_NS0_5tupleIJSF_S6_EEENSJ_IJSG_SG_EEENS0_18inequality_wrapperI22is_equal_div_10_uniqueIdEEEPmJS6_EEE10hipError_tPvRmT3_T4_T5_T6_T7_T9_mT8_P12ihipStream_tbDpT10_ENKUlT_T0_E_clISt17integral_constantIbLb1EES19_IbLb0EEEEDaS15_S16_EUlS15_E_NS1_11comp_targetILNS1_3genE2ELNS1_11target_archE906ELNS1_3gpuE6ELNS1_3repE0EEENS1_30default_config_static_selectorELNS0_4arch9wavefront6targetE1EEEvT1_ ; -- Begin function _ZN7rocprim17ROCPRIM_400000_NS6detail17trampoline_kernelINS0_14default_configENS1_25partition_config_selectorILNS1_17partition_subalgoE8EdNS0_10empty_typeEbEEZZNS1_14partition_implILS5_8ELb0ES3_jN6thrust23THRUST_200600_302600_NS6detail15normal_iteratorINSA_10device_ptrIdEEEEPS6_PKS6_NS0_5tupleIJSF_S6_EEENSJ_IJSG_SG_EEENS0_18inequality_wrapperI22is_equal_div_10_uniqueIdEEEPmJS6_EEE10hipError_tPvRmT3_T4_T5_T6_T7_T9_mT8_P12ihipStream_tbDpT10_ENKUlT_T0_E_clISt17integral_constantIbLb1EES19_IbLb0EEEEDaS15_S16_EUlS15_E_NS1_11comp_targetILNS1_3genE2ELNS1_11target_archE906ELNS1_3gpuE6ELNS1_3repE0EEENS1_30default_config_static_selectorELNS0_4arch9wavefront6targetE1EEEvT1_
	.globl	_ZN7rocprim17ROCPRIM_400000_NS6detail17trampoline_kernelINS0_14default_configENS1_25partition_config_selectorILNS1_17partition_subalgoE8EdNS0_10empty_typeEbEEZZNS1_14partition_implILS5_8ELb0ES3_jN6thrust23THRUST_200600_302600_NS6detail15normal_iteratorINSA_10device_ptrIdEEEEPS6_PKS6_NS0_5tupleIJSF_S6_EEENSJ_IJSG_SG_EEENS0_18inequality_wrapperI22is_equal_div_10_uniqueIdEEEPmJS6_EEE10hipError_tPvRmT3_T4_T5_T6_T7_T9_mT8_P12ihipStream_tbDpT10_ENKUlT_T0_E_clISt17integral_constantIbLb1EES19_IbLb0EEEEDaS15_S16_EUlS15_E_NS1_11comp_targetILNS1_3genE2ELNS1_11target_archE906ELNS1_3gpuE6ELNS1_3repE0EEENS1_30default_config_static_selectorELNS0_4arch9wavefront6targetE1EEEvT1_
	.p2align	8
	.type	_ZN7rocprim17ROCPRIM_400000_NS6detail17trampoline_kernelINS0_14default_configENS1_25partition_config_selectorILNS1_17partition_subalgoE8EdNS0_10empty_typeEbEEZZNS1_14partition_implILS5_8ELb0ES3_jN6thrust23THRUST_200600_302600_NS6detail15normal_iteratorINSA_10device_ptrIdEEEEPS6_PKS6_NS0_5tupleIJSF_S6_EEENSJ_IJSG_SG_EEENS0_18inequality_wrapperI22is_equal_div_10_uniqueIdEEEPmJS6_EEE10hipError_tPvRmT3_T4_T5_T6_T7_T9_mT8_P12ihipStream_tbDpT10_ENKUlT_T0_E_clISt17integral_constantIbLb1EES19_IbLb0EEEEDaS15_S16_EUlS15_E_NS1_11comp_targetILNS1_3genE2ELNS1_11target_archE906ELNS1_3gpuE6ELNS1_3repE0EEENS1_30default_config_static_selectorELNS0_4arch9wavefront6targetE1EEEvT1_,@function
_ZN7rocprim17ROCPRIM_400000_NS6detail17trampoline_kernelINS0_14default_configENS1_25partition_config_selectorILNS1_17partition_subalgoE8EdNS0_10empty_typeEbEEZZNS1_14partition_implILS5_8ELb0ES3_jN6thrust23THRUST_200600_302600_NS6detail15normal_iteratorINSA_10device_ptrIdEEEEPS6_PKS6_NS0_5tupleIJSF_S6_EEENSJ_IJSG_SG_EEENS0_18inequality_wrapperI22is_equal_div_10_uniqueIdEEEPmJS6_EEE10hipError_tPvRmT3_T4_T5_T6_T7_T9_mT8_P12ihipStream_tbDpT10_ENKUlT_T0_E_clISt17integral_constantIbLb1EES19_IbLb0EEEEDaS15_S16_EUlS15_E_NS1_11comp_targetILNS1_3genE2ELNS1_11target_archE906ELNS1_3gpuE6ELNS1_3repE0EEENS1_30default_config_static_selectorELNS0_4arch9wavefront6targetE1EEEvT1_: ; @_ZN7rocprim17ROCPRIM_400000_NS6detail17trampoline_kernelINS0_14default_configENS1_25partition_config_selectorILNS1_17partition_subalgoE8EdNS0_10empty_typeEbEEZZNS1_14partition_implILS5_8ELb0ES3_jN6thrust23THRUST_200600_302600_NS6detail15normal_iteratorINSA_10device_ptrIdEEEEPS6_PKS6_NS0_5tupleIJSF_S6_EEENSJ_IJSG_SG_EEENS0_18inequality_wrapperI22is_equal_div_10_uniqueIdEEEPmJS6_EEE10hipError_tPvRmT3_T4_T5_T6_T7_T9_mT8_P12ihipStream_tbDpT10_ENKUlT_T0_E_clISt17integral_constantIbLb1EES19_IbLb0EEEEDaS15_S16_EUlS15_E_NS1_11comp_targetILNS1_3genE2ELNS1_11target_archE906ELNS1_3gpuE6ELNS1_3repE0EEENS1_30default_config_static_selectorELNS0_4arch9wavefront6targetE1EEEvT1_
; %bb.0:
	s_endpgm
	.section	.rodata,"a",@progbits
	.p2align	6, 0x0
	.amdhsa_kernel _ZN7rocprim17ROCPRIM_400000_NS6detail17trampoline_kernelINS0_14default_configENS1_25partition_config_selectorILNS1_17partition_subalgoE8EdNS0_10empty_typeEbEEZZNS1_14partition_implILS5_8ELb0ES3_jN6thrust23THRUST_200600_302600_NS6detail15normal_iteratorINSA_10device_ptrIdEEEEPS6_PKS6_NS0_5tupleIJSF_S6_EEENSJ_IJSG_SG_EEENS0_18inequality_wrapperI22is_equal_div_10_uniqueIdEEEPmJS6_EEE10hipError_tPvRmT3_T4_T5_T6_T7_T9_mT8_P12ihipStream_tbDpT10_ENKUlT_T0_E_clISt17integral_constantIbLb1EES19_IbLb0EEEEDaS15_S16_EUlS15_E_NS1_11comp_targetILNS1_3genE2ELNS1_11target_archE906ELNS1_3gpuE6ELNS1_3repE0EEENS1_30default_config_static_selectorELNS0_4arch9wavefront6targetE1EEEvT1_
		.amdhsa_group_segment_fixed_size 0
		.amdhsa_private_segment_fixed_size 0
		.amdhsa_kernarg_size 112
		.amdhsa_user_sgpr_count 6
		.amdhsa_user_sgpr_private_segment_buffer 1
		.amdhsa_user_sgpr_dispatch_ptr 0
		.amdhsa_user_sgpr_queue_ptr 0
		.amdhsa_user_sgpr_kernarg_segment_ptr 1
		.amdhsa_user_sgpr_dispatch_id 0
		.amdhsa_user_sgpr_flat_scratch_init 0
		.amdhsa_user_sgpr_private_segment_size 0
		.amdhsa_uses_dynamic_stack 0
		.amdhsa_system_sgpr_private_segment_wavefront_offset 0
		.amdhsa_system_sgpr_workgroup_id_x 1
		.amdhsa_system_sgpr_workgroup_id_y 0
		.amdhsa_system_sgpr_workgroup_id_z 0
		.amdhsa_system_sgpr_workgroup_info 0
		.amdhsa_system_vgpr_workitem_id 0
		.amdhsa_next_free_vgpr 1
		.amdhsa_next_free_sgpr 0
		.amdhsa_reserve_vcc 0
		.amdhsa_reserve_flat_scratch 0
		.amdhsa_float_round_mode_32 0
		.amdhsa_float_round_mode_16_64 0
		.amdhsa_float_denorm_mode_32 3
		.amdhsa_float_denorm_mode_16_64 3
		.amdhsa_dx10_clamp 1
		.amdhsa_ieee_mode 1
		.amdhsa_fp16_overflow 0
		.amdhsa_exception_fp_ieee_invalid_op 0
		.amdhsa_exception_fp_denorm_src 0
		.amdhsa_exception_fp_ieee_div_zero 0
		.amdhsa_exception_fp_ieee_overflow 0
		.amdhsa_exception_fp_ieee_underflow 0
		.amdhsa_exception_fp_ieee_inexact 0
		.amdhsa_exception_int_div_zero 0
	.end_amdhsa_kernel
	.section	.text._ZN7rocprim17ROCPRIM_400000_NS6detail17trampoline_kernelINS0_14default_configENS1_25partition_config_selectorILNS1_17partition_subalgoE8EdNS0_10empty_typeEbEEZZNS1_14partition_implILS5_8ELb0ES3_jN6thrust23THRUST_200600_302600_NS6detail15normal_iteratorINSA_10device_ptrIdEEEEPS6_PKS6_NS0_5tupleIJSF_S6_EEENSJ_IJSG_SG_EEENS0_18inequality_wrapperI22is_equal_div_10_uniqueIdEEEPmJS6_EEE10hipError_tPvRmT3_T4_T5_T6_T7_T9_mT8_P12ihipStream_tbDpT10_ENKUlT_T0_E_clISt17integral_constantIbLb1EES19_IbLb0EEEEDaS15_S16_EUlS15_E_NS1_11comp_targetILNS1_3genE2ELNS1_11target_archE906ELNS1_3gpuE6ELNS1_3repE0EEENS1_30default_config_static_selectorELNS0_4arch9wavefront6targetE1EEEvT1_,"axG",@progbits,_ZN7rocprim17ROCPRIM_400000_NS6detail17trampoline_kernelINS0_14default_configENS1_25partition_config_selectorILNS1_17partition_subalgoE8EdNS0_10empty_typeEbEEZZNS1_14partition_implILS5_8ELb0ES3_jN6thrust23THRUST_200600_302600_NS6detail15normal_iteratorINSA_10device_ptrIdEEEEPS6_PKS6_NS0_5tupleIJSF_S6_EEENSJ_IJSG_SG_EEENS0_18inequality_wrapperI22is_equal_div_10_uniqueIdEEEPmJS6_EEE10hipError_tPvRmT3_T4_T5_T6_T7_T9_mT8_P12ihipStream_tbDpT10_ENKUlT_T0_E_clISt17integral_constantIbLb1EES19_IbLb0EEEEDaS15_S16_EUlS15_E_NS1_11comp_targetILNS1_3genE2ELNS1_11target_archE906ELNS1_3gpuE6ELNS1_3repE0EEENS1_30default_config_static_selectorELNS0_4arch9wavefront6targetE1EEEvT1_,comdat
.Lfunc_end67:
	.size	_ZN7rocprim17ROCPRIM_400000_NS6detail17trampoline_kernelINS0_14default_configENS1_25partition_config_selectorILNS1_17partition_subalgoE8EdNS0_10empty_typeEbEEZZNS1_14partition_implILS5_8ELb0ES3_jN6thrust23THRUST_200600_302600_NS6detail15normal_iteratorINSA_10device_ptrIdEEEEPS6_PKS6_NS0_5tupleIJSF_S6_EEENSJ_IJSG_SG_EEENS0_18inequality_wrapperI22is_equal_div_10_uniqueIdEEEPmJS6_EEE10hipError_tPvRmT3_T4_T5_T6_T7_T9_mT8_P12ihipStream_tbDpT10_ENKUlT_T0_E_clISt17integral_constantIbLb1EES19_IbLb0EEEEDaS15_S16_EUlS15_E_NS1_11comp_targetILNS1_3genE2ELNS1_11target_archE906ELNS1_3gpuE6ELNS1_3repE0EEENS1_30default_config_static_selectorELNS0_4arch9wavefront6targetE1EEEvT1_, .Lfunc_end67-_ZN7rocprim17ROCPRIM_400000_NS6detail17trampoline_kernelINS0_14default_configENS1_25partition_config_selectorILNS1_17partition_subalgoE8EdNS0_10empty_typeEbEEZZNS1_14partition_implILS5_8ELb0ES3_jN6thrust23THRUST_200600_302600_NS6detail15normal_iteratorINSA_10device_ptrIdEEEEPS6_PKS6_NS0_5tupleIJSF_S6_EEENSJ_IJSG_SG_EEENS0_18inequality_wrapperI22is_equal_div_10_uniqueIdEEEPmJS6_EEE10hipError_tPvRmT3_T4_T5_T6_T7_T9_mT8_P12ihipStream_tbDpT10_ENKUlT_T0_E_clISt17integral_constantIbLb1EES19_IbLb0EEEEDaS15_S16_EUlS15_E_NS1_11comp_targetILNS1_3genE2ELNS1_11target_archE906ELNS1_3gpuE6ELNS1_3repE0EEENS1_30default_config_static_selectorELNS0_4arch9wavefront6targetE1EEEvT1_
                                        ; -- End function
	.set _ZN7rocprim17ROCPRIM_400000_NS6detail17trampoline_kernelINS0_14default_configENS1_25partition_config_selectorILNS1_17partition_subalgoE8EdNS0_10empty_typeEbEEZZNS1_14partition_implILS5_8ELb0ES3_jN6thrust23THRUST_200600_302600_NS6detail15normal_iteratorINSA_10device_ptrIdEEEEPS6_PKS6_NS0_5tupleIJSF_S6_EEENSJ_IJSG_SG_EEENS0_18inequality_wrapperI22is_equal_div_10_uniqueIdEEEPmJS6_EEE10hipError_tPvRmT3_T4_T5_T6_T7_T9_mT8_P12ihipStream_tbDpT10_ENKUlT_T0_E_clISt17integral_constantIbLb1EES19_IbLb0EEEEDaS15_S16_EUlS15_E_NS1_11comp_targetILNS1_3genE2ELNS1_11target_archE906ELNS1_3gpuE6ELNS1_3repE0EEENS1_30default_config_static_selectorELNS0_4arch9wavefront6targetE1EEEvT1_.num_vgpr, 0
	.set _ZN7rocprim17ROCPRIM_400000_NS6detail17trampoline_kernelINS0_14default_configENS1_25partition_config_selectorILNS1_17partition_subalgoE8EdNS0_10empty_typeEbEEZZNS1_14partition_implILS5_8ELb0ES3_jN6thrust23THRUST_200600_302600_NS6detail15normal_iteratorINSA_10device_ptrIdEEEEPS6_PKS6_NS0_5tupleIJSF_S6_EEENSJ_IJSG_SG_EEENS0_18inequality_wrapperI22is_equal_div_10_uniqueIdEEEPmJS6_EEE10hipError_tPvRmT3_T4_T5_T6_T7_T9_mT8_P12ihipStream_tbDpT10_ENKUlT_T0_E_clISt17integral_constantIbLb1EES19_IbLb0EEEEDaS15_S16_EUlS15_E_NS1_11comp_targetILNS1_3genE2ELNS1_11target_archE906ELNS1_3gpuE6ELNS1_3repE0EEENS1_30default_config_static_selectorELNS0_4arch9wavefront6targetE1EEEvT1_.num_agpr, 0
	.set _ZN7rocprim17ROCPRIM_400000_NS6detail17trampoline_kernelINS0_14default_configENS1_25partition_config_selectorILNS1_17partition_subalgoE8EdNS0_10empty_typeEbEEZZNS1_14partition_implILS5_8ELb0ES3_jN6thrust23THRUST_200600_302600_NS6detail15normal_iteratorINSA_10device_ptrIdEEEEPS6_PKS6_NS0_5tupleIJSF_S6_EEENSJ_IJSG_SG_EEENS0_18inequality_wrapperI22is_equal_div_10_uniqueIdEEEPmJS6_EEE10hipError_tPvRmT3_T4_T5_T6_T7_T9_mT8_P12ihipStream_tbDpT10_ENKUlT_T0_E_clISt17integral_constantIbLb1EES19_IbLb0EEEEDaS15_S16_EUlS15_E_NS1_11comp_targetILNS1_3genE2ELNS1_11target_archE906ELNS1_3gpuE6ELNS1_3repE0EEENS1_30default_config_static_selectorELNS0_4arch9wavefront6targetE1EEEvT1_.numbered_sgpr, 0
	.set _ZN7rocprim17ROCPRIM_400000_NS6detail17trampoline_kernelINS0_14default_configENS1_25partition_config_selectorILNS1_17partition_subalgoE8EdNS0_10empty_typeEbEEZZNS1_14partition_implILS5_8ELb0ES3_jN6thrust23THRUST_200600_302600_NS6detail15normal_iteratorINSA_10device_ptrIdEEEEPS6_PKS6_NS0_5tupleIJSF_S6_EEENSJ_IJSG_SG_EEENS0_18inequality_wrapperI22is_equal_div_10_uniqueIdEEEPmJS6_EEE10hipError_tPvRmT3_T4_T5_T6_T7_T9_mT8_P12ihipStream_tbDpT10_ENKUlT_T0_E_clISt17integral_constantIbLb1EES19_IbLb0EEEEDaS15_S16_EUlS15_E_NS1_11comp_targetILNS1_3genE2ELNS1_11target_archE906ELNS1_3gpuE6ELNS1_3repE0EEENS1_30default_config_static_selectorELNS0_4arch9wavefront6targetE1EEEvT1_.num_named_barrier, 0
	.set _ZN7rocprim17ROCPRIM_400000_NS6detail17trampoline_kernelINS0_14default_configENS1_25partition_config_selectorILNS1_17partition_subalgoE8EdNS0_10empty_typeEbEEZZNS1_14partition_implILS5_8ELb0ES3_jN6thrust23THRUST_200600_302600_NS6detail15normal_iteratorINSA_10device_ptrIdEEEEPS6_PKS6_NS0_5tupleIJSF_S6_EEENSJ_IJSG_SG_EEENS0_18inequality_wrapperI22is_equal_div_10_uniqueIdEEEPmJS6_EEE10hipError_tPvRmT3_T4_T5_T6_T7_T9_mT8_P12ihipStream_tbDpT10_ENKUlT_T0_E_clISt17integral_constantIbLb1EES19_IbLb0EEEEDaS15_S16_EUlS15_E_NS1_11comp_targetILNS1_3genE2ELNS1_11target_archE906ELNS1_3gpuE6ELNS1_3repE0EEENS1_30default_config_static_selectorELNS0_4arch9wavefront6targetE1EEEvT1_.private_seg_size, 0
	.set _ZN7rocprim17ROCPRIM_400000_NS6detail17trampoline_kernelINS0_14default_configENS1_25partition_config_selectorILNS1_17partition_subalgoE8EdNS0_10empty_typeEbEEZZNS1_14partition_implILS5_8ELb0ES3_jN6thrust23THRUST_200600_302600_NS6detail15normal_iteratorINSA_10device_ptrIdEEEEPS6_PKS6_NS0_5tupleIJSF_S6_EEENSJ_IJSG_SG_EEENS0_18inequality_wrapperI22is_equal_div_10_uniqueIdEEEPmJS6_EEE10hipError_tPvRmT3_T4_T5_T6_T7_T9_mT8_P12ihipStream_tbDpT10_ENKUlT_T0_E_clISt17integral_constantIbLb1EES19_IbLb0EEEEDaS15_S16_EUlS15_E_NS1_11comp_targetILNS1_3genE2ELNS1_11target_archE906ELNS1_3gpuE6ELNS1_3repE0EEENS1_30default_config_static_selectorELNS0_4arch9wavefront6targetE1EEEvT1_.uses_vcc, 0
	.set _ZN7rocprim17ROCPRIM_400000_NS6detail17trampoline_kernelINS0_14default_configENS1_25partition_config_selectorILNS1_17partition_subalgoE8EdNS0_10empty_typeEbEEZZNS1_14partition_implILS5_8ELb0ES3_jN6thrust23THRUST_200600_302600_NS6detail15normal_iteratorINSA_10device_ptrIdEEEEPS6_PKS6_NS0_5tupleIJSF_S6_EEENSJ_IJSG_SG_EEENS0_18inequality_wrapperI22is_equal_div_10_uniqueIdEEEPmJS6_EEE10hipError_tPvRmT3_T4_T5_T6_T7_T9_mT8_P12ihipStream_tbDpT10_ENKUlT_T0_E_clISt17integral_constantIbLb1EES19_IbLb0EEEEDaS15_S16_EUlS15_E_NS1_11comp_targetILNS1_3genE2ELNS1_11target_archE906ELNS1_3gpuE6ELNS1_3repE0EEENS1_30default_config_static_selectorELNS0_4arch9wavefront6targetE1EEEvT1_.uses_flat_scratch, 0
	.set _ZN7rocprim17ROCPRIM_400000_NS6detail17trampoline_kernelINS0_14default_configENS1_25partition_config_selectorILNS1_17partition_subalgoE8EdNS0_10empty_typeEbEEZZNS1_14partition_implILS5_8ELb0ES3_jN6thrust23THRUST_200600_302600_NS6detail15normal_iteratorINSA_10device_ptrIdEEEEPS6_PKS6_NS0_5tupleIJSF_S6_EEENSJ_IJSG_SG_EEENS0_18inequality_wrapperI22is_equal_div_10_uniqueIdEEEPmJS6_EEE10hipError_tPvRmT3_T4_T5_T6_T7_T9_mT8_P12ihipStream_tbDpT10_ENKUlT_T0_E_clISt17integral_constantIbLb1EES19_IbLb0EEEEDaS15_S16_EUlS15_E_NS1_11comp_targetILNS1_3genE2ELNS1_11target_archE906ELNS1_3gpuE6ELNS1_3repE0EEENS1_30default_config_static_selectorELNS0_4arch9wavefront6targetE1EEEvT1_.has_dyn_sized_stack, 0
	.set _ZN7rocprim17ROCPRIM_400000_NS6detail17trampoline_kernelINS0_14default_configENS1_25partition_config_selectorILNS1_17partition_subalgoE8EdNS0_10empty_typeEbEEZZNS1_14partition_implILS5_8ELb0ES3_jN6thrust23THRUST_200600_302600_NS6detail15normal_iteratorINSA_10device_ptrIdEEEEPS6_PKS6_NS0_5tupleIJSF_S6_EEENSJ_IJSG_SG_EEENS0_18inequality_wrapperI22is_equal_div_10_uniqueIdEEEPmJS6_EEE10hipError_tPvRmT3_T4_T5_T6_T7_T9_mT8_P12ihipStream_tbDpT10_ENKUlT_T0_E_clISt17integral_constantIbLb1EES19_IbLb0EEEEDaS15_S16_EUlS15_E_NS1_11comp_targetILNS1_3genE2ELNS1_11target_archE906ELNS1_3gpuE6ELNS1_3repE0EEENS1_30default_config_static_selectorELNS0_4arch9wavefront6targetE1EEEvT1_.has_recursion, 0
	.set _ZN7rocprim17ROCPRIM_400000_NS6detail17trampoline_kernelINS0_14default_configENS1_25partition_config_selectorILNS1_17partition_subalgoE8EdNS0_10empty_typeEbEEZZNS1_14partition_implILS5_8ELb0ES3_jN6thrust23THRUST_200600_302600_NS6detail15normal_iteratorINSA_10device_ptrIdEEEEPS6_PKS6_NS0_5tupleIJSF_S6_EEENSJ_IJSG_SG_EEENS0_18inequality_wrapperI22is_equal_div_10_uniqueIdEEEPmJS6_EEE10hipError_tPvRmT3_T4_T5_T6_T7_T9_mT8_P12ihipStream_tbDpT10_ENKUlT_T0_E_clISt17integral_constantIbLb1EES19_IbLb0EEEEDaS15_S16_EUlS15_E_NS1_11comp_targetILNS1_3genE2ELNS1_11target_archE906ELNS1_3gpuE6ELNS1_3repE0EEENS1_30default_config_static_selectorELNS0_4arch9wavefront6targetE1EEEvT1_.has_indirect_call, 0
	.section	.AMDGPU.csdata,"",@progbits
; Kernel info:
; codeLenInByte = 4
; TotalNumSgprs: 4
; NumVgprs: 0
; ScratchSize: 0
; MemoryBound: 0
; FloatMode: 240
; IeeeMode: 1
; LDSByteSize: 0 bytes/workgroup (compile time only)
; SGPRBlocks: 0
; VGPRBlocks: 0
; NumSGPRsForWavesPerEU: 4
; NumVGPRsForWavesPerEU: 1
; Occupancy: 10
; WaveLimiterHint : 0
; COMPUTE_PGM_RSRC2:SCRATCH_EN: 0
; COMPUTE_PGM_RSRC2:USER_SGPR: 6
; COMPUTE_PGM_RSRC2:TRAP_HANDLER: 0
; COMPUTE_PGM_RSRC2:TGID_X_EN: 1
; COMPUTE_PGM_RSRC2:TGID_Y_EN: 0
; COMPUTE_PGM_RSRC2:TGID_Z_EN: 0
; COMPUTE_PGM_RSRC2:TIDIG_COMP_CNT: 0
	.section	.text._ZN7rocprim17ROCPRIM_400000_NS6detail17trampoline_kernelINS0_14default_configENS1_25partition_config_selectorILNS1_17partition_subalgoE8EdNS0_10empty_typeEbEEZZNS1_14partition_implILS5_8ELb0ES3_jN6thrust23THRUST_200600_302600_NS6detail15normal_iteratorINSA_10device_ptrIdEEEEPS6_PKS6_NS0_5tupleIJSF_S6_EEENSJ_IJSG_SG_EEENS0_18inequality_wrapperI22is_equal_div_10_uniqueIdEEEPmJS6_EEE10hipError_tPvRmT3_T4_T5_T6_T7_T9_mT8_P12ihipStream_tbDpT10_ENKUlT_T0_E_clISt17integral_constantIbLb1EES19_IbLb0EEEEDaS15_S16_EUlS15_E_NS1_11comp_targetILNS1_3genE10ELNS1_11target_archE1200ELNS1_3gpuE4ELNS1_3repE0EEENS1_30default_config_static_selectorELNS0_4arch9wavefront6targetE1EEEvT1_,"axG",@progbits,_ZN7rocprim17ROCPRIM_400000_NS6detail17trampoline_kernelINS0_14default_configENS1_25partition_config_selectorILNS1_17partition_subalgoE8EdNS0_10empty_typeEbEEZZNS1_14partition_implILS5_8ELb0ES3_jN6thrust23THRUST_200600_302600_NS6detail15normal_iteratorINSA_10device_ptrIdEEEEPS6_PKS6_NS0_5tupleIJSF_S6_EEENSJ_IJSG_SG_EEENS0_18inequality_wrapperI22is_equal_div_10_uniqueIdEEEPmJS6_EEE10hipError_tPvRmT3_T4_T5_T6_T7_T9_mT8_P12ihipStream_tbDpT10_ENKUlT_T0_E_clISt17integral_constantIbLb1EES19_IbLb0EEEEDaS15_S16_EUlS15_E_NS1_11comp_targetILNS1_3genE10ELNS1_11target_archE1200ELNS1_3gpuE4ELNS1_3repE0EEENS1_30default_config_static_selectorELNS0_4arch9wavefront6targetE1EEEvT1_,comdat
	.protected	_ZN7rocprim17ROCPRIM_400000_NS6detail17trampoline_kernelINS0_14default_configENS1_25partition_config_selectorILNS1_17partition_subalgoE8EdNS0_10empty_typeEbEEZZNS1_14partition_implILS5_8ELb0ES3_jN6thrust23THRUST_200600_302600_NS6detail15normal_iteratorINSA_10device_ptrIdEEEEPS6_PKS6_NS0_5tupleIJSF_S6_EEENSJ_IJSG_SG_EEENS0_18inequality_wrapperI22is_equal_div_10_uniqueIdEEEPmJS6_EEE10hipError_tPvRmT3_T4_T5_T6_T7_T9_mT8_P12ihipStream_tbDpT10_ENKUlT_T0_E_clISt17integral_constantIbLb1EES19_IbLb0EEEEDaS15_S16_EUlS15_E_NS1_11comp_targetILNS1_3genE10ELNS1_11target_archE1200ELNS1_3gpuE4ELNS1_3repE0EEENS1_30default_config_static_selectorELNS0_4arch9wavefront6targetE1EEEvT1_ ; -- Begin function _ZN7rocprim17ROCPRIM_400000_NS6detail17trampoline_kernelINS0_14default_configENS1_25partition_config_selectorILNS1_17partition_subalgoE8EdNS0_10empty_typeEbEEZZNS1_14partition_implILS5_8ELb0ES3_jN6thrust23THRUST_200600_302600_NS6detail15normal_iteratorINSA_10device_ptrIdEEEEPS6_PKS6_NS0_5tupleIJSF_S6_EEENSJ_IJSG_SG_EEENS0_18inequality_wrapperI22is_equal_div_10_uniqueIdEEEPmJS6_EEE10hipError_tPvRmT3_T4_T5_T6_T7_T9_mT8_P12ihipStream_tbDpT10_ENKUlT_T0_E_clISt17integral_constantIbLb1EES19_IbLb0EEEEDaS15_S16_EUlS15_E_NS1_11comp_targetILNS1_3genE10ELNS1_11target_archE1200ELNS1_3gpuE4ELNS1_3repE0EEENS1_30default_config_static_selectorELNS0_4arch9wavefront6targetE1EEEvT1_
	.globl	_ZN7rocprim17ROCPRIM_400000_NS6detail17trampoline_kernelINS0_14default_configENS1_25partition_config_selectorILNS1_17partition_subalgoE8EdNS0_10empty_typeEbEEZZNS1_14partition_implILS5_8ELb0ES3_jN6thrust23THRUST_200600_302600_NS6detail15normal_iteratorINSA_10device_ptrIdEEEEPS6_PKS6_NS0_5tupleIJSF_S6_EEENSJ_IJSG_SG_EEENS0_18inequality_wrapperI22is_equal_div_10_uniqueIdEEEPmJS6_EEE10hipError_tPvRmT3_T4_T5_T6_T7_T9_mT8_P12ihipStream_tbDpT10_ENKUlT_T0_E_clISt17integral_constantIbLb1EES19_IbLb0EEEEDaS15_S16_EUlS15_E_NS1_11comp_targetILNS1_3genE10ELNS1_11target_archE1200ELNS1_3gpuE4ELNS1_3repE0EEENS1_30default_config_static_selectorELNS0_4arch9wavefront6targetE1EEEvT1_
	.p2align	8
	.type	_ZN7rocprim17ROCPRIM_400000_NS6detail17trampoline_kernelINS0_14default_configENS1_25partition_config_selectorILNS1_17partition_subalgoE8EdNS0_10empty_typeEbEEZZNS1_14partition_implILS5_8ELb0ES3_jN6thrust23THRUST_200600_302600_NS6detail15normal_iteratorINSA_10device_ptrIdEEEEPS6_PKS6_NS0_5tupleIJSF_S6_EEENSJ_IJSG_SG_EEENS0_18inequality_wrapperI22is_equal_div_10_uniqueIdEEEPmJS6_EEE10hipError_tPvRmT3_T4_T5_T6_T7_T9_mT8_P12ihipStream_tbDpT10_ENKUlT_T0_E_clISt17integral_constantIbLb1EES19_IbLb0EEEEDaS15_S16_EUlS15_E_NS1_11comp_targetILNS1_3genE10ELNS1_11target_archE1200ELNS1_3gpuE4ELNS1_3repE0EEENS1_30default_config_static_selectorELNS0_4arch9wavefront6targetE1EEEvT1_,@function
_ZN7rocprim17ROCPRIM_400000_NS6detail17trampoline_kernelINS0_14default_configENS1_25partition_config_selectorILNS1_17partition_subalgoE8EdNS0_10empty_typeEbEEZZNS1_14partition_implILS5_8ELb0ES3_jN6thrust23THRUST_200600_302600_NS6detail15normal_iteratorINSA_10device_ptrIdEEEEPS6_PKS6_NS0_5tupleIJSF_S6_EEENSJ_IJSG_SG_EEENS0_18inequality_wrapperI22is_equal_div_10_uniqueIdEEEPmJS6_EEE10hipError_tPvRmT3_T4_T5_T6_T7_T9_mT8_P12ihipStream_tbDpT10_ENKUlT_T0_E_clISt17integral_constantIbLb1EES19_IbLb0EEEEDaS15_S16_EUlS15_E_NS1_11comp_targetILNS1_3genE10ELNS1_11target_archE1200ELNS1_3gpuE4ELNS1_3repE0EEENS1_30default_config_static_selectorELNS0_4arch9wavefront6targetE1EEEvT1_: ; @_ZN7rocprim17ROCPRIM_400000_NS6detail17trampoline_kernelINS0_14default_configENS1_25partition_config_selectorILNS1_17partition_subalgoE8EdNS0_10empty_typeEbEEZZNS1_14partition_implILS5_8ELb0ES3_jN6thrust23THRUST_200600_302600_NS6detail15normal_iteratorINSA_10device_ptrIdEEEEPS6_PKS6_NS0_5tupleIJSF_S6_EEENSJ_IJSG_SG_EEENS0_18inequality_wrapperI22is_equal_div_10_uniqueIdEEEPmJS6_EEE10hipError_tPvRmT3_T4_T5_T6_T7_T9_mT8_P12ihipStream_tbDpT10_ENKUlT_T0_E_clISt17integral_constantIbLb1EES19_IbLb0EEEEDaS15_S16_EUlS15_E_NS1_11comp_targetILNS1_3genE10ELNS1_11target_archE1200ELNS1_3gpuE4ELNS1_3repE0EEENS1_30default_config_static_selectorELNS0_4arch9wavefront6targetE1EEEvT1_
; %bb.0:
	.section	.rodata,"a",@progbits
	.p2align	6, 0x0
	.amdhsa_kernel _ZN7rocprim17ROCPRIM_400000_NS6detail17trampoline_kernelINS0_14default_configENS1_25partition_config_selectorILNS1_17partition_subalgoE8EdNS0_10empty_typeEbEEZZNS1_14partition_implILS5_8ELb0ES3_jN6thrust23THRUST_200600_302600_NS6detail15normal_iteratorINSA_10device_ptrIdEEEEPS6_PKS6_NS0_5tupleIJSF_S6_EEENSJ_IJSG_SG_EEENS0_18inequality_wrapperI22is_equal_div_10_uniqueIdEEEPmJS6_EEE10hipError_tPvRmT3_T4_T5_T6_T7_T9_mT8_P12ihipStream_tbDpT10_ENKUlT_T0_E_clISt17integral_constantIbLb1EES19_IbLb0EEEEDaS15_S16_EUlS15_E_NS1_11comp_targetILNS1_3genE10ELNS1_11target_archE1200ELNS1_3gpuE4ELNS1_3repE0EEENS1_30default_config_static_selectorELNS0_4arch9wavefront6targetE1EEEvT1_
		.amdhsa_group_segment_fixed_size 0
		.amdhsa_private_segment_fixed_size 0
		.amdhsa_kernarg_size 112
		.amdhsa_user_sgpr_count 6
		.amdhsa_user_sgpr_private_segment_buffer 1
		.amdhsa_user_sgpr_dispatch_ptr 0
		.amdhsa_user_sgpr_queue_ptr 0
		.amdhsa_user_sgpr_kernarg_segment_ptr 1
		.amdhsa_user_sgpr_dispatch_id 0
		.amdhsa_user_sgpr_flat_scratch_init 0
		.amdhsa_user_sgpr_private_segment_size 0
		.amdhsa_uses_dynamic_stack 0
		.amdhsa_system_sgpr_private_segment_wavefront_offset 0
		.amdhsa_system_sgpr_workgroup_id_x 1
		.amdhsa_system_sgpr_workgroup_id_y 0
		.amdhsa_system_sgpr_workgroup_id_z 0
		.amdhsa_system_sgpr_workgroup_info 0
		.amdhsa_system_vgpr_workitem_id 0
		.amdhsa_next_free_vgpr 1
		.amdhsa_next_free_sgpr 0
		.amdhsa_reserve_vcc 0
		.amdhsa_reserve_flat_scratch 0
		.amdhsa_float_round_mode_32 0
		.amdhsa_float_round_mode_16_64 0
		.amdhsa_float_denorm_mode_32 3
		.amdhsa_float_denorm_mode_16_64 3
		.amdhsa_dx10_clamp 1
		.amdhsa_ieee_mode 1
		.amdhsa_fp16_overflow 0
		.amdhsa_exception_fp_ieee_invalid_op 0
		.amdhsa_exception_fp_denorm_src 0
		.amdhsa_exception_fp_ieee_div_zero 0
		.amdhsa_exception_fp_ieee_overflow 0
		.amdhsa_exception_fp_ieee_underflow 0
		.amdhsa_exception_fp_ieee_inexact 0
		.amdhsa_exception_int_div_zero 0
	.end_amdhsa_kernel
	.section	.text._ZN7rocprim17ROCPRIM_400000_NS6detail17trampoline_kernelINS0_14default_configENS1_25partition_config_selectorILNS1_17partition_subalgoE8EdNS0_10empty_typeEbEEZZNS1_14partition_implILS5_8ELb0ES3_jN6thrust23THRUST_200600_302600_NS6detail15normal_iteratorINSA_10device_ptrIdEEEEPS6_PKS6_NS0_5tupleIJSF_S6_EEENSJ_IJSG_SG_EEENS0_18inequality_wrapperI22is_equal_div_10_uniqueIdEEEPmJS6_EEE10hipError_tPvRmT3_T4_T5_T6_T7_T9_mT8_P12ihipStream_tbDpT10_ENKUlT_T0_E_clISt17integral_constantIbLb1EES19_IbLb0EEEEDaS15_S16_EUlS15_E_NS1_11comp_targetILNS1_3genE10ELNS1_11target_archE1200ELNS1_3gpuE4ELNS1_3repE0EEENS1_30default_config_static_selectorELNS0_4arch9wavefront6targetE1EEEvT1_,"axG",@progbits,_ZN7rocprim17ROCPRIM_400000_NS6detail17trampoline_kernelINS0_14default_configENS1_25partition_config_selectorILNS1_17partition_subalgoE8EdNS0_10empty_typeEbEEZZNS1_14partition_implILS5_8ELb0ES3_jN6thrust23THRUST_200600_302600_NS6detail15normal_iteratorINSA_10device_ptrIdEEEEPS6_PKS6_NS0_5tupleIJSF_S6_EEENSJ_IJSG_SG_EEENS0_18inequality_wrapperI22is_equal_div_10_uniqueIdEEEPmJS6_EEE10hipError_tPvRmT3_T4_T5_T6_T7_T9_mT8_P12ihipStream_tbDpT10_ENKUlT_T0_E_clISt17integral_constantIbLb1EES19_IbLb0EEEEDaS15_S16_EUlS15_E_NS1_11comp_targetILNS1_3genE10ELNS1_11target_archE1200ELNS1_3gpuE4ELNS1_3repE0EEENS1_30default_config_static_selectorELNS0_4arch9wavefront6targetE1EEEvT1_,comdat
.Lfunc_end68:
	.size	_ZN7rocprim17ROCPRIM_400000_NS6detail17trampoline_kernelINS0_14default_configENS1_25partition_config_selectorILNS1_17partition_subalgoE8EdNS0_10empty_typeEbEEZZNS1_14partition_implILS5_8ELb0ES3_jN6thrust23THRUST_200600_302600_NS6detail15normal_iteratorINSA_10device_ptrIdEEEEPS6_PKS6_NS0_5tupleIJSF_S6_EEENSJ_IJSG_SG_EEENS0_18inequality_wrapperI22is_equal_div_10_uniqueIdEEEPmJS6_EEE10hipError_tPvRmT3_T4_T5_T6_T7_T9_mT8_P12ihipStream_tbDpT10_ENKUlT_T0_E_clISt17integral_constantIbLb1EES19_IbLb0EEEEDaS15_S16_EUlS15_E_NS1_11comp_targetILNS1_3genE10ELNS1_11target_archE1200ELNS1_3gpuE4ELNS1_3repE0EEENS1_30default_config_static_selectorELNS0_4arch9wavefront6targetE1EEEvT1_, .Lfunc_end68-_ZN7rocprim17ROCPRIM_400000_NS6detail17trampoline_kernelINS0_14default_configENS1_25partition_config_selectorILNS1_17partition_subalgoE8EdNS0_10empty_typeEbEEZZNS1_14partition_implILS5_8ELb0ES3_jN6thrust23THRUST_200600_302600_NS6detail15normal_iteratorINSA_10device_ptrIdEEEEPS6_PKS6_NS0_5tupleIJSF_S6_EEENSJ_IJSG_SG_EEENS0_18inequality_wrapperI22is_equal_div_10_uniqueIdEEEPmJS6_EEE10hipError_tPvRmT3_T4_T5_T6_T7_T9_mT8_P12ihipStream_tbDpT10_ENKUlT_T0_E_clISt17integral_constantIbLb1EES19_IbLb0EEEEDaS15_S16_EUlS15_E_NS1_11comp_targetILNS1_3genE10ELNS1_11target_archE1200ELNS1_3gpuE4ELNS1_3repE0EEENS1_30default_config_static_selectorELNS0_4arch9wavefront6targetE1EEEvT1_
                                        ; -- End function
	.set _ZN7rocprim17ROCPRIM_400000_NS6detail17trampoline_kernelINS0_14default_configENS1_25partition_config_selectorILNS1_17partition_subalgoE8EdNS0_10empty_typeEbEEZZNS1_14partition_implILS5_8ELb0ES3_jN6thrust23THRUST_200600_302600_NS6detail15normal_iteratorINSA_10device_ptrIdEEEEPS6_PKS6_NS0_5tupleIJSF_S6_EEENSJ_IJSG_SG_EEENS0_18inequality_wrapperI22is_equal_div_10_uniqueIdEEEPmJS6_EEE10hipError_tPvRmT3_T4_T5_T6_T7_T9_mT8_P12ihipStream_tbDpT10_ENKUlT_T0_E_clISt17integral_constantIbLb1EES19_IbLb0EEEEDaS15_S16_EUlS15_E_NS1_11comp_targetILNS1_3genE10ELNS1_11target_archE1200ELNS1_3gpuE4ELNS1_3repE0EEENS1_30default_config_static_selectorELNS0_4arch9wavefront6targetE1EEEvT1_.num_vgpr, 0
	.set _ZN7rocprim17ROCPRIM_400000_NS6detail17trampoline_kernelINS0_14default_configENS1_25partition_config_selectorILNS1_17partition_subalgoE8EdNS0_10empty_typeEbEEZZNS1_14partition_implILS5_8ELb0ES3_jN6thrust23THRUST_200600_302600_NS6detail15normal_iteratorINSA_10device_ptrIdEEEEPS6_PKS6_NS0_5tupleIJSF_S6_EEENSJ_IJSG_SG_EEENS0_18inequality_wrapperI22is_equal_div_10_uniqueIdEEEPmJS6_EEE10hipError_tPvRmT3_T4_T5_T6_T7_T9_mT8_P12ihipStream_tbDpT10_ENKUlT_T0_E_clISt17integral_constantIbLb1EES19_IbLb0EEEEDaS15_S16_EUlS15_E_NS1_11comp_targetILNS1_3genE10ELNS1_11target_archE1200ELNS1_3gpuE4ELNS1_3repE0EEENS1_30default_config_static_selectorELNS0_4arch9wavefront6targetE1EEEvT1_.num_agpr, 0
	.set _ZN7rocprim17ROCPRIM_400000_NS6detail17trampoline_kernelINS0_14default_configENS1_25partition_config_selectorILNS1_17partition_subalgoE8EdNS0_10empty_typeEbEEZZNS1_14partition_implILS5_8ELb0ES3_jN6thrust23THRUST_200600_302600_NS6detail15normal_iteratorINSA_10device_ptrIdEEEEPS6_PKS6_NS0_5tupleIJSF_S6_EEENSJ_IJSG_SG_EEENS0_18inequality_wrapperI22is_equal_div_10_uniqueIdEEEPmJS6_EEE10hipError_tPvRmT3_T4_T5_T6_T7_T9_mT8_P12ihipStream_tbDpT10_ENKUlT_T0_E_clISt17integral_constantIbLb1EES19_IbLb0EEEEDaS15_S16_EUlS15_E_NS1_11comp_targetILNS1_3genE10ELNS1_11target_archE1200ELNS1_3gpuE4ELNS1_3repE0EEENS1_30default_config_static_selectorELNS0_4arch9wavefront6targetE1EEEvT1_.numbered_sgpr, 0
	.set _ZN7rocprim17ROCPRIM_400000_NS6detail17trampoline_kernelINS0_14default_configENS1_25partition_config_selectorILNS1_17partition_subalgoE8EdNS0_10empty_typeEbEEZZNS1_14partition_implILS5_8ELb0ES3_jN6thrust23THRUST_200600_302600_NS6detail15normal_iteratorINSA_10device_ptrIdEEEEPS6_PKS6_NS0_5tupleIJSF_S6_EEENSJ_IJSG_SG_EEENS0_18inequality_wrapperI22is_equal_div_10_uniqueIdEEEPmJS6_EEE10hipError_tPvRmT3_T4_T5_T6_T7_T9_mT8_P12ihipStream_tbDpT10_ENKUlT_T0_E_clISt17integral_constantIbLb1EES19_IbLb0EEEEDaS15_S16_EUlS15_E_NS1_11comp_targetILNS1_3genE10ELNS1_11target_archE1200ELNS1_3gpuE4ELNS1_3repE0EEENS1_30default_config_static_selectorELNS0_4arch9wavefront6targetE1EEEvT1_.num_named_barrier, 0
	.set _ZN7rocprim17ROCPRIM_400000_NS6detail17trampoline_kernelINS0_14default_configENS1_25partition_config_selectorILNS1_17partition_subalgoE8EdNS0_10empty_typeEbEEZZNS1_14partition_implILS5_8ELb0ES3_jN6thrust23THRUST_200600_302600_NS6detail15normal_iteratorINSA_10device_ptrIdEEEEPS6_PKS6_NS0_5tupleIJSF_S6_EEENSJ_IJSG_SG_EEENS0_18inequality_wrapperI22is_equal_div_10_uniqueIdEEEPmJS6_EEE10hipError_tPvRmT3_T4_T5_T6_T7_T9_mT8_P12ihipStream_tbDpT10_ENKUlT_T0_E_clISt17integral_constantIbLb1EES19_IbLb0EEEEDaS15_S16_EUlS15_E_NS1_11comp_targetILNS1_3genE10ELNS1_11target_archE1200ELNS1_3gpuE4ELNS1_3repE0EEENS1_30default_config_static_selectorELNS0_4arch9wavefront6targetE1EEEvT1_.private_seg_size, 0
	.set _ZN7rocprim17ROCPRIM_400000_NS6detail17trampoline_kernelINS0_14default_configENS1_25partition_config_selectorILNS1_17partition_subalgoE8EdNS0_10empty_typeEbEEZZNS1_14partition_implILS5_8ELb0ES3_jN6thrust23THRUST_200600_302600_NS6detail15normal_iteratorINSA_10device_ptrIdEEEEPS6_PKS6_NS0_5tupleIJSF_S6_EEENSJ_IJSG_SG_EEENS0_18inequality_wrapperI22is_equal_div_10_uniqueIdEEEPmJS6_EEE10hipError_tPvRmT3_T4_T5_T6_T7_T9_mT8_P12ihipStream_tbDpT10_ENKUlT_T0_E_clISt17integral_constantIbLb1EES19_IbLb0EEEEDaS15_S16_EUlS15_E_NS1_11comp_targetILNS1_3genE10ELNS1_11target_archE1200ELNS1_3gpuE4ELNS1_3repE0EEENS1_30default_config_static_selectorELNS0_4arch9wavefront6targetE1EEEvT1_.uses_vcc, 0
	.set _ZN7rocprim17ROCPRIM_400000_NS6detail17trampoline_kernelINS0_14default_configENS1_25partition_config_selectorILNS1_17partition_subalgoE8EdNS0_10empty_typeEbEEZZNS1_14partition_implILS5_8ELb0ES3_jN6thrust23THRUST_200600_302600_NS6detail15normal_iteratorINSA_10device_ptrIdEEEEPS6_PKS6_NS0_5tupleIJSF_S6_EEENSJ_IJSG_SG_EEENS0_18inequality_wrapperI22is_equal_div_10_uniqueIdEEEPmJS6_EEE10hipError_tPvRmT3_T4_T5_T6_T7_T9_mT8_P12ihipStream_tbDpT10_ENKUlT_T0_E_clISt17integral_constantIbLb1EES19_IbLb0EEEEDaS15_S16_EUlS15_E_NS1_11comp_targetILNS1_3genE10ELNS1_11target_archE1200ELNS1_3gpuE4ELNS1_3repE0EEENS1_30default_config_static_selectorELNS0_4arch9wavefront6targetE1EEEvT1_.uses_flat_scratch, 0
	.set _ZN7rocprim17ROCPRIM_400000_NS6detail17trampoline_kernelINS0_14default_configENS1_25partition_config_selectorILNS1_17partition_subalgoE8EdNS0_10empty_typeEbEEZZNS1_14partition_implILS5_8ELb0ES3_jN6thrust23THRUST_200600_302600_NS6detail15normal_iteratorINSA_10device_ptrIdEEEEPS6_PKS6_NS0_5tupleIJSF_S6_EEENSJ_IJSG_SG_EEENS0_18inequality_wrapperI22is_equal_div_10_uniqueIdEEEPmJS6_EEE10hipError_tPvRmT3_T4_T5_T6_T7_T9_mT8_P12ihipStream_tbDpT10_ENKUlT_T0_E_clISt17integral_constantIbLb1EES19_IbLb0EEEEDaS15_S16_EUlS15_E_NS1_11comp_targetILNS1_3genE10ELNS1_11target_archE1200ELNS1_3gpuE4ELNS1_3repE0EEENS1_30default_config_static_selectorELNS0_4arch9wavefront6targetE1EEEvT1_.has_dyn_sized_stack, 0
	.set _ZN7rocprim17ROCPRIM_400000_NS6detail17trampoline_kernelINS0_14default_configENS1_25partition_config_selectorILNS1_17partition_subalgoE8EdNS0_10empty_typeEbEEZZNS1_14partition_implILS5_8ELb0ES3_jN6thrust23THRUST_200600_302600_NS6detail15normal_iteratorINSA_10device_ptrIdEEEEPS6_PKS6_NS0_5tupleIJSF_S6_EEENSJ_IJSG_SG_EEENS0_18inequality_wrapperI22is_equal_div_10_uniqueIdEEEPmJS6_EEE10hipError_tPvRmT3_T4_T5_T6_T7_T9_mT8_P12ihipStream_tbDpT10_ENKUlT_T0_E_clISt17integral_constantIbLb1EES19_IbLb0EEEEDaS15_S16_EUlS15_E_NS1_11comp_targetILNS1_3genE10ELNS1_11target_archE1200ELNS1_3gpuE4ELNS1_3repE0EEENS1_30default_config_static_selectorELNS0_4arch9wavefront6targetE1EEEvT1_.has_recursion, 0
	.set _ZN7rocprim17ROCPRIM_400000_NS6detail17trampoline_kernelINS0_14default_configENS1_25partition_config_selectorILNS1_17partition_subalgoE8EdNS0_10empty_typeEbEEZZNS1_14partition_implILS5_8ELb0ES3_jN6thrust23THRUST_200600_302600_NS6detail15normal_iteratorINSA_10device_ptrIdEEEEPS6_PKS6_NS0_5tupleIJSF_S6_EEENSJ_IJSG_SG_EEENS0_18inequality_wrapperI22is_equal_div_10_uniqueIdEEEPmJS6_EEE10hipError_tPvRmT3_T4_T5_T6_T7_T9_mT8_P12ihipStream_tbDpT10_ENKUlT_T0_E_clISt17integral_constantIbLb1EES19_IbLb0EEEEDaS15_S16_EUlS15_E_NS1_11comp_targetILNS1_3genE10ELNS1_11target_archE1200ELNS1_3gpuE4ELNS1_3repE0EEENS1_30default_config_static_selectorELNS0_4arch9wavefront6targetE1EEEvT1_.has_indirect_call, 0
	.section	.AMDGPU.csdata,"",@progbits
; Kernel info:
; codeLenInByte = 0
; TotalNumSgprs: 4
; NumVgprs: 0
; ScratchSize: 0
; MemoryBound: 0
; FloatMode: 240
; IeeeMode: 1
; LDSByteSize: 0 bytes/workgroup (compile time only)
; SGPRBlocks: 0
; VGPRBlocks: 0
; NumSGPRsForWavesPerEU: 4
; NumVGPRsForWavesPerEU: 1
; Occupancy: 10
; WaveLimiterHint : 0
; COMPUTE_PGM_RSRC2:SCRATCH_EN: 0
; COMPUTE_PGM_RSRC2:USER_SGPR: 6
; COMPUTE_PGM_RSRC2:TRAP_HANDLER: 0
; COMPUTE_PGM_RSRC2:TGID_X_EN: 1
; COMPUTE_PGM_RSRC2:TGID_Y_EN: 0
; COMPUTE_PGM_RSRC2:TGID_Z_EN: 0
; COMPUTE_PGM_RSRC2:TIDIG_COMP_CNT: 0
	.section	.text._ZN7rocprim17ROCPRIM_400000_NS6detail17trampoline_kernelINS0_14default_configENS1_25partition_config_selectorILNS1_17partition_subalgoE8EdNS0_10empty_typeEbEEZZNS1_14partition_implILS5_8ELb0ES3_jN6thrust23THRUST_200600_302600_NS6detail15normal_iteratorINSA_10device_ptrIdEEEEPS6_PKS6_NS0_5tupleIJSF_S6_EEENSJ_IJSG_SG_EEENS0_18inequality_wrapperI22is_equal_div_10_uniqueIdEEEPmJS6_EEE10hipError_tPvRmT3_T4_T5_T6_T7_T9_mT8_P12ihipStream_tbDpT10_ENKUlT_T0_E_clISt17integral_constantIbLb1EES19_IbLb0EEEEDaS15_S16_EUlS15_E_NS1_11comp_targetILNS1_3genE9ELNS1_11target_archE1100ELNS1_3gpuE3ELNS1_3repE0EEENS1_30default_config_static_selectorELNS0_4arch9wavefront6targetE1EEEvT1_,"axG",@progbits,_ZN7rocprim17ROCPRIM_400000_NS6detail17trampoline_kernelINS0_14default_configENS1_25partition_config_selectorILNS1_17partition_subalgoE8EdNS0_10empty_typeEbEEZZNS1_14partition_implILS5_8ELb0ES3_jN6thrust23THRUST_200600_302600_NS6detail15normal_iteratorINSA_10device_ptrIdEEEEPS6_PKS6_NS0_5tupleIJSF_S6_EEENSJ_IJSG_SG_EEENS0_18inequality_wrapperI22is_equal_div_10_uniqueIdEEEPmJS6_EEE10hipError_tPvRmT3_T4_T5_T6_T7_T9_mT8_P12ihipStream_tbDpT10_ENKUlT_T0_E_clISt17integral_constantIbLb1EES19_IbLb0EEEEDaS15_S16_EUlS15_E_NS1_11comp_targetILNS1_3genE9ELNS1_11target_archE1100ELNS1_3gpuE3ELNS1_3repE0EEENS1_30default_config_static_selectorELNS0_4arch9wavefront6targetE1EEEvT1_,comdat
	.protected	_ZN7rocprim17ROCPRIM_400000_NS6detail17trampoline_kernelINS0_14default_configENS1_25partition_config_selectorILNS1_17partition_subalgoE8EdNS0_10empty_typeEbEEZZNS1_14partition_implILS5_8ELb0ES3_jN6thrust23THRUST_200600_302600_NS6detail15normal_iteratorINSA_10device_ptrIdEEEEPS6_PKS6_NS0_5tupleIJSF_S6_EEENSJ_IJSG_SG_EEENS0_18inequality_wrapperI22is_equal_div_10_uniqueIdEEEPmJS6_EEE10hipError_tPvRmT3_T4_T5_T6_T7_T9_mT8_P12ihipStream_tbDpT10_ENKUlT_T0_E_clISt17integral_constantIbLb1EES19_IbLb0EEEEDaS15_S16_EUlS15_E_NS1_11comp_targetILNS1_3genE9ELNS1_11target_archE1100ELNS1_3gpuE3ELNS1_3repE0EEENS1_30default_config_static_selectorELNS0_4arch9wavefront6targetE1EEEvT1_ ; -- Begin function _ZN7rocprim17ROCPRIM_400000_NS6detail17trampoline_kernelINS0_14default_configENS1_25partition_config_selectorILNS1_17partition_subalgoE8EdNS0_10empty_typeEbEEZZNS1_14partition_implILS5_8ELb0ES3_jN6thrust23THRUST_200600_302600_NS6detail15normal_iteratorINSA_10device_ptrIdEEEEPS6_PKS6_NS0_5tupleIJSF_S6_EEENSJ_IJSG_SG_EEENS0_18inequality_wrapperI22is_equal_div_10_uniqueIdEEEPmJS6_EEE10hipError_tPvRmT3_T4_T5_T6_T7_T9_mT8_P12ihipStream_tbDpT10_ENKUlT_T0_E_clISt17integral_constantIbLb1EES19_IbLb0EEEEDaS15_S16_EUlS15_E_NS1_11comp_targetILNS1_3genE9ELNS1_11target_archE1100ELNS1_3gpuE3ELNS1_3repE0EEENS1_30default_config_static_selectorELNS0_4arch9wavefront6targetE1EEEvT1_
	.globl	_ZN7rocprim17ROCPRIM_400000_NS6detail17trampoline_kernelINS0_14default_configENS1_25partition_config_selectorILNS1_17partition_subalgoE8EdNS0_10empty_typeEbEEZZNS1_14partition_implILS5_8ELb0ES3_jN6thrust23THRUST_200600_302600_NS6detail15normal_iteratorINSA_10device_ptrIdEEEEPS6_PKS6_NS0_5tupleIJSF_S6_EEENSJ_IJSG_SG_EEENS0_18inequality_wrapperI22is_equal_div_10_uniqueIdEEEPmJS6_EEE10hipError_tPvRmT3_T4_T5_T6_T7_T9_mT8_P12ihipStream_tbDpT10_ENKUlT_T0_E_clISt17integral_constantIbLb1EES19_IbLb0EEEEDaS15_S16_EUlS15_E_NS1_11comp_targetILNS1_3genE9ELNS1_11target_archE1100ELNS1_3gpuE3ELNS1_3repE0EEENS1_30default_config_static_selectorELNS0_4arch9wavefront6targetE1EEEvT1_
	.p2align	8
	.type	_ZN7rocprim17ROCPRIM_400000_NS6detail17trampoline_kernelINS0_14default_configENS1_25partition_config_selectorILNS1_17partition_subalgoE8EdNS0_10empty_typeEbEEZZNS1_14partition_implILS5_8ELb0ES3_jN6thrust23THRUST_200600_302600_NS6detail15normal_iteratorINSA_10device_ptrIdEEEEPS6_PKS6_NS0_5tupleIJSF_S6_EEENSJ_IJSG_SG_EEENS0_18inequality_wrapperI22is_equal_div_10_uniqueIdEEEPmJS6_EEE10hipError_tPvRmT3_T4_T5_T6_T7_T9_mT8_P12ihipStream_tbDpT10_ENKUlT_T0_E_clISt17integral_constantIbLb1EES19_IbLb0EEEEDaS15_S16_EUlS15_E_NS1_11comp_targetILNS1_3genE9ELNS1_11target_archE1100ELNS1_3gpuE3ELNS1_3repE0EEENS1_30default_config_static_selectorELNS0_4arch9wavefront6targetE1EEEvT1_,@function
_ZN7rocprim17ROCPRIM_400000_NS6detail17trampoline_kernelINS0_14default_configENS1_25partition_config_selectorILNS1_17partition_subalgoE8EdNS0_10empty_typeEbEEZZNS1_14partition_implILS5_8ELb0ES3_jN6thrust23THRUST_200600_302600_NS6detail15normal_iteratorINSA_10device_ptrIdEEEEPS6_PKS6_NS0_5tupleIJSF_S6_EEENSJ_IJSG_SG_EEENS0_18inequality_wrapperI22is_equal_div_10_uniqueIdEEEPmJS6_EEE10hipError_tPvRmT3_T4_T5_T6_T7_T9_mT8_P12ihipStream_tbDpT10_ENKUlT_T0_E_clISt17integral_constantIbLb1EES19_IbLb0EEEEDaS15_S16_EUlS15_E_NS1_11comp_targetILNS1_3genE9ELNS1_11target_archE1100ELNS1_3gpuE3ELNS1_3repE0EEENS1_30default_config_static_selectorELNS0_4arch9wavefront6targetE1EEEvT1_: ; @_ZN7rocprim17ROCPRIM_400000_NS6detail17trampoline_kernelINS0_14default_configENS1_25partition_config_selectorILNS1_17partition_subalgoE8EdNS0_10empty_typeEbEEZZNS1_14partition_implILS5_8ELb0ES3_jN6thrust23THRUST_200600_302600_NS6detail15normal_iteratorINSA_10device_ptrIdEEEEPS6_PKS6_NS0_5tupleIJSF_S6_EEENSJ_IJSG_SG_EEENS0_18inequality_wrapperI22is_equal_div_10_uniqueIdEEEPmJS6_EEE10hipError_tPvRmT3_T4_T5_T6_T7_T9_mT8_P12ihipStream_tbDpT10_ENKUlT_T0_E_clISt17integral_constantIbLb1EES19_IbLb0EEEEDaS15_S16_EUlS15_E_NS1_11comp_targetILNS1_3genE9ELNS1_11target_archE1100ELNS1_3gpuE3ELNS1_3repE0EEENS1_30default_config_static_selectorELNS0_4arch9wavefront6targetE1EEEvT1_
; %bb.0:
	.section	.rodata,"a",@progbits
	.p2align	6, 0x0
	.amdhsa_kernel _ZN7rocprim17ROCPRIM_400000_NS6detail17trampoline_kernelINS0_14default_configENS1_25partition_config_selectorILNS1_17partition_subalgoE8EdNS0_10empty_typeEbEEZZNS1_14partition_implILS5_8ELb0ES3_jN6thrust23THRUST_200600_302600_NS6detail15normal_iteratorINSA_10device_ptrIdEEEEPS6_PKS6_NS0_5tupleIJSF_S6_EEENSJ_IJSG_SG_EEENS0_18inequality_wrapperI22is_equal_div_10_uniqueIdEEEPmJS6_EEE10hipError_tPvRmT3_T4_T5_T6_T7_T9_mT8_P12ihipStream_tbDpT10_ENKUlT_T0_E_clISt17integral_constantIbLb1EES19_IbLb0EEEEDaS15_S16_EUlS15_E_NS1_11comp_targetILNS1_3genE9ELNS1_11target_archE1100ELNS1_3gpuE3ELNS1_3repE0EEENS1_30default_config_static_selectorELNS0_4arch9wavefront6targetE1EEEvT1_
		.amdhsa_group_segment_fixed_size 0
		.amdhsa_private_segment_fixed_size 0
		.amdhsa_kernarg_size 112
		.amdhsa_user_sgpr_count 6
		.amdhsa_user_sgpr_private_segment_buffer 1
		.amdhsa_user_sgpr_dispatch_ptr 0
		.amdhsa_user_sgpr_queue_ptr 0
		.amdhsa_user_sgpr_kernarg_segment_ptr 1
		.amdhsa_user_sgpr_dispatch_id 0
		.amdhsa_user_sgpr_flat_scratch_init 0
		.amdhsa_user_sgpr_private_segment_size 0
		.amdhsa_uses_dynamic_stack 0
		.amdhsa_system_sgpr_private_segment_wavefront_offset 0
		.amdhsa_system_sgpr_workgroup_id_x 1
		.amdhsa_system_sgpr_workgroup_id_y 0
		.amdhsa_system_sgpr_workgroup_id_z 0
		.amdhsa_system_sgpr_workgroup_info 0
		.amdhsa_system_vgpr_workitem_id 0
		.amdhsa_next_free_vgpr 1
		.amdhsa_next_free_sgpr 0
		.amdhsa_reserve_vcc 0
		.amdhsa_reserve_flat_scratch 0
		.amdhsa_float_round_mode_32 0
		.amdhsa_float_round_mode_16_64 0
		.amdhsa_float_denorm_mode_32 3
		.amdhsa_float_denorm_mode_16_64 3
		.amdhsa_dx10_clamp 1
		.amdhsa_ieee_mode 1
		.amdhsa_fp16_overflow 0
		.amdhsa_exception_fp_ieee_invalid_op 0
		.amdhsa_exception_fp_denorm_src 0
		.amdhsa_exception_fp_ieee_div_zero 0
		.amdhsa_exception_fp_ieee_overflow 0
		.amdhsa_exception_fp_ieee_underflow 0
		.amdhsa_exception_fp_ieee_inexact 0
		.amdhsa_exception_int_div_zero 0
	.end_amdhsa_kernel
	.section	.text._ZN7rocprim17ROCPRIM_400000_NS6detail17trampoline_kernelINS0_14default_configENS1_25partition_config_selectorILNS1_17partition_subalgoE8EdNS0_10empty_typeEbEEZZNS1_14partition_implILS5_8ELb0ES3_jN6thrust23THRUST_200600_302600_NS6detail15normal_iteratorINSA_10device_ptrIdEEEEPS6_PKS6_NS0_5tupleIJSF_S6_EEENSJ_IJSG_SG_EEENS0_18inequality_wrapperI22is_equal_div_10_uniqueIdEEEPmJS6_EEE10hipError_tPvRmT3_T4_T5_T6_T7_T9_mT8_P12ihipStream_tbDpT10_ENKUlT_T0_E_clISt17integral_constantIbLb1EES19_IbLb0EEEEDaS15_S16_EUlS15_E_NS1_11comp_targetILNS1_3genE9ELNS1_11target_archE1100ELNS1_3gpuE3ELNS1_3repE0EEENS1_30default_config_static_selectorELNS0_4arch9wavefront6targetE1EEEvT1_,"axG",@progbits,_ZN7rocprim17ROCPRIM_400000_NS6detail17trampoline_kernelINS0_14default_configENS1_25partition_config_selectorILNS1_17partition_subalgoE8EdNS0_10empty_typeEbEEZZNS1_14partition_implILS5_8ELb0ES3_jN6thrust23THRUST_200600_302600_NS6detail15normal_iteratorINSA_10device_ptrIdEEEEPS6_PKS6_NS0_5tupleIJSF_S6_EEENSJ_IJSG_SG_EEENS0_18inequality_wrapperI22is_equal_div_10_uniqueIdEEEPmJS6_EEE10hipError_tPvRmT3_T4_T5_T6_T7_T9_mT8_P12ihipStream_tbDpT10_ENKUlT_T0_E_clISt17integral_constantIbLb1EES19_IbLb0EEEEDaS15_S16_EUlS15_E_NS1_11comp_targetILNS1_3genE9ELNS1_11target_archE1100ELNS1_3gpuE3ELNS1_3repE0EEENS1_30default_config_static_selectorELNS0_4arch9wavefront6targetE1EEEvT1_,comdat
.Lfunc_end69:
	.size	_ZN7rocprim17ROCPRIM_400000_NS6detail17trampoline_kernelINS0_14default_configENS1_25partition_config_selectorILNS1_17partition_subalgoE8EdNS0_10empty_typeEbEEZZNS1_14partition_implILS5_8ELb0ES3_jN6thrust23THRUST_200600_302600_NS6detail15normal_iteratorINSA_10device_ptrIdEEEEPS6_PKS6_NS0_5tupleIJSF_S6_EEENSJ_IJSG_SG_EEENS0_18inequality_wrapperI22is_equal_div_10_uniqueIdEEEPmJS6_EEE10hipError_tPvRmT3_T4_T5_T6_T7_T9_mT8_P12ihipStream_tbDpT10_ENKUlT_T0_E_clISt17integral_constantIbLb1EES19_IbLb0EEEEDaS15_S16_EUlS15_E_NS1_11comp_targetILNS1_3genE9ELNS1_11target_archE1100ELNS1_3gpuE3ELNS1_3repE0EEENS1_30default_config_static_selectorELNS0_4arch9wavefront6targetE1EEEvT1_, .Lfunc_end69-_ZN7rocprim17ROCPRIM_400000_NS6detail17trampoline_kernelINS0_14default_configENS1_25partition_config_selectorILNS1_17partition_subalgoE8EdNS0_10empty_typeEbEEZZNS1_14partition_implILS5_8ELb0ES3_jN6thrust23THRUST_200600_302600_NS6detail15normal_iteratorINSA_10device_ptrIdEEEEPS6_PKS6_NS0_5tupleIJSF_S6_EEENSJ_IJSG_SG_EEENS0_18inequality_wrapperI22is_equal_div_10_uniqueIdEEEPmJS6_EEE10hipError_tPvRmT3_T4_T5_T6_T7_T9_mT8_P12ihipStream_tbDpT10_ENKUlT_T0_E_clISt17integral_constantIbLb1EES19_IbLb0EEEEDaS15_S16_EUlS15_E_NS1_11comp_targetILNS1_3genE9ELNS1_11target_archE1100ELNS1_3gpuE3ELNS1_3repE0EEENS1_30default_config_static_selectorELNS0_4arch9wavefront6targetE1EEEvT1_
                                        ; -- End function
	.set _ZN7rocprim17ROCPRIM_400000_NS6detail17trampoline_kernelINS0_14default_configENS1_25partition_config_selectorILNS1_17partition_subalgoE8EdNS0_10empty_typeEbEEZZNS1_14partition_implILS5_8ELb0ES3_jN6thrust23THRUST_200600_302600_NS6detail15normal_iteratorINSA_10device_ptrIdEEEEPS6_PKS6_NS0_5tupleIJSF_S6_EEENSJ_IJSG_SG_EEENS0_18inequality_wrapperI22is_equal_div_10_uniqueIdEEEPmJS6_EEE10hipError_tPvRmT3_T4_T5_T6_T7_T9_mT8_P12ihipStream_tbDpT10_ENKUlT_T0_E_clISt17integral_constantIbLb1EES19_IbLb0EEEEDaS15_S16_EUlS15_E_NS1_11comp_targetILNS1_3genE9ELNS1_11target_archE1100ELNS1_3gpuE3ELNS1_3repE0EEENS1_30default_config_static_selectorELNS0_4arch9wavefront6targetE1EEEvT1_.num_vgpr, 0
	.set _ZN7rocprim17ROCPRIM_400000_NS6detail17trampoline_kernelINS0_14default_configENS1_25partition_config_selectorILNS1_17partition_subalgoE8EdNS0_10empty_typeEbEEZZNS1_14partition_implILS5_8ELb0ES3_jN6thrust23THRUST_200600_302600_NS6detail15normal_iteratorINSA_10device_ptrIdEEEEPS6_PKS6_NS0_5tupleIJSF_S6_EEENSJ_IJSG_SG_EEENS0_18inequality_wrapperI22is_equal_div_10_uniqueIdEEEPmJS6_EEE10hipError_tPvRmT3_T4_T5_T6_T7_T9_mT8_P12ihipStream_tbDpT10_ENKUlT_T0_E_clISt17integral_constantIbLb1EES19_IbLb0EEEEDaS15_S16_EUlS15_E_NS1_11comp_targetILNS1_3genE9ELNS1_11target_archE1100ELNS1_3gpuE3ELNS1_3repE0EEENS1_30default_config_static_selectorELNS0_4arch9wavefront6targetE1EEEvT1_.num_agpr, 0
	.set _ZN7rocprim17ROCPRIM_400000_NS6detail17trampoline_kernelINS0_14default_configENS1_25partition_config_selectorILNS1_17partition_subalgoE8EdNS0_10empty_typeEbEEZZNS1_14partition_implILS5_8ELb0ES3_jN6thrust23THRUST_200600_302600_NS6detail15normal_iteratorINSA_10device_ptrIdEEEEPS6_PKS6_NS0_5tupleIJSF_S6_EEENSJ_IJSG_SG_EEENS0_18inequality_wrapperI22is_equal_div_10_uniqueIdEEEPmJS6_EEE10hipError_tPvRmT3_T4_T5_T6_T7_T9_mT8_P12ihipStream_tbDpT10_ENKUlT_T0_E_clISt17integral_constantIbLb1EES19_IbLb0EEEEDaS15_S16_EUlS15_E_NS1_11comp_targetILNS1_3genE9ELNS1_11target_archE1100ELNS1_3gpuE3ELNS1_3repE0EEENS1_30default_config_static_selectorELNS0_4arch9wavefront6targetE1EEEvT1_.numbered_sgpr, 0
	.set _ZN7rocprim17ROCPRIM_400000_NS6detail17trampoline_kernelINS0_14default_configENS1_25partition_config_selectorILNS1_17partition_subalgoE8EdNS0_10empty_typeEbEEZZNS1_14partition_implILS5_8ELb0ES3_jN6thrust23THRUST_200600_302600_NS6detail15normal_iteratorINSA_10device_ptrIdEEEEPS6_PKS6_NS0_5tupleIJSF_S6_EEENSJ_IJSG_SG_EEENS0_18inequality_wrapperI22is_equal_div_10_uniqueIdEEEPmJS6_EEE10hipError_tPvRmT3_T4_T5_T6_T7_T9_mT8_P12ihipStream_tbDpT10_ENKUlT_T0_E_clISt17integral_constantIbLb1EES19_IbLb0EEEEDaS15_S16_EUlS15_E_NS1_11comp_targetILNS1_3genE9ELNS1_11target_archE1100ELNS1_3gpuE3ELNS1_3repE0EEENS1_30default_config_static_selectorELNS0_4arch9wavefront6targetE1EEEvT1_.num_named_barrier, 0
	.set _ZN7rocprim17ROCPRIM_400000_NS6detail17trampoline_kernelINS0_14default_configENS1_25partition_config_selectorILNS1_17partition_subalgoE8EdNS0_10empty_typeEbEEZZNS1_14partition_implILS5_8ELb0ES3_jN6thrust23THRUST_200600_302600_NS6detail15normal_iteratorINSA_10device_ptrIdEEEEPS6_PKS6_NS0_5tupleIJSF_S6_EEENSJ_IJSG_SG_EEENS0_18inequality_wrapperI22is_equal_div_10_uniqueIdEEEPmJS6_EEE10hipError_tPvRmT3_T4_T5_T6_T7_T9_mT8_P12ihipStream_tbDpT10_ENKUlT_T0_E_clISt17integral_constantIbLb1EES19_IbLb0EEEEDaS15_S16_EUlS15_E_NS1_11comp_targetILNS1_3genE9ELNS1_11target_archE1100ELNS1_3gpuE3ELNS1_3repE0EEENS1_30default_config_static_selectorELNS0_4arch9wavefront6targetE1EEEvT1_.private_seg_size, 0
	.set _ZN7rocprim17ROCPRIM_400000_NS6detail17trampoline_kernelINS0_14default_configENS1_25partition_config_selectorILNS1_17partition_subalgoE8EdNS0_10empty_typeEbEEZZNS1_14partition_implILS5_8ELb0ES3_jN6thrust23THRUST_200600_302600_NS6detail15normal_iteratorINSA_10device_ptrIdEEEEPS6_PKS6_NS0_5tupleIJSF_S6_EEENSJ_IJSG_SG_EEENS0_18inequality_wrapperI22is_equal_div_10_uniqueIdEEEPmJS6_EEE10hipError_tPvRmT3_T4_T5_T6_T7_T9_mT8_P12ihipStream_tbDpT10_ENKUlT_T0_E_clISt17integral_constantIbLb1EES19_IbLb0EEEEDaS15_S16_EUlS15_E_NS1_11comp_targetILNS1_3genE9ELNS1_11target_archE1100ELNS1_3gpuE3ELNS1_3repE0EEENS1_30default_config_static_selectorELNS0_4arch9wavefront6targetE1EEEvT1_.uses_vcc, 0
	.set _ZN7rocprim17ROCPRIM_400000_NS6detail17trampoline_kernelINS0_14default_configENS1_25partition_config_selectorILNS1_17partition_subalgoE8EdNS0_10empty_typeEbEEZZNS1_14partition_implILS5_8ELb0ES3_jN6thrust23THRUST_200600_302600_NS6detail15normal_iteratorINSA_10device_ptrIdEEEEPS6_PKS6_NS0_5tupleIJSF_S6_EEENSJ_IJSG_SG_EEENS0_18inequality_wrapperI22is_equal_div_10_uniqueIdEEEPmJS6_EEE10hipError_tPvRmT3_T4_T5_T6_T7_T9_mT8_P12ihipStream_tbDpT10_ENKUlT_T0_E_clISt17integral_constantIbLb1EES19_IbLb0EEEEDaS15_S16_EUlS15_E_NS1_11comp_targetILNS1_3genE9ELNS1_11target_archE1100ELNS1_3gpuE3ELNS1_3repE0EEENS1_30default_config_static_selectorELNS0_4arch9wavefront6targetE1EEEvT1_.uses_flat_scratch, 0
	.set _ZN7rocprim17ROCPRIM_400000_NS6detail17trampoline_kernelINS0_14default_configENS1_25partition_config_selectorILNS1_17partition_subalgoE8EdNS0_10empty_typeEbEEZZNS1_14partition_implILS5_8ELb0ES3_jN6thrust23THRUST_200600_302600_NS6detail15normal_iteratorINSA_10device_ptrIdEEEEPS6_PKS6_NS0_5tupleIJSF_S6_EEENSJ_IJSG_SG_EEENS0_18inequality_wrapperI22is_equal_div_10_uniqueIdEEEPmJS6_EEE10hipError_tPvRmT3_T4_T5_T6_T7_T9_mT8_P12ihipStream_tbDpT10_ENKUlT_T0_E_clISt17integral_constantIbLb1EES19_IbLb0EEEEDaS15_S16_EUlS15_E_NS1_11comp_targetILNS1_3genE9ELNS1_11target_archE1100ELNS1_3gpuE3ELNS1_3repE0EEENS1_30default_config_static_selectorELNS0_4arch9wavefront6targetE1EEEvT1_.has_dyn_sized_stack, 0
	.set _ZN7rocprim17ROCPRIM_400000_NS6detail17trampoline_kernelINS0_14default_configENS1_25partition_config_selectorILNS1_17partition_subalgoE8EdNS0_10empty_typeEbEEZZNS1_14partition_implILS5_8ELb0ES3_jN6thrust23THRUST_200600_302600_NS6detail15normal_iteratorINSA_10device_ptrIdEEEEPS6_PKS6_NS0_5tupleIJSF_S6_EEENSJ_IJSG_SG_EEENS0_18inequality_wrapperI22is_equal_div_10_uniqueIdEEEPmJS6_EEE10hipError_tPvRmT3_T4_T5_T6_T7_T9_mT8_P12ihipStream_tbDpT10_ENKUlT_T0_E_clISt17integral_constantIbLb1EES19_IbLb0EEEEDaS15_S16_EUlS15_E_NS1_11comp_targetILNS1_3genE9ELNS1_11target_archE1100ELNS1_3gpuE3ELNS1_3repE0EEENS1_30default_config_static_selectorELNS0_4arch9wavefront6targetE1EEEvT1_.has_recursion, 0
	.set _ZN7rocprim17ROCPRIM_400000_NS6detail17trampoline_kernelINS0_14default_configENS1_25partition_config_selectorILNS1_17partition_subalgoE8EdNS0_10empty_typeEbEEZZNS1_14partition_implILS5_8ELb0ES3_jN6thrust23THRUST_200600_302600_NS6detail15normal_iteratorINSA_10device_ptrIdEEEEPS6_PKS6_NS0_5tupleIJSF_S6_EEENSJ_IJSG_SG_EEENS0_18inequality_wrapperI22is_equal_div_10_uniqueIdEEEPmJS6_EEE10hipError_tPvRmT3_T4_T5_T6_T7_T9_mT8_P12ihipStream_tbDpT10_ENKUlT_T0_E_clISt17integral_constantIbLb1EES19_IbLb0EEEEDaS15_S16_EUlS15_E_NS1_11comp_targetILNS1_3genE9ELNS1_11target_archE1100ELNS1_3gpuE3ELNS1_3repE0EEENS1_30default_config_static_selectorELNS0_4arch9wavefront6targetE1EEEvT1_.has_indirect_call, 0
	.section	.AMDGPU.csdata,"",@progbits
; Kernel info:
; codeLenInByte = 0
; TotalNumSgprs: 4
; NumVgprs: 0
; ScratchSize: 0
; MemoryBound: 0
; FloatMode: 240
; IeeeMode: 1
; LDSByteSize: 0 bytes/workgroup (compile time only)
; SGPRBlocks: 0
; VGPRBlocks: 0
; NumSGPRsForWavesPerEU: 4
; NumVGPRsForWavesPerEU: 1
; Occupancy: 10
; WaveLimiterHint : 0
; COMPUTE_PGM_RSRC2:SCRATCH_EN: 0
; COMPUTE_PGM_RSRC2:USER_SGPR: 6
; COMPUTE_PGM_RSRC2:TRAP_HANDLER: 0
; COMPUTE_PGM_RSRC2:TGID_X_EN: 1
; COMPUTE_PGM_RSRC2:TGID_Y_EN: 0
; COMPUTE_PGM_RSRC2:TGID_Z_EN: 0
; COMPUTE_PGM_RSRC2:TIDIG_COMP_CNT: 0
	.section	.text._ZN7rocprim17ROCPRIM_400000_NS6detail17trampoline_kernelINS0_14default_configENS1_25partition_config_selectorILNS1_17partition_subalgoE8EdNS0_10empty_typeEbEEZZNS1_14partition_implILS5_8ELb0ES3_jN6thrust23THRUST_200600_302600_NS6detail15normal_iteratorINSA_10device_ptrIdEEEEPS6_PKS6_NS0_5tupleIJSF_S6_EEENSJ_IJSG_SG_EEENS0_18inequality_wrapperI22is_equal_div_10_uniqueIdEEEPmJS6_EEE10hipError_tPvRmT3_T4_T5_T6_T7_T9_mT8_P12ihipStream_tbDpT10_ENKUlT_T0_E_clISt17integral_constantIbLb1EES19_IbLb0EEEEDaS15_S16_EUlS15_E_NS1_11comp_targetILNS1_3genE8ELNS1_11target_archE1030ELNS1_3gpuE2ELNS1_3repE0EEENS1_30default_config_static_selectorELNS0_4arch9wavefront6targetE1EEEvT1_,"axG",@progbits,_ZN7rocprim17ROCPRIM_400000_NS6detail17trampoline_kernelINS0_14default_configENS1_25partition_config_selectorILNS1_17partition_subalgoE8EdNS0_10empty_typeEbEEZZNS1_14partition_implILS5_8ELb0ES3_jN6thrust23THRUST_200600_302600_NS6detail15normal_iteratorINSA_10device_ptrIdEEEEPS6_PKS6_NS0_5tupleIJSF_S6_EEENSJ_IJSG_SG_EEENS0_18inequality_wrapperI22is_equal_div_10_uniqueIdEEEPmJS6_EEE10hipError_tPvRmT3_T4_T5_T6_T7_T9_mT8_P12ihipStream_tbDpT10_ENKUlT_T0_E_clISt17integral_constantIbLb1EES19_IbLb0EEEEDaS15_S16_EUlS15_E_NS1_11comp_targetILNS1_3genE8ELNS1_11target_archE1030ELNS1_3gpuE2ELNS1_3repE0EEENS1_30default_config_static_selectorELNS0_4arch9wavefront6targetE1EEEvT1_,comdat
	.protected	_ZN7rocprim17ROCPRIM_400000_NS6detail17trampoline_kernelINS0_14default_configENS1_25partition_config_selectorILNS1_17partition_subalgoE8EdNS0_10empty_typeEbEEZZNS1_14partition_implILS5_8ELb0ES3_jN6thrust23THRUST_200600_302600_NS6detail15normal_iteratorINSA_10device_ptrIdEEEEPS6_PKS6_NS0_5tupleIJSF_S6_EEENSJ_IJSG_SG_EEENS0_18inequality_wrapperI22is_equal_div_10_uniqueIdEEEPmJS6_EEE10hipError_tPvRmT3_T4_T5_T6_T7_T9_mT8_P12ihipStream_tbDpT10_ENKUlT_T0_E_clISt17integral_constantIbLb1EES19_IbLb0EEEEDaS15_S16_EUlS15_E_NS1_11comp_targetILNS1_3genE8ELNS1_11target_archE1030ELNS1_3gpuE2ELNS1_3repE0EEENS1_30default_config_static_selectorELNS0_4arch9wavefront6targetE1EEEvT1_ ; -- Begin function _ZN7rocprim17ROCPRIM_400000_NS6detail17trampoline_kernelINS0_14default_configENS1_25partition_config_selectorILNS1_17partition_subalgoE8EdNS0_10empty_typeEbEEZZNS1_14partition_implILS5_8ELb0ES3_jN6thrust23THRUST_200600_302600_NS6detail15normal_iteratorINSA_10device_ptrIdEEEEPS6_PKS6_NS0_5tupleIJSF_S6_EEENSJ_IJSG_SG_EEENS0_18inequality_wrapperI22is_equal_div_10_uniqueIdEEEPmJS6_EEE10hipError_tPvRmT3_T4_T5_T6_T7_T9_mT8_P12ihipStream_tbDpT10_ENKUlT_T0_E_clISt17integral_constantIbLb1EES19_IbLb0EEEEDaS15_S16_EUlS15_E_NS1_11comp_targetILNS1_3genE8ELNS1_11target_archE1030ELNS1_3gpuE2ELNS1_3repE0EEENS1_30default_config_static_selectorELNS0_4arch9wavefront6targetE1EEEvT1_
	.globl	_ZN7rocprim17ROCPRIM_400000_NS6detail17trampoline_kernelINS0_14default_configENS1_25partition_config_selectorILNS1_17partition_subalgoE8EdNS0_10empty_typeEbEEZZNS1_14partition_implILS5_8ELb0ES3_jN6thrust23THRUST_200600_302600_NS6detail15normal_iteratorINSA_10device_ptrIdEEEEPS6_PKS6_NS0_5tupleIJSF_S6_EEENSJ_IJSG_SG_EEENS0_18inequality_wrapperI22is_equal_div_10_uniqueIdEEEPmJS6_EEE10hipError_tPvRmT3_T4_T5_T6_T7_T9_mT8_P12ihipStream_tbDpT10_ENKUlT_T0_E_clISt17integral_constantIbLb1EES19_IbLb0EEEEDaS15_S16_EUlS15_E_NS1_11comp_targetILNS1_3genE8ELNS1_11target_archE1030ELNS1_3gpuE2ELNS1_3repE0EEENS1_30default_config_static_selectorELNS0_4arch9wavefront6targetE1EEEvT1_
	.p2align	8
	.type	_ZN7rocprim17ROCPRIM_400000_NS6detail17trampoline_kernelINS0_14default_configENS1_25partition_config_selectorILNS1_17partition_subalgoE8EdNS0_10empty_typeEbEEZZNS1_14partition_implILS5_8ELb0ES3_jN6thrust23THRUST_200600_302600_NS6detail15normal_iteratorINSA_10device_ptrIdEEEEPS6_PKS6_NS0_5tupleIJSF_S6_EEENSJ_IJSG_SG_EEENS0_18inequality_wrapperI22is_equal_div_10_uniqueIdEEEPmJS6_EEE10hipError_tPvRmT3_T4_T5_T6_T7_T9_mT8_P12ihipStream_tbDpT10_ENKUlT_T0_E_clISt17integral_constantIbLb1EES19_IbLb0EEEEDaS15_S16_EUlS15_E_NS1_11comp_targetILNS1_3genE8ELNS1_11target_archE1030ELNS1_3gpuE2ELNS1_3repE0EEENS1_30default_config_static_selectorELNS0_4arch9wavefront6targetE1EEEvT1_,@function
_ZN7rocprim17ROCPRIM_400000_NS6detail17trampoline_kernelINS0_14default_configENS1_25partition_config_selectorILNS1_17partition_subalgoE8EdNS0_10empty_typeEbEEZZNS1_14partition_implILS5_8ELb0ES3_jN6thrust23THRUST_200600_302600_NS6detail15normal_iteratorINSA_10device_ptrIdEEEEPS6_PKS6_NS0_5tupleIJSF_S6_EEENSJ_IJSG_SG_EEENS0_18inequality_wrapperI22is_equal_div_10_uniqueIdEEEPmJS6_EEE10hipError_tPvRmT3_T4_T5_T6_T7_T9_mT8_P12ihipStream_tbDpT10_ENKUlT_T0_E_clISt17integral_constantIbLb1EES19_IbLb0EEEEDaS15_S16_EUlS15_E_NS1_11comp_targetILNS1_3genE8ELNS1_11target_archE1030ELNS1_3gpuE2ELNS1_3repE0EEENS1_30default_config_static_selectorELNS0_4arch9wavefront6targetE1EEEvT1_: ; @_ZN7rocprim17ROCPRIM_400000_NS6detail17trampoline_kernelINS0_14default_configENS1_25partition_config_selectorILNS1_17partition_subalgoE8EdNS0_10empty_typeEbEEZZNS1_14partition_implILS5_8ELb0ES3_jN6thrust23THRUST_200600_302600_NS6detail15normal_iteratorINSA_10device_ptrIdEEEEPS6_PKS6_NS0_5tupleIJSF_S6_EEENSJ_IJSG_SG_EEENS0_18inequality_wrapperI22is_equal_div_10_uniqueIdEEEPmJS6_EEE10hipError_tPvRmT3_T4_T5_T6_T7_T9_mT8_P12ihipStream_tbDpT10_ENKUlT_T0_E_clISt17integral_constantIbLb1EES19_IbLb0EEEEDaS15_S16_EUlS15_E_NS1_11comp_targetILNS1_3genE8ELNS1_11target_archE1030ELNS1_3gpuE2ELNS1_3repE0EEENS1_30default_config_static_selectorELNS0_4arch9wavefront6targetE1EEEvT1_
; %bb.0:
	.section	.rodata,"a",@progbits
	.p2align	6, 0x0
	.amdhsa_kernel _ZN7rocprim17ROCPRIM_400000_NS6detail17trampoline_kernelINS0_14default_configENS1_25partition_config_selectorILNS1_17partition_subalgoE8EdNS0_10empty_typeEbEEZZNS1_14partition_implILS5_8ELb0ES3_jN6thrust23THRUST_200600_302600_NS6detail15normal_iteratorINSA_10device_ptrIdEEEEPS6_PKS6_NS0_5tupleIJSF_S6_EEENSJ_IJSG_SG_EEENS0_18inequality_wrapperI22is_equal_div_10_uniqueIdEEEPmJS6_EEE10hipError_tPvRmT3_T4_T5_T6_T7_T9_mT8_P12ihipStream_tbDpT10_ENKUlT_T0_E_clISt17integral_constantIbLb1EES19_IbLb0EEEEDaS15_S16_EUlS15_E_NS1_11comp_targetILNS1_3genE8ELNS1_11target_archE1030ELNS1_3gpuE2ELNS1_3repE0EEENS1_30default_config_static_selectorELNS0_4arch9wavefront6targetE1EEEvT1_
		.amdhsa_group_segment_fixed_size 0
		.amdhsa_private_segment_fixed_size 0
		.amdhsa_kernarg_size 112
		.amdhsa_user_sgpr_count 6
		.amdhsa_user_sgpr_private_segment_buffer 1
		.amdhsa_user_sgpr_dispatch_ptr 0
		.amdhsa_user_sgpr_queue_ptr 0
		.amdhsa_user_sgpr_kernarg_segment_ptr 1
		.amdhsa_user_sgpr_dispatch_id 0
		.amdhsa_user_sgpr_flat_scratch_init 0
		.amdhsa_user_sgpr_private_segment_size 0
		.amdhsa_uses_dynamic_stack 0
		.amdhsa_system_sgpr_private_segment_wavefront_offset 0
		.amdhsa_system_sgpr_workgroup_id_x 1
		.amdhsa_system_sgpr_workgroup_id_y 0
		.amdhsa_system_sgpr_workgroup_id_z 0
		.amdhsa_system_sgpr_workgroup_info 0
		.amdhsa_system_vgpr_workitem_id 0
		.amdhsa_next_free_vgpr 1
		.amdhsa_next_free_sgpr 0
		.amdhsa_reserve_vcc 0
		.amdhsa_reserve_flat_scratch 0
		.amdhsa_float_round_mode_32 0
		.amdhsa_float_round_mode_16_64 0
		.amdhsa_float_denorm_mode_32 3
		.amdhsa_float_denorm_mode_16_64 3
		.amdhsa_dx10_clamp 1
		.amdhsa_ieee_mode 1
		.amdhsa_fp16_overflow 0
		.amdhsa_exception_fp_ieee_invalid_op 0
		.amdhsa_exception_fp_denorm_src 0
		.amdhsa_exception_fp_ieee_div_zero 0
		.amdhsa_exception_fp_ieee_overflow 0
		.amdhsa_exception_fp_ieee_underflow 0
		.amdhsa_exception_fp_ieee_inexact 0
		.amdhsa_exception_int_div_zero 0
	.end_amdhsa_kernel
	.section	.text._ZN7rocprim17ROCPRIM_400000_NS6detail17trampoline_kernelINS0_14default_configENS1_25partition_config_selectorILNS1_17partition_subalgoE8EdNS0_10empty_typeEbEEZZNS1_14partition_implILS5_8ELb0ES3_jN6thrust23THRUST_200600_302600_NS6detail15normal_iteratorINSA_10device_ptrIdEEEEPS6_PKS6_NS0_5tupleIJSF_S6_EEENSJ_IJSG_SG_EEENS0_18inequality_wrapperI22is_equal_div_10_uniqueIdEEEPmJS6_EEE10hipError_tPvRmT3_T4_T5_T6_T7_T9_mT8_P12ihipStream_tbDpT10_ENKUlT_T0_E_clISt17integral_constantIbLb1EES19_IbLb0EEEEDaS15_S16_EUlS15_E_NS1_11comp_targetILNS1_3genE8ELNS1_11target_archE1030ELNS1_3gpuE2ELNS1_3repE0EEENS1_30default_config_static_selectorELNS0_4arch9wavefront6targetE1EEEvT1_,"axG",@progbits,_ZN7rocprim17ROCPRIM_400000_NS6detail17trampoline_kernelINS0_14default_configENS1_25partition_config_selectorILNS1_17partition_subalgoE8EdNS0_10empty_typeEbEEZZNS1_14partition_implILS5_8ELb0ES3_jN6thrust23THRUST_200600_302600_NS6detail15normal_iteratorINSA_10device_ptrIdEEEEPS6_PKS6_NS0_5tupleIJSF_S6_EEENSJ_IJSG_SG_EEENS0_18inequality_wrapperI22is_equal_div_10_uniqueIdEEEPmJS6_EEE10hipError_tPvRmT3_T4_T5_T6_T7_T9_mT8_P12ihipStream_tbDpT10_ENKUlT_T0_E_clISt17integral_constantIbLb1EES19_IbLb0EEEEDaS15_S16_EUlS15_E_NS1_11comp_targetILNS1_3genE8ELNS1_11target_archE1030ELNS1_3gpuE2ELNS1_3repE0EEENS1_30default_config_static_selectorELNS0_4arch9wavefront6targetE1EEEvT1_,comdat
.Lfunc_end70:
	.size	_ZN7rocprim17ROCPRIM_400000_NS6detail17trampoline_kernelINS0_14default_configENS1_25partition_config_selectorILNS1_17partition_subalgoE8EdNS0_10empty_typeEbEEZZNS1_14partition_implILS5_8ELb0ES3_jN6thrust23THRUST_200600_302600_NS6detail15normal_iteratorINSA_10device_ptrIdEEEEPS6_PKS6_NS0_5tupleIJSF_S6_EEENSJ_IJSG_SG_EEENS0_18inequality_wrapperI22is_equal_div_10_uniqueIdEEEPmJS6_EEE10hipError_tPvRmT3_T4_T5_T6_T7_T9_mT8_P12ihipStream_tbDpT10_ENKUlT_T0_E_clISt17integral_constantIbLb1EES19_IbLb0EEEEDaS15_S16_EUlS15_E_NS1_11comp_targetILNS1_3genE8ELNS1_11target_archE1030ELNS1_3gpuE2ELNS1_3repE0EEENS1_30default_config_static_selectorELNS0_4arch9wavefront6targetE1EEEvT1_, .Lfunc_end70-_ZN7rocprim17ROCPRIM_400000_NS6detail17trampoline_kernelINS0_14default_configENS1_25partition_config_selectorILNS1_17partition_subalgoE8EdNS0_10empty_typeEbEEZZNS1_14partition_implILS5_8ELb0ES3_jN6thrust23THRUST_200600_302600_NS6detail15normal_iteratorINSA_10device_ptrIdEEEEPS6_PKS6_NS0_5tupleIJSF_S6_EEENSJ_IJSG_SG_EEENS0_18inequality_wrapperI22is_equal_div_10_uniqueIdEEEPmJS6_EEE10hipError_tPvRmT3_T4_T5_T6_T7_T9_mT8_P12ihipStream_tbDpT10_ENKUlT_T0_E_clISt17integral_constantIbLb1EES19_IbLb0EEEEDaS15_S16_EUlS15_E_NS1_11comp_targetILNS1_3genE8ELNS1_11target_archE1030ELNS1_3gpuE2ELNS1_3repE0EEENS1_30default_config_static_selectorELNS0_4arch9wavefront6targetE1EEEvT1_
                                        ; -- End function
	.set _ZN7rocprim17ROCPRIM_400000_NS6detail17trampoline_kernelINS0_14default_configENS1_25partition_config_selectorILNS1_17partition_subalgoE8EdNS0_10empty_typeEbEEZZNS1_14partition_implILS5_8ELb0ES3_jN6thrust23THRUST_200600_302600_NS6detail15normal_iteratorINSA_10device_ptrIdEEEEPS6_PKS6_NS0_5tupleIJSF_S6_EEENSJ_IJSG_SG_EEENS0_18inequality_wrapperI22is_equal_div_10_uniqueIdEEEPmJS6_EEE10hipError_tPvRmT3_T4_T5_T6_T7_T9_mT8_P12ihipStream_tbDpT10_ENKUlT_T0_E_clISt17integral_constantIbLb1EES19_IbLb0EEEEDaS15_S16_EUlS15_E_NS1_11comp_targetILNS1_3genE8ELNS1_11target_archE1030ELNS1_3gpuE2ELNS1_3repE0EEENS1_30default_config_static_selectorELNS0_4arch9wavefront6targetE1EEEvT1_.num_vgpr, 0
	.set _ZN7rocprim17ROCPRIM_400000_NS6detail17trampoline_kernelINS0_14default_configENS1_25partition_config_selectorILNS1_17partition_subalgoE8EdNS0_10empty_typeEbEEZZNS1_14partition_implILS5_8ELb0ES3_jN6thrust23THRUST_200600_302600_NS6detail15normal_iteratorINSA_10device_ptrIdEEEEPS6_PKS6_NS0_5tupleIJSF_S6_EEENSJ_IJSG_SG_EEENS0_18inequality_wrapperI22is_equal_div_10_uniqueIdEEEPmJS6_EEE10hipError_tPvRmT3_T4_T5_T6_T7_T9_mT8_P12ihipStream_tbDpT10_ENKUlT_T0_E_clISt17integral_constantIbLb1EES19_IbLb0EEEEDaS15_S16_EUlS15_E_NS1_11comp_targetILNS1_3genE8ELNS1_11target_archE1030ELNS1_3gpuE2ELNS1_3repE0EEENS1_30default_config_static_selectorELNS0_4arch9wavefront6targetE1EEEvT1_.num_agpr, 0
	.set _ZN7rocprim17ROCPRIM_400000_NS6detail17trampoline_kernelINS0_14default_configENS1_25partition_config_selectorILNS1_17partition_subalgoE8EdNS0_10empty_typeEbEEZZNS1_14partition_implILS5_8ELb0ES3_jN6thrust23THRUST_200600_302600_NS6detail15normal_iteratorINSA_10device_ptrIdEEEEPS6_PKS6_NS0_5tupleIJSF_S6_EEENSJ_IJSG_SG_EEENS0_18inequality_wrapperI22is_equal_div_10_uniqueIdEEEPmJS6_EEE10hipError_tPvRmT3_T4_T5_T6_T7_T9_mT8_P12ihipStream_tbDpT10_ENKUlT_T0_E_clISt17integral_constantIbLb1EES19_IbLb0EEEEDaS15_S16_EUlS15_E_NS1_11comp_targetILNS1_3genE8ELNS1_11target_archE1030ELNS1_3gpuE2ELNS1_3repE0EEENS1_30default_config_static_selectorELNS0_4arch9wavefront6targetE1EEEvT1_.numbered_sgpr, 0
	.set _ZN7rocprim17ROCPRIM_400000_NS6detail17trampoline_kernelINS0_14default_configENS1_25partition_config_selectorILNS1_17partition_subalgoE8EdNS0_10empty_typeEbEEZZNS1_14partition_implILS5_8ELb0ES3_jN6thrust23THRUST_200600_302600_NS6detail15normal_iteratorINSA_10device_ptrIdEEEEPS6_PKS6_NS0_5tupleIJSF_S6_EEENSJ_IJSG_SG_EEENS0_18inequality_wrapperI22is_equal_div_10_uniqueIdEEEPmJS6_EEE10hipError_tPvRmT3_T4_T5_T6_T7_T9_mT8_P12ihipStream_tbDpT10_ENKUlT_T0_E_clISt17integral_constantIbLb1EES19_IbLb0EEEEDaS15_S16_EUlS15_E_NS1_11comp_targetILNS1_3genE8ELNS1_11target_archE1030ELNS1_3gpuE2ELNS1_3repE0EEENS1_30default_config_static_selectorELNS0_4arch9wavefront6targetE1EEEvT1_.num_named_barrier, 0
	.set _ZN7rocprim17ROCPRIM_400000_NS6detail17trampoline_kernelINS0_14default_configENS1_25partition_config_selectorILNS1_17partition_subalgoE8EdNS0_10empty_typeEbEEZZNS1_14partition_implILS5_8ELb0ES3_jN6thrust23THRUST_200600_302600_NS6detail15normal_iteratorINSA_10device_ptrIdEEEEPS6_PKS6_NS0_5tupleIJSF_S6_EEENSJ_IJSG_SG_EEENS0_18inequality_wrapperI22is_equal_div_10_uniqueIdEEEPmJS6_EEE10hipError_tPvRmT3_T4_T5_T6_T7_T9_mT8_P12ihipStream_tbDpT10_ENKUlT_T0_E_clISt17integral_constantIbLb1EES19_IbLb0EEEEDaS15_S16_EUlS15_E_NS1_11comp_targetILNS1_3genE8ELNS1_11target_archE1030ELNS1_3gpuE2ELNS1_3repE0EEENS1_30default_config_static_selectorELNS0_4arch9wavefront6targetE1EEEvT1_.private_seg_size, 0
	.set _ZN7rocprim17ROCPRIM_400000_NS6detail17trampoline_kernelINS0_14default_configENS1_25partition_config_selectorILNS1_17partition_subalgoE8EdNS0_10empty_typeEbEEZZNS1_14partition_implILS5_8ELb0ES3_jN6thrust23THRUST_200600_302600_NS6detail15normal_iteratorINSA_10device_ptrIdEEEEPS6_PKS6_NS0_5tupleIJSF_S6_EEENSJ_IJSG_SG_EEENS0_18inequality_wrapperI22is_equal_div_10_uniqueIdEEEPmJS6_EEE10hipError_tPvRmT3_T4_T5_T6_T7_T9_mT8_P12ihipStream_tbDpT10_ENKUlT_T0_E_clISt17integral_constantIbLb1EES19_IbLb0EEEEDaS15_S16_EUlS15_E_NS1_11comp_targetILNS1_3genE8ELNS1_11target_archE1030ELNS1_3gpuE2ELNS1_3repE0EEENS1_30default_config_static_selectorELNS0_4arch9wavefront6targetE1EEEvT1_.uses_vcc, 0
	.set _ZN7rocprim17ROCPRIM_400000_NS6detail17trampoline_kernelINS0_14default_configENS1_25partition_config_selectorILNS1_17partition_subalgoE8EdNS0_10empty_typeEbEEZZNS1_14partition_implILS5_8ELb0ES3_jN6thrust23THRUST_200600_302600_NS6detail15normal_iteratorINSA_10device_ptrIdEEEEPS6_PKS6_NS0_5tupleIJSF_S6_EEENSJ_IJSG_SG_EEENS0_18inequality_wrapperI22is_equal_div_10_uniqueIdEEEPmJS6_EEE10hipError_tPvRmT3_T4_T5_T6_T7_T9_mT8_P12ihipStream_tbDpT10_ENKUlT_T0_E_clISt17integral_constantIbLb1EES19_IbLb0EEEEDaS15_S16_EUlS15_E_NS1_11comp_targetILNS1_3genE8ELNS1_11target_archE1030ELNS1_3gpuE2ELNS1_3repE0EEENS1_30default_config_static_selectorELNS0_4arch9wavefront6targetE1EEEvT1_.uses_flat_scratch, 0
	.set _ZN7rocprim17ROCPRIM_400000_NS6detail17trampoline_kernelINS0_14default_configENS1_25partition_config_selectorILNS1_17partition_subalgoE8EdNS0_10empty_typeEbEEZZNS1_14partition_implILS5_8ELb0ES3_jN6thrust23THRUST_200600_302600_NS6detail15normal_iteratorINSA_10device_ptrIdEEEEPS6_PKS6_NS0_5tupleIJSF_S6_EEENSJ_IJSG_SG_EEENS0_18inequality_wrapperI22is_equal_div_10_uniqueIdEEEPmJS6_EEE10hipError_tPvRmT3_T4_T5_T6_T7_T9_mT8_P12ihipStream_tbDpT10_ENKUlT_T0_E_clISt17integral_constantIbLb1EES19_IbLb0EEEEDaS15_S16_EUlS15_E_NS1_11comp_targetILNS1_3genE8ELNS1_11target_archE1030ELNS1_3gpuE2ELNS1_3repE0EEENS1_30default_config_static_selectorELNS0_4arch9wavefront6targetE1EEEvT1_.has_dyn_sized_stack, 0
	.set _ZN7rocprim17ROCPRIM_400000_NS6detail17trampoline_kernelINS0_14default_configENS1_25partition_config_selectorILNS1_17partition_subalgoE8EdNS0_10empty_typeEbEEZZNS1_14partition_implILS5_8ELb0ES3_jN6thrust23THRUST_200600_302600_NS6detail15normal_iteratorINSA_10device_ptrIdEEEEPS6_PKS6_NS0_5tupleIJSF_S6_EEENSJ_IJSG_SG_EEENS0_18inequality_wrapperI22is_equal_div_10_uniqueIdEEEPmJS6_EEE10hipError_tPvRmT3_T4_T5_T6_T7_T9_mT8_P12ihipStream_tbDpT10_ENKUlT_T0_E_clISt17integral_constantIbLb1EES19_IbLb0EEEEDaS15_S16_EUlS15_E_NS1_11comp_targetILNS1_3genE8ELNS1_11target_archE1030ELNS1_3gpuE2ELNS1_3repE0EEENS1_30default_config_static_selectorELNS0_4arch9wavefront6targetE1EEEvT1_.has_recursion, 0
	.set _ZN7rocprim17ROCPRIM_400000_NS6detail17trampoline_kernelINS0_14default_configENS1_25partition_config_selectorILNS1_17partition_subalgoE8EdNS0_10empty_typeEbEEZZNS1_14partition_implILS5_8ELb0ES3_jN6thrust23THRUST_200600_302600_NS6detail15normal_iteratorINSA_10device_ptrIdEEEEPS6_PKS6_NS0_5tupleIJSF_S6_EEENSJ_IJSG_SG_EEENS0_18inequality_wrapperI22is_equal_div_10_uniqueIdEEEPmJS6_EEE10hipError_tPvRmT3_T4_T5_T6_T7_T9_mT8_P12ihipStream_tbDpT10_ENKUlT_T0_E_clISt17integral_constantIbLb1EES19_IbLb0EEEEDaS15_S16_EUlS15_E_NS1_11comp_targetILNS1_3genE8ELNS1_11target_archE1030ELNS1_3gpuE2ELNS1_3repE0EEENS1_30default_config_static_selectorELNS0_4arch9wavefront6targetE1EEEvT1_.has_indirect_call, 0
	.section	.AMDGPU.csdata,"",@progbits
; Kernel info:
; codeLenInByte = 0
; TotalNumSgprs: 4
; NumVgprs: 0
; ScratchSize: 0
; MemoryBound: 0
; FloatMode: 240
; IeeeMode: 1
; LDSByteSize: 0 bytes/workgroup (compile time only)
; SGPRBlocks: 0
; VGPRBlocks: 0
; NumSGPRsForWavesPerEU: 4
; NumVGPRsForWavesPerEU: 1
; Occupancy: 10
; WaveLimiterHint : 0
; COMPUTE_PGM_RSRC2:SCRATCH_EN: 0
; COMPUTE_PGM_RSRC2:USER_SGPR: 6
; COMPUTE_PGM_RSRC2:TRAP_HANDLER: 0
; COMPUTE_PGM_RSRC2:TGID_X_EN: 1
; COMPUTE_PGM_RSRC2:TGID_Y_EN: 0
; COMPUTE_PGM_RSRC2:TGID_Z_EN: 0
; COMPUTE_PGM_RSRC2:TIDIG_COMP_CNT: 0
	.section	.text._ZN7rocprim17ROCPRIM_400000_NS6detail17trampoline_kernelINS0_14default_configENS1_25partition_config_selectorILNS1_17partition_subalgoE8EdNS0_10empty_typeEbEEZZNS1_14partition_implILS5_8ELb0ES3_jN6thrust23THRUST_200600_302600_NS6detail15normal_iteratorINSA_10device_ptrIdEEEEPS6_PKS6_NS0_5tupleIJSF_S6_EEENSJ_IJSG_SG_EEENS0_18inequality_wrapperI22is_equal_div_10_uniqueIdEEEPmJS6_EEE10hipError_tPvRmT3_T4_T5_T6_T7_T9_mT8_P12ihipStream_tbDpT10_ENKUlT_T0_E_clISt17integral_constantIbLb0EES19_IbLb1EEEEDaS15_S16_EUlS15_E_NS1_11comp_targetILNS1_3genE0ELNS1_11target_archE4294967295ELNS1_3gpuE0ELNS1_3repE0EEENS1_30default_config_static_selectorELNS0_4arch9wavefront6targetE1EEEvT1_,"axG",@progbits,_ZN7rocprim17ROCPRIM_400000_NS6detail17trampoline_kernelINS0_14default_configENS1_25partition_config_selectorILNS1_17partition_subalgoE8EdNS0_10empty_typeEbEEZZNS1_14partition_implILS5_8ELb0ES3_jN6thrust23THRUST_200600_302600_NS6detail15normal_iteratorINSA_10device_ptrIdEEEEPS6_PKS6_NS0_5tupleIJSF_S6_EEENSJ_IJSG_SG_EEENS0_18inequality_wrapperI22is_equal_div_10_uniqueIdEEEPmJS6_EEE10hipError_tPvRmT3_T4_T5_T6_T7_T9_mT8_P12ihipStream_tbDpT10_ENKUlT_T0_E_clISt17integral_constantIbLb0EES19_IbLb1EEEEDaS15_S16_EUlS15_E_NS1_11comp_targetILNS1_3genE0ELNS1_11target_archE4294967295ELNS1_3gpuE0ELNS1_3repE0EEENS1_30default_config_static_selectorELNS0_4arch9wavefront6targetE1EEEvT1_,comdat
	.protected	_ZN7rocprim17ROCPRIM_400000_NS6detail17trampoline_kernelINS0_14default_configENS1_25partition_config_selectorILNS1_17partition_subalgoE8EdNS0_10empty_typeEbEEZZNS1_14partition_implILS5_8ELb0ES3_jN6thrust23THRUST_200600_302600_NS6detail15normal_iteratorINSA_10device_ptrIdEEEEPS6_PKS6_NS0_5tupleIJSF_S6_EEENSJ_IJSG_SG_EEENS0_18inequality_wrapperI22is_equal_div_10_uniqueIdEEEPmJS6_EEE10hipError_tPvRmT3_T4_T5_T6_T7_T9_mT8_P12ihipStream_tbDpT10_ENKUlT_T0_E_clISt17integral_constantIbLb0EES19_IbLb1EEEEDaS15_S16_EUlS15_E_NS1_11comp_targetILNS1_3genE0ELNS1_11target_archE4294967295ELNS1_3gpuE0ELNS1_3repE0EEENS1_30default_config_static_selectorELNS0_4arch9wavefront6targetE1EEEvT1_ ; -- Begin function _ZN7rocprim17ROCPRIM_400000_NS6detail17trampoline_kernelINS0_14default_configENS1_25partition_config_selectorILNS1_17partition_subalgoE8EdNS0_10empty_typeEbEEZZNS1_14partition_implILS5_8ELb0ES3_jN6thrust23THRUST_200600_302600_NS6detail15normal_iteratorINSA_10device_ptrIdEEEEPS6_PKS6_NS0_5tupleIJSF_S6_EEENSJ_IJSG_SG_EEENS0_18inequality_wrapperI22is_equal_div_10_uniqueIdEEEPmJS6_EEE10hipError_tPvRmT3_T4_T5_T6_T7_T9_mT8_P12ihipStream_tbDpT10_ENKUlT_T0_E_clISt17integral_constantIbLb0EES19_IbLb1EEEEDaS15_S16_EUlS15_E_NS1_11comp_targetILNS1_3genE0ELNS1_11target_archE4294967295ELNS1_3gpuE0ELNS1_3repE0EEENS1_30default_config_static_selectorELNS0_4arch9wavefront6targetE1EEEvT1_
	.globl	_ZN7rocprim17ROCPRIM_400000_NS6detail17trampoline_kernelINS0_14default_configENS1_25partition_config_selectorILNS1_17partition_subalgoE8EdNS0_10empty_typeEbEEZZNS1_14partition_implILS5_8ELb0ES3_jN6thrust23THRUST_200600_302600_NS6detail15normal_iteratorINSA_10device_ptrIdEEEEPS6_PKS6_NS0_5tupleIJSF_S6_EEENSJ_IJSG_SG_EEENS0_18inequality_wrapperI22is_equal_div_10_uniqueIdEEEPmJS6_EEE10hipError_tPvRmT3_T4_T5_T6_T7_T9_mT8_P12ihipStream_tbDpT10_ENKUlT_T0_E_clISt17integral_constantIbLb0EES19_IbLb1EEEEDaS15_S16_EUlS15_E_NS1_11comp_targetILNS1_3genE0ELNS1_11target_archE4294967295ELNS1_3gpuE0ELNS1_3repE0EEENS1_30default_config_static_selectorELNS0_4arch9wavefront6targetE1EEEvT1_
	.p2align	8
	.type	_ZN7rocprim17ROCPRIM_400000_NS6detail17trampoline_kernelINS0_14default_configENS1_25partition_config_selectorILNS1_17partition_subalgoE8EdNS0_10empty_typeEbEEZZNS1_14partition_implILS5_8ELb0ES3_jN6thrust23THRUST_200600_302600_NS6detail15normal_iteratorINSA_10device_ptrIdEEEEPS6_PKS6_NS0_5tupleIJSF_S6_EEENSJ_IJSG_SG_EEENS0_18inequality_wrapperI22is_equal_div_10_uniqueIdEEEPmJS6_EEE10hipError_tPvRmT3_T4_T5_T6_T7_T9_mT8_P12ihipStream_tbDpT10_ENKUlT_T0_E_clISt17integral_constantIbLb0EES19_IbLb1EEEEDaS15_S16_EUlS15_E_NS1_11comp_targetILNS1_3genE0ELNS1_11target_archE4294967295ELNS1_3gpuE0ELNS1_3repE0EEENS1_30default_config_static_selectorELNS0_4arch9wavefront6targetE1EEEvT1_,@function
_ZN7rocprim17ROCPRIM_400000_NS6detail17trampoline_kernelINS0_14default_configENS1_25partition_config_selectorILNS1_17partition_subalgoE8EdNS0_10empty_typeEbEEZZNS1_14partition_implILS5_8ELb0ES3_jN6thrust23THRUST_200600_302600_NS6detail15normal_iteratorINSA_10device_ptrIdEEEEPS6_PKS6_NS0_5tupleIJSF_S6_EEENSJ_IJSG_SG_EEENS0_18inequality_wrapperI22is_equal_div_10_uniqueIdEEEPmJS6_EEE10hipError_tPvRmT3_T4_T5_T6_T7_T9_mT8_P12ihipStream_tbDpT10_ENKUlT_T0_E_clISt17integral_constantIbLb0EES19_IbLb1EEEEDaS15_S16_EUlS15_E_NS1_11comp_targetILNS1_3genE0ELNS1_11target_archE4294967295ELNS1_3gpuE0ELNS1_3repE0EEENS1_30default_config_static_selectorELNS0_4arch9wavefront6targetE1EEEvT1_: ; @_ZN7rocprim17ROCPRIM_400000_NS6detail17trampoline_kernelINS0_14default_configENS1_25partition_config_selectorILNS1_17partition_subalgoE8EdNS0_10empty_typeEbEEZZNS1_14partition_implILS5_8ELb0ES3_jN6thrust23THRUST_200600_302600_NS6detail15normal_iteratorINSA_10device_ptrIdEEEEPS6_PKS6_NS0_5tupleIJSF_S6_EEENSJ_IJSG_SG_EEENS0_18inequality_wrapperI22is_equal_div_10_uniqueIdEEEPmJS6_EEE10hipError_tPvRmT3_T4_T5_T6_T7_T9_mT8_P12ihipStream_tbDpT10_ENKUlT_T0_E_clISt17integral_constantIbLb0EES19_IbLb1EEEEDaS15_S16_EUlS15_E_NS1_11comp_targetILNS1_3genE0ELNS1_11target_archE4294967295ELNS1_3gpuE0ELNS1_3repE0EEENS1_30default_config_static_selectorELNS0_4arch9wavefront6targetE1EEEvT1_
; %bb.0:
	.section	.rodata,"a",@progbits
	.p2align	6, 0x0
	.amdhsa_kernel _ZN7rocprim17ROCPRIM_400000_NS6detail17trampoline_kernelINS0_14default_configENS1_25partition_config_selectorILNS1_17partition_subalgoE8EdNS0_10empty_typeEbEEZZNS1_14partition_implILS5_8ELb0ES3_jN6thrust23THRUST_200600_302600_NS6detail15normal_iteratorINSA_10device_ptrIdEEEEPS6_PKS6_NS0_5tupleIJSF_S6_EEENSJ_IJSG_SG_EEENS0_18inequality_wrapperI22is_equal_div_10_uniqueIdEEEPmJS6_EEE10hipError_tPvRmT3_T4_T5_T6_T7_T9_mT8_P12ihipStream_tbDpT10_ENKUlT_T0_E_clISt17integral_constantIbLb0EES19_IbLb1EEEEDaS15_S16_EUlS15_E_NS1_11comp_targetILNS1_3genE0ELNS1_11target_archE4294967295ELNS1_3gpuE0ELNS1_3repE0EEENS1_30default_config_static_selectorELNS0_4arch9wavefront6targetE1EEEvT1_
		.amdhsa_group_segment_fixed_size 0
		.amdhsa_private_segment_fixed_size 0
		.amdhsa_kernarg_size 128
		.amdhsa_user_sgpr_count 6
		.amdhsa_user_sgpr_private_segment_buffer 1
		.amdhsa_user_sgpr_dispatch_ptr 0
		.amdhsa_user_sgpr_queue_ptr 0
		.amdhsa_user_sgpr_kernarg_segment_ptr 1
		.amdhsa_user_sgpr_dispatch_id 0
		.amdhsa_user_sgpr_flat_scratch_init 0
		.amdhsa_user_sgpr_private_segment_size 0
		.amdhsa_uses_dynamic_stack 0
		.amdhsa_system_sgpr_private_segment_wavefront_offset 0
		.amdhsa_system_sgpr_workgroup_id_x 1
		.amdhsa_system_sgpr_workgroup_id_y 0
		.amdhsa_system_sgpr_workgroup_id_z 0
		.amdhsa_system_sgpr_workgroup_info 0
		.amdhsa_system_vgpr_workitem_id 0
		.amdhsa_next_free_vgpr 1
		.amdhsa_next_free_sgpr 0
		.amdhsa_reserve_vcc 0
		.amdhsa_reserve_flat_scratch 0
		.amdhsa_float_round_mode_32 0
		.amdhsa_float_round_mode_16_64 0
		.amdhsa_float_denorm_mode_32 3
		.amdhsa_float_denorm_mode_16_64 3
		.amdhsa_dx10_clamp 1
		.amdhsa_ieee_mode 1
		.amdhsa_fp16_overflow 0
		.amdhsa_exception_fp_ieee_invalid_op 0
		.amdhsa_exception_fp_denorm_src 0
		.amdhsa_exception_fp_ieee_div_zero 0
		.amdhsa_exception_fp_ieee_overflow 0
		.amdhsa_exception_fp_ieee_underflow 0
		.amdhsa_exception_fp_ieee_inexact 0
		.amdhsa_exception_int_div_zero 0
	.end_amdhsa_kernel
	.section	.text._ZN7rocprim17ROCPRIM_400000_NS6detail17trampoline_kernelINS0_14default_configENS1_25partition_config_selectorILNS1_17partition_subalgoE8EdNS0_10empty_typeEbEEZZNS1_14partition_implILS5_8ELb0ES3_jN6thrust23THRUST_200600_302600_NS6detail15normal_iteratorINSA_10device_ptrIdEEEEPS6_PKS6_NS0_5tupleIJSF_S6_EEENSJ_IJSG_SG_EEENS0_18inequality_wrapperI22is_equal_div_10_uniqueIdEEEPmJS6_EEE10hipError_tPvRmT3_T4_T5_T6_T7_T9_mT8_P12ihipStream_tbDpT10_ENKUlT_T0_E_clISt17integral_constantIbLb0EES19_IbLb1EEEEDaS15_S16_EUlS15_E_NS1_11comp_targetILNS1_3genE0ELNS1_11target_archE4294967295ELNS1_3gpuE0ELNS1_3repE0EEENS1_30default_config_static_selectorELNS0_4arch9wavefront6targetE1EEEvT1_,"axG",@progbits,_ZN7rocprim17ROCPRIM_400000_NS6detail17trampoline_kernelINS0_14default_configENS1_25partition_config_selectorILNS1_17partition_subalgoE8EdNS0_10empty_typeEbEEZZNS1_14partition_implILS5_8ELb0ES3_jN6thrust23THRUST_200600_302600_NS6detail15normal_iteratorINSA_10device_ptrIdEEEEPS6_PKS6_NS0_5tupleIJSF_S6_EEENSJ_IJSG_SG_EEENS0_18inequality_wrapperI22is_equal_div_10_uniqueIdEEEPmJS6_EEE10hipError_tPvRmT3_T4_T5_T6_T7_T9_mT8_P12ihipStream_tbDpT10_ENKUlT_T0_E_clISt17integral_constantIbLb0EES19_IbLb1EEEEDaS15_S16_EUlS15_E_NS1_11comp_targetILNS1_3genE0ELNS1_11target_archE4294967295ELNS1_3gpuE0ELNS1_3repE0EEENS1_30default_config_static_selectorELNS0_4arch9wavefront6targetE1EEEvT1_,comdat
.Lfunc_end71:
	.size	_ZN7rocprim17ROCPRIM_400000_NS6detail17trampoline_kernelINS0_14default_configENS1_25partition_config_selectorILNS1_17partition_subalgoE8EdNS0_10empty_typeEbEEZZNS1_14partition_implILS5_8ELb0ES3_jN6thrust23THRUST_200600_302600_NS6detail15normal_iteratorINSA_10device_ptrIdEEEEPS6_PKS6_NS0_5tupleIJSF_S6_EEENSJ_IJSG_SG_EEENS0_18inequality_wrapperI22is_equal_div_10_uniqueIdEEEPmJS6_EEE10hipError_tPvRmT3_T4_T5_T6_T7_T9_mT8_P12ihipStream_tbDpT10_ENKUlT_T0_E_clISt17integral_constantIbLb0EES19_IbLb1EEEEDaS15_S16_EUlS15_E_NS1_11comp_targetILNS1_3genE0ELNS1_11target_archE4294967295ELNS1_3gpuE0ELNS1_3repE0EEENS1_30default_config_static_selectorELNS0_4arch9wavefront6targetE1EEEvT1_, .Lfunc_end71-_ZN7rocprim17ROCPRIM_400000_NS6detail17trampoline_kernelINS0_14default_configENS1_25partition_config_selectorILNS1_17partition_subalgoE8EdNS0_10empty_typeEbEEZZNS1_14partition_implILS5_8ELb0ES3_jN6thrust23THRUST_200600_302600_NS6detail15normal_iteratorINSA_10device_ptrIdEEEEPS6_PKS6_NS0_5tupleIJSF_S6_EEENSJ_IJSG_SG_EEENS0_18inequality_wrapperI22is_equal_div_10_uniqueIdEEEPmJS6_EEE10hipError_tPvRmT3_T4_T5_T6_T7_T9_mT8_P12ihipStream_tbDpT10_ENKUlT_T0_E_clISt17integral_constantIbLb0EES19_IbLb1EEEEDaS15_S16_EUlS15_E_NS1_11comp_targetILNS1_3genE0ELNS1_11target_archE4294967295ELNS1_3gpuE0ELNS1_3repE0EEENS1_30default_config_static_selectorELNS0_4arch9wavefront6targetE1EEEvT1_
                                        ; -- End function
	.set _ZN7rocprim17ROCPRIM_400000_NS6detail17trampoline_kernelINS0_14default_configENS1_25partition_config_selectorILNS1_17partition_subalgoE8EdNS0_10empty_typeEbEEZZNS1_14partition_implILS5_8ELb0ES3_jN6thrust23THRUST_200600_302600_NS6detail15normal_iteratorINSA_10device_ptrIdEEEEPS6_PKS6_NS0_5tupleIJSF_S6_EEENSJ_IJSG_SG_EEENS0_18inequality_wrapperI22is_equal_div_10_uniqueIdEEEPmJS6_EEE10hipError_tPvRmT3_T4_T5_T6_T7_T9_mT8_P12ihipStream_tbDpT10_ENKUlT_T0_E_clISt17integral_constantIbLb0EES19_IbLb1EEEEDaS15_S16_EUlS15_E_NS1_11comp_targetILNS1_3genE0ELNS1_11target_archE4294967295ELNS1_3gpuE0ELNS1_3repE0EEENS1_30default_config_static_selectorELNS0_4arch9wavefront6targetE1EEEvT1_.num_vgpr, 0
	.set _ZN7rocprim17ROCPRIM_400000_NS6detail17trampoline_kernelINS0_14default_configENS1_25partition_config_selectorILNS1_17partition_subalgoE8EdNS0_10empty_typeEbEEZZNS1_14partition_implILS5_8ELb0ES3_jN6thrust23THRUST_200600_302600_NS6detail15normal_iteratorINSA_10device_ptrIdEEEEPS6_PKS6_NS0_5tupleIJSF_S6_EEENSJ_IJSG_SG_EEENS0_18inequality_wrapperI22is_equal_div_10_uniqueIdEEEPmJS6_EEE10hipError_tPvRmT3_T4_T5_T6_T7_T9_mT8_P12ihipStream_tbDpT10_ENKUlT_T0_E_clISt17integral_constantIbLb0EES19_IbLb1EEEEDaS15_S16_EUlS15_E_NS1_11comp_targetILNS1_3genE0ELNS1_11target_archE4294967295ELNS1_3gpuE0ELNS1_3repE0EEENS1_30default_config_static_selectorELNS0_4arch9wavefront6targetE1EEEvT1_.num_agpr, 0
	.set _ZN7rocprim17ROCPRIM_400000_NS6detail17trampoline_kernelINS0_14default_configENS1_25partition_config_selectorILNS1_17partition_subalgoE8EdNS0_10empty_typeEbEEZZNS1_14partition_implILS5_8ELb0ES3_jN6thrust23THRUST_200600_302600_NS6detail15normal_iteratorINSA_10device_ptrIdEEEEPS6_PKS6_NS0_5tupleIJSF_S6_EEENSJ_IJSG_SG_EEENS0_18inequality_wrapperI22is_equal_div_10_uniqueIdEEEPmJS6_EEE10hipError_tPvRmT3_T4_T5_T6_T7_T9_mT8_P12ihipStream_tbDpT10_ENKUlT_T0_E_clISt17integral_constantIbLb0EES19_IbLb1EEEEDaS15_S16_EUlS15_E_NS1_11comp_targetILNS1_3genE0ELNS1_11target_archE4294967295ELNS1_3gpuE0ELNS1_3repE0EEENS1_30default_config_static_selectorELNS0_4arch9wavefront6targetE1EEEvT1_.numbered_sgpr, 0
	.set _ZN7rocprim17ROCPRIM_400000_NS6detail17trampoline_kernelINS0_14default_configENS1_25partition_config_selectorILNS1_17partition_subalgoE8EdNS0_10empty_typeEbEEZZNS1_14partition_implILS5_8ELb0ES3_jN6thrust23THRUST_200600_302600_NS6detail15normal_iteratorINSA_10device_ptrIdEEEEPS6_PKS6_NS0_5tupleIJSF_S6_EEENSJ_IJSG_SG_EEENS0_18inequality_wrapperI22is_equal_div_10_uniqueIdEEEPmJS6_EEE10hipError_tPvRmT3_T4_T5_T6_T7_T9_mT8_P12ihipStream_tbDpT10_ENKUlT_T0_E_clISt17integral_constantIbLb0EES19_IbLb1EEEEDaS15_S16_EUlS15_E_NS1_11comp_targetILNS1_3genE0ELNS1_11target_archE4294967295ELNS1_3gpuE0ELNS1_3repE0EEENS1_30default_config_static_selectorELNS0_4arch9wavefront6targetE1EEEvT1_.num_named_barrier, 0
	.set _ZN7rocprim17ROCPRIM_400000_NS6detail17trampoline_kernelINS0_14default_configENS1_25partition_config_selectorILNS1_17partition_subalgoE8EdNS0_10empty_typeEbEEZZNS1_14partition_implILS5_8ELb0ES3_jN6thrust23THRUST_200600_302600_NS6detail15normal_iteratorINSA_10device_ptrIdEEEEPS6_PKS6_NS0_5tupleIJSF_S6_EEENSJ_IJSG_SG_EEENS0_18inequality_wrapperI22is_equal_div_10_uniqueIdEEEPmJS6_EEE10hipError_tPvRmT3_T4_T5_T6_T7_T9_mT8_P12ihipStream_tbDpT10_ENKUlT_T0_E_clISt17integral_constantIbLb0EES19_IbLb1EEEEDaS15_S16_EUlS15_E_NS1_11comp_targetILNS1_3genE0ELNS1_11target_archE4294967295ELNS1_3gpuE0ELNS1_3repE0EEENS1_30default_config_static_selectorELNS0_4arch9wavefront6targetE1EEEvT1_.private_seg_size, 0
	.set _ZN7rocprim17ROCPRIM_400000_NS6detail17trampoline_kernelINS0_14default_configENS1_25partition_config_selectorILNS1_17partition_subalgoE8EdNS0_10empty_typeEbEEZZNS1_14partition_implILS5_8ELb0ES3_jN6thrust23THRUST_200600_302600_NS6detail15normal_iteratorINSA_10device_ptrIdEEEEPS6_PKS6_NS0_5tupleIJSF_S6_EEENSJ_IJSG_SG_EEENS0_18inequality_wrapperI22is_equal_div_10_uniqueIdEEEPmJS6_EEE10hipError_tPvRmT3_T4_T5_T6_T7_T9_mT8_P12ihipStream_tbDpT10_ENKUlT_T0_E_clISt17integral_constantIbLb0EES19_IbLb1EEEEDaS15_S16_EUlS15_E_NS1_11comp_targetILNS1_3genE0ELNS1_11target_archE4294967295ELNS1_3gpuE0ELNS1_3repE0EEENS1_30default_config_static_selectorELNS0_4arch9wavefront6targetE1EEEvT1_.uses_vcc, 0
	.set _ZN7rocprim17ROCPRIM_400000_NS6detail17trampoline_kernelINS0_14default_configENS1_25partition_config_selectorILNS1_17partition_subalgoE8EdNS0_10empty_typeEbEEZZNS1_14partition_implILS5_8ELb0ES3_jN6thrust23THRUST_200600_302600_NS6detail15normal_iteratorINSA_10device_ptrIdEEEEPS6_PKS6_NS0_5tupleIJSF_S6_EEENSJ_IJSG_SG_EEENS0_18inequality_wrapperI22is_equal_div_10_uniqueIdEEEPmJS6_EEE10hipError_tPvRmT3_T4_T5_T6_T7_T9_mT8_P12ihipStream_tbDpT10_ENKUlT_T0_E_clISt17integral_constantIbLb0EES19_IbLb1EEEEDaS15_S16_EUlS15_E_NS1_11comp_targetILNS1_3genE0ELNS1_11target_archE4294967295ELNS1_3gpuE0ELNS1_3repE0EEENS1_30default_config_static_selectorELNS0_4arch9wavefront6targetE1EEEvT1_.uses_flat_scratch, 0
	.set _ZN7rocprim17ROCPRIM_400000_NS6detail17trampoline_kernelINS0_14default_configENS1_25partition_config_selectorILNS1_17partition_subalgoE8EdNS0_10empty_typeEbEEZZNS1_14partition_implILS5_8ELb0ES3_jN6thrust23THRUST_200600_302600_NS6detail15normal_iteratorINSA_10device_ptrIdEEEEPS6_PKS6_NS0_5tupleIJSF_S6_EEENSJ_IJSG_SG_EEENS0_18inequality_wrapperI22is_equal_div_10_uniqueIdEEEPmJS6_EEE10hipError_tPvRmT3_T4_T5_T6_T7_T9_mT8_P12ihipStream_tbDpT10_ENKUlT_T0_E_clISt17integral_constantIbLb0EES19_IbLb1EEEEDaS15_S16_EUlS15_E_NS1_11comp_targetILNS1_3genE0ELNS1_11target_archE4294967295ELNS1_3gpuE0ELNS1_3repE0EEENS1_30default_config_static_selectorELNS0_4arch9wavefront6targetE1EEEvT1_.has_dyn_sized_stack, 0
	.set _ZN7rocprim17ROCPRIM_400000_NS6detail17trampoline_kernelINS0_14default_configENS1_25partition_config_selectorILNS1_17partition_subalgoE8EdNS0_10empty_typeEbEEZZNS1_14partition_implILS5_8ELb0ES3_jN6thrust23THRUST_200600_302600_NS6detail15normal_iteratorINSA_10device_ptrIdEEEEPS6_PKS6_NS0_5tupleIJSF_S6_EEENSJ_IJSG_SG_EEENS0_18inequality_wrapperI22is_equal_div_10_uniqueIdEEEPmJS6_EEE10hipError_tPvRmT3_T4_T5_T6_T7_T9_mT8_P12ihipStream_tbDpT10_ENKUlT_T0_E_clISt17integral_constantIbLb0EES19_IbLb1EEEEDaS15_S16_EUlS15_E_NS1_11comp_targetILNS1_3genE0ELNS1_11target_archE4294967295ELNS1_3gpuE0ELNS1_3repE0EEENS1_30default_config_static_selectorELNS0_4arch9wavefront6targetE1EEEvT1_.has_recursion, 0
	.set _ZN7rocprim17ROCPRIM_400000_NS6detail17trampoline_kernelINS0_14default_configENS1_25partition_config_selectorILNS1_17partition_subalgoE8EdNS0_10empty_typeEbEEZZNS1_14partition_implILS5_8ELb0ES3_jN6thrust23THRUST_200600_302600_NS6detail15normal_iteratorINSA_10device_ptrIdEEEEPS6_PKS6_NS0_5tupleIJSF_S6_EEENSJ_IJSG_SG_EEENS0_18inequality_wrapperI22is_equal_div_10_uniqueIdEEEPmJS6_EEE10hipError_tPvRmT3_T4_T5_T6_T7_T9_mT8_P12ihipStream_tbDpT10_ENKUlT_T0_E_clISt17integral_constantIbLb0EES19_IbLb1EEEEDaS15_S16_EUlS15_E_NS1_11comp_targetILNS1_3genE0ELNS1_11target_archE4294967295ELNS1_3gpuE0ELNS1_3repE0EEENS1_30default_config_static_selectorELNS0_4arch9wavefront6targetE1EEEvT1_.has_indirect_call, 0
	.section	.AMDGPU.csdata,"",@progbits
; Kernel info:
; codeLenInByte = 0
; TotalNumSgprs: 4
; NumVgprs: 0
; ScratchSize: 0
; MemoryBound: 0
; FloatMode: 240
; IeeeMode: 1
; LDSByteSize: 0 bytes/workgroup (compile time only)
; SGPRBlocks: 0
; VGPRBlocks: 0
; NumSGPRsForWavesPerEU: 4
; NumVGPRsForWavesPerEU: 1
; Occupancy: 10
; WaveLimiterHint : 0
; COMPUTE_PGM_RSRC2:SCRATCH_EN: 0
; COMPUTE_PGM_RSRC2:USER_SGPR: 6
; COMPUTE_PGM_RSRC2:TRAP_HANDLER: 0
; COMPUTE_PGM_RSRC2:TGID_X_EN: 1
; COMPUTE_PGM_RSRC2:TGID_Y_EN: 0
; COMPUTE_PGM_RSRC2:TGID_Z_EN: 0
; COMPUTE_PGM_RSRC2:TIDIG_COMP_CNT: 0
	.section	.text._ZN7rocprim17ROCPRIM_400000_NS6detail17trampoline_kernelINS0_14default_configENS1_25partition_config_selectorILNS1_17partition_subalgoE8EdNS0_10empty_typeEbEEZZNS1_14partition_implILS5_8ELb0ES3_jN6thrust23THRUST_200600_302600_NS6detail15normal_iteratorINSA_10device_ptrIdEEEEPS6_PKS6_NS0_5tupleIJSF_S6_EEENSJ_IJSG_SG_EEENS0_18inequality_wrapperI22is_equal_div_10_uniqueIdEEEPmJS6_EEE10hipError_tPvRmT3_T4_T5_T6_T7_T9_mT8_P12ihipStream_tbDpT10_ENKUlT_T0_E_clISt17integral_constantIbLb0EES19_IbLb1EEEEDaS15_S16_EUlS15_E_NS1_11comp_targetILNS1_3genE5ELNS1_11target_archE942ELNS1_3gpuE9ELNS1_3repE0EEENS1_30default_config_static_selectorELNS0_4arch9wavefront6targetE1EEEvT1_,"axG",@progbits,_ZN7rocprim17ROCPRIM_400000_NS6detail17trampoline_kernelINS0_14default_configENS1_25partition_config_selectorILNS1_17partition_subalgoE8EdNS0_10empty_typeEbEEZZNS1_14partition_implILS5_8ELb0ES3_jN6thrust23THRUST_200600_302600_NS6detail15normal_iteratorINSA_10device_ptrIdEEEEPS6_PKS6_NS0_5tupleIJSF_S6_EEENSJ_IJSG_SG_EEENS0_18inequality_wrapperI22is_equal_div_10_uniqueIdEEEPmJS6_EEE10hipError_tPvRmT3_T4_T5_T6_T7_T9_mT8_P12ihipStream_tbDpT10_ENKUlT_T0_E_clISt17integral_constantIbLb0EES19_IbLb1EEEEDaS15_S16_EUlS15_E_NS1_11comp_targetILNS1_3genE5ELNS1_11target_archE942ELNS1_3gpuE9ELNS1_3repE0EEENS1_30default_config_static_selectorELNS0_4arch9wavefront6targetE1EEEvT1_,comdat
	.protected	_ZN7rocprim17ROCPRIM_400000_NS6detail17trampoline_kernelINS0_14default_configENS1_25partition_config_selectorILNS1_17partition_subalgoE8EdNS0_10empty_typeEbEEZZNS1_14partition_implILS5_8ELb0ES3_jN6thrust23THRUST_200600_302600_NS6detail15normal_iteratorINSA_10device_ptrIdEEEEPS6_PKS6_NS0_5tupleIJSF_S6_EEENSJ_IJSG_SG_EEENS0_18inequality_wrapperI22is_equal_div_10_uniqueIdEEEPmJS6_EEE10hipError_tPvRmT3_T4_T5_T6_T7_T9_mT8_P12ihipStream_tbDpT10_ENKUlT_T0_E_clISt17integral_constantIbLb0EES19_IbLb1EEEEDaS15_S16_EUlS15_E_NS1_11comp_targetILNS1_3genE5ELNS1_11target_archE942ELNS1_3gpuE9ELNS1_3repE0EEENS1_30default_config_static_selectorELNS0_4arch9wavefront6targetE1EEEvT1_ ; -- Begin function _ZN7rocprim17ROCPRIM_400000_NS6detail17trampoline_kernelINS0_14default_configENS1_25partition_config_selectorILNS1_17partition_subalgoE8EdNS0_10empty_typeEbEEZZNS1_14partition_implILS5_8ELb0ES3_jN6thrust23THRUST_200600_302600_NS6detail15normal_iteratorINSA_10device_ptrIdEEEEPS6_PKS6_NS0_5tupleIJSF_S6_EEENSJ_IJSG_SG_EEENS0_18inequality_wrapperI22is_equal_div_10_uniqueIdEEEPmJS6_EEE10hipError_tPvRmT3_T4_T5_T6_T7_T9_mT8_P12ihipStream_tbDpT10_ENKUlT_T0_E_clISt17integral_constantIbLb0EES19_IbLb1EEEEDaS15_S16_EUlS15_E_NS1_11comp_targetILNS1_3genE5ELNS1_11target_archE942ELNS1_3gpuE9ELNS1_3repE0EEENS1_30default_config_static_selectorELNS0_4arch9wavefront6targetE1EEEvT1_
	.globl	_ZN7rocprim17ROCPRIM_400000_NS6detail17trampoline_kernelINS0_14default_configENS1_25partition_config_selectorILNS1_17partition_subalgoE8EdNS0_10empty_typeEbEEZZNS1_14partition_implILS5_8ELb0ES3_jN6thrust23THRUST_200600_302600_NS6detail15normal_iteratorINSA_10device_ptrIdEEEEPS6_PKS6_NS0_5tupleIJSF_S6_EEENSJ_IJSG_SG_EEENS0_18inequality_wrapperI22is_equal_div_10_uniqueIdEEEPmJS6_EEE10hipError_tPvRmT3_T4_T5_T6_T7_T9_mT8_P12ihipStream_tbDpT10_ENKUlT_T0_E_clISt17integral_constantIbLb0EES19_IbLb1EEEEDaS15_S16_EUlS15_E_NS1_11comp_targetILNS1_3genE5ELNS1_11target_archE942ELNS1_3gpuE9ELNS1_3repE0EEENS1_30default_config_static_selectorELNS0_4arch9wavefront6targetE1EEEvT1_
	.p2align	8
	.type	_ZN7rocprim17ROCPRIM_400000_NS6detail17trampoline_kernelINS0_14default_configENS1_25partition_config_selectorILNS1_17partition_subalgoE8EdNS0_10empty_typeEbEEZZNS1_14partition_implILS5_8ELb0ES3_jN6thrust23THRUST_200600_302600_NS6detail15normal_iteratorINSA_10device_ptrIdEEEEPS6_PKS6_NS0_5tupleIJSF_S6_EEENSJ_IJSG_SG_EEENS0_18inequality_wrapperI22is_equal_div_10_uniqueIdEEEPmJS6_EEE10hipError_tPvRmT3_T4_T5_T6_T7_T9_mT8_P12ihipStream_tbDpT10_ENKUlT_T0_E_clISt17integral_constantIbLb0EES19_IbLb1EEEEDaS15_S16_EUlS15_E_NS1_11comp_targetILNS1_3genE5ELNS1_11target_archE942ELNS1_3gpuE9ELNS1_3repE0EEENS1_30default_config_static_selectorELNS0_4arch9wavefront6targetE1EEEvT1_,@function
_ZN7rocprim17ROCPRIM_400000_NS6detail17trampoline_kernelINS0_14default_configENS1_25partition_config_selectorILNS1_17partition_subalgoE8EdNS0_10empty_typeEbEEZZNS1_14partition_implILS5_8ELb0ES3_jN6thrust23THRUST_200600_302600_NS6detail15normal_iteratorINSA_10device_ptrIdEEEEPS6_PKS6_NS0_5tupleIJSF_S6_EEENSJ_IJSG_SG_EEENS0_18inequality_wrapperI22is_equal_div_10_uniqueIdEEEPmJS6_EEE10hipError_tPvRmT3_T4_T5_T6_T7_T9_mT8_P12ihipStream_tbDpT10_ENKUlT_T0_E_clISt17integral_constantIbLb0EES19_IbLb1EEEEDaS15_S16_EUlS15_E_NS1_11comp_targetILNS1_3genE5ELNS1_11target_archE942ELNS1_3gpuE9ELNS1_3repE0EEENS1_30default_config_static_selectorELNS0_4arch9wavefront6targetE1EEEvT1_: ; @_ZN7rocprim17ROCPRIM_400000_NS6detail17trampoline_kernelINS0_14default_configENS1_25partition_config_selectorILNS1_17partition_subalgoE8EdNS0_10empty_typeEbEEZZNS1_14partition_implILS5_8ELb0ES3_jN6thrust23THRUST_200600_302600_NS6detail15normal_iteratorINSA_10device_ptrIdEEEEPS6_PKS6_NS0_5tupleIJSF_S6_EEENSJ_IJSG_SG_EEENS0_18inequality_wrapperI22is_equal_div_10_uniqueIdEEEPmJS6_EEE10hipError_tPvRmT3_T4_T5_T6_T7_T9_mT8_P12ihipStream_tbDpT10_ENKUlT_T0_E_clISt17integral_constantIbLb0EES19_IbLb1EEEEDaS15_S16_EUlS15_E_NS1_11comp_targetILNS1_3genE5ELNS1_11target_archE942ELNS1_3gpuE9ELNS1_3repE0EEENS1_30default_config_static_selectorELNS0_4arch9wavefront6targetE1EEEvT1_
; %bb.0:
	.section	.rodata,"a",@progbits
	.p2align	6, 0x0
	.amdhsa_kernel _ZN7rocprim17ROCPRIM_400000_NS6detail17trampoline_kernelINS0_14default_configENS1_25partition_config_selectorILNS1_17partition_subalgoE8EdNS0_10empty_typeEbEEZZNS1_14partition_implILS5_8ELb0ES3_jN6thrust23THRUST_200600_302600_NS6detail15normal_iteratorINSA_10device_ptrIdEEEEPS6_PKS6_NS0_5tupleIJSF_S6_EEENSJ_IJSG_SG_EEENS0_18inequality_wrapperI22is_equal_div_10_uniqueIdEEEPmJS6_EEE10hipError_tPvRmT3_T4_T5_T6_T7_T9_mT8_P12ihipStream_tbDpT10_ENKUlT_T0_E_clISt17integral_constantIbLb0EES19_IbLb1EEEEDaS15_S16_EUlS15_E_NS1_11comp_targetILNS1_3genE5ELNS1_11target_archE942ELNS1_3gpuE9ELNS1_3repE0EEENS1_30default_config_static_selectorELNS0_4arch9wavefront6targetE1EEEvT1_
		.amdhsa_group_segment_fixed_size 0
		.amdhsa_private_segment_fixed_size 0
		.amdhsa_kernarg_size 128
		.amdhsa_user_sgpr_count 6
		.amdhsa_user_sgpr_private_segment_buffer 1
		.amdhsa_user_sgpr_dispatch_ptr 0
		.amdhsa_user_sgpr_queue_ptr 0
		.amdhsa_user_sgpr_kernarg_segment_ptr 1
		.amdhsa_user_sgpr_dispatch_id 0
		.amdhsa_user_sgpr_flat_scratch_init 0
		.amdhsa_user_sgpr_private_segment_size 0
		.amdhsa_uses_dynamic_stack 0
		.amdhsa_system_sgpr_private_segment_wavefront_offset 0
		.amdhsa_system_sgpr_workgroup_id_x 1
		.amdhsa_system_sgpr_workgroup_id_y 0
		.amdhsa_system_sgpr_workgroup_id_z 0
		.amdhsa_system_sgpr_workgroup_info 0
		.amdhsa_system_vgpr_workitem_id 0
		.amdhsa_next_free_vgpr 1
		.amdhsa_next_free_sgpr 0
		.amdhsa_reserve_vcc 0
		.amdhsa_reserve_flat_scratch 0
		.amdhsa_float_round_mode_32 0
		.amdhsa_float_round_mode_16_64 0
		.amdhsa_float_denorm_mode_32 3
		.amdhsa_float_denorm_mode_16_64 3
		.amdhsa_dx10_clamp 1
		.amdhsa_ieee_mode 1
		.amdhsa_fp16_overflow 0
		.amdhsa_exception_fp_ieee_invalid_op 0
		.amdhsa_exception_fp_denorm_src 0
		.amdhsa_exception_fp_ieee_div_zero 0
		.amdhsa_exception_fp_ieee_overflow 0
		.amdhsa_exception_fp_ieee_underflow 0
		.amdhsa_exception_fp_ieee_inexact 0
		.amdhsa_exception_int_div_zero 0
	.end_amdhsa_kernel
	.section	.text._ZN7rocprim17ROCPRIM_400000_NS6detail17trampoline_kernelINS0_14default_configENS1_25partition_config_selectorILNS1_17partition_subalgoE8EdNS0_10empty_typeEbEEZZNS1_14partition_implILS5_8ELb0ES3_jN6thrust23THRUST_200600_302600_NS6detail15normal_iteratorINSA_10device_ptrIdEEEEPS6_PKS6_NS0_5tupleIJSF_S6_EEENSJ_IJSG_SG_EEENS0_18inequality_wrapperI22is_equal_div_10_uniqueIdEEEPmJS6_EEE10hipError_tPvRmT3_T4_T5_T6_T7_T9_mT8_P12ihipStream_tbDpT10_ENKUlT_T0_E_clISt17integral_constantIbLb0EES19_IbLb1EEEEDaS15_S16_EUlS15_E_NS1_11comp_targetILNS1_3genE5ELNS1_11target_archE942ELNS1_3gpuE9ELNS1_3repE0EEENS1_30default_config_static_selectorELNS0_4arch9wavefront6targetE1EEEvT1_,"axG",@progbits,_ZN7rocprim17ROCPRIM_400000_NS6detail17trampoline_kernelINS0_14default_configENS1_25partition_config_selectorILNS1_17partition_subalgoE8EdNS0_10empty_typeEbEEZZNS1_14partition_implILS5_8ELb0ES3_jN6thrust23THRUST_200600_302600_NS6detail15normal_iteratorINSA_10device_ptrIdEEEEPS6_PKS6_NS0_5tupleIJSF_S6_EEENSJ_IJSG_SG_EEENS0_18inequality_wrapperI22is_equal_div_10_uniqueIdEEEPmJS6_EEE10hipError_tPvRmT3_T4_T5_T6_T7_T9_mT8_P12ihipStream_tbDpT10_ENKUlT_T0_E_clISt17integral_constantIbLb0EES19_IbLb1EEEEDaS15_S16_EUlS15_E_NS1_11comp_targetILNS1_3genE5ELNS1_11target_archE942ELNS1_3gpuE9ELNS1_3repE0EEENS1_30default_config_static_selectorELNS0_4arch9wavefront6targetE1EEEvT1_,comdat
.Lfunc_end72:
	.size	_ZN7rocprim17ROCPRIM_400000_NS6detail17trampoline_kernelINS0_14default_configENS1_25partition_config_selectorILNS1_17partition_subalgoE8EdNS0_10empty_typeEbEEZZNS1_14partition_implILS5_8ELb0ES3_jN6thrust23THRUST_200600_302600_NS6detail15normal_iteratorINSA_10device_ptrIdEEEEPS6_PKS6_NS0_5tupleIJSF_S6_EEENSJ_IJSG_SG_EEENS0_18inequality_wrapperI22is_equal_div_10_uniqueIdEEEPmJS6_EEE10hipError_tPvRmT3_T4_T5_T6_T7_T9_mT8_P12ihipStream_tbDpT10_ENKUlT_T0_E_clISt17integral_constantIbLb0EES19_IbLb1EEEEDaS15_S16_EUlS15_E_NS1_11comp_targetILNS1_3genE5ELNS1_11target_archE942ELNS1_3gpuE9ELNS1_3repE0EEENS1_30default_config_static_selectorELNS0_4arch9wavefront6targetE1EEEvT1_, .Lfunc_end72-_ZN7rocprim17ROCPRIM_400000_NS6detail17trampoline_kernelINS0_14default_configENS1_25partition_config_selectorILNS1_17partition_subalgoE8EdNS0_10empty_typeEbEEZZNS1_14partition_implILS5_8ELb0ES3_jN6thrust23THRUST_200600_302600_NS6detail15normal_iteratorINSA_10device_ptrIdEEEEPS6_PKS6_NS0_5tupleIJSF_S6_EEENSJ_IJSG_SG_EEENS0_18inequality_wrapperI22is_equal_div_10_uniqueIdEEEPmJS6_EEE10hipError_tPvRmT3_T4_T5_T6_T7_T9_mT8_P12ihipStream_tbDpT10_ENKUlT_T0_E_clISt17integral_constantIbLb0EES19_IbLb1EEEEDaS15_S16_EUlS15_E_NS1_11comp_targetILNS1_3genE5ELNS1_11target_archE942ELNS1_3gpuE9ELNS1_3repE0EEENS1_30default_config_static_selectorELNS0_4arch9wavefront6targetE1EEEvT1_
                                        ; -- End function
	.set _ZN7rocprim17ROCPRIM_400000_NS6detail17trampoline_kernelINS0_14default_configENS1_25partition_config_selectorILNS1_17partition_subalgoE8EdNS0_10empty_typeEbEEZZNS1_14partition_implILS5_8ELb0ES3_jN6thrust23THRUST_200600_302600_NS6detail15normal_iteratorINSA_10device_ptrIdEEEEPS6_PKS6_NS0_5tupleIJSF_S6_EEENSJ_IJSG_SG_EEENS0_18inequality_wrapperI22is_equal_div_10_uniqueIdEEEPmJS6_EEE10hipError_tPvRmT3_T4_T5_T6_T7_T9_mT8_P12ihipStream_tbDpT10_ENKUlT_T0_E_clISt17integral_constantIbLb0EES19_IbLb1EEEEDaS15_S16_EUlS15_E_NS1_11comp_targetILNS1_3genE5ELNS1_11target_archE942ELNS1_3gpuE9ELNS1_3repE0EEENS1_30default_config_static_selectorELNS0_4arch9wavefront6targetE1EEEvT1_.num_vgpr, 0
	.set _ZN7rocprim17ROCPRIM_400000_NS6detail17trampoline_kernelINS0_14default_configENS1_25partition_config_selectorILNS1_17partition_subalgoE8EdNS0_10empty_typeEbEEZZNS1_14partition_implILS5_8ELb0ES3_jN6thrust23THRUST_200600_302600_NS6detail15normal_iteratorINSA_10device_ptrIdEEEEPS6_PKS6_NS0_5tupleIJSF_S6_EEENSJ_IJSG_SG_EEENS0_18inequality_wrapperI22is_equal_div_10_uniqueIdEEEPmJS6_EEE10hipError_tPvRmT3_T4_T5_T6_T7_T9_mT8_P12ihipStream_tbDpT10_ENKUlT_T0_E_clISt17integral_constantIbLb0EES19_IbLb1EEEEDaS15_S16_EUlS15_E_NS1_11comp_targetILNS1_3genE5ELNS1_11target_archE942ELNS1_3gpuE9ELNS1_3repE0EEENS1_30default_config_static_selectorELNS0_4arch9wavefront6targetE1EEEvT1_.num_agpr, 0
	.set _ZN7rocprim17ROCPRIM_400000_NS6detail17trampoline_kernelINS0_14default_configENS1_25partition_config_selectorILNS1_17partition_subalgoE8EdNS0_10empty_typeEbEEZZNS1_14partition_implILS5_8ELb0ES3_jN6thrust23THRUST_200600_302600_NS6detail15normal_iteratorINSA_10device_ptrIdEEEEPS6_PKS6_NS0_5tupleIJSF_S6_EEENSJ_IJSG_SG_EEENS0_18inequality_wrapperI22is_equal_div_10_uniqueIdEEEPmJS6_EEE10hipError_tPvRmT3_T4_T5_T6_T7_T9_mT8_P12ihipStream_tbDpT10_ENKUlT_T0_E_clISt17integral_constantIbLb0EES19_IbLb1EEEEDaS15_S16_EUlS15_E_NS1_11comp_targetILNS1_3genE5ELNS1_11target_archE942ELNS1_3gpuE9ELNS1_3repE0EEENS1_30default_config_static_selectorELNS0_4arch9wavefront6targetE1EEEvT1_.numbered_sgpr, 0
	.set _ZN7rocprim17ROCPRIM_400000_NS6detail17trampoline_kernelINS0_14default_configENS1_25partition_config_selectorILNS1_17partition_subalgoE8EdNS0_10empty_typeEbEEZZNS1_14partition_implILS5_8ELb0ES3_jN6thrust23THRUST_200600_302600_NS6detail15normal_iteratorINSA_10device_ptrIdEEEEPS6_PKS6_NS0_5tupleIJSF_S6_EEENSJ_IJSG_SG_EEENS0_18inequality_wrapperI22is_equal_div_10_uniqueIdEEEPmJS6_EEE10hipError_tPvRmT3_T4_T5_T6_T7_T9_mT8_P12ihipStream_tbDpT10_ENKUlT_T0_E_clISt17integral_constantIbLb0EES19_IbLb1EEEEDaS15_S16_EUlS15_E_NS1_11comp_targetILNS1_3genE5ELNS1_11target_archE942ELNS1_3gpuE9ELNS1_3repE0EEENS1_30default_config_static_selectorELNS0_4arch9wavefront6targetE1EEEvT1_.num_named_barrier, 0
	.set _ZN7rocprim17ROCPRIM_400000_NS6detail17trampoline_kernelINS0_14default_configENS1_25partition_config_selectorILNS1_17partition_subalgoE8EdNS0_10empty_typeEbEEZZNS1_14partition_implILS5_8ELb0ES3_jN6thrust23THRUST_200600_302600_NS6detail15normal_iteratorINSA_10device_ptrIdEEEEPS6_PKS6_NS0_5tupleIJSF_S6_EEENSJ_IJSG_SG_EEENS0_18inequality_wrapperI22is_equal_div_10_uniqueIdEEEPmJS6_EEE10hipError_tPvRmT3_T4_T5_T6_T7_T9_mT8_P12ihipStream_tbDpT10_ENKUlT_T0_E_clISt17integral_constantIbLb0EES19_IbLb1EEEEDaS15_S16_EUlS15_E_NS1_11comp_targetILNS1_3genE5ELNS1_11target_archE942ELNS1_3gpuE9ELNS1_3repE0EEENS1_30default_config_static_selectorELNS0_4arch9wavefront6targetE1EEEvT1_.private_seg_size, 0
	.set _ZN7rocprim17ROCPRIM_400000_NS6detail17trampoline_kernelINS0_14default_configENS1_25partition_config_selectorILNS1_17partition_subalgoE8EdNS0_10empty_typeEbEEZZNS1_14partition_implILS5_8ELb0ES3_jN6thrust23THRUST_200600_302600_NS6detail15normal_iteratorINSA_10device_ptrIdEEEEPS6_PKS6_NS0_5tupleIJSF_S6_EEENSJ_IJSG_SG_EEENS0_18inequality_wrapperI22is_equal_div_10_uniqueIdEEEPmJS6_EEE10hipError_tPvRmT3_T4_T5_T6_T7_T9_mT8_P12ihipStream_tbDpT10_ENKUlT_T0_E_clISt17integral_constantIbLb0EES19_IbLb1EEEEDaS15_S16_EUlS15_E_NS1_11comp_targetILNS1_3genE5ELNS1_11target_archE942ELNS1_3gpuE9ELNS1_3repE0EEENS1_30default_config_static_selectorELNS0_4arch9wavefront6targetE1EEEvT1_.uses_vcc, 0
	.set _ZN7rocprim17ROCPRIM_400000_NS6detail17trampoline_kernelINS0_14default_configENS1_25partition_config_selectorILNS1_17partition_subalgoE8EdNS0_10empty_typeEbEEZZNS1_14partition_implILS5_8ELb0ES3_jN6thrust23THRUST_200600_302600_NS6detail15normal_iteratorINSA_10device_ptrIdEEEEPS6_PKS6_NS0_5tupleIJSF_S6_EEENSJ_IJSG_SG_EEENS0_18inequality_wrapperI22is_equal_div_10_uniqueIdEEEPmJS6_EEE10hipError_tPvRmT3_T4_T5_T6_T7_T9_mT8_P12ihipStream_tbDpT10_ENKUlT_T0_E_clISt17integral_constantIbLb0EES19_IbLb1EEEEDaS15_S16_EUlS15_E_NS1_11comp_targetILNS1_3genE5ELNS1_11target_archE942ELNS1_3gpuE9ELNS1_3repE0EEENS1_30default_config_static_selectorELNS0_4arch9wavefront6targetE1EEEvT1_.uses_flat_scratch, 0
	.set _ZN7rocprim17ROCPRIM_400000_NS6detail17trampoline_kernelINS0_14default_configENS1_25partition_config_selectorILNS1_17partition_subalgoE8EdNS0_10empty_typeEbEEZZNS1_14partition_implILS5_8ELb0ES3_jN6thrust23THRUST_200600_302600_NS6detail15normal_iteratorINSA_10device_ptrIdEEEEPS6_PKS6_NS0_5tupleIJSF_S6_EEENSJ_IJSG_SG_EEENS0_18inequality_wrapperI22is_equal_div_10_uniqueIdEEEPmJS6_EEE10hipError_tPvRmT3_T4_T5_T6_T7_T9_mT8_P12ihipStream_tbDpT10_ENKUlT_T0_E_clISt17integral_constantIbLb0EES19_IbLb1EEEEDaS15_S16_EUlS15_E_NS1_11comp_targetILNS1_3genE5ELNS1_11target_archE942ELNS1_3gpuE9ELNS1_3repE0EEENS1_30default_config_static_selectorELNS0_4arch9wavefront6targetE1EEEvT1_.has_dyn_sized_stack, 0
	.set _ZN7rocprim17ROCPRIM_400000_NS6detail17trampoline_kernelINS0_14default_configENS1_25partition_config_selectorILNS1_17partition_subalgoE8EdNS0_10empty_typeEbEEZZNS1_14partition_implILS5_8ELb0ES3_jN6thrust23THRUST_200600_302600_NS6detail15normal_iteratorINSA_10device_ptrIdEEEEPS6_PKS6_NS0_5tupleIJSF_S6_EEENSJ_IJSG_SG_EEENS0_18inequality_wrapperI22is_equal_div_10_uniqueIdEEEPmJS6_EEE10hipError_tPvRmT3_T4_T5_T6_T7_T9_mT8_P12ihipStream_tbDpT10_ENKUlT_T0_E_clISt17integral_constantIbLb0EES19_IbLb1EEEEDaS15_S16_EUlS15_E_NS1_11comp_targetILNS1_3genE5ELNS1_11target_archE942ELNS1_3gpuE9ELNS1_3repE0EEENS1_30default_config_static_selectorELNS0_4arch9wavefront6targetE1EEEvT1_.has_recursion, 0
	.set _ZN7rocprim17ROCPRIM_400000_NS6detail17trampoline_kernelINS0_14default_configENS1_25partition_config_selectorILNS1_17partition_subalgoE8EdNS0_10empty_typeEbEEZZNS1_14partition_implILS5_8ELb0ES3_jN6thrust23THRUST_200600_302600_NS6detail15normal_iteratorINSA_10device_ptrIdEEEEPS6_PKS6_NS0_5tupleIJSF_S6_EEENSJ_IJSG_SG_EEENS0_18inequality_wrapperI22is_equal_div_10_uniqueIdEEEPmJS6_EEE10hipError_tPvRmT3_T4_T5_T6_T7_T9_mT8_P12ihipStream_tbDpT10_ENKUlT_T0_E_clISt17integral_constantIbLb0EES19_IbLb1EEEEDaS15_S16_EUlS15_E_NS1_11comp_targetILNS1_3genE5ELNS1_11target_archE942ELNS1_3gpuE9ELNS1_3repE0EEENS1_30default_config_static_selectorELNS0_4arch9wavefront6targetE1EEEvT1_.has_indirect_call, 0
	.section	.AMDGPU.csdata,"",@progbits
; Kernel info:
; codeLenInByte = 0
; TotalNumSgprs: 4
; NumVgprs: 0
; ScratchSize: 0
; MemoryBound: 0
; FloatMode: 240
; IeeeMode: 1
; LDSByteSize: 0 bytes/workgroup (compile time only)
; SGPRBlocks: 0
; VGPRBlocks: 0
; NumSGPRsForWavesPerEU: 4
; NumVGPRsForWavesPerEU: 1
; Occupancy: 10
; WaveLimiterHint : 0
; COMPUTE_PGM_RSRC2:SCRATCH_EN: 0
; COMPUTE_PGM_RSRC2:USER_SGPR: 6
; COMPUTE_PGM_RSRC2:TRAP_HANDLER: 0
; COMPUTE_PGM_RSRC2:TGID_X_EN: 1
; COMPUTE_PGM_RSRC2:TGID_Y_EN: 0
; COMPUTE_PGM_RSRC2:TGID_Z_EN: 0
; COMPUTE_PGM_RSRC2:TIDIG_COMP_CNT: 0
	.section	.text._ZN7rocprim17ROCPRIM_400000_NS6detail17trampoline_kernelINS0_14default_configENS1_25partition_config_selectorILNS1_17partition_subalgoE8EdNS0_10empty_typeEbEEZZNS1_14partition_implILS5_8ELb0ES3_jN6thrust23THRUST_200600_302600_NS6detail15normal_iteratorINSA_10device_ptrIdEEEEPS6_PKS6_NS0_5tupleIJSF_S6_EEENSJ_IJSG_SG_EEENS0_18inequality_wrapperI22is_equal_div_10_uniqueIdEEEPmJS6_EEE10hipError_tPvRmT3_T4_T5_T6_T7_T9_mT8_P12ihipStream_tbDpT10_ENKUlT_T0_E_clISt17integral_constantIbLb0EES19_IbLb1EEEEDaS15_S16_EUlS15_E_NS1_11comp_targetILNS1_3genE4ELNS1_11target_archE910ELNS1_3gpuE8ELNS1_3repE0EEENS1_30default_config_static_selectorELNS0_4arch9wavefront6targetE1EEEvT1_,"axG",@progbits,_ZN7rocprim17ROCPRIM_400000_NS6detail17trampoline_kernelINS0_14default_configENS1_25partition_config_selectorILNS1_17partition_subalgoE8EdNS0_10empty_typeEbEEZZNS1_14partition_implILS5_8ELb0ES3_jN6thrust23THRUST_200600_302600_NS6detail15normal_iteratorINSA_10device_ptrIdEEEEPS6_PKS6_NS0_5tupleIJSF_S6_EEENSJ_IJSG_SG_EEENS0_18inequality_wrapperI22is_equal_div_10_uniqueIdEEEPmJS6_EEE10hipError_tPvRmT3_T4_T5_T6_T7_T9_mT8_P12ihipStream_tbDpT10_ENKUlT_T0_E_clISt17integral_constantIbLb0EES19_IbLb1EEEEDaS15_S16_EUlS15_E_NS1_11comp_targetILNS1_3genE4ELNS1_11target_archE910ELNS1_3gpuE8ELNS1_3repE0EEENS1_30default_config_static_selectorELNS0_4arch9wavefront6targetE1EEEvT1_,comdat
	.protected	_ZN7rocprim17ROCPRIM_400000_NS6detail17trampoline_kernelINS0_14default_configENS1_25partition_config_selectorILNS1_17partition_subalgoE8EdNS0_10empty_typeEbEEZZNS1_14partition_implILS5_8ELb0ES3_jN6thrust23THRUST_200600_302600_NS6detail15normal_iteratorINSA_10device_ptrIdEEEEPS6_PKS6_NS0_5tupleIJSF_S6_EEENSJ_IJSG_SG_EEENS0_18inequality_wrapperI22is_equal_div_10_uniqueIdEEEPmJS6_EEE10hipError_tPvRmT3_T4_T5_T6_T7_T9_mT8_P12ihipStream_tbDpT10_ENKUlT_T0_E_clISt17integral_constantIbLb0EES19_IbLb1EEEEDaS15_S16_EUlS15_E_NS1_11comp_targetILNS1_3genE4ELNS1_11target_archE910ELNS1_3gpuE8ELNS1_3repE0EEENS1_30default_config_static_selectorELNS0_4arch9wavefront6targetE1EEEvT1_ ; -- Begin function _ZN7rocprim17ROCPRIM_400000_NS6detail17trampoline_kernelINS0_14default_configENS1_25partition_config_selectorILNS1_17partition_subalgoE8EdNS0_10empty_typeEbEEZZNS1_14partition_implILS5_8ELb0ES3_jN6thrust23THRUST_200600_302600_NS6detail15normal_iteratorINSA_10device_ptrIdEEEEPS6_PKS6_NS0_5tupleIJSF_S6_EEENSJ_IJSG_SG_EEENS0_18inequality_wrapperI22is_equal_div_10_uniqueIdEEEPmJS6_EEE10hipError_tPvRmT3_T4_T5_T6_T7_T9_mT8_P12ihipStream_tbDpT10_ENKUlT_T0_E_clISt17integral_constantIbLb0EES19_IbLb1EEEEDaS15_S16_EUlS15_E_NS1_11comp_targetILNS1_3genE4ELNS1_11target_archE910ELNS1_3gpuE8ELNS1_3repE0EEENS1_30default_config_static_selectorELNS0_4arch9wavefront6targetE1EEEvT1_
	.globl	_ZN7rocprim17ROCPRIM_400000_NS6detail17trampoline_kernelINS0_14default_configENS1_25partition_config_selectorILNS1_17partition_subalgoE8EdNS0_10empty_typeEbEEZZNS1_14partition_implILS5_8ELb0ES3_jN6thrust23THRUST_200600_302600_NS6detail15normal_iteratorINSA_10device_ptrIdEEEEPS6_PKS6_NS0_5tupleIJSF_S6_EEENSJ_IJSG_SG_EEENS0_18inequality_wrapperI22is_equal_div_10_uniqueIdEEEPmJS6_EEE10hipError_tPvRmT3_T4_T5_T6_T7_T9_mT8_P12ihipStream_tbDpT10_ENKUlT_T0_E_clISt17integral_constantIbLb0EES19_IbLb1EEEEDaS15_S16_EUlS15_E_NS1_11comp_targetILNS1_3genE4ELNS1_11target_archE910ELNS1_3gpuE8ELNS1_3repE0EEENS1_30default_config_static_selectorELNS0_4arch9wavefront6targetE1EEEvT1_
	.p2align	8
	.type	_ZN7rocprim17ROCPRIM_400000_NS6detail17trampoline_kernelINS0_14default_configENS1_25partition_config_selectorILNS1_17partition_subalgoE8EdNS0_10empty_typeEbEEZZNS1_14partition_implILS5_8ELb0ES3_jN6thrust23THRUST_200600_302600_NS6detail15normal_iteratorINSA_10device_ptrIdEEEEPS6_PKS6_NS0_5tupleIJSF_S6_EEENSJ_IJSG_SG_EEENS0_18inequality_wrapperI22is_equal_div_10_uniqueIdEEEPmJS6_EEE10hipError_tPvRmT3_T4_T5_T6_T7_T9_mT8_P12ihipStream_tbDpT10_ENKUlT_T0_E_clISt17integral_constantIbLb0EES19_IbLb1EEEEDaS15_S16_EUlS15_E_NS1_11comp_targetILNS1_3genE4ELNS1_11target_archE910ELNS1_3gpuE8ELNS1_3repE0EEENS1_30default_config_static_selectorELNS0_4arch9wavefront6targetE1EEEvT1_,@function
_ZN7rocprim17ROCPRIM_400000_NS6detail17trampoline_kernelINS0_14default_configENS1_25partition_config_selectorILNS1_17partition_subalgoE8EdNS0_10empty_typeEbEEZZNS1_14partition_implILS5_8ELb0ES3_jN6thrust23THRUST_200600_302600_NS6detail15normal_iteratorINSA_10device_ptrIdEEEEPS6_PKS6_NS0_5tupleIJSF_S6_EEENSJ_IJSG_SG_EEENS0_18inequality_wrapperI22is_equal_div_10_uniqueIdEEEPmJS6_EEE10hipError_tPvRmT3_T4_T5_T6_T7_T9_mT8_P12ihipStream_tbDpT10_ENKUlT_T0_E_clISt17integral_constantIbLb0EES19_IbLb1EEEEDaS15_S16_EUlS15_E_NS1_11comp_targetILNS1_3genE4ELNS1_11target_archE910ELNS1_3gpuE8ELNS1_3repE0EEENS1_30default_config_static_selectorELNS0_4arch9wavefront6targetE1EEEvT1_: ; @_ZN7rocprim17ROCPRIM_400000_NS6detail17trampoline_kernelINS0_14default_configENS1_25partition_config_selectorILNS1_17partition_subalgoE8EdNS0_10empty_typeEbEEZZNS1_14partition_implILS5_8ELb0ES3_jN6thrust23THRUST_200600_302600_NS6detail15normal_iteratorINSA_10device_ptrIdEEEEPS6_PKS6_NS0_5tupleIJSF_S6_EEENSJ_IJSG_SG_EEENS0_18inequality_wrapperI22is_equal_div_10_uniqueIdEEEPmJS6_EEE10hipError_tPvRmT3_T4_T5_T6_T7_T9_mT8_P12ihipStream_tbDpT10_ENKUlT_T0_E_clISt17integral_constantIbLb0EES19_IbLb1EEEEDaS15_S16_EUlS15_E_NS1_11comp_targetILNS1_3genE4ELNS1_11target_archE910ELNS1_3gpuE8ELNS1_3repE0EEENS1_30default_config_static_selectorELNS0_4arch9wavefront6targetE1EEEvT1_
; %bb.0:
	.section	.rodata,"a",@progbits
	.p2align	6, 0x0
	.amdhsa_kernel _ZN7rocprim17ROCPRIM_400000_NS6detail17trampoline_kernelINS0_14default_configENS1_25partition_config_selectorILNS1_17partition_subalgoE8EdNS0_10empty_typeEbEEZZNS1_14partition_implILS5_8ELb0ES3_jN6thrust23THRUST_200600_302600_NS6detail15normal_iteratorINSA_10device_ptrIdEEEEPS6_PKS6_NS0_5tupleIJSF_S6_EEENSJ_IJSG_SG_EEENS0_18inequality_wrapperI22is_equal_div_10_uniqueIdEEEPmJS6_EEE10hipError_tPvRmT3_T4_T5_T6_T7_T9_mT8_P12ihipStream_tbDpT10_ENKUlT_T0_E_clISt17integral_constantIbLb0EES19_IbLb1EEEEDaS15_S16_EUlS15_E_NS1_11comp_targetILNS1_3genE4ELNS1_11target_archE910ELNS1_3gpuE8ELNS1_3repE0EEENS1_30default_config_static_selectorELNS0_4arch9wavefront6targetE1EEEvT1_
		.amdhsa_group_segment_fixed_size 0
		.amdhsa_private_segment_fixed_size 0
		.amdhsa_kernarg_size 128
		.amdhsa_user_sgpr_count 6
		.amdhsa_user_sgpr_private_segment_buffer 1
		.amdhsa_user_sgpr_dispatch_ptr 0
		.amdhsa_user_sgpr_queue_ptr 0
		.amdhsa_user_sgpr_kernarg_segment_ptr 1
		.amdhsa_user_sgpr_dispatch_id 0
		.amdhsa_user_sgpr_flat_scratch_init 0
		.amdhsa_user_sgpr_private_segment_size 0
		.amdhsa_uses_dynamic_stack 0
		.amdhsa_system_sgpr_private_segment_wavefront_offset 0
		.amdhsa_system_sgpr_workgroup_id_x 1
		.amdhsa_system_sgpr_workgroup_id_y 0
		.amdhsa_system_sgpr_workgroup_id_z 0
		.amdhsa_system_sgpr_workgroup_info 0
		.amdhsa_system_vgpr_workitem_id 0
		.amdhsa_next_free_vgpr 1
		.amdhsa_next_free_sgpr 0
		.amdhsa_reserve_vcc 0
		.amdhsa_reserve_flat_scratch 0
		.amdhsa_float_round_mode_32 0
		.amdhsa_float_round_mode_16_64 0
		.amdhsa_float_denorm_mode_32 3
		.amdhsa_float_denorm_mode_16_64 3
		.amdhsa_dx10_clamp 1
		.amdhsa_ieee_mode 1
		.amdhsa_fp16_overflow 0
		.amdhsa_exception_fp_ieee_invalid_op 0
		.amdhsa_exception_fp_denorm_src 0
		.amdhsa_exception_fp_ieee_div_zero 0
		.amdhsa_exception_fp_ieee_overflow 0
		.amdhsa_exception_fp_ieee_underflow 0
		.amdhsa_exception_fp_ieee_inexact 0
		.amdhsa_exception_int_div_zero 0
	.end_amdhsa_kernel
	.section	.text._ZN7rocprim17ROCPRIM_400000_NS6detail17trampoline_kernelINS0_14default_configENS1_25partition_config_selectorILNS1_17partition_subalgoE8EdNS0_10empty_typeEbEEZZNS1_14partition_implILS5_8ELb0ES3_jN6thrust23THRUST_200600_302600_NS6detail15normal_iteratorINSA_10device_ptrIdEEEEPS6_PKS6_NS0_5tupleIJSF_S6_EEENSJ_IJSG_SG_EEENS0_18inequality_wrapperI22is_equal_div_10_uniqueIdEEEPmJS6_EEE10hipError_tPvRmT3_T4_T5_T6_T7_T9_mT8_P12ihipStream_tbDpT10_ENKUlT_T0_E_clISt17integral_constantIbLb0EES19_IbLb1EEEEDaS15_S16_EUlS15_E_NS1_11comp_targetILNS1_3genE4ELNS1_11target_archE910ELNS1_3gpuE8ELNS1_3repE0EEENS1_30default_config_static_selectorELNS0_4arch9wavefront6targetE1EEEvT1_,"axG",@progbits,_ZN7rocprim17ROCPRIM_400000_NS6detail17trampoline_kernelINS0_14default_configENS1_25partition_config_selectorILNS1_17partition_subalgoE8EdNS0_10empty_typeEbEEZZNS1_14partition_implILS5_8ELb0ES3_jN6thrust23THRUST_200600_302600_NS6detail15normal_iteratorINSA_10device_ptrIdEEEEPS6_PKS6_NS0_5tupleIJSF_S6_EEENSJ_IJSG_SG_EEENS0_18inequality_wrapperI22is_equal_div_10_uniqueIdEEEPmJS6_EEE10hipError_tPvRmT3_T4_T5_T6_T7_T9_mT8_P12ihipStream_tbDpT10_ENKUlT_T0_E_clISt17integral_constantIbLb0EES19_IbLb1EEEEDaS15_S16_EUlS15_E_NS1_11comp_targetILNS1_3genE4ELNS1_11target_archE910ELNS1_3gpuE8ELNS1_3repE0EEENS1_30default_config_static_selectorELNS0_4arch9wavefront6targetE1EEEvT1_,comdat
.Lfunc_end73:
	.size	_ZN7rocprim17ROCPRIM_400000_NS6detail17trampoline_kernelINS0_14default_configENS1_25partition_config_selectorILNS1_17partition_subalgoE8EdNS0_10empty_typeEbEEZZNS1_14partition_implILS5_8ELb0ES3_jN6thrust23THRUST_200600_302600_NS6detail15normal_iteratorINSA_10device_ptrIdEEEEPS6_PKS6_NS0_5tupleIJSF_S6_EEENSJ_IJSG_SG_EEENS0_18inequality_wrapperI22is_equal_div_10_uniqueIdEEEPmJS6_EEE10hipError_tPvRmT3_T4_T5_T6_T7_T9_mT8_P12ihipStream_tbDpT10_ENKUlT_T0_E_clISt17integral_constantIbLb0EES19_IbLb1EEEEDaS15_S16_EUlS15_E_NS1_11comp_targetILNS1_3genE4ELNS1_11target_archE910ELNS1_3gpuE8ELNS1_3repE0EEENS1_30default_config_static_selectorELNS0_4arch9wavefront6targetE1EEEvT1_, .Lfunc_end73-_ZN7rocprim17ROCPRIM_400000_NS6detail17trampoline_kernelINS0_14default_configENS1_25partition_config_selectorILNS1_17partition_subalgoE8EdNS0_10empty_typeEbEEZZNS1_14partition_implILS5_8ELb0ES3_jN6thrust23THRUST_200600_302600_NS6detail15normal_iteratorINSA_10device_ptrIdEEEEPS6_PKS6_NS0_5tupleIJSF_S6_EEENSJ_IJSG_SG_EEENS0_18inequality_wrapperI22is_equal_div_10_uniqueIdEEEPmJS6_EEE10hipError_tPvRmT3_T4_T5_T6_T7_T9_mT8_P12ihipStream_tbDpT10_ENKUlT_T0_E_clISt17integral_constantIbLb0EES19_IbLb1EEEEDaS15_S16_EUlS15_E_NS1_11comp_targetILNS1_3genE4ELNS1_11target_archE910ELNS1_3gpuE8ELNS1_3repE0EEENS1_30default_config_static_selectorELNS0_4arch9wavefront6targetE1EEEvT1_
                                        ; -- End function
	.set _ZN7rocprim17ROCPRIM_400000_NS6detail17trampoline_kernelINS0_14default_configENS1_25partition_config_selectorILNS1_17partition_subalgoE8EdNS0_10empty_typeEbEEZZNS1_14partition_implILS5_8ELb0ES3_jN6thrust23THRUST_200600_302600_NS6detail15normal_iteratorINSA_10device_ptrIdEEEEPS6_PKS6_NS0_5tupleIJSF_S6_EEENSJ_IJSG_SG_EEENS0_18inequality_wrapperI22is_equal_div_10_uniqueIdEEEPmJS6_EEE10hipError_tPvRmT3_T4_T5_T6_T7_T9_mT8_P12ihipStream_tbDpT10_ENKUlT_T0_E_clISt17integral_constantIbLb0EES19_IbLb1EEEEDaS15_S16_EUlS15_E_NS1_11comp_targetILNS1_3genE4ELNS1_11target_archE910ELNS1_3gpuE8ELNS1_3repE0EEENS1_30default_config_static_selectorELNS0_4arch9wavefront6targetE1EEEvT1_.num_vgpr, 0
	.set _ZN7rocprim17ROCPRIM_400000_NS6detail17trampoline_kernelINS0_14default_configENS1_25partition_config_selectorILNS1_17partition_subalgoE8EdNS0_10empty_typeEbEEZZNS1_14partition_implILS5_8ELb0ES3_jN6thrust23THRUST_200600_302600_NS6detail15normal_iteratorINSA_10device_ptrIdEEEEPS6_PKS6_NS0_5tupleIJSF_S6_EEENSJ_IJSG_SG_EEENS0_18inequality_wrapperI22is_equal_div_10_uniqueIdEEEPmJS6_EEE10hipError_tPvRmT3_T4_T5_T6_T7_T9_mT8_P12ihipStream_tbDpT10_ENKUlT_T0_E_clISt17integral_constantIbLb0EES19_IbLb1EEEEDaS15_S16_EUlS15_E_NS1_11comp_targetILNS1_3genE4ELNS1_11target_archE910ELNS1_3gpuE8ELNS1_3repE0EEENS1_30default_config_static_selectorELNS0_4arch9wavefront6targetE1EEEvT1_.num_agpr, 0
	.set _ZN7rocprim17ROCPRIM_400000_NS6detail17trampoline_kernelINS0_14default_configENS1_25partition_config_selectorILNS1_17partition_subalgoE8EdNS0_10empty_typeEbEEZZNS1_14partition_implILS5_8ELb0ES3_jN6thrust23THRUST_200600_302600_NS6detail15normal_iteratorINSA_10device_ptrIdEEEEPS6_PKS6_NS0_5tupleIJSF_S6_EEENSJ_IJSG_SG_EEENS0_18inequality_wrapperI22is_equal_div_10_uniqueIdEEEPmJS6_EEE10hipError_tPvRmT3_T4_T5_T6_T7_T9_mT8_P12ihipStream_tbDpT10_ENKUlT_T0_E_clISt17integral_constantIbLb0EES19_IbLb1EEEEDaS15_S16_EUlS15_E_NS1_11comp_targetILNS1_3genE4ELNS1_11target_archE910ELNS1_3gpuE8ELNS1_3repE0EEENS1_30default_config_static_selectorELNS0_4arch9wavefront6targetE1EEEvT1_.numbered_sgpr, 0
	.set _ZN7rocprim17ROCPRIM_400000_NS6detail17trampoline_kernelINS0_14default_configENS1_25partition_config_selectorILNS1_17partition_subalgoE8EdNS0_10empty_typeEbEEZZNS1_14partition_implILS5_8ELb0ES3_jN6thrust23THRUST_200600_302600_NS6detail15normal_iteratorINSA_10device_ptrIdEEEEPS6_PKS6_NS0_5tupleIJSF_S6_EEENSJ_IJSG_SG_EEENS0_18inequality_wrapperI22is_equal_div_10_uniqueIdEEEPmJS6_EEE10hipError_tPvRmT3_T4_T5_T6_T7_T9_mT8_P12ihipStream_tbDpT10_ENKUlT_T0_E_clISt17integral_constantIbLb0EES19_IbLb1EEEEDaS15_S16_EUlS15_E_NS1_11comp_targetILNS1_3genE4ELNS1_11target_archE910ELNS1_3gpuE8ELNS1_3repE0EEENS1_30default_config_static_selectorELNS0_4arch9wavefront6targetE1EEEvT1_.num_named_barrier, 0
	.set _ZN7rocprim17ROCPRIM_400000_NS6detail17trampoline_kernelINS0_14default_configENS1_25partition_config_selectorILNS1_17partition_subalgoE8EdNS0_10empty_typeEbEEZZNS1_14partition_implILS5_8ELb0ES3_jN6thrust23THRUST_200600_302600_NS6detail15normal_iteratorINSA_10device_ptrIdEEEEPS6_PKS6_NS0_5tupleIJSF_S6_EEENSJ_IJSG_SG_EEENS0_18inequality_wrapperI22is_equal_div_10_uniqueIdEEEPmJS6_EEE10hipError_tPvRmT3_T4_T5_T6_T7_T9_mT8_P12ihipStream_tbDpT10_ENKUlT_T0_E_clISt17integral_constantIbLb0EES19_IbLb1EEEEDaS15_S16_EUlS15_E_NS1_11comp_targetILNS1_3genE4ELNS1_11target_archE910ELNS1_3gpuE8ELNS1_3repE0EEENS1_30default_config_static_selectorELNS0_4arch9wavefront6targetE1EEEvT1_.private_seg_size, 0
	.set _ZN7rocprim17ROCPRIM_400000_NS6detail17trampoline_kernelINS0_14default_configENS1_25partition_config_selectorILNS1_17partition_subalgoE8EdNS0_10empty_typeEbEEZZNS1_14partition_implILS5_8ELb0ES3_jN6thrust23THRUST_200600_302600_NS6detail15normal_iteratorINSA_10device_ptrIdEEEEPS6_PKS6_NS0_5tupleIJSF_S6_EEENSJ_IJSG_SG_EEENS0_18inequality_wrapperI22is_equal_div_10_uniqueIdEEEPmJS6_EEE10hipError_tPvRmT3_T4_T5_T6_T7_T9_mT8_P12ihipStream_tbDpT10_ENKUlT_T0_E_clISt17integral_constantIbLb0EES19_IbLb1EEEEDaS15_S16_EUlS15_E_NS1_11comp_targetILNS1_3genE4ELNS1_11target_archE910ELNS1_3gpuE8ELNS1_3repE0EEENS1_30default_config_static_selectorELNS0_4arch9wavefront6targetE1EEEvT1_.uses_vcc, 0
	.set _ZN7rocprim17ROCPRIM_400000_NS6detail17trampoline_kernelINS0_14default_configENS1_25partition_config_selectorILNS1_17partition_subalgoE8EdNS0_10empty_typeEbEEZZNS1_14partition_implILS5_8ELb0ES3_jN6thrust23THRUST_200600_302600_NS6detail15normal_iteratorINSA_10device_ptrIdEEEEPS6_PKS6_NS0_5tupleIJSF_S6_EEENSJ_IJSG_SG_EEENS0_18inequality_wrapperI22is_equal_div_10_uniqueIdEEEPmJS6_EEE10hipError_tPvRmT3_T4_T5_T6_T7_T9_mT8_P12ihipStream_tbDpT10_ENKUlT_T0_E_clISt17integral_constantIbLb0EES19_IbLb1EEEEDaS15_S16_EUlS15_E_NS1_11comp_targetILNS1_3genE4ELNS1_11target_archE910ELNS1_3gpuE8ELNS1_3repE0EEENS1_30default_config_static_selectorELNS0_4arch9wavefront6targetE1EEEvT1_.uses_flat_scratch, 0
	.set _ZN7rocprim17ROCPRIM_400000_NS6detail17trampoline_kernelINS0_14default_configENS1_25partition_config_selectorILNS1_17partition_subalgoE8EdNS0_10empty_typeEbEEZZNS1_14partition_implILS5_8ELb0ES3_jN6thrust23THRUST_200600_302600_NS6detail15normal_iteratorINSA_10device_ptrIdEEEEPS6_PKS6_NS0_5tupleIJSF_S6_EEENSJ_IJSG_SG_EEENS0_18inequality_wrapperI22is_equal_div_10_uniqueIdEEEPmJS6_EEE10hipError_tPvRmT3_T4_T5_T6_T7_T9_mT8_P12ihipStream_tbDpT10_ENKUlT_T0_E_clISt17integral_constantIbLb0EES19_IbLb1EEEEDaS15_S16_EUlS15_E_NS1_11comp_targetILNS1_3genE4ELNS1_11target_archE910ELNS1_3gpuE8ELNS1_3repE0EEENS1_30default_config_static_selectorELNS0_4arch9wavefront6targetE1EEEvT1_.has_dyn_sized_stack, 0
	.set _ZN7rocprim17ROCPRIM_400000_NS6detail17trampoline_kernelINS0_14default_configENS1_25partition_config_selectorILNS1_17partition_subalgoE8EdNS0_10empty_typeEbEEZZNS1_14partition_implILS5_8ELb0ES3_jN6thrust23THRUST_200600_302600_NS6detail15normal_iteratorINSA_10device_ptrIdEEEEPS6_PKS6_NS0_5tupleIJSF_S6_EEENSJ_IJSG_SG_EEENS0_18inequality_wrapperI22is_equal_div_10_uniqueIdEEEPmJS6_EEE10hipError_tPvRmT3_T4_T5_T6_T7_T9_mT8_P12ihipStream_tbDpT10_ENKUlT_T0_E_clISt17integral_constantIbLb0EES19_IbLb1EEEEDaS15_S16_EUlS15_E_NS1_11comp_targetILNS1_3genE4ELNS1_11target_archE910ELNS1_3gpuE8ELNS1_3repE0EEENS1_30default_config_static_selectorELNS0_4arch9wavefront6targetE1EEEvT1_.has_recursion, 0
	.set _ZN7rocprim17ROCPRIM_400000_NS6detail17trampoline_kernelINS0_14default_configENS1_25partition_config_selectorILNS1_17partition_subalgoE8EdNS0_10empty_typeEbEEZZNS1_14partition_implILS5_8ELb0ES3_jN6thrust23THRUST_200600_302600_NS6detail15normal_iteratorINSA_10device_ptrIdEEEEPS6_PKS6_NS0_5tupleIJSF_S6_EEENSJ_IJSG_SG_EEENS0_18inequality_wrapperI22is_equal_div_10_uniqueIdEEEPmJS6_EEE10hipError_tPvRmT3_T4_T5_T6_T7_T9_mT8_P12ihipStream_tbDpT10_ENKUlT_T0_E_clISt17integral_constantIbLb0EES19_IbLb1EEEEDaS15_S16_EUlS15_E_NS1_11comp_targetILNS1_3genE4ELNS1_11target_archE910ELNS1_3gpuE8ELNS1_3repE0EEENS1_30default_config_static_selectorELNS0_4arch9wavefront6targetE1EEEvT1_.has_indirect_call, 0
	.section	.AMDGPU.csdata,"",@progbits
; Kernel info:
; codeLenInByte = 0
; TotalNumSgprs: 4
; NumVgprs: 0
; ScratchSize: 0
; MemoryBound: 0
; FloatMode: 240
; IeeeMode: 1
; LDSByteSize: 0 bytes/workgroup (compile time only)
; SGPRBlocks: 0
; VGPRBlocks: 0
; NumSGPRsForWavesPerEU: 4
; NumVGPRsForWavesPerEU: 1
; Occupancy: 10
; WaveLimiterHint : 0
; COMPUTE_PGM_RSRC2:SCRATCH_EN: 0
; COMPUTE_PGM_RSRC2:USER_SGPR: 6
; COMPUTE_PGM_RSRC2:TRAP_HANDLER: 0
; COMPUTE_PGM_RSRC2:TGID_X_EN: 1
; COMPUTE_PGM_RSRC2:TGID_Y_EN: 0
; COMPUTE_PGM_RSRC2:TGID_Z_EN: 0
; COMPUTE_PGM_RSRC2:TIDIG_COMP_CNT: 0
	.section	.text._ZN7rocprim17ROCPRIM_400000_NS6detail17trampoline_kernelINS0_14default_configENS1_25partition_config_selectorILNS1_17partition_subalgoE8EdNS0_10empty_typeEbEEZZNS1_14partition_implILS5_8ELb0ES3_jN6thrust23THRUST_200600_302600_NS6detail15normal_iteratorINSA_10device_ptrIdEEEEPS6_PKS6_NS0_5tupleIJSF_S6_EEENSJ_IJSG_SG_EEENS0_18inequality_wrapperI22is_equal_div_10_uniqueIdEEEPmJS6_EEE10hipError_tPvRmT3_T4_T5_T6_T7_T9_mT8_P12ihipStream_tbDpT10_ENKUlT_T0_E_clISt17integral_constantIbLb0EES19_IbLb1EEEEDaS15_S16_EUlS15_E_NS1_11comp_targetILNS1_3genE3ELNS1_11target_archE908ELNS1_3gpuE7ELNS1_3repE0EEENS1_30default_config_static_selectorELNS0_4arch9wavefront6targetE1EEEvT1_,"axG",@progbits,_ZN7rocprim17ROCPRIM_400000_NS6detail17trampoline_kernelINS0_14default_configENS1_25partition_config_selectorILNS1_17partition_subalgoE8EdNS0_10empty_typeEbEEZZNS1_14partition_implILS5_8ELb0ES3_jN6thrust23THRUST_200600_302600_NS6detail15normal_iteratorINSA_10device_ptrIdEEEEPS6_PKS6_NS0_5tupleIJSF_S6_EEENSJ_IJSG_SG_EEENS0_18inequality_wrapperI22is_equal_div_10_uniqueIdEEEPmJS6_EEE10hipError_tPvRmT3_T4_T5_T6_T7_T9_mT8_P12ihipStream_tbDpT10_ENKUlT_T0_E_clISt17integral_constantIbLb0EES19_IbLb1EEEEDaS15_S16_EUlS15_E_NS1_11comp_targetILNS1_3genE3ELNS1_11target_archE908ELNS1_3gpuE7ELNS1_3repE0EEENS1_30default_config_static_selectorELNS0_4arch9wavefront6targetE1EEEvT1_,comdat
	.protected	_ZN7rocprim17ROCPRIM_400000_NS6detail17trampoline_kernelINS0_14default_configENS1_25partition_config_selectorILNS1_17partition_subalgoE8EdNS0_10empty_typeEbEEZZNS1_14partition_implILS5_8ELb0ES3_jN6thrust23THRUST_200600_302600_NS6detail15normal_iteratorINSA_10device_ptrIdEEEEPS6_PKS6_NS0_5tupleIJSF_S6_EEENSJ_IJSG_SG_EEENS0_18inequality_wrapperI22is_equal_div_10_uniqueIdEEEPmJS6_EEE10hipError_tPvRmT3_T4_T5_T6_T7_T9_mT8_P12ihipStream_tbDpT10_ENKUlT_T0_E_clISt17integral_constantIbLb0EES19_IbLb1EEEEDaS15_S16_EUlS15_E_NS1_11comp_targetILNS1_3genE3ELNS1_11target_archE908ELNS1_3gpuE7ELNS1_3repE0EEENS1_30default_config_static_selectorELNS0_4arch9wavefront6targetE1EEEvT1_ ; -- Begin function _ZN7rocprim17ROCPRIM_400000_NS6detail17trampoline_kernelINS0_14default_configENS1_25partition_config_selectorILNS1_17partition_subalgoE8EdNS0_10empty_typeEbEEZZNS1_14partition_implILS5_8ELb0ES3_jN6thrust23THRUST_200600_302600_NS6detail15normal_iteratorINSA_10device_ptrIdEEEEPS6_PKS6_NS0_5tupleIJSF_S6_EEENSJ_IJSG_SG_EEENS0_18inequality_wrapperI22is_equal_div_10_uniqueIdEEEPmJS6_EEE10hipError_tPvRmT3_T4_T5_T6_T7_T9_mT8_P12ihipStream_tbDpT10_ENKUlT_T0_E_clISt17integral_constantIbLb0EES19_IbLb1EEEEDaS15_S16_EUlS15_E_NS1_11comp_targetILNS1_3genE3ELNS1_11target_archE908ELNS1_3gpuE7ELNS1_3repE0EEENS1_30default_config_static_selectorELNS0_4arch9wavefront6targetE1EEEvT1_
	.globl	_ZN7rocprim17ROCPRIM_400000_NS6detail17trampoline_kernelINS0_14default_configENS1_25partition_config_selectorILNS1_17partition_subalgoE8EdNS0_10empty_typeEbEEZZNS1_14partition_implILS5_8ELb0ES3_jN6thrust23THRUST_200600_302600_NS6detail15normal_iteratorINSA_10device_ptrIdEEEEPS6_PKS6_NS0_5tupleIJSF_S6_EEENSJ_IJSG_SG_EEENS0_18inequality_wrapperI22is_equal_div_10_uniqueIdEEEPmJS6_EEE10hipError_tPvRmT3_T4_T5_T6_T7_T9_mT8_P12ihipStream_tbDpT10_ENKUlT_T0_E_clISt17integral_constantIbLb0EES19_IbLb1EEEEDaS15_S16_EUlS15_E_NS1_11comp_targetILNS1_3genE3ELNS1_11target_archE908ELNS1_3gpuE7ELNS1_3repE0EEENS1_30default_config_static_selectorELNS0_4arch9wavefront6targetE1EEEvT1_
	.p2align	8
	.type	_ZN7rocprim17ROCPRIM_400000_NS6detail17trampoline_kernelINS0_14default_configENS1_25partition_config_selectorILNS1_17partition_subalgoE8EdNS0_10empty_typeEbEEZZNS1_14partition_implILS5_8ELb0ES3_jN6thrust23THRUST_200600_302600_NS6detail15normal_iteratorINSA_10device_ptrIdEEEEPS6_PKS6_NS0_5tupleIJSF_S6_EEENSJ_IJSG_SG_EEENS0_18inequality_wrapperI22is_equal_div_10_uniqueIdEEEPmJS6_EEE10hipError_tPvRmT3_T4_T5_T6_T7_T9_mT8_P12ihipStream_tbDpT10_ENKUlT_T0_E_clISt17integral_constantIbLb0EES19_IbLb1EEEEDaS15_S16_EUlS15_E_NS1_11comp_targetILNS1_3genE3ELNS1_11target_archE908ELNS1_3gpuE7ELNS1_3repE0EEENS1_30default_config_static_selectorELNS0_4arch9wavefront6targetE1EEEvT1_,@function
_ZN7rocprim17ROCPRIM_400000_NS6detail17trampoline_kernelINS0_14default_configENS1_25partition_config_selectorILNS1_17partition_subalgoE8EdNS0_10empty_typeEbEEZZNS1_14partition_implILS5_8ELb0ES3_jN6thrust23THRUST_200600_302600_NS6detail15normal_iteratorINSA_10device_ptrIdEEEEPS6_PKS6_NS0_5tupleIJSF_S6_EEENSJ_IJSG_SG_EEENS0_18inequality_wrapperI22is_equal_div_10_uniqueIdEEEPmJS6_EEE10hipError_tPvRmT3_T4_T5_T6_T7_T9_mT8_P12ihipStream_tbDpT10_ENKUlT_T0_E_clISt17integral_constantIbLb0EES19_IbLb1EEEEDaS15_S16_EUlS15_E_NS1_11comp_targetILNS1_3genE3ELNS1_11target_archE908ELNS1_3gpuE7ELNS1_3repE0EEENS1_30default_config_static_selectorELNS0_4arch9wavefront6targetE1EEEvT1_: ; @_ZN7rocprim17ROCPRIM_400000_NS6detail17trampoline_kernelINS0_14default_configENS1_25partition_config_selectorILNS1_17partition_subalgoE8EdNS0_10empty_typeEbEEZZNS1_14partition_implILS5_8ELb0ES3_jN6thrust23THRUST_200600_302600_NS6detail15normal_iteratorINSA_10device_ptrIdEEEEPS6_PKS6_NS0_5tupleIJSF_S6_EEENSJ_IJSG_SG_EEENS0_18inequality_wrapperI22is_equal_div_10_uniqueIdEEEPmJS6_EEE10hipError_tPvRmT3_T4_T5_T6_T7_T9_mT8_P12ihipStream_tbDpT10_ENKUlT_T0_E_clISt17integral_constantIbLb0EES19_IbLb1EEEEDaS15_S16_EUlS15_E_NS1_11comp_targetILNS1_3genE3ELNS1_11target_archE908ELNS1_3gpuE7ELNS1_3repE0EEENS1_30default_config_static_selectorELNS0_4arch9wavefront6targetE1EEEvT1_
; %bb.0:
	.section	.rodata,"a",@progbits
	.p2align	6, 0x0
	.amdhsa_kernel _ZN7rocprim17ROCPRIM_400000_NS6detail17trampoline_kernelINS0_14default_configENS1_25partition_config_selectorILNS1_17partition_subalgoE8EdNS0_10empty_typeEbEEZZNS1_14partition_implILS5_8ELb0ES3_jN6thrust23THRUST_200600_302600_NS6detail15normal_iteratorINSA_10device_ptrIdEEEEPS6_PKS6_NS0_5tupleIJSF_S6_EEENSJ_IJSG_SG_EEENS0_18inequality_wrapperI22is_equal_div_10_uniqueIdEEEPmJS6_EEE10hipError_tPvRmT3_T4_T5_T6_T7_T9_mT8_P12ihipStream_tbDpT10_ENKUlT_T0_E_clISt17integral_constantIbLb0EES19_IbLb1EEEEDaS15_S16_EUlS15_E_NS1_11comp_targetILNS1_3genE3ELNS1_11target_archE908ELNS1_3gpuE7ELNS1_3repE0EEENS1_30default_config_static_selectorELNS0_4arch9wavefront6targetE1EEEvT1_
		.amdhsa_group_segment_fixed_size 0
		.amdhsa_private_segment_fixed_size 0
		.amdhsa_kernarg_size 128
		.amdhsa_user_sgpr_count 6
		.amdhsa_user_sgpr_private_segment_buffer 1
		.amdhsa_user_sgpr_dispatch_ptr 0
		.amdhsa_user_sgpr_queue_ptr 0
		.amdhsa_user_sgpr_kernarg_segment_ptr 1
		.amdhsa_user_sgpr_dispatch_id 0
		.amdhsa_user_sgpr_flat_scratch_init 0
		.amdhsa_user_sgpr_private_segment_size 0
		.amdhsa_uses_dynamic_stack 0
		.amdhsa_system_sgpr_private_segment_wavefront_offset 0
		.amdhsa_system_sgpr_workgroup_id_x 1
		.amdhsa_system_sgpr_workgroup_id_y 0
		.amdhsa_system_sgpr_workgroup_id_z 0
		.amdhsa_system_sgpr_workgroup_info 0
		.amdhsa_system_vgpr_workitem_id 0
		.amdhsa_next_free_vgpr 1
		.amdhsa_next_free_sgpr 0
		.amdhsa_reserve_vcc 0
		.amdhsa_reserve_flat_scratch 0
		.amdhsa_float_round_mode_32 0
		.amdhsa_float_round_mode_16_64 0
		.amdhsa_float_denorm_mode_32 3
		.amdhsa_float_denorm_mode_16_64 3
		.amdhsa_dx10_clamp 1
		.amdhsa_ieee_mode 1
		.amdhsa_fp16_overflow 0
		.amdhsa_exception_fp_ieee_invalid_op 0
		.amdhsa_exception_fp_denorm_src 0
		.amdhsa_exception_fp_ieee_div_zero 0
		.amdhsa_exception_fp_ieee_overflow 0
		.amdhsa_exception_fp_ieee_underflow 0
		.amdhsa_exception_fp_ieee_inexact 0
		.amdhsa_exception_int_div_zero 0
	.end_amdhsa_kernel
	.section	.text._ZN7rocprim17ROCPRIM_400000_NS6detail17trampoline_kernelINS0_14default_configENS1_25partition_config_selectorILNS1_17partition_subalgoE8EdNS0_10empty_typeEbEEZZNS1_14partition_implILS5_8ELb0ES3_jN6thrust23THRUST_200600_302600_NS6detail15normal_iteratorINSA_10device_ptrIdEEEEPS6_PKS6_NS0_5tupleIJSF_S6_EEENSJ_IJSG_SG_EEENS0_18inequality_wrapperI22is_equal_div_10_uniqueIdEEEPmJS6_EEE10hipError_tPvRmT3_T4_T5_T6_T7_T9_mT8_P12ihipStream_tbDpT10_ENKUlT_T0_E_clISt17integral_constantIbLb0EES19_IbLb1EEEEDaS15_S16_EUlS15_E_NS1_11comp_targetILNS1_3genE3ELNS1_11target_archE908ELNS1_3gpuE7ELNS1_3repE0EEENS1_30default_config_static_selectorELNS0_4arch9wavefront6targetE1EEEvT1_,"axG",@progbits,_ZN7rocprim17ROCPRIM_400000_NS6detail17trampoline_kernelINS0_14default_configENS1_25partition_config_selectorILNS1_17partition_subalgoE8EdNS0_10empty_typeEbEEZZNS1_14partition_implILS5_8ELb0ES3_jN6thrust23THRUST_200600_302600_NS6detail15normal_iteratorINSA_10device_ptrIdEEEEPS6_PKS6_NS0_5tupleIJSF_S6_EEENSJ_IJSG_SG_EEENS0_18inequality_wrapperI22is_equal_div_10_uniqueIdEEEPmJS6_EEE10hipError_tPvRmT3_T4_T5_T6_T7_T9_mT8_P12ihipStream_tbDpT10_ENKUlT_T0_E_clISt17integral_constantIbLb0EES19_IbLb1EEEEDaS15_S16_EUlS15_E_NS1_11comp_targetILNS1_3genE3ELNS1_11target_archE908ELNS1_3gpuE7ELNS1_3repE0EEENS1_30default_config_static_selectorELNS0_4arch9wavefront6targetE1EEEvT1_,comdat
.Lfunc_end74:
	.size	_ZN7rocprim17ROCPRIM_400000_NS6detail17trampoline_kernelINS0_14default_configENS1_25partition_config_selectorILNS1_17partition_subalgoE8EdNS0_10empty_typeEbEEZZNS1_14partition_implILS5_8ELb0ES3_jN6thrust23THRUST_200600_302600_NS6detail15normal_iteratorINSA_10device_ptrIdEEEEPS6_PKS6_NS0_5tupleIJSF_S6_EEENSJ_IJSG_SG_EEENS0_18inequality_wrapperI22is_equal_div_10_uniqueIdEEEPmJS6_EEE10hipError_tPvRmT3_T4_T5_T6_T7_T9_mT8_P12ihipStream_tbDpT10_ENKUlT_T0_E_clISt17integral_constantIbLb0EES19_IbLb1EEEEDaS15_S16_EUlS15_E_NS1_11comp_targetILNS1_3genE3ELNS1_11target_archE908ELNS1_3gpuE7ELNS1_3repE0EEENS1_30default_config_static_selectorELNS0_4arch9wavefront6targetE1EEEvT1_, .Lfunc_end74-_ZN7rocprim17ROCPRIM_400000_NS6detail17trampoline_kernelINS0_14default_configENS1_25partition_config_selectorILNS1_17partition_subalgoE8EdNS0_10empty_typeEbEEZZNS1_14partition_implILS5_8ELb0ES3_jN6thrust23THRUST_200600_302600_NS6detail15normal_iteratorINSA_10device_ptrIdEEEEPS6_PKS6_NS0_5tupleIJSF_S6_EEENSJ_IJSG_SG_EEENS0_18inequality_wrapperI22is_equal_div_10_uniqueIdEEEPmJS6_EEE10hipError_tPvRmT3_T4_T5_T6_T7_T9_mT8_P12ihipStream_tbDpT10_ENKUlT_T0_E_clISt17integral_constantIbLb0EES19_IbLb1EEEEDaS15_S16_EUlS15_E_NS1_11comp_targetILNS1_3genE3ELNS1_11target_archE908ELNS1_3gpuE7ELNS1_3repE0EEENS1_30default_config_static_selectorELNS0_4arch9wavefront6targetE1EEEvT1_
                                        ; -- End function
	.set _ZN7rocprim17ROCPRIM_400000_NS6detail17trampoline_kernelINS0_14default_configENS1_25partition_config_selectorILNS1_17partition_subalgoE8EdNS0_10empty_typeEbEEZZNS1_14partition_implILS5_8ELb0ES3_jN6thrust23THRUST_200600_302600_NS6detail15normal_iteratorINSA_10device_ptrIdEEEEPS6_PKS6_NS0_5tupleIJSF_S6_EEENSJ_IJSG_SG_EEENS0_18inequality_wrapperI22is_equal_div_10_uniqueIdEEEPmJS6_EEE10hipError_tPvRmT3_T4_T5_T6_T7_T9_mT8_P12ihipStream_tbDpT10_ENKUlT_T0_E_clISt17integral_constantIbLb0EES19_IbLb1EEEEDaS15_S16_EUlS15_E_NS1_11comp_targetILNS1_3genE3ELNS1_11target_archE908ELNS1_3gpuE7ELNS1_3repE0EEENS1_30default_config_static_selectorELNS0_4arch9wavefront6targetE1EEEvT1_.num_vgpr, 0
	.set _ZN7rocprim17ROCPRIM_400000_NS6detail17trampoline_kernelINS0_14default_configENS1_25partition_config_selectorILNS1_17partition_subalgoE8EdNS0_10empty_typeEbEEZZNS1_14partition_implILS5_8ELb0ES3_jN6thrust23THRUST_200600_302600_NS6detail15normal_iteratorINSA_10device_ptrIdEEEEPS6_PKS6_NS0_5tupleIJSF_S6_EEENSJ_IJSG_SG_EEENS0_18inequality_wrapperI22is_equal_div_10_uniqueIdEEEPmJS6_EEE10hipError_tPvRmT3_T4_T5_T6_T7_T9_mT8_P12ihipStream_tbDpT10_ENKUlT_T0_E_clISt17integral_constantIbLb0EES19_IbLb1EEEEDaS15_S16_EUlS15_E_NS1_11comp_targetILNS1_3genE3ELNS1_11target_archE908ELNS1_3gpuE7ELNS1_3repE0EEENS1_30default_config_static_selectorELNS0_4arch9wavefront6targetE1EEEvT1_.num_agpr, 0
	.set _ZN7rocprim17ROCPRIM_400000_NS6detail17trampoline_kernelINS0_14default_configENS1_25partition_config_selectorILNS1_17partition_subalgoE8EdNS0_10empty_typeEbEEZZNS1_14partition_implILS5_8ELb0ES3_jN6thrust23THRUST_200600_302600_NS6detail15normal_iteratorINSA_10device_ptrIdEEEEPS6_PKS6_NS0_5tupleIJSF_S6_EEENSJ_IJSG_SG_EEENS0_18inequality_wrapperI22is_equal_div_10_uniqueIdEEEPmJS6_EEE10hipError_tPvRmT3_T4_T5_T6_T7_T9_mT8_P12ihipStream_tbDpT10_ENKUlT_T0_E_clISt17integral_constantIbLb0EES19_IbLb1EEEEDaS15_S16_EUlS15_E_NS1_11comp_targetILNS1_3genE3ELNS1_11target_archE908ELNS1_3gpuE7ELNS1_3repE0EEENS1_30default_config_static_selectorELNS0_4arch9wavefront6targetE1EEEvT1_.numbered_sgpr, 0
	.set _ZN7rocprim17ROCPRIM_400000_NS6detail17trampoline_kernelINS0_14default_configENS1_25partition_config_selectorILNS1_17partition_subalgoE8EdNS0_10empty_typeEbEEZZNS1_14partition_implILS5_8ELb0ES3_jN6thrust23THRUST_200600_302600_NS6detail15normal_iteratorINSA_10device_ptrIdEEEEPS6_PKS6_NS0_5tupleIJSF_S6_EEENSJ_IJSG_SG_EEENS0_18inequality_wrapperI22is_equal_div_10_uniqueIdEEEPmJS6_EEE10hipError_tPvRmT3_T4_T5_T6_T7_T9_mT8_P12ihipStream_tbDpT10_ENKUlT_T0_E_clISt17integral_constantIbLb0EES19_IbLb1EEEEDaS15_S16_EUlS15_E_NS1_11comp_targetILNS1_3genE3ELNS1_11target_archE908ELNS1_3gpuE7ELNS1_3repE0EEENS1_30default_config_static_selectorELNS0_4arch9wavefront6targetE1EEEvT1_.num_named_barrier, 0
	.set _ZN7rocprim17ROCPRIM_400000_NS6detail17trampoline_kernelINS0_14default_configENS1_25partition_config_selectorILNS1_17partition_subalgoE8EdNS0_10empty_typeEbEEZZNS1_14partition_implILS5_8ELb0ES3_jN6thrust23THRUST_200600_302600_NS6detail15normal_iteratorINSA_10device_ptrIdEEEEPS6_PKS6_NS0_5tupleIJSF_S6_EEENSJ_IJSG_SG_EEENS0_18inequality_wrapperI22is_equal_div_10_uniqueIdEEEPmJS6_EEE10hipError_tPvRmT3_T4_T5_T6_T7_T9_mT8_P12ihipStream_tbDpT10_ENKUlT_T0_E_clISt17integral_constantIbLb0EES19_IbLb1EEEEDaS15_S16_EUlS15_E_NS1_11comp_targetILNS1_3genE3ELNS1_11target_archE908ELNS1_3gpuE7ELNS1_3repE0EEENS1_30default_config_static_selectorELNS0_4arch9wavefront6targetE1EEEvT1_.private_seg_size, 0
	.set _ZN7rocprim17ROCPRIM_400000_NS6detail17trampoline_kernelINS0_14default_configENS1_25partition_config_selectorILNS1_17partition_subalgoE8EdNS0_10empty_typeEbEEZZNS1_14partition_implILS5_8ELb0ES3_jN6thrust23THRUST_200600_302600_NS6detail15normal_iteratorINSA_10device_ptrIdEEEEPS6_PKS6_NS0_5tupleIJSF_S6_EEENSJ_IJSG_SG_EEENS0_18inequality_wrapperI22is_equal_div_10_uniqueIdEEEPmJS6_EEE10hipError_tPvRmT3_T4_T5_T6_T7_T9_mT8_P12ihipStream_tbDpT10_ENKUlT_T0_E_clISt17integral_constantIbLb0EES19_IbLb1EEEEDaS15_S16_EUlS15_E_NS1_11comp_targetILNS1_3genE3ELNS1_11target_archE908ELNS1_3gpuE7ELNS1_3repE0EEENS1_30default_config_static_selectorELNS0_4arch9wavefront6targetE1EEEvT1_.uses_vcc, 0
	.set _ZN7rocprim17ROCPRIM_400000_NS6detail17trampoline_kernelINS0_14default_configENS1_25partition_config_selectorILNS1_17partition_subalgoE8EdNS0_10empty_typeEbEEZZNS1_14partition_implILS5_8ELb0ES3_jN6thrust23THRUST_200600_302600_NS6detail15normal_iteratorINSA_10device_ptrIdEEEEPS6_PKS6_NS0_5tupleIJSF_S6_EEENSJ_IJSG_SG_EEENS0_18inequality_wrapperI22is_equal_div_10_uniqueIdEEEPmJS6_EEE10hipError_tPvRmT3_T4_T5_T6_T7_T9_mT8_P12ihipStream_tbDpT10_ENKUlT_T0_E_clISt17integral_constantIbLb0EES19_IbLb1EEEEDaS15_S16_EUlS15_E_NS1_11comp_targetILNS1_3genE3ELNS1_11target_archE908ELNS1_3gpuE7ELNS1_3repE0EEENS1_30default_config_static_selectorELNS0_4arch9wavefront6targetE1EEEvT1_.uses_flat_scratch, 0
	.set _ZN7rocprim17ROCPRIM_400000_NS6detail17trampoline_kernelINS0_14default_configENS1_25partition_config_selectorILNS1_17partition_subalgoE8EdNS0_10empty_typeEbEEZZNS1_14partition_implILS5_8ELb0ES3_jN6thrust23THRUST_200600_302600_NS6detail15normal_iteratorINSA_10device_ptrIdEEEEPS6_PKS6_NS0_5tupleIJSF_S6_EEENSJ_IJSG_SG_EEENS0_18inequality_wrapperI22is_equal_div_10_uniqueIdEEEPmJS6_EEE10hipError_tPvRmT3_T4_T5_T6_T7_T9_mT8_P12ihipStream_tbDpT10_ENKUlT_T0_E_clISt17integral_constantIbLb0EES19_IbLb1EEEEDaS15_S16_EUlS15_E_NS1_11comp_targetILNS1_3genE3ELNS1_11target_archE908ELNS1_3gpuE7ELNS1_3repE0EEENS1_30default_config_static_selectorELNS0_4arch9wavefront6targetE1EEEvT1_.has_dyn_sized_stack, 0
	.set _ZN7rocprim17ROCPRIM_400000_NS6detail17trampoline_kernelINS0_14default_configENS1_25partition_config_selectorILNS1_17partition_subalgoE8EdNS0_10empty_typeEbEEZZNS1_14partition_implILS5_8ELb0ES3_jN6thrust23THRUST_200600_302600_NS6detail15normal_iteratorINSA_10device_ptrIdEEEEPS6_PKS6_NS0_5tupleIJSF_S6_EEENSJ_IJSG_SG_EEENS0_18inequality_wrapperI22is_equal_div_10_uniqueIdEEEPmJS6_EEE10hipError_tPvRmT3_T4_T5_T6_T7_T9_mT8_P12ihipStream_tbDpT10_ENKUlT_T0_E_clISt17integral_constantIbLb0EES19_IbLb1EEEEDaS15_S16_EUlS15_E_NS1_11comp_targetILNS1_3genE3ELNS1_11target_archE908ELNS1_3gpuE7ELNS1_3repE0EEENS1_30default_config_static_selectorELNS0_4arch9wavefront6targetE1EEEvT1_.has_recursion, 0
	.set _ZN7rocprim17ROCPRIM_400000_NS6detail17trampoline_kernelINS0_14default_configENS1_25partition_config_selectorILNS1_17partition_subalgoE8EdNS0_10empty_typeEbEEZZNS1_14partition_implILS5_8ELb0ES3_jN6thrust23THRUST_200600_302600_NS6detail15normal_iteratorINSA_10device_ptrIdEEEEPS6_PKS6_NS0_5tupleIJSF_S6_EEENSJ_IJSG_SG_EEENS0_18inequality_wrapperI22is_equal_div_10_uniqueIdEEEPmJS6_EEE10hipError_tPvRmT3_T4_T5_T6_T7_T9_mT8_P12ihipStream_tbDpT10_ENKUlT_T0_E_clISt17integral_constantIbLb0EES19_IbLb1EEEEDaS15_S16_EUlS15_E_NS1_11comp_targetILNS1_3genE3ELNS1_11target_archE908ELNS1_3gpuE7ELNS1_3repE0EEENS1_30default_config_static_selectorELNS0_4arch9wavefront6targetE1EEEvT1_.has_indirect_call, 0
	.section	.AMDGPU.csdata,"",@progbits
; Kernel info:
; codeLenInByte = 0
; TotalNumSgprs: 4
; NumVgprs: 0
; ScratchSize: 0
; MemoryBound: 0
; FloatMode: 240
; IeeeMode: 1
; LDSByteSize: 0 bytes/workgroup (compile time only)
; SGPRBlocks: 0
; VGPRBlocks: 0
; NumSGPRsForWavesPerEU: 4
; NumVGPRsForWavesPerEU: 1
; Occupancy: 10
; WaveLimiterHint : 0
; COMPUTE_PGM_RSRC2:SCRATCH_EN: 0
; COMPUTE_PGM_RSRC2:USER_SGPR: 6
; COMPUTE_PGM_RSRC2:TRAP_HANDLER: 0
; COMPUTE_PGM_RSRC2:TGID_X_EN: 1
; COMPUTE_PGM_RSRC2:TGID_Y_EN: 0
; COMPUTE_PGM_RSRC2:TGID_Z_EN: 0
; COMPUTE_PGM_RSRC2:TIDIG_COMP_CNT: 0
	.section	.text._ZN7rocprim17ROCPRIM_400000_NS6detail17trampoline_kernelINS0_14default_configENS1_25partition_config_selectorILNS1_17partition_subalgoE8EdNS0_10empty_typeEbEEZZNS1_14partition_implILS5_8ELb0ES3_jN6thrust23THRUST_200600_302600_NS6detail15normal_iteratorINSA_10device_ptrIdEEEEPS6_PKS6_NS0_5tupleIJSF_S6_EEENSJ_IJSG_SG_EEENS0_18inequality_wrapperI22is_equal_div_10_uniqueIdEEEPmJS6_EEE10hipError_tPvRmT3_T4_T5_T6_T7_T9_mT8_P12ihipStream_tbDpT10_ENKUlT_T0_E_clISt17integral_constantIbLb0EES19_IbLb1EEEEDaS15_S16_EUlS15_E_NS1_11comp_targetILNS1_3genE2ELNS1_11target_archE906ELNS1_3gpuE6ELNS1_3repE0EEENS1_30default_config_static_selectorELNS0_4arch9wavefront6targetE1EEEvT1_,"axG",@progbits,_ZN7rocprim17ROCPRIM_400000_NS6detail17trampoline_kernelINS0_14default_configENS1_25partition_config_selectorILNS1_17partition_subalgoE8EdNS0_10empty_typeEbEEZZNS1_14partition_implILS5_8ELb0ES3_jN6thrust23THRUST_200600_302600_NS6detail15normal_iteratorINSA_10device_ptrIdEEEEPS6_PKS6_NS0_5tupleIJSF_S6_EEENSJ_IJSG_SG_EEENS0_18inequality_wrapperI22is_equal_div_10_uniqueIdEEEPmJS6_EEE10hipError_tPvRmT3_T4_T5_T6_T7_T9_mT8_P12ihipStream_tbDpT10_ENKUlT_T0_E_clISt17integral_constantIbLb0EES19_IbLb1EEEEDaS15_S16_EUlS15_E_NS1_11comp_targetILNS1_3genE2ELNS1_11target_archE906ELNS1_3gpuE6ELNS1_3repE0EEENS1_30default_config_static_selectorELNS0_4arch9wavefront6targetE1EEEvT1_,comdat
	.protected	_ZN7rocprim17ROCPRIM_400000_NS6detail17trampoline_kernelINS0_14default_configENS1_25partition_config_selectorILNS1_17partition_subalgoE8EdNS0_10empty_typeEbEEZZNS1_14partition_implILS5_8ELb0ES3_jN6thrust23THRUST_200600_302600_NS6detail15normal_iteratorINSA_10device_ptrIdEEEEPS6_PKS6_NS0_5tupleIJSF_S6_EEENSJ_IJSG_SG_EEENS0_18inequality_wrapperI22is_equal_div_10_uniqueIdEEEPmJS6_EEE10hipError_tPvRmT3_T4_T5_T6_T7_T9_mT8_P12ihipStream_tbDpT10_ENKUlT_T0_E_clISt17integral_constantIbLb0EES19_IbLb1EEEEDaS15_S16_EUlS15_E_NS1_11comp_targetILNS1_3genE2ELNS1_11target_archE906ELNS1_3gpuE6ELNS1_3repE0EEENS1_30default_config_static_selectorELNS0_4arch9wavefront6targetE1EEEvT1_ ; -- Begin function _ZN7rocprim17ROCPRIM_400000_NS6detail17trampoline_kernelINS0_14default_configENS1_25partition_config_selectorILNS1_17partition_subalgoE8EdNS0_10empty_typeEbEEZZNS1_14partition_implILS5_8ELb0ES3_jN6thrust23THRUST_200600_302600_NS6detail15normal_iteratorINSA_10device_ptrIdEEEEPS6_PKS6_NS0_5tupleIJSF_S6_EEENSJ_IJSG_SG_EEENS0_18inequality_wrapperI22is_equal_div_10_uniqueIdEEEPmJS6_EEE10hipError_tPvRmT3_T4_T5_T6_T7_T9_mT8_P12ihipStream_tbDpT10_ENKUlT_T0_E_clISt17integral_constantIbLb0EES19_IbLb1EEEEDaS15_S16_EUlS15_E_NS1_11comp_targetILNS1_3genE2ELNS1_11target_archE906ELNS1_3gpuE6ELNS1_3repE0EEENS1_30default_config_static_selectorELNS0_4arch9wavefront6targetE1EEEvT1_
	.globl	_ZN7rocprim17ROCPRIM_400000_NS6detail17trampoline_kernelINS0_14default_configENS1_25partition_config_selectorILNS1_17partition_subalgoE8EdNS0_10empty_typeEbEEZZNS1_14partition_implILS5_8ELb0ES3_jN6thrust23THRUST_200600_302600_NS6detail15normal_iteratorINSA_10device_ptrIdEEEEPS6_PKS6_NS0_5tupleIJSF_S6_EEENSJ_IJSG_SG_EEENS0_18inequality_wrapperI22is_equal_div_10_uniqueIdEEEPmJS6_EEE10hipError_tPvRmT3_T4_T5_T6_T7_T9_mT8_P12ihipStream_tbDpT10_ENKUlT_T0_E_clISt17integral_constantIbLb0EES19_IbLb1EEEEDaS15_S16_EUlS15_E_NS1_11comp_targetILNS1_3genE2ELNS1_11target_archE906ELNS1_3gpuE6ELNS1_3repE0EEENS1_30default_config_static_selectorELNS0_4arch9wavefront6targetE1EEEvT1_
	.p2align	8
	.type	_ZN7rocprim17ROCPRIM_400000_NS6detail17trampoline_kernelINS0_14default_configENS1_25partition_config_selectorILNS1_17partition_subalgoE8EdNS0_10empty_typeEbEEZZNS1_14partition_implILS5_8ELb0ES3_jN6thrust23THRUST_200600_302600_NS6detail15normal_iteratorINSA_10device_ptrIdEEEEPS6_PKS6_NS0_5tupleIJSF_S6_EEENSJ_IJSG_SG_EEENS0_18inequality_wrapperI22is_equal_div_10_uniqueIdEEEPmJS6_EEE10hipError_tPvRmT3_T4_T5_T6_T7_T9_mT8_P12ihipStream_tbDpT10_ENKUlT_T0_E_clISt17integral_constantIbLb0EES19_IbLb1EEEEDaS15_S16_EUlS15_E_NS1_11comp_targetILNS1_3genE2ELNS1_11target_archE906ELNS1_3gpuE6ELNS1_3repE0EEENS1_30default_config_static_selectorELNS0_4arch9wavefront6targetE1EEEvT1_,@function
_ZN7rocprim17ROCPRIM_400000_NS6detail17trampoline_kernelINS0_14default_configENS1_25partition_config_selectorILNS1_17partition_subalgoE8EdNS0_10empty_typeEbEEZZNS1_14partition_implILS5_8ELb0ES3_jN6thrust23THRUST_200600_302600_NS6detail15normal_iteratorINSA_10device_ptrIdEEEEPS6_PKS6_NS0_5tupleIJSF_S6_EEENSJ_IJSG_SG_EEENS0_18inequality_wrapperI22is_equal_div_10_uniqueIdEEEPmJS6_EEE10hipError_tPvRmT3_T4_T5_T6_T7_T9_mT8_P12ihipStream_tbDpT10_ENKUlT_T0_E_clISt17integral_constantIbLb0EES19_IbLb1EEEEDaS15_S16_EUlS15_E_NS1_11comp_targetILNS1_3genE2ELNS1_11target_archE906ELNS1_3gpuE6ELNS1_3repE0EEENS1_30default_config_static_selectorELNS0_4arch9wavefront6targetE1EEEvT1_: ; @_ZN7rocprim17ROCPRIM_400000_NS6detail17trampoline_kernelINS0_14default_configENS1_25partition_config_selectorILNS1_17partition_subalgoE8EdNS0_10empty_typeEbEEZZNS1_14partition_implILS5_8ELb0ES3_jN6thrust23THRUST_200600_302600_NS6detail15normal_iteratorINSA_10device_ptrIdEEEEPS6_PKS6_NS0_5tupleIJSF_S6_EEENSJ_IJSG_SG_EEENS0_18inequality_wrapperI22is_equal_div_10_uniqueIdEEEPmJS6_EEE10hipError_tPvRmT3_T4_T5_T6_T7_T9_mT8_P12ihipStream_tbDpT10_ENKUlT_T0_E_clISt17integral_constantIbLb0EES19_IbLb1EEEEDaS15_S16_EUlS15_E_NS1_11comp_targetILNS1_3genE2ELNS1_11target_archE906ELNS1_3gpuE6ELNS1_3repE0EEENS1_30default_config_static_selectorELNS0_4arch9wavefront6targetE1EEEvT1_
; %bb.0:
	s_load_dwordx2 s[24:25], s[4:5], 0x28
	s_load_dwordx4 s[20:23], s[4:5], 0x40
	s_load_dwordx2 s[6:7], s[4:5], 0x50
	s_load_dwordx2 s[28:29], s[4:5], 0x60
	v_cmp_ne_u32_e64 s[2:3], 0, v0
	v_cmp_eq_u32_e64 s[0:1], 0, v0
	s_and_saveexec_b64 s[8:9], s[0:1]
	s_cbranch_execz .LBB75_4
; %bb.1:
	s_mov_b64 s[12:13], exec
	v_mbcnt_lo_u32_b32 v1, s12, 0
	v_mbcnt_hi_u32_b32 v1, s13, v1
	v_cmp_eq_u32_e32 vcc, 0, v1
                                        ; implicit-def: $vgpr2
	s_and_saveexec_b64 s[10:11], vcc
	s_cbranch_execz .LBB75_3
; %bb.2:
	s_load_dwordx2 s[14:15], s[4:5], 0x70
	s_bcnt1_i32_b64 s12, s[12:13]
	v_mov_b32_e32 v2, 0
	v_mov_b32_e32 v3, s12
	s_waitcnt lgkmcnt(0)
	global_atomic_add v2, v2, v3, s[14:15] glc
.LBB75_3:
	s_or_b64 exec, exec, s[10:11]
	s_waitcnt vmcnt(0)
	v_readfirstlane_b32 s10, v2
	v_add_u32_e32 v1, s10, v1
	v_mov_b32_e32 v2, 0
	ds_write_b32 v2, v1
.LBB75_4:
	s_or_b64 exec, exec, s[8:9]
	v_mov_b32_e32 v2, 0
	s_load_dwordx4 s[8:11], s[4:5], 0x8
	s_load_dword s12, s[4:5], 0x68
	s_waitcnt lgkmcnt(0)
	s_barrier
	ds_read_b32 v1, v2
	s_waitcnt lgkmcnt(0)
	s_barrier
	global_load_dwordx2 v[17:18], v2, s[22:23]
	s_lshl_b64 s[4:5], s[10:11], 3
	s_add_u32 s8, s8, s4
	s_movk_i32 s4, 0x700
	v_readfirstlane_b32 s33, v1
	v_mul_lo_u32 v1, v1, s4
	s_mul_i32 s4, s12, 0x700
	s_addc_u32 s9, s9, s5
	s_add_i32 s5, s4, s10
	s_add_i32 s13, s12, -1
	s_sub_i32 s38, s6, s5
	s_add_u32 s4, s10, s4
	s_addc_u32 s5, s11, 0
	v_mov_b32_e32 v3, s4
	v_mov_b32_e32 v4, s5
	v_cmp_le_u64_e32 vcc, s[6:7], v[3:4]
	s_cmp_eq_u32 s33, s13
	v_lshlrev_b64 v[1:2], 3, v[1:2]
	s_cselect_b64 s[22:23], -1, 0
	s_and_b64 s[14:15], vcc, s[22:23]
	v_mov_b32_e32 v3, s9
	v_add_co_u32_e32 v19, vcc, s8, v1
	s_xor_b64 s[26:27], s[14:15], -1
	v_addc_co_u32_e32 v20, vcc, v3, v2, vcc
	s_mov_b64 s[4:5], -1
	s_and_b64 vcc, exec, s[26:27]
	v_lshlrev_b32_e32 v37, 3, v0
	s_cbranch_vccz .LBB75_6
; %bb.5:
	v_lshlrev_b32_e32 v23, 3, v0
	v_add_co_u32_e32 v1, vcc, v19, v23
	v_addc_co_u32_e32 v2, vcc, 0, v20, vcc
	v_add_co_u32_e32 v3, vcc, 0x1000, v1
	v_addc_co_u32_e32 v4, vcc, 0, v2, vcc
	flat_load_dwordx2 v[5:6], v[1:2]
	flat_load_dwordx2 v[7:8], v[1:2] offset:2048
	flat_load_dwordx2 v[9:10], v[3:4]
	flat_load_dwordx2 v[11:12], v[3:4] offset:2048
	v_add_co_u32_e32 v3, vcc, 0x2000, v1
	v_addc_co_u32_e32 v4, vcc, 0, v2, vcc
	v_add_co_u32_e32 v1, vcc, 0x3000, v1
	v_addc_co_u32_e32 v2, vcc, 0, v2, vcc
	flat_load_dwordx2 v[13:14], v[3:4]
	flat_load_dwordx2 v[15:16], v[3:4] offset:2048
	flat_load_dwordx2 v[21:22], v[1:2]
	s_mov_b64 s[4:5], 0
	s_waitcnt vmcnt(0) lgkmcnt(0)
	ds_write2st64_b64 v23, v[5:6], v[7:8] offset1:4
	ds_write2st64_b64 v23, v[9:10], v[11:12] offset0:8 offset1:12
	ds_write2st64_b64 v23, v[13:14], v[15:16] offset0:16 offset1:20
	ds_write_b64 v23, v[21:22] offset:12288
	s_waitcnt lgkmcnt(0)
	s_barrier
.LBB75_6:
	s_andn2_b64 vcc, exec, s[4:5]
	s_addk_i32 s38, 0x700
	s_cbranch_vccnz .LBB75_22
; %bb.7:
	v_mov_b32_e32 v1, 0
	v_cmp_gt_u32_e32 vcc, s38, v0
	v_mov_b32_e32 v2, v1
	v_mov_b32_e32 v3, v1
	;; [unrolled: 1-line block ×13, first 2 shown]
	s_and_saveexec_b64 s[4:5], vcc
	s_cbranch_execz .LBB75_9
; %bb.8:
	v_lshlrev_b32_e32 v2, 3, v0
	v_add_co_u32_e32 v2, vcc, v19, v2
	v_addc_co_u32_e32 v3, vcc, 0, v20, vcc
	flat_load_dwordx2 v[2:3], v[2:3]
	v_mov_b32_e32 v4, v1
	v_mov_b32_e32 v5, v1
	;; [unrolled: 1-line block ×12, first 2 shown]
	s_waitcnt vmcnt(0) lgkmcnt(0)
	v_mov_b32_e32 v1, v2
	v_mov_b32_e32 v2, v3
	;; [unrolled: 1-line block ×16, first 2 shown]
.LBB75_9:
	s_or_b64 exec, exec, s[4:5]
	v_or_b32_e32 v15, 0x100, v0
	v_cmp_gt_u32_e32 vcc, s38, v15
	s_and_saveexec_b64 s[4:5], vcc
	s_cbranch_execz .LBB75_11
; %bb.10:
	v_lshlrev_b32_e32 v3, 3, v0
	v_add_co_u32_e32 v3, vcc, v19, v3
	v_addc_co_u32_e32 v4, vcc, 0, v20, vcc
	flat_load_dwordx2 v[3:4], v[3:4] offset:2048
.LBB75_11:
	s_or_b64 exec, exec, s[4:5]
	v_or_b32_e32 v15, 0x200, v0
	v_cmp_gt_u32_e32 vcc, s38, v15
	s_and_saveexec_b64 s[4:5], vcc
	s_cbranch_execz .LBB75_13
; %bb.12:
	v_lshlrev_b32_e32 v5, 3, v15
	v_add_co_u32_e32 v5, vcc, v19, v5
	v_addc_co_u32_e32 v6, vcc, 0, v20, vcc
	flat_load_dwordx2 v[5:6], v[5:6]
.LBB75_13:
	s_or_b64 exec, exec, s[4:5]
	v_or_b32_e32 v15, 0x300, v0
	v_cmp_gt_u32_e32 vcc, s38, v15
	s_and_saveexec_b64 s[4:5], vcc
	s_cbranch_execz .LBB75_15
; %bb.14:
	v_lshlrev_b32_e32 v7, 3, v15
	v_add_co_u32_e32 v7, vcc, v19, v7
	v_addc_co_u32_e32 v8, vcc, 0, v20, vcc
	flat_load_dwordx2 v[7:8], v[7:8]
.LBB75_15:
	;; [unrolled: 11-line block ×5, first 2 shown]
	s_or_b64 exec, exec, s[4:5]
	v_lshlrev_b32_e32 v15, 3, v0
	s_waitcnt vmcnt(0) lgkmcnt(0)
	ds_write2st64_b64 v15, v[1:2], v[3:4] offset1:4
	ds_write2st64_b64 v15, v[5:6], v[7:8] offset0:8 offset1:12
	ds_write2st64_b64 v15, v[9:10], v[11:12] offset0:16 offset1:20
	ds_write_b64 v15, v[13:14] offset:12288
	s_waitcnt lgkmcnt(0)
	s_barrier
.LBB75_22:
	v_mul_u32_u24_e32 v21, 7, v0
	v_lshlrev_b32_e32 v22, 3, v21
	ds_read2_b64 v[9:12], v22 offset1:1
	ds_read2_b64 v[5:8], v22 offset0:2 offset1:3
	ds_read2_b64 v[1:4], v22 offset0:4 offset1:5
	ds_read_b64 v[13:14], v22 offset:48
	s_cmp_lg_u32 s33, 0
	s_cselect_b64 s[16:17], -1, 0
	s_cmp_lg_u64 s[10:11], 0
	s_cselect_b64 s[4:5], -1, 0
	s_or_b64 s[4:5], s[4:5], s[16:17]
	s_mov_b64 s[18:19], 0
	s_and_b64 vcc, exec, s[4:5]
	s_waitcnt vmcnt(0) lgkmcnt(0)
	s_barrier
	s_cbranch_vccz .LBB75_27
; %bb.23:
	v_add_co_u32_e32 v15, vcc, -8, v19
	v_addc_co_u32_e32 v16, vcc, -1, v20, vcc
	flat_load_dwordx2 v[15:16], v[15:16]
	v_lshlrev_b32_e32 v23, 3, v0
	s_and_b64 vcc, exec, s[26:27]
	ds_write_b64 v23, v[13:14]
	s_cbranch_vccz .LBB75_28
; %bb.24:
	s_waitcnt vmcnt(0) lgkmcnt(0)
	v_mov_b32_e32 v20, v16
	v_mov_b32_e32 v19, v15
	s_barrier
	s_and_saveexec_b64 s[4:5], s[2:3]
; %bb.25:
	v_add_u32_e32 v19, -8, v23
	ds_read_b64 v[19:20], v19
; %bb.26:
	s_or_b64 exec, exec, s[4:5]
	v_cvt_i32_f64_e32 v24, v[3:4]
	v_cvt_i32_f64_e32 v25, v[13:14]
	;; [unrolled: 1-line block ×3, first 2 shown]
	s_mov_b32 s4, 0x66666667
	v_mul_hi_i32 v24, v24, s4
	v_mul_hi_i32 v25, v25, s4
	;; [unrolled: 1-line block ×3, first 2 shown]
	s_waitcnt lgkmcnt(0)
	v_cvt_i32_f64_e32 v19, v[19:20]
	v_lshrrev_b32_e32 v27, 31, v24
	v_ashrrev_i32_e32 v24, 2, v24
	v_lshrrev_b32_e32 v28, 31, v25
	v_ashrrev_i32_e32 v25, 2, v25
	v_add_u32_e32 v24, v24, v27
	v_add_u32_e32 v25, v25, v28
	v_cmp_ne_u32_e32 vcc, v24, v25
	v_cvt_i32_f64_e32 v25, v[7:8]
	v_lshrrev_b32_e32 v27, 31, v26
	v_ashrrev_i32_e32 v26, 2, v26
	v_add_u32_e32 v26, v26, v27
	v_cndmask_b32_e64 v38, 0, 1, vcc
	v_cmp_ne_u32_e32 vcc, v26, v24
	v_cvt_i32_f64_e32 v24, v[5:6]
	v_mul_hi_i32 v25, v25, s4
	v_cndmask_b32_e64 v39, 0, 1, vcc
	v_mul_hi_i32 v19, v19, s4
	v_mul_hi_i32 v24, v24, s4
	v_lshrrev_b32_e32 v27, 31, v25
	v_ashrrev_i32_e32 v25, 2, v25
	v_add_u32_e32 v25, v25, v27
	v_cmp_ne_u32_e32 vcc, v25, v26
	v_cvt_i32_f64_e32 v26, v[11:12]
	v_lshrrev_b32_e32 v27, 31, v24
	v_ashrrev_i32_e32 v24, 2, v24
	v_add_u32_e32 v24, v24, v27
	v_cndmask_b32_e64 v40, 0, 1, vcc
	v_cmp_ne_u32_e32 vcc, v24, v25
	v_cvt_i32_f64_e32 v25, v[9:10]
	v_mul_hi_i32 v26, v26, s4
	v_cndmask_b32_e64 v41, 0, 1, vcc
	v_mul_hi_i32 v25, v25, s4
	v_lshrrev_b32_e32 v27, 31, v26
	v_ashrrev_i32_e32 v26, 2, v26
	v_add_u32_e32 v26, v26, v27
	v_cmp_ne_u32_e32 vcc, v26, v24
	v_lshrrev_b32_e32 v20, 31, v25
	v_ashrrev_i32_e32 v24, 2, v25
	v_add_u32_e32 v20, v24, v20
	v_lshrrev_b32_e32 v24, 31, v19
	v_ashrrev_i32_e32 v19, 2, v19
	v_cndmask_b32_e64 v42, 0, 1, vcc
	v_cmp_ne_u32_e32 vcc, v20, v26
	v_add_u32_e32 v19, v19, v24
	v_cndmask_b32_e64 v43, 0, 1, vcc
	v_cmp_ne_u32_e64 s[30:31], v19, v20
	s_branch .LBB75_46
.LBB75_27:
                                        ; implicit-def: $sgpr30_sgpr31
                                        ; implicit-def: $vgpr38
                                        ; implicit-def: $vgpr39
                                        ; implicit-def: $vgpr40
                                        ; implicit-def: $vgpr41
                                        ; implicit-def: $vgpr42
                                        ; implicit-def: $vgpr43
	s_branch .LBB75_47
.LBB75_28:
                                        ; implicit-def: $sgpr30_sgpr31
                                        ; implicit-def: $vgpr38
                                        ; implicit-def: $vgpr39
                                        ; implicit-def: $vgpr40
                                        ; implicit-def: $vgpr41
                                        ; implicit-def: $vgpr42
                                        ; implicit-def: $vgpr43
	s_cbranch_execz .LBB75_46
; %bb.29:
	v_add_u32_e32 v19, 6, v21
	v_cmp_gt_u32_e32 vcc, s38, v19
	s_mov_b64 s[6:7], 0
	s_mov_b64 s[4:5], 0
	s_and_saveexec_b64 s[8:9], vcc
	s_cbranch_execz .LBB75_31
; %bb.30:
	v_cvt_i32_f64_e32 v19, v[3:4]
	v_cvt_i32_f64_e32 v20, v[13:14]
	s_mov_b32 s4, 0x66666667
	v_mul_hi_i32 v19, v19, s4
	v_mul_hi_i32 v20, v20, s4
	v_lshrrev_b32_e32 v24, 31, v19
	v_ashrrev_i32_e32 v19, 2, v19
	v_lshrrev_b32_e32 v25, 31, v20
	v_ashrrev_i32_e32 v20, 2, v20
	v_add_u32_e32 v19, v19, v24
	v_add_u32_e32 v20, v20, v25
	v_cmp_ne_u32_e32 vcc, v19, v20
	s_and_b64 s[4:5], vcc, exec
.LBB75_31:
	s_or_b64 exec, exec, s[8:9]
	v_add_u32_e32 v19, 5, v21
	v_cmp_gt_u32_e32 vcc, s38, v19
	s_and_saveexec_b64 s[8:9], vcc
	s_cbranch_execz .LBB75_33
; %bb.32:
	v_cvt_i32_f64_e32 v19, v[1:2]
	v_cvt_i32_f64_e32 v20, v[3:4]
	s_mov_b32 s6, 0x66666667
	v_mul_hi_i32 v19, v19, s6
	v_mul_hi_i32 v20, v20, s6
	v_lshrrev_b32_e32 v24, 31, v19
	v_ashrrev_i32_e32 v19, 2, v19
	v_lshrrev_b32_e32 v25, 31, v20
	v_ashrrev_i32_e32 v20, 2, v20
	v_add_u32_e32 v19, v19, v24
	v_add_u32_e32 v20, v20, v25
	v_cmp_ne_u32_e32 vcc, v19, v20
	s_and_b64 s[6:7], vcc, exec
.LBB75_33:
	s_or_b64 exec, exec, s[8:9]
	v_add_u32_e32 v19, 4, v21
	v_cmp_gt_u32_e32 vcc, s38, v19
	s_mov_b64 s[10:11], 0
	s_mov_b64 s[8:9], 0
	s_and_saveexec_b64 s[12:13], vcc
	s_cbranch_execz .LBB75_35
; %bb.34:
	v_cvt_i32_f64_e32 v19, v[7:8]
	v_cvt_i32_f64_e32 v20, v[1:2]
	s_mov_b32 s8, 0x66666667
	v_mul_hi_i32 v19, v19, s8
	v_mul_hi_i32 v20, v20, s8
	v_lshrrev_b32_e32 v24, 31, v19
	v_ashrrev_i32_e32 v19, 2, v19
	v_lshrrev_b32_e32 v25, 31, v20
	v_ashrrev_i32_e32 v20, 2, v20
	v_add_u32_e32 v19, v19, v24
	v_add_u32_e32 v20, v20, v25
	v_cmp_ne_u32_e32 vcc, v19, v20
	s_and_b64 s[8:9], vcc, exec
.LBB75_35:
	s_or_b64 exec, exec, s[12:13]
	v_add_u32_e32 v19, 3, v21
	v_cmp_gt_u32_e32 vcc, s38, v19
	s_and_saveexec_b64 s[12:13], vcc
	s_cbranch_execz .LBB75_37
; %bb.36:
	v_cvt_i32_f64_e32 v19, v[5:6]
	v_cvt_i32_f64_e32 v20, v[7:8]
	s_mov_b32 s10, 0x66666667
	v_mul_hi_i32 v19, v19, s10
	v_mul_hi_i32 v20, v20, s10
	v_lshrrev_b32_e32 v24, 31, v19
	v_ashrrev_i32_e32 v19, 2, v19
	v_lshrrev_b32_e32 v25, 31, v20
	v_ashrrev_i32_e32 v20, 2, v20
	v_add_u32_e32 v19, v19, v24
	v_add_u32_e32 v20, v20, v25
	v_cmp_ne_u32_e32 vcc, v19, v20
	s_and_b64 s[10:11], vcc, exec
.LBB75_37:
	s_or_b64 exec, exec, s[12:13]
	v_add_u32_e32 v19, 2, v21
	v_cmp_gt_u32_e32 vcc, s38, v19
	s_mov_b64 s[12:13], 0
	s_and_saveexec_b64 s[30:31], vcc
	s_cbranch_execz .LBB75_39
; %bb.38:
	v_cvt_i32_f64_e32 v19, v[11:12]
	v_cvt_i32_f64_e32 v20, v[5:6]
	s_mov_b32 s12, 0x66666667
	v_mul_hi_i32 v19, v19, s12
	v_mul_hi_i32 v20, v20, s12
	v_lshrrev_b32_e32 v24, 31, v19
	v_ashrrev_i32_e32 v19, 2, v19
	v_lshrrev_b32_e32 v25, 31, v20
	v_ashrrev_i32_e32 v20, 2, v20
	v_add_u32_e32 v19, v19, v24
	v_add_u32_e32 v20, v20, v25
	v_cmp_ne_u32_e32 vcc, v19, v20
	s_and_b64 s[12:13], vcc, exec
.LBB75_39:
	s_or_b64 exec, exec, s[30:31]
	v_add_u32_e32 v19, 1, v21
	v_cmp_gt_u32_e32 vcc, s38, v19
	s_and_saveexec_b64 s[30:31], vcc
	s_cbranch_execz .LBB75_41
; %bb.40:
	v_cvt_i32_f64_e32 v19, v[9:10]
	v_cvt_i32_f64_e32 v20, v[11:12]
	s_mov_b32 s18, 0x66666667
	v_mul_hi_i32 v19, v19, s18
	v_mul_hi_i32 v20, v20, s18
	v_lshrrev_b32_e32 v24, 31, v19
	v_ashrrev_i32_e32 v19, 2, v19
	v_lshrrev_b32_e32 v25, 31, v20
	v_ashrrev_i32_e32 v20, 2, v20
	v_add_u32_e32 v19, v19, v24
	v_add_u32_e32 v20, v20, v25
	v_cmp_ne_u32_e32 vcc, v19, v20
	s_and_b64 s[18:19], vcc, exec
.LBB75_41:
	s_or_b64 exec, exec, s[30:31]
	s_waitcnt vmcnt(0) lgkmcnt(0)
	s_barrier
	s_and_saveexec_b64 s[30:31], s[2:3]
; %bb.42:
	v_add_u32_e32 v15, -8, v23
	ds_read_b64 v[15:16], v15
; %bb.43:
	s_or_b64 exec, exec, s[30:31]
	v_cmp_gt_u32_e32 vcc, s38, v21
	s_mov_b64 s[30:31], 0
	s_and_saveexec_b64 s[34:35], vcc
	s_cbranch_execz .LBB75_45
; %bb.44:
	s_waitcnt lgkmcnt(0)
	v_cvt_i32_f64_e32 v15, v[15:16]
	v_cvt_i32_f64_e32 v16, v[9:10]
	s_mov_b32 s30, 0x66666667
	v_mul_hi_i32 v15, v15, s30
	v_mul_hi_i32 v16, v16, s30
	v_lshrrev_b32_e32 v19, 31, v15
	v_ashrrev_i32_e32 v15, 2, v15
	v_lshrrev_b32_e32 v20, 31, v16
	v_ashrrev_i32_e32 v16, 2, v16
	v_add_u32_e32 v15, v15, v19
	v_add_u32_e32 v16, v16, v20
	v_cmp_ne_u32_e32 vcc, v15, v16
	s_and_b64 s[30:31], vcc, exec
.LBB75_45:
	s_or_b64 exec, exec, s[34:35]
	v_cndmask_b32_e64 v43, 0, 1, s[18:19]
	v_cndmask_b32_e64 v42, 0, 1, s[12:13]
	;; [unrolled: 1-line block ×6, first 2 shown]
.LBB75_46:
	s_mov_b64 s[18:19], -1
	s_cbranch_execnz .LBB75_69
.LBB75_47:
	s_movk_i32 s4, 0xffd0
	s_waitcnt vmcnt(0) lgkmcnt(0)
	v_mad_i32_i24 v15, v0, s4, v22
	v_cvt_i32_f64_e32 v22, v[3:4]
	v_cvt_i32_f64_e32 v20, v[1:2]
	;; [unrolled: 1-line block ×4, first 2 shown]
	s_and_b64 vcc, exec, s[26:27]
	ds_write_b64 v15, v[13:14]
	s_cbranch_vccz .LBB75_51
; %bb.48:
	v_cvt_i32_f64_e32 v23, v[13:14]
	s_mov_b32 s36, 0x66666667
	v_mul_hi_i32 v24, v22, s36
	v_mul_hi_i32 v25, v20, s36
	;; [unrolled: 1-line block ×3, first 2 shown]
	v_cvt_i32_f64_e32 v27, v[9:10]
	v_lshrrev_b32_e32 v26, 31, v24
	v_ashrrev_i32_e32 v24, 2, v24
	v_add_u32_e32 v24, v24, v26
	v_lshrrev_b32_e32 v26, 31, v23
	v_ashrrev_i32_e32 v23, 2, v23
	v_add_u32_e32 v23, v23, v26
	v_mul_hi_i32 v26, v19, s36
	v_cmp_ne_u32_e32 vcc, v24, v23
	v_lshrrev_b32_e32 v23, 31, v25
	v_ashrrev_i32_e32 v25, 2, v25
	v_add_u32_e32 v23, v25, v23
	v_cmp_ne_u32_e64 s[4:5], v23, v24
	v_lshrrev_b32_e32 v24, 31, v26
	v_ashrrev_i32_e32 v25, 2, v26
	v_add_u32_e32 v24, v25, v24
	v_cvt_i32_f64_e32 v25, v[11:12]
	v_mul_hi_i32 v26, v16, s36
	v_cmp_ne_u32_e64 s[6:7], v24, v23
	s_waitcnt lgkmcnt(0)
	v_mul_hi_i32 v25, v25, s36
	v_lshrrev_b32_e32 v23, 31, v26
	v_ashrrev_i32_e32 v26, 2, v26
	v_add_u32_e32 v23, v26, v23
	v_mul_hi_i32 v26, v27, s36
	v_cmp_ne_u32_e64 s[8:9], v23, v24
	v_lshrrev_b32_e32 v24, 31, v25
	v_ashrrev_i32_e32 v25, 2, v25
	v_add_u32_e32 v24, v25, v24
	v_cmp_ne_u32_e64 s[10:11], v24, v23
	v_lshrrev_b32_e32 v23, 31, v26
	v_ashrrev_i32_e32 v25, 2, v26
	v_add_u32_e32 v23, v25, v23
	v_cmp_ne_u32_e64 s[12:13], v23, v24
	s_barrier
                                        ; implicit-def: $sgpr30_sgpr31
	s_and_saveexec_b64 s[34:35], s[2:3]
	s_xor_b64 s[34:35], exec, s[34:35]
	s_cbranch_execz .LBB75_50
; %bb.49:
	v_add_u32_e32 v24, -8, v15
	ds_read_b64 v[24:25], v24
	s_or_b64 s[18:19], s[18:19], exec
	s_waitcnt lgkmcnt(0)
	v_cvt_i32_f64_e32 v24, v[24:25]
	v_mul_hi_i32 v24, v24, s36
	v_lshrrev_b32_e32 v25, 31, v24
	v_ashrrev_i32_e32 v24, 2, v24
	v_add_u32_e32 v24, v24, v25
	v_cmp_ne_u32_e64 s[30:31], v24, v23
.LBB75_50:
	s_or_b64 exec, exec, s[34:35]
	v_cndmask_b32_e64 v38, 0, 1, vcc
	v_cndmask_b32_e64 v39, 0, 1, s[4:5]
	v_cndmask_b32_e64 v40, 0, 1, s[6:7]
	;; [unrolled: 1-line block ×5, first 2 shown]
	s_branch .LBB75_69
.LBB75_51:
                                        ; implicit-def: $sgpr30_sgpr31
                                        ; implicit-def: $vgpr38
                                        ; implicit-def: $vgpr39
                                        ; implicit-def: $vgpr40
                                        ; implicit-def: $vgpr41
                                        ; implicit-def: $vgpr42
                                        ; implicit-def: $vgpr43
	s_cbranch_execz .LBB75_69
; %bb.52:
	v_add_u32_e32 v23, 6, v21
	v_cmp_gt_u32_e32 vcc, s38, v23
	s_mov_b64 s[4:5], 0
	s_mov_b64 s[6:7], 0
	s_and_saveexec_b64 s[8:9], vcc
	s_cbranch_execz .LBB75_54
; %bb.53:
	v_cvt_i32_f64_e32 v23, v[13:14]
	s_mov_b32 s6, 0x66666667
	v_mul_hi_i32 v24, v22, s6
	v_mul_hi_i32 v23, v23, s6
	v_lshrrev_b32_e32 v25, 31, v24
	v_ashrrev_i32_e32 v24, 2, v24
	v_add_u32_e32 v24, v24, v25
	v_lshrrev_b32_e32 v25, 31, v23
	v_ashrrev_i32_e32 v23, 2, v23
	v_add_u32_e32 v23, v23, v25
	v_cmp_ne_u32_e32 vcc, v24, v23
	s_and_b64 s[6:7], vcc, exec
.LBB75_54:
	s_or_b64 exec, exec, s[8:9]
	v_add_u32_e32 v23, 5, v21
	v_cmp_gt_u32_e32 vcc, s38, v23
	s_and_saveexec_b64 s[8:9], vcc
	s_cbranch_execz .LBB75_56
; %bb.55:
	s_mov_b32 s4, 0x66666667
	v_mul_hi_i32 v23, v20, s4
	v_mul_hi_i32 v22, v22, s4
	v_lshrrev_b32_e32 v24, 31, v23
	v_ashrrev_i32_e32 v23, 2, v23
	v_lshrrev_b32_e32 v25, 31, v22
	v_ashrrev_i32_e32 v22, 2, v22
	v_add_u32_e32 v23, v23, v24
	v_add_u32_e32 v22, v22, v25
	v_cmp_ne_u32_e32 vcc, v23, v22
	s_and_b64 s[4:5], vcc, exec
.LBB75_56:
	s_or_b64 exec, exec, s[8:9]
	v_add_u32_e32 v22, 4, v21
	v_cmp_gt_u32_e32 vcc, s38, v22
	s_mov_b64 s[10:11], 0
	s_mov_b64 s[8:9], 0
	s_and_saveexec_b64 s[12:13], vcc
	s_cbranch_execz .LBB75_58
; %bb.57:
	s_mov_b32 s8, 0x66666667
	v_mul_hi_i32 v22, v19, s8
	v_mul_hi_i32 v20, v20, s8
	v_lshrrev_b32_e32 v23, 31, v22
	v_ashrrev_i32_e32 v22, 2, v22
	v_lshrrev_b32_e32 v24, 31, v20
	v_ashrrev_i32_e32 v20, 2, v20
	v_add_u32_e32 v22, v22, v23
	v_add_u32_e32 v20, v20, v24
	v_cmp_ne_u32_e32 vcc, v22, v20
	s_and_b64 s[8:9], vcc, exec
.LBB75_58:
	s_or_b64 exec, exec, s[12:13]
	v_add_u32_e32 v20, 3, v21
	v_cmp_gt_u32_e32 vcc, s38, v20
	s_and_saveexec_b64 s[12:13], vcc
	s_cbranch_execz .LBB75_60
; %bb.59:
	s_mov_b32 s10, 0x66666667
	v_mul_hi_i32 v20, v16, s10
	v_mul_hi_i32 v19, v19, s10
	v_lshrrev_b32_e32 v22, 31, v20
	v_ashrrev_i32_e32 v20, 2, v20
	v_lshrrev_b32_e32 v23, 31, v19
	v_ashrrev_i32_e32 v19, 2, v19
	v_add_u32_e32 v20, v20, v22
	v_add_u32_e32 v19, v19, v23
	v_cmp_ne_u32_e32 vcc, v20, v19
	s_and_b64 s[10:11], vcc, exec
.LBB75_60:
	s_or_b64 exec, exec, s[12:13]
	v_add_u32_e32 v19, 2, v21
	v_cmp_gt_u32_e32 vcc, s38, v19
	s_mov_b64 s[12:13], 0
	s_mov_b64 s[34:35], 0
	s_and_saveexec_b64 s[30:31], vcc
	s_cbranch_execz .LBB75_62
; %bb.61:
	v_cvt_i32_f64_e32 v19, v[11:12]
	s_mov_b32 s34, 0x66666667
	v_mul_hi_i32 v16, v16, s34
	v_mul_hi_i32 v19, v19, s34
	v_lshrrev_b32_e32 v20, 31, v16
	v_ashrrev_i32_e32 v16, 2, v16
	v_lshrrev_b32_e32 v22, 31, v19
	v_ashrrev_i32_e32 v19, 2, v19
	v_add_u32_e32 v19, v19, v22
	v_add_u32_e32 v16, v16, v20
	v_cmp_ne_u32_e32 vcc, v19, v16
	s_and_b64 s[34:35], vcc, exec
.LBB75_62:
	s_or_b64 exec, exec, s[30:31]
	v_add_u32_e32 v16, 1, v21
	v_cmp_gt_u32_e32 vcc, s38, v16
	s_and_saveexec_b64 s[30:31], vcc
	s_cbranch_execz .LBB75_64
; %bb.63:
	v_cvt_i32_f64_e32 v16, v[9:10]
	v_cvt_i32_f64_e32 v19, v[11:12]
	s_mov_b32 s12, 0x66666667
	v_mul_hi_i32 v16, v16, s12
	v_mul_hi_i32 v19, v19, s12
	v_lshrrev_b32_e32 v20, 31, v16
	v_ashrrev_i32_e32 v16, 2, v16
	v_lshrrev_b32_e32 v22, 31, v19
	v_ashrrev_i32_e32 v19, 2, v19
	v_add_u32_e32 v16, v16, v20
	v_add_u32_e32 v19, v19, v22
	v_cmp_ne_u32_e32 vcc, v16, v19
	s_and_b64 s[12:13], vcc, exec
.LBB75_64:
	s_or_b64 exec, exec, s[30:31]
	s_waitcnt lgkmcnt(0)
	s_barrier
                                        ; implicit-def: $sgpr30_sgpr31
	s_and_saveexec_b64 s[36:37], s[2:3]
	s_cbranch_execz .LBB75_68
; %bb.65:
	v_cmp_gt_u32_e32 vcc, s38, v21
	s_mov_b64 s[30:31], 0
	s_and_saveexec_b64 s[2:3], vcc
	s_cbranch_execz .LBB75_67
; %bb.66:
	v_add_u32_e32 v15, -8, v15
	ds_read_b64 v[15:16], v15
	v_cvt_i32_f64_e32 v19, v[9:10]
	s_mov_b32 s30, 0x66666667
	s_waitcnt lgkmcnt(0)
	v_cvt_i32_f64_e32 v15, v[15:16]
	v_mul_hi_i32 v16, v19, s30
	v_mul_hi_i32 v15, v15, s30
	v_lshrrev_b32_e32 v19, 31, v16
	v_ashrrev_i32_e32 v16, 2, v16
	v_add_u32_e32 v16, v16, v19
	v_lshrrev_b32_e32 v20, 31, v15
	v_ashrrev_i32_e32 v15, 2, v15
	v_add_u32_e32 v15, v15, v20
	v_cmp_ne_u32_e32 vcc, v15, v16
	s_and_b64 s[30:31], vcc, exec
.LBB75_67:
	s_or_b64 exec, exec, s[2:3]
	s_or_b64 s[18:19], s[18:19], exec
.LBB75_68:
	s_or_b64 exec, exec, s[36:37]
	v_cndmask_b32_e64 v42, 0, 1, s[34:35]
	v_cndmask_b32_e64 v41, 0, 1, s[10:11]
	;; [unrolled: 1-line block ×6, first 2 shown]
.LBB75_69:
	v_mov_b32_e32 v28, 1
	s_and_saveexec_b64 s[2:3], s[18:19]
; %bb.70:
	v_cndmask_b32_e64 v28, 0, 1, s[30:31]
; %bb.71:
	s_or_b64 exec, exec, s[2:3]
	s_andn2_b64 vcc, exec, s[14:15]
	s_cbranch_vccnz .LBB75_73
; %bb.72:
	v_cmp_gt_u32_e32 vcc, s38, v21
	s_waitcnt vmcnt(0) lgkmcnt(0)
	v_add_u32_e32 v15, 1, v21
	v_cndmask_b32_e32 v28, 0, v28, vcc
	v_cmp_gt_u32_e32 vcc, s38, v15
	v_add_u32_e32 v15, 2, v21
	v_cndmask_b32_e32 v43, 0, v43, vcc
	v_cmp_gt_u32_e32 vcc, s38, v15
	;; [unrolled: 3-line block ×6, first 2 shown]
	v_cndmask_b32_e32 v38, 0, v38, vcc
.LBB75_73:
	v_and_b32_e32 v27, 0xffff, v28
	v_and_b32_e32 v30, 0xff, v43
	;; [unrolled: 1-line block ×5, first 2 shown]
	s_waitcnt vmcnt(0) lgkmcnt(0)
	v_add3_u32 v16, v30, v27, v31
	v_and_b32_e32 v36, 0xff, v39
	v_and_b32_e32 v15, 0xff, v38
	v_add3_u32 v16, v16, v32, v34
	v_add3_u32 v44, v16, v36, v15
	v_mbcnt_lo_u32_b32 v15, -1, 0
	v_mbcnt_hi_u32_b32 v33, -1, v15
	v_and_b32_e32 v15, 15, v33
	v_cmp_eq_u32_e64 s[14:15], 0, v15
	v_cmp_lt_u32_e64 s[12:13], 1, v15
	v_cmp_lt_u32_e64 s[10:11], 3, v15
	;; [unrolled: 1-line block ×3, first 2 shown]
	v_and_b32_e32 v15, 16, v33
	v_cmp_eq_u32_e64 s[6:7], 0, v15
	v_or_b32_e32 v15, 63, v0
	v_cmp_lt_u32_e64 s[2:3], 31, v33
	v_lshrrev_b32_e32 v35, 6, v0
	v_cmp_eq_u32_e64 s[4:5], v0, v15
	s_and_b64 vcc, exec, s[16:17]
	s_barrier
	s_cbranch_vccz .LBB75_95
; %bb.74:
	v_mov_b32_dpp v15, v44 row_shr:1 row_mask:0xf bank_mask:0xf
	v_cndmask_b32_e64 v15, v15, 0, s[14:15]
	v_add_u32_e32 v15, v15, v44
	s_nop 1
	v_mov_b32_dpp v16, v15 row_shr:2 row_mask:0xf bank_mask:0xf
	v_cndmask_b32_e64 v16, 0, v16, s[12:13]
	v_add_u32_e32 v15, v15, v16
	s_nop 1
	;; [unrolled: 4-line block ×4, first 2 shown]
	v_mov_b32_dpp v16, v15 row_bcast:15 row_mask:0xf bank_mask:0xf
	v_cndmask_b32_e64 v16, v16, 0, s[6:7]
	v_add_u32_e32 v15, v15, v16
	s_nop 1
	v_mov_b32_dpp v16, v15 row_bcast:31 row_mask:0xf bank_mask:0xf
	v_cndmask_b32_e64 v16, 0, v16, s[2:3]
	v_add_u32_e32 v15, v15, v16
	s_and_saveexec_b64 s[16:17], s[4:5]
; %bb.75:
	v_lshlrev_b32_e32 v16, 2, v35
	ds_write_b32 v16, v15
; %bb.76:
	s_or_b64 exec, exec, s[16:17]
	v_cmp_gt_u32_e32 vcc, 4, v0
	s_waitcnt lgkmcnt(0)
	s_barrier
	s_and_saveexec_b64 s[16:17], vcc
	s_cbranch_execz .LBB75_78
; %bb.77:
	v_lshlrev_b32_e32 v16, 2, v0
	ds_read_b32 v19, v16
	v_and_b32_e32 v20, 3, v33
	v_cmp_ne_u32_e32 vcc, 0, v20
	s_waitcnt lgkmcnt(0)
	v_mov_b32_dpp v21, v19 row_shr:1 row_mask:0xf bank_mask:0xf
	v_cndmask_b32_e32 v21, 0, v21, vcc
	v_add_u32_e32 v19, v21, v19
	v_cmp_lt_u32_e32 vcc, 1, v20
	s_nop 0
	v_mov_b32_dpp v21, v19 row_shr:2 row_mask:0xf bank_mask:0xf
	v_cndmask_b32_e32 v20, 0, v21, vcc
	v_add_u32_e32 v19, v19, v20
	ds_write_b32 v16, v19
.LBB75_78:
	s_or_b64 exec, exec, s[16:17]
	v_cmp_gt_u32_e32 vcc, 64, v0
	v_cmp_lt_u32_e64 s[16:17], 63, v0
	s_waitcnt lgkmcnt(0)
	s_barrier
                                        ; implicit-def: $vgpr29
	s_and_saveexec_b64 s[18:19], s[16:17]
	s_cbranch_execz .LBB75_80
; %bb.79:
	v_lshl_add_u32 v16, v35, 2, -4
	ds_read_b32 v29, v16
	s_waitcnt lgkmcnt(0)
	v_add_u32_e32 v15, v29, v15
.LBB75_80:
	s_or_b64 exec, exec, s[18:19]
	v_subrev_co_u32_e64 v16, s[16:17], 1, v33
	v_and_b32_e32 v19, 64, v33
	v_cmp_lt_i32_e64 s[18:19], v16, v19
	v_cndmask_b32_e64 v16, v16, v33, s[18:19]
	v_lshlrev_b32_e32 v16, 2, v16
	ds_bpermute_b32 v45, v16, v15
	s_and_saveexec_b64 s[18:19], vcc
	s_cbranch_execz .LBB75_100
; %bb.81:
	v_mov_b32_e32 v23, 0
	ds_read_b32 v15, v23 offset:12
	s_and_saveexec_b64 s[30:31], s[16:17]
	s_cbranch_execz .LBB75_83
; %bb.82:
	s_add_i32 s34, s33, 64
	s_mov_b32 s35, 0
	s_lshl_b64 s[34:35], s[34:35], 3
	s_add_u32 s34, s28, s34
	v_mov_b32_e32 v16, 1
	s_addc_u32 s35, s29, s35
	s_waitcnt lgkmcnt(0)
	global_store_dwordx2 v23, v[15:16], s[34:35]
.LBB75_83:
	s_or_b64 exec, exec, s[30:31]
	v_xad_u32 v19, v33, -1, s33
	v_add_u32_e32 v22, 64, v19
	v_lshlrev_b64 v[20:21], 3, v[22:23]
	v_mov_b32_e32 v16, s29
	v_add_co_u32_e32 v24, vcc, s28, v20
	v_addc_co_u32_e32 v25, vcc, v16, v21, vcc
	global_load_dwordx2 v[21:22], v[24:25], off glc
	s_waitcnt vmcnt(0)
	v_cmp_eq_u16_sdwa s[34:35], v22, v23 src0_sel:BYTE_0 src1_sel:DWORD
	s_and_saveexec_b64 s[30:31], s[34:35]
	s_cbranch_execz .LBB75_87
; %bb.84:
	s_mov_b64 s[34:35], 0
	v_mov_b32_e32 v16, 0
.LBB75_85:                              ; =>This Inner Loop Header: Depth=1
	global_load_dwordx2 v[21:22], v[24:25], off glc
	s_waitcnt vmcnt(0)
	v_cmp_ne_u16_sdwa s[36:37], v22, v16 src0_sel:BYTE_0 src1_sel:DWORD
	s_or_b64 s[34:35], s[36:37], s[34:35]
	s_andn2_b64 exec, exec, s[34:35]
	s_cbranch_execnz .LBB75_85
; %bb.86:
	s_or_b64 exec, exec, s[34:35]
.LBB75_87:
	s_or_b64 exec, exec, s[30:31]
	v_and_b32_e32 v47, 63, v33
	v_mov_b32_e32 v46, 2
	v_lshlrev_b64 v[23:24], v33, -1
	v_cmp_ne_u32_e32 vcc, 63, v47
	v_cmp_eq_u16_sdwa s[30:31], v22, v46 src0_sel:BYTE_0 src1_sel:DWORD
	v_addc_co_u32_e32 v25, vcc, 0, v33, vcc
	v_and_b32_e32 v16, s31, v24
	v_lshlrev_b32_e32 v48, 2, v25
	v_or_b32_e32 v16, 0x80000000, v16
	ds_bpermute_b32 v25, v48, v21
	v_and_b32_e32 v20, s30, v23
	v_ffbl_b32_e32 v16, v16
	v_add_u32_e32 v16, 32, v16
	v_ffbl_b32_e32 v20, v20
	v_min_u32_e32 v16, v20, v16
	v_cmp_lt_u32_e32 vcc, v47, v16
	s_waitcnt lgkmcnt(0)
	v_cndmask_b32_e32 v20, 0, v25, vcc
	v_cmp_gt_u32_e32 vcc, 62, v47
	v_add_u32_e32 v20, v20, v21
	v_cndmask_b32_e64 v21, 0, 2, vcc
	v_add_lshl_u32 v49, v21, v33, 2
	ds_bpermute_b32 v21, v49, v20
	v_add_u32_e32 v50, 2, v47
	v_cmp_le_u32_e32 vcc, v50, v16
	v_add_u32_e32 v52, 4, v47
	v_add_u32_e32 v54, 8, v47
	s_waitcnt lgkmcnt(0)
	v_cndmask_b32_e32 v21, 0, v21, vcc
	v_cmp_gt_u32_e32 vcc, 60, v47
	v_add_u32_e32 v20, v20, v21
	v_cndmask_b32_e64 v21, 0, 4, vcc
	v_add_lshl_u32 v51, v21, v33, 2
	ds_bpermute_b32 v21, v51, v20
	v_cmp_le_u32_e32 vcc, v52, v16
	v_add_u32_e32 v56, 16, v47
	v_add_u32_e32 v58, 32, v47
	s_waitcnt lgkmcnt(0)
	v_cndmask_b32_e32 v21, 0, v21, vcc
	v_cmp_gt_u32_e32 vcc, 56, v47
	v_add_u32_e32 v20, v20, v21
	v_cndmask_b32_e64 v21, 0, 8, vcc
	v_add_lshl_u32 v53, v21, v33, 2
	ds_bpermute_b32 v21, v53, v20
	v_cmp_le_u32_e32 vcc, v54, v16
	s_waitcnt lgkmcnt(0)
	v_cndmask_b32_e32 v21, 0, v21, vcc
	v_cmp_gt_u32_e32 vcc, 48, v47
	v_add_u32_e32 v20, v20, v21
	v_cndmask_b32_e64 v21, 0, 16, vcc
	v_add_lshl_u32 v55, v21, v33, 2
	ds_bpermute_b32 v21, v55, v20
	v_cmp_le_u32_e32 vcc, v56, v16
	s_waitcnt lgkmcnt(0)
	v_cndmask_b32_e32 v21, 0, v21, vcc
	v_add_u32_e32 v20, v20, v21
	v_mov_b32_e32 v21, 0x80
	v_lshl_or_b32 v57, v33, 2, v21
	ds_bpermute_b32 v21, v57, v20
	v_cmp_le_u32_e32 vcc, v58, v16
	s_waitcnt lgkmcnt(0)
	v_cndmask_b32_e32 v16, 0, v21, vcc
	v_add_u32_e32 v21, v20, v16
	v_mov_b32_e32 v20, 0
	s_branch .LBB75_90
.LBB75_88:                              ;   in Loop: Header=BB75_90 Depth=1
	s_or_b64 exec, exec, s[30:31]
	v_cmp_eq_u16_sdwa s[30:31], v22, v46 src0_sel:BYTE_0 src1_sel:DWORD
	v_and_b32_e32 v25, s31, v24
	v_or_b32_e32 v25, 0x80000000, v25
	ds_bpermute_b32 v59, v48, v21
	v_and_b32_e32 v26, s30, v23
	v_ffbl_b32_e32 v25, v25
	v_add_u32_e32 v25, 32, v25
	v_ffbl_b32_e32 v26, v26
	v_min_u32_e32 v25, v26, v25
	v_cmp_lt_u32_e32 vcc, v47, v25
	s_waitcnt lgkmcnt(0)
	v_cndmask_b32_e32 v26, 0, v59, vcc
	v_add_u32_e32 v21, v26, v21
	ds_bpermute_b32 v26, v49, v21
	v_cmp_le_u32_e32 vcc, v50, v25
	v_subrev_u32_e32 v19, 64, v19
	s_mov_b64 s[30:31], 0
	s_waitcnt lgkmcnt(0)
	v_cndmask_b32_e32 v26, 0, v26, vcc
	v_add_u32_e32 v21, v21, v26
	ds_bpermute_b32 v26, v51, v21
	v_cmp_le_u32_e32 vcc, v52, v25
	s_waitcnt lgkmcnt(0)
	v_cndmask_b32_e32 v26, 0, v26, vcc
	v_add_u32_e32 v21, v21, v26
	ds_bpermute_b32 v26, v53, v21
	v_cmp_le_u32_e32 vcc, v54, v25
	;; [unrolled: 5-line block ×4, first 2 shown]
	s_waitcnt lgkmcnt(0)
	v_cndmask_b32_e32 v25, 0, v26, vcc
	v_add3_u32 v21, v25, v16, v21
.LBB75_89:                              ;   in Loop: Header=BB75_90 Depth=1
	s_and_b64 vcc, exec, s[30:31]
	s_cbranch_vccnz .LBB75_96
.LBB75_90:                              ; =>This Loop Header: Depth=1
                                        ;     Child Loop BB75_93 Depth 2
	v_cmp_ne_u16_sdwa s[30:31], v22, v46 src0_sel:BYTE_0 src1_sel:DWORD
	v_mov_b32_e32 v16, v21
	s_cmp_lg_u64 s[30:31], exec
	s_mov_b64 s[30:31], -1
                                        ; implicit-def: $vgpr21
                                        ; implicit-def: $vgpr22
	s_cbranch_scc1 .LBB75_89
; %bb.91:                               ;   in Loop: Header=BB75_90 Depth=1
	v_lshlrev_b64 v[21:22], 3, v[19:20]
	v_mov_b32_e32 v26, s29
	v_add_co_u32_e32 v25, vcc, s28, v21
	v_addc_co_u32_e32 v26, vcc, v26, v22, vcc
	global_load_dwordx2 v[21:22], v[25:26], off glc
	s_waitcnt vmcnt(0)
	v_cmp_eq_u16_sdwa s[34:35], v22, v20 src0_sel:BYTE_0 src1_sel:DWORD
	s_and_saveexec_b64 s[30:31], s[34:35]
	s_cbranch_execz .LBB75_88
; %bb.92:                               ;   in Loop: Header=BB75_90 Depth=1
	s_mov_b64 s[34:35], 0
.LBB75_93:                              ;   Parent Loop BB75_90 Depth=1
                                        ; =>  This Inner Loop Header: Depth=2
	global_load_dwordx2 v[21:22], v[25:26], off glc
	s_waitcnt vmcnt(0)
	v_cmp_ne_u16_sdwa s[36:37], v22, v20 src0_sel:BYTE_0 src1_sel:DWORD
	s_or_b64 s[34:35], s[36:37], s[34:35]
	s_andn2_b64 exec, exec, s[34:35]
	s_cbranch_execnz .LBB75_93
; %bb.94:                               ;   in Loop: Header=BB75_90 Depth=1
	s_or_b64 exec, exec, s[34:35]
	s_branch .LBB75_88
.LBB75_95:
                                        ; implicit-def: $vgpr19
                                        ; implicit-def: $vgpr15
                                        ; implicit-def: $vgpr29
	s_cbranch_execnz .LBB75_101
	s_branch .LBB75_110
.LBB75_96:
	s_and_saveexec_b64 s[30:31], s[16:17]
	s_cbranch_execz .LBB75_98
; %bb.97:
	s_add_i32 s34, s33, 64
	s_mov_b32 s35, 0
	s_lshl_b64 s[34:35], s[34:35], 3
	s_add_u32 s34, s28, s34
	v_add_u32_e32 v19, v16, v15
	v_mov_b32_e32 v20, 2
	s_addc_u32 s35, s29, s35
	v_mov_b32_e32 v21, 0
	global_store_dwordx2 v21, v[19:20], s[34:35]
	ds_write_b64 v21, v[15:16] offset:14336
.LBB75_98:
	s_or_b64 exec, exec, s[30:31]
	s_and_b64 exec, exec, s[0:1]
; %bb.99:
	v_mov_b32_e32 v15, 0
	ds_write_b32 v15, v16 offset:12
.LBB75_100:
	s_or_b64 exec, exec, s[18:19]
	v_mov_b32_e32 v15, 0
	s_waitcnt vmcnt(0) lgkmcnt(0)
	s_barrier
	ds_read_b32 v19, v15 offset:12
	s_waitcnt lgkmcnt(0)
	s_barrier
	ds_read_b64 v[15:16], v15 offset:14336
	v_cndmask_b32_e64 v20, v45, v29, s[16:17]
	v_cndmask_b32_e64 v20, v20, 0, s[0:1]
	v_add_u32_e32 v29, v19, v20
	s_waitcnt lgkmcnt(0)
	v_mov_b32_e32 v19, v16
	s_branch .LBB75_110
.LBB75_101:
	v_mov_b32_dpp v15, v44 row_shr:1 row_mask:0xf bank_mask:0xf
	v_cndmask_b32_e64 v15, v15, 0, s[14:15]
	v_add_u32_e32 v15, v15, v44
	s_nop 1
	v_mov_b32_dpp v16, v15 row_shr:2 row_mask:0xf bank_mask:0xf
	v_cndmask_b32_e64 v16, 0, v16, s[12:13]
	v_add_u32_e32 v15, v15, v16
	s_nop 1
	;; [unrolled: 4-line block ×4, first 2 shown]
	v_mov_b32_dpp v16, v15 row_bcast:15 row_mask:0xf bank_mask:0xf
	v_cndmask_b32_e64 v16, v16, 0, s[6:7]
	v_add_u32_e32 v15, v15, v16
	s_nop 1
	v_mov_b32_dpp v16, v15 row_bcast:31 row_mask:0xf bank_mask:0xf
	v_cndmask_b32_e64 v16, 0, v16, s[2:3]
	v_add_u32_e32 v15, v15, v16
	s_and_saveexec_b64 s[2:3], s[4:5]
; %bb.102:
	v_lshlrev_b32_e32 v16, 2, v35
	ds_write_b32 v16, v15
; %bb.103:
	s_or_b64 exec, exec, s[2:3]
	v_cmp_gt_u32_e32 vcc, 4, v0
	s_waitcnt lgkmcnt(0)
	s_barrier
	s_and_saveexec_b64 s[2:3], vcc
	s_cbranch_execz .LBB75_105
; %bb.104:
	v_lshlrev_b32_e32 v16, 2, v0
	ds_read_b32 v19, v16
	v_and_b32_e32 v20, 3, v33
	v_cmp_ne_u32_e32 vcc, 0, v20
	s_waitcnt lgkmcnt(0)
	v_mov_b32_dpp v21, v19 row_shr:1 row_mask:0xf bank_mask:0xf
	v_cndmask_b32_e32 v21, 0, v21, vcc
	v_add_u32_e32 v19, v21, v19
	v_cmp_lt_u32_e32 vcc, 1, v20
	s_nop 0
	v_mov_b32_dpp v21, v19 row_shr:2 row_mask:0xf bank_mask:0xf
	v_cndmask_b32_e32 v20, 0, v21, vcc
	v_add_u32_e32 v19, v19, v20
	ds_write_b32 v16, v19
.LBB75_105:
	s_or_b64 exec, exec, s[2:3]
	v_cmp_lt_u32_e32 vcc, 63, v0
	v_mov_b32_e32 v16, 0
	v_mov_b32_e32 v19, 0
	s_waitcnt lgkmcnt(0)
	s_barrier
	s_and_saveexec_b64 s[2:3], vcc
; %bb.106:
	v_lshl_add_u32 v19, v35, 2, -4
	ds_read_b32 v19, v19
; %bb.107:
	s_or_b64 exec, exec, s[2:3]
	v_subrev_co_u32_e32 v20, vcc, 1, v33
	v_and_b32_e32 v21, 64, v33
	v_cmp_lt_i32_e64 s[2:3], v20, v21
	v_cndmask_b32_e64 v20, v20, v33, s[2:3]
	s_waitcnt lgkmcnt(0)
	v_add_u32_e32 v15, v19, v15
	v_lshlrev_b32_e32 v20, 2, v20
	ds_bpermute_b32 v20, v20, v15
	ds_read_b32 v15, v16 offset:12
	s_and_saveexec_b64 s[2:3], s[0:1]
	s_cbranch_execz .LBB75_109
; %bb.108:
	v_mov_b32_e32 v21, 0
	v_mov_b32_e32 v16, 2
	s_waitcnt lgkmcnt(0)
	global_store_dwordx2 v21, v[15:16], s[28:29] offset:512
.LBB75_109:
	s_or_b64 exec, exec, s[2:3]
	s_waitcnt lgkmcnt(1)
	v_cndmask_b32_e32 v16, v20, v19, vcc
	v_cndmask_b32_e64 v29, v16, 0, s[0:1]
	s_waitcnt vmcnt(0) lgkmcnt(0)
	s_barrier
	v_mov_b32_e32 v19, 0
.LBB75_110:
	v_add_u32_e32 v35, v29, v27
	v_add_u32_e32 v33, v35, v30
	;; [unrolled: 1-line block ×4, first 2 shown]
	s_movk_i32 s4, 0x101
	v_add_u32_e32 v25, v27, v34
	v_cmp_gt_u32_e32 vcc, s4, v15
	v_lshlrev_b64 v[21:22], 3, v[17:18]
	v_add_u32_e32 v23, v25, v36
	s_mov_b64 s[2:3], -1
	v_and_b32_e32 v16, 1, v28
	s_cbranch_vccnz .LBB75_114
; %bb.111:
	s_and_b64 vcc, exec, s[2:3]
	s_cbranch_vccnz .LBB75_129
.LBB75_112:
	s_and_b64 s[0:1], s[0:1], s[22:23]
	s_and_saveexec_b64 s[2:3], s[0:1]
	s_cbranch_execnz .LBB75_146
.LBB75_113:
	s_endpgm
.LBB75_114:
	v_mov_b32_e32 v26, s25
	v_add_co_u32_e32 v20, vcc, s24, v21
	v_add_u32_e32 v24, v19, v15
	v_addc_co_u32_e32 v44, vcc, v26, v22, vcc
	v_cmp_lt_u32_e32 vcc, v29, v24
	s_or_b64 s[2:3], s[26:27], vcc
	v_cmp_eq_u32_e32 vcc, 1, v16
	s_and_b64 s[4:5], s[2:3], vcc
	s_and_saveexec_b64 s[2:3], s[4:5]
	s_cbranch_execz .LBB75_116
; %bb.115:
	v_mov_b32_e32 v30, 0
	v_lshlrev_b64 v[45:46], 3, v[29:30]
	v_add_co_u32_e32 v45, vcc, v20, v45
	v_addc_co_u32_e32 v46, vcc, v44, v46, vcc
	global_store_dwordx2 v[45:46], v[9:10], off
.LBB75_116:
	s_or_b64 exec, exec, s[2:3]
	v_cmp_lt_u32_e32 vcc, v35, v24
	v_and_b32_e32 v26, 1, v43
	s_or_b64 s[2:3], s[26:27], vcc
	v_cmp_eq_u32_e32 vcc, 1, v26
	s_and_b64 s[4:5], s[2:3], vcc
	s_and_saveexec_b64 s[2:3], s[4:5]
	s_cbranch_execz .LBB75_118
; %bb.117:
	v_mov_b32_e32 v36, 0
	v_lshlrev_b64 v[45:46], 3, v[35:36]
	v_add_co_u32_e32 v45, vcc, v20, v45
	v_addc_co_u32_e32 v46, vcc, v44, v46, vcc
	global_store_dwordx2 v[45:46], v[11:12], off
.LBB75_118:
	s_or_b64 exec, exec, s[2:3]
	v_cmp_lt_u32_e32 vcc, v33, v24
	v_and_b32_e32 v26, 1, v42
	;; [unrolled: 15-line block ×6, first 2 shown]
	s_or_b64 s[2:3], s[26:27], vcc
	v_cmp_eq_u32_e32 vcc, 1, v24
	s_and_b64 s[4:5], s[2:3], vcc
	s_and_saveexec_b64 s[2:3], s[4:5]
	s_cbranch_execz .LBB75_128
; %bb.127:
	v_mov_b32_e32 v24, 0
	v_lshlrev_b64 v[45:46], 3, v[23:24]
	v_add_co_u32_e32 v45, vcc, v20, v45
	v_addc_co_u32_e32 v46, vcc, v44, v46, vcc
	global_store_dwordx2 v[45:46], v[13:14], off
.LBB75_128:
	s_or_b64 exec, exec, s[2:3]
	s_branch .LBB75_112
.LBB75_129:
	v_cmp_eq_u32_e32 vcc, 1, v16
	s_and_saveexec_b64 s[2:3], vcc
; %bb.130:
	v_sub_u32_e32 v16, v29, v19
	v_lshlrev_b32_e32 v16, 3, v16
	ds_write_b64 v16, v[9:10]
; %bb.131:
	s_or_b64 exec, exec, s[2:3]
	v_and_b32_e32 v9, 1, v43
	v_cmp_eq_u32_e32 vcc, 1, v9
	s_and_saveexec_b64 s[2:3], vcc
; %bb.132:
	v_sub_u32_e32 v9, v35, v19
	v_lshlrev_b32_e32 v9, 3, v9
	ds_write_b64 v9, v[11:12]
; %bb.133:
	s_or_b64 exec, exec, s[2:3]
	v_and_b32_e32 v9, 1, v42
	;; [unrolled: 9-line block ×6, first 2 shown]
	v_cmp_eq_u32_e32 vcc, 1, v1
	s_and_saveexec_b64 s[2:3], vcc
; %bb.142:
	v_sub_u32_e32 v1, v23, v19
	v_lshlrev_b32_e32 v1, 3, v1
	ds_write_b64 v1, v[13:14]
; %bb.143:
	s_or_b64 exec, exec, s[2:3]
	v_mov_b32_e32 v1, 0
	v_mov_b32_e32 v20, v1
	;; [unrolled: 1-line block ×3, first 2 shown]
	v_add_co_u32_e32 v4, vcc, s24, v21
	v_addc_co_u32_e32 v5, vcc, v2, v22, vcc
	v_lshlrev_b64 v[2:3], 3, v[19:20]
	s_mov_b64 s[4:5], 0
	v_add_co_u32_e32 v2, vcc, v4, v2
	v_addc_co_u32_e32 v3, vcc, v5, v3, vcc
	s_waitcnt vmcnt(0) lgkmcnt(0)
	s_barrier
.LBB75_144:                             ; =>This Inner Loop Header: Depth=1
	ds_read_b64 v[6:7], v37
	v_lshlrev_b64 v[4:5], 3, v[0:1]
	v_add_u32_e32 v0, 0x100, v0
	v_cmp_ge_u32_e32 vcc, v0, v15
	v_add_co_u32_e64 v4, s[2:3], v2, v4
	v_add_u32_e32 v37, 0x800, v37
	v_addc_co_u32_e64 v5, s[2:3], v3, v5, s[2:3]
	s_or_b64 s[4:5], vcc, s[4:5]
	s_waitcnt lgkmcnt(0)
	global_store_dwordx2 v[4:5], v[6:7], off
	s_andn2_b64 exec, exec, s[4:5]
	s_cbranch_execnz .LBB75_144
; %bb.145:
	s_or_b64 exec, exec, s[4:5]
	s_and_b64 s[0:1], s[0:1], s[22:23]
	s_and_saveexec_b64 s[2:3], s[0:1]
	s_cbranch_execz .LBB75_113
.LBB75_146:
	v_add_co_u32_e32 v0, vcc, v17, v15
	v_addc_co_u32_e32 v1, vcc, 0, v18, vcc
	v_add_co_u32_e32 v0, vcc, v0, v19
	v_mov_b32_e32 v2, 0
	v_addc_co_u32_e32 v1, vcc, 0, v1, vcc
	global_store_dwordx2 v2, v[0:1], s[20:21]
	s_endpgm
	.section	.rodata,"a",@progbits
	.p2align	6, 0x0
	.amdhsa_kernel _ZN7rocprim17ROCPRIM_400000_NS6detail17trampoline_kernelINS0_14default_configENS1_25partition_config_selectorILNS1_17partition_subalgoE8EdNS0_10empty_typeEbEEZZNS1_14partition_implILS5_8ELb0ES3_jN6thrust23THRUST_200600_302600_NS6detail15normal_iteratorINSA_10device_ptrIdEEEEPS6_PKS6_NS0_5tupleIJSF_S6_EEENSJ_IJSG_SG_EEENS0_18inequality_wrapperI22is_equal_div_10_uniqueIdEEEPmJS6_EEE10hipError_tPvRmT3_T4_T5_T6_T7_T9_mT8_P12ihipStream_tbDpT10_ENKUlT_T0_E_clISt17integral_constantIbLb0EES19_IbLb1EEEEDaS15_S16_EUlS15_E_NS1_11comp_targetILNS1_3genE2ELNS1_11target_archE906ELNS1_3gpuE6ELNS1_3repE0EEENS1_30default_config_static_selectorELNS0_4arch9wavefront6targetE1EEEvT1_
		.amdhsa_group_segment_fixed_size 14344
		.amdhsa_private_segment_fixed_size 0
		.amdhsa_kernarg_size 128
		.amdhsa_user_sgpr_count 6
		.amdhsa_user_sgpr_private_segment_buffer 1
		.amdhsa_user_sgpr_dispatch_ptr 0
		.amdhsa_user_sgpr_queue_ptr 0
		.amdhsa_user_sgpr_kernarg_segment_ptr 1
		.amdhsa_user_sgpr_dispatch_id 0
		.amdhsa_user_sgpr_flat_scratch_init 0
		.amdhsa_user_sgpr_private_segment_size 0
		.amdhsa_uses_dynamic_stack 0
		.amdhsa_system_sgpr_private_segment_wavefront_offset 0
		.amdhsa_system_sgpr_workgroup_id_x 1
		.amdhsa_system_sgpr_workgroup_id_y 0
		.amdhsa_system_sgpr_workgroup_id_z 0
		.amdhsa_system_sgpr_workgroup_info 0
		.amdhsa_system_vgpr_workitem_id 0
		.amdhsa_next_free_vgpr 60
		.amdhsa_next_free_sgpr 98
		.amdhsa_reserve_vcc 1
		.amdhsa_reserve_flat_scratch 0
		.amdhsa_float_round_mode_32 0
		.amdhsa_float_round_mode_16_64 0
		.amdhsa_float_denorm_mode_32 3
		.amdhsa_float_denorm_mode_16_64 3
		.amdhsa_dx10_clamp 1
		.amdhsa_ieee_mode 1
		.amdhsa_fp16_overflow 0
		.amdhsa_exception_fp_ieee_invalid_op 0
		.amdhsa_exception_fp_denorm_src 0
		.amdhsa_exception_fp_ieee_div_zero 0
		.amdhsa_exception_fp_ieee_overflow 0
		.amdhsa_exception_fp_ieee_underflow 0
		.amdhsa_exception_fp_ieee_inexact 0
		.amdhsa_exception_int_div_zero 0
	.end_amdhsa_kernel
	.section	.text._ZN7rocprim17ROCPRIM_400000_NS6detail17trampoline_kernelINS0_14default_configENS1_25partition_config_selectorILNS1_17partition_subalgoE8EdNS0_10empty_typeEbEEZZNS1_14partition_implILS5_8ELb0ES3_jN6thrust23THRUST_200600_302600_NS6detail15normal_iteratorINSA_10device_ptrIdEEEEPS6_PKS6_NS0_5tupleIJSF_S6_EEENSJ_IJSG_SG_EEENS0_18inequality_wrapperI22is_equal_div_10_uniqueIdEEEPmJS6_EEE10hipError_tPvRmT3_T4_T5_T6_T7_T9_mT8_P12ihipStream_tbDpT10_ENKUlT_T0_E_clISt17integral_constantIbLb0EES19_IbLb1EEEEDaS15_S16_EUlS15_E_NS1_11comp_targetILNS1_3genE2ELNS1_11target_archE906ELNS1_3gpuE6ELNS1_3repE0EEENS1_30default_config_static_selectorELNS0_4arch9wavefront6targetE1EEEvT1_,"axG",@progbits,_ZN7rocprim17ROCPRIM_400000_NS6detail17trampoline_kernelINS0_14default_configENS1_25partition_config_selectorILNS1_17partition_subalgoE8EdNS0_10empty_typeEbEEZZNS1_14partition_implILS5_8ELb0ES3_jN6thrust23THRUST_200600_302600_NS6detail15normal_iteratorINSA_10device_ptrIdEEEEPS6_PKS6_NS0_5tupleIJSF_S6_EEENSJ_IJSG_SG_EEENS0_18inequality_wrapperI22is_equal_div_10_uniqueIdEEEPmJS6_EEE10hipError_tPvRmT3_T4_T5_T6_T7_T9_mT8_P12ihipStream_tbDpT10_ENKUlT_T0_E_clISt17integral_constantIbLb0EES19_IbLb1EEEEDaS15_S16_EUlS15_E_NS1_11comp_targetILNS1_3genE2ELNS1_11target_archE906ELNS1_3gpuE6ELNS1_3repE0EEENS1_30default_config_static_selectorELNS0_4arch9wavefront6targetE1EEEvT1_,comdat
.Lfunc_end75:
	.size	_ZN7rocprim17ROCPRIM_400000_NS6detail17trampoline_kernelINS0_14default_configENS1_25partition_config_selectorILNS1_17partition_subalgoE8EdNS0_10empty_typeEbEEZZNS1_14partition_implILS5_8ELb0ES3_jN6thrust23THRUST_200600_302600_NS6detail15normal_iteratorINSA_10device_ptrIdEEEEPS6_PKS6_NS0_5tupleIJSF_S6_EEENSJ_IJSG_SG_EEENS0_18inequality_wrapperI22is_equal_div_10_uniqueIdEEEPmJS6_EEE10hipError_tPvRmT3_T4_T5_T6_T7_T9_mT8_P12ihipStream_tbDpT10_ENKUlT_T0_E_clISt17integral_constantIbLb0EES19_IbLb1EEEEDaS15_S16_EUlS15_E_NS1_11comp_targetILNS1_3genE2ELNS1_11target_archE906ELNS1_3gpuE6ELNS1_3repE0EEENS1_30default_config_static_selectorELNS0_4arch9wavefront6targetE1EEEvT1_, .Lfunc_end75-_ZN7rocprim17ROCPRIM_400000_NS6detail17trampoline_kernelINS0_14default_configENS1_25partition_config_selectorILNS1_17partition_subalgoE8EdNS0_10empty_typeEbEEZZNS1_14partition_implILS5_8ELb0ES3_jN6thrust23THRUST_200600_302600_NS6detail15normal_iteratorINSA_10device_ptrIdEEEEPS6_PKS6_NS0_5tupleIJSF_S6_EEENSJ_IJSG_SG_EEENS0_18inequality_wrapperI22is_equal_div_10_uniqueIdEEEPmJS6_EEE10hipError_tPvRmT3_T4_T5_T6_T7_T9_mT8_P12ihipStream_tbDpT10_ENKUlT_T0_E_clISt17integral_constantIbLb0EES19_IbLb1EEEEDaS15_S16_EUlS15_E_NS1_11comp_targetILNS1_3genE2ELNS1_11target_archE906ELNS1_3gpuE6ELNS1_3repE0EEENS1_30default_config_static_selectorELNS0_4arch9wavefront6targetE1EEEvT1_
                                        ; -- End function
	.set _ZN7rocprim17ROCPRIM_400000_NS6detail17trampoline_kernelINS0_14default_configENS1_25partition_config_selectorILNS1_17partition_subalgoE8EdNS0_10empty_typeEbEEZZNS1_14partition_implILS5_8ELb0ES3_jN6thrust23THRUST_200600_302600_NS6detail15normal_iteratorINSA_10device_ptrIdEEEEPS6_PKS6_NS0_5tupleIJSF_S6_EEENSJ_IJSG_SG_EEENS0_18inequality_wrapperI22is_equal_div_10_uniqueIdEEEPmJS6_EEE10hipError_tPvRmT3_T4_T5_T6_T7_T9_mT8_P12ihipStream_tbDpT10_ENKUlT_T0_E_clISt17integral_constantIbLb0EES19_IbLb1EEEEDaS15_S16_EUlS15_E_NS1_11comp_targetILNS1_3genE2ELNS1_11target_archE906ELNS1_3gpuE6ELNS1_3repE0EEENS1_30default_config_static_selectorELNS0_4arch9wavefront6targetE1EEEvT1_.num_vgpr, 60
	.set _ZN7rocprim17ROCPRIM_400000_NS6detail17trampoline_kernelINS0_14default_configENS1_25partition_config_selectorILNS1_17partition_subalgoE8EdNS0_10empty_typeEbEEZZNS1_14partition_implILS5_8ELb0ES3_jN6thrust23THRUST_200600_302600_NS6detail15normal_iteratorINSA_10device_ptrIdEEEEPS6_PKS6_NS0_5tupleIJSF_S6_EEENSJ_IJSG_SG_EEENS0_18inequality_wrapperI22is_equal_div_10_uniqueIdEEEPmJS6_EEE10hipError_tPvRmT3_T4_T5_T6_T7_T9_mT8_P12ihipStream_tbDpT10_ENKUlT_T0_E_clISt17integral_constantIbLb0EES19_IbLb1EEEEDaS15_S16_EUlS15_E_NS1_11comp_targetILNS1_3genE2ELNS1_11target_archE906ELNS1_3gpuE6ELNS1_3repE0EEENS1_30default_config_static_selectorELNS0_4arch9wavefront6targetE1EEEvT1_.num_agpr, 0
	.set _ZN7rocprim17ROCPRIM_400000_NS6detail17trampoline_kernelINS0_14default_configENS1_25partition_config_selectorILNS1_17partition_subalgoE8EdNS0_10empty_typeEbEEZZNS1_14partition_implILS5_8ELb0ES3_jN6thrust23THRUST_200600_302600_NS6detail15normal_iteratorINSA_10device_ptrIdEEEEPS6_PKS6_NS0_5tupleIJSF_S6_EEENSJ_IJSG_SG_EEENS0_18inequality_wrapperI22is_equal_div_10_uniqueIdEEEPmJS6_EEE10hipError_tPvRmT3_T4_T5_T6_T7_T9_mT8_P12ihipStream_tbDpT10_ENKUlT_T0_E_clISt17integral_constantIbLb0EES19_IbLb1EEEEDaS15_S16_EUlS15_E_NS1_11comp_targetILNS1_3genE2ELNS1_11target_archE906ELNS1_3gpuE6ELNS1_3repE0EEENS1_30default_config_static_selectorELNS0_4arch9wavefront6targetE1EEEvT1_.numbered_sgpr, 39
	.set _ZN7rocprim17ROCPRIM_400000_NS6detail17trampoline_kernelINS0_14default_configENS1_25partition_config_selectorILNS1_17partition_subalgoE8EdNS0_10empty_typeEbEEZZNS1_14partition_implILS5_8ELb0ES3_jN6thrust23THRUST_200600_302600_NS6detail15normal_iteratorINSA_10device_ptrIdEEEEPS6_PKS6_NS0_5tupleIJSF_S6_EEENSJ_IJSG_SG_EEENS0_18inequality_wrapperI22is_equal_div_10_uniqueIdEEEPmJS6_EEE10hipError_tPvRmT3_T4_T5_T6_T7_T9_mT8_P12ihipStream_tbDpT10_ENKUlT_T0_E_clISt17integral_constantIbLb0EES19_IbLb1EEEEDaS15_S16_EUlS15_E_NS1_11comp_targetILNS1_3genE2ELNS1_11target_archE906ELNS1_3gpuE6ELNS1_3repE0EEENS1_30default_config_static_selectorELNS0_4arch9wavefront6targetE1EEEvT1_.num_named_barrier, 0
	.set _ZN7rocprim17ROCPRIM_400000_NS6detail17trampoline_kernelINS0_14default_configENS1_25partition_config_selectorILNS1_17partition_subalgoE8EdNS0_10empty_typeEbEEZZNS1_14partition_implILS5_8ELb0ES3_jN6thrust23THRUST_200600_302600_NS6detail15normal_iteratorINSA_10device_ptrIdEEEEPS6_PKS6_NS0_5tupleIJSF_S6_EEENSJ_IJSG_SG_EEENS0_18inequality_wrapperI22is_equal_div_10_uniqueIdEEEPmJS6_EEE10hipError_tPvRmT3_T4_T5_T6_T7_T9_mT8_P12ihipStream_tbDpT10_ENKUlT_T0_E_clISt17integral_constantIbLb0EES19_IbLb1EEEEDaS15_S16_EUlS15_E_NS1_11comp_targetILNS1_3genE2ELNS1_11target_archE906ELNS1_3gpuE6ELNS1_3repE0EEENS1_30default_config_static_selectorELNS0_4arch9wavefront6targetE1EEEvT1_.private_seg_size, 0
	.set _ZN7rocprim17ROCPRIM_400000_NS6detail17trampoline_kernelINS0_14default_configENS1_25partition_config_selectorILNS1_17partition_subalgoE8EdNS0_10empty_typeEbEEZZNS1_14partition_implILS5_8ELb0ES3_jN6thrust23THRUST_200600_302600_NS6detail15normal_iteratorINSA_10device_ptrIdEEEEPS6_PKS6_NS0_5tupleIJSF_S6_EEENSJ_IJSG_SG_EEENS0_18inequality_wrapperI22is_equal_div_10_uniqueIdEEEPmJS6_EEE10hipError_tPvRmT3_T4_T5_T6_T7_T9_mT8_P12ihipStream_tbDpT10_ENKUlT_T0_E_clISt17integral_constantIbLb0EES19_IbLb1EEEEDaS15_S16_EUlS15_E_NS1_11comp_targetILNS1_3genE2ELNS1_11target_archE906ELNS1_3gpuE6ELNS1_3repE0EEENS1_30default_config_static_selectorELNS0_4arch9wavefront6targetE1EEEvT1_.uses_vcc, 1
	.set _ZN7rocprim17ROCPRIM_400000_NS6detail17trampoline_kernelINS0_14default_configENS1_25partition_config_selectorILNS1_17partition_subalgoE8EdNS0_10empty_typeEbEEZZNS1_14partition_implILS5_8ELb0ES3_jN6thrust23THRUST_200600_302600_NS6detail15normal_iteratorINSA_10device_ptrIdEEEEPS6_PKS6_NS0_5tupleIJSF_S6_EEENSJ_IJSG_SG_EEENS0_18inequality_wrapperI22is_equal_div_10_uniqueIdEEEPmJS6_EEE10hipError_tPvRmT3_T4_T5_T6_T7_T9_mT8_P12ihipStream_tbDpT10_ENKUlT_T0_E_clISt17integral_constantIbLb0EES19_IbLb1EEEEDaS15_S16_EUlS15_E_NS1_11comp_targetILNS1_3genE2ELNS1_11target_archE906ELNS1_3gpuE6ELNS1_3repE0EEENS1_30default_config_static_selectorELNS0_4arch9wavefront6targetE1EEEvT1_.uses_flat_scratch, 0
	.set _ZN7rocprim17ROCPRIM_400000_NS6detail17trampoline_kernelINS0_14default_configENS1_25partition_config_selectorILNS1_17partition_subalgoE8EdNS0_10empty_typeEbEEZZNS1_14partition_implILS5_8ELb0ES3_jN6thrust23THRUST_200600_302600_NS6detail15normal_iteratorINSA_10device_ptrIdEEEEPS6_PKS6_NS0_5tupleIJSF_S6_EEENSJ_IJSG_SG_EEENS0_18inequality_wrapperI22is_equal_div_10_uniqueIdEEEPmJS6_EEE10hipError_tPvRmT3_T4_T5_T6_T7_T9_mT8_P12ihipStream_tbDpT10_ENKUlT_T0_E_clISt17integral_constantIbLb0EES19_IbLb1EEEEDaS15_S16_EUlS15_E_NS1_11comp_targetILNS1_3genE2ELNS1_11target_archE906ELNS1_3gpuE6ELNS1_3repE0EEENS1_30default_config_static_selectorELNS0_4arch9wavefront6targetE1EEEvT1_.has_dyn_sized_stack, 0
	.set _ZN7rocprim17ROCPRIM_400000_NS6detail17trampoline_kernelINS0_14default_configENS1_25partition_config_selectorILNS1_17partition_subalgoE8EdNS0_10empty_typeEbEEZZNS1_14partition_implILS5_8ELb0ES3_jN6thrust23THRUST_200600_302600_NS6detail15normal_iteratorINSA_10device_ptrIdEEEEPS6_PKS6_NS0_5tupleIJSF_S6_EEENSJ_IJSG_SG_EEENS0_18inequality_wrapperI22is_equal_div_10_uniqueIdEEEPmJS6_EEE10hipError_tPvRmT3_T4_T5_T6_T7_T9_mT8_P12ihipStream_tbDpT10_ENKUlT_T0_E_clISt17integral_constantIbLb0EES19_IbLb1EEEEDaS15_S16_EUlS15_E_NS1_11comp_targetILNS1_3genE2ELNS1_11target_archE906ELNS1_3gpuE6ELNS1_3repE0EEENS1_30default_config_static_selectorELNS0_4arch9wavefront6targetE1EEEvT1_.has_recursion, 0
	.set _ZN7rocprim17ROCPRIM_400000_NS6detail17trampoline_kernelINS0_14default_configENS1_25partition_config_selectorILNS1_17partition_subalgoE8EdNS0_10empty_typeEbEEZZNS1_14partition_implILS5_8ELb0ES3_jN6thrust23THRUST_200600_302600_NS6detail15normal_iteratorINSA_10device_ptrIdEEEEPS6_PKS6_NS0_5tupleIJSF_S6_EEENSJ_IJSG_SG_EEENS0_18inequality_wrapperI22is_equal_div_10_uniqueIdEEEPmJS6_EEE10hipError_tPvRmT3_T4_T5_T6_T7_T9_mT8_P12ihipStream_tbDpT10_ENKUlT_T0_E_clISt17integral_constantIbLb0EES19_IbLb1EEEEDaS15_S16_EUlS15_E_NS1_11comp_targetILNS1_3genE2ELNS1_11target_archE906ELNS1_3gpuE6ELNS1_3repE0EEENS1_30default_config_static_selectorELNS0_4arch9wavefront6targetE1EEEvT1_.has_indirect_call, 0
	.section	.AMDGPU.csdata,"",@progbits
; Kernel info:
; codeLenInByte = 6160
; TotalNumSgprs: 43
; NumVgprs: 60
; ScratchSize: 0
; MemoryBound: 0
; FloatMode: 240
; IeeeMode: 1
; LDSByteSize: 14344 bytes/workgroup (compile time only)
; SGPRBlocks: 12
; VGPRBlocks: 14
; NumSGPRsForWavesPerEU: 102
; NumVGPRsForWavesPerEU: 60
; Occupancy: 4
; WaveLimiterHint : 1
; COMPUTE_PGM_RSRC2:SCRATCH_EN: 0
; COMPUTE_PGM_RSRC2:USER_SGPR: 6
; COMPUTE_PGM_RSRC2:TRAP_HANDLER: 0
; COMPUTE_PGM_RSRC2:TGID_X_EN: 1
; COMPUTE_PGM_RSRC2:TGID_Y_EN: 0
; COMPUTE_PGM_RSRC2:TGID_Z_EN: 0
; COMPUTE_PGM_RSRC2:TIDIG_COMP_CNT: 0
	.section	.text._ZN7rocprim17ROCPRIM_400000_NS6detail17trampoline_kernelINS0_14default_configENS1_25partition_config_selectorILNS1_17partition_subalgoE8EdNS0_10empty_typeEbEEZZNS1_14partition_implILS5_8ELb0ES3_jN6thrust23THRUST_200600_302600_NS6detail15normal_iteratorINSA_10device_ptrIdEEEEPS6_PKS6_NS0_5tupleIJSF_S6_EEENSJ_IJSG_SG_EEENS0_18inequality_wrapperI22is_equal_div_10_uniqueIdEEEPmJS6_EEE10hipError_tPvRmT3_T4_T5_T6_T7_T9_mT8_P12ihipStream_tbDpT10_ENKUlT_T0_E_clISt17integral_constantIbLb0EES19_IbLb1EEEEDaS15_S16_EUlS15_E_NS1_11comp_targetILNS1_3genE10ELNS1_11target_archE1200ELNS1_3gpuE4ELNS1_3repE0EEENS1_30default_config_static_selectorELNS0_4arch9wavefront6targetE1EEEvT1_,"axG",@progbits,_ZN7rocprim17ROCPRIM_400000_NS6detail17trampoline_kernelINS0_14default_configENS1_25partition_config_selectorILNS1_17partition_subalgoE8EdNS0_10empty_typeEbEEZZNS1_14partition_implILS5_8ELb0ES3_jN6thrust23THRUST_200600_302600_NS6detail15normal_iteratorINSA_10device_ptrIdEEEEPS6_PKS6_NS0_5tupleIJSF_S6_EEENSJ_IJSG_SG_EEENS0_18inequality_wrapperI22is_equal_div_10_uniqueIdEEEPmJS6_EEE10hipError_tPvRmT3_T4_T5_T6_T7_T9_mT8_P12ihipStream_tbDpT10_ENKUlT_T0_E_clISt17integral_constantIbLb0EES19_IbLb1EEEEDaS15_S16_EUlS15_E_NS1_11comp_targetILNS1_3genE10ELNS1_11target_archE1200ELNS1_3gpuE4ELNS1_3repE0EEENS1_30default_config_static_selectorELNS0_4arch9wavefront6targetE1EEEvT1_,comdat
	.protected	_ZN7rocprim17ROCPRIM_400000_NS6detail17trampoline_kernelINS0_14default_configENS1_25partition_config_selectorILNS1_17partition_subalgoE8EdNS0_10empty_typeEbEEZZNS1_14partition_implILS5_8ELb0ES3_jN6thrust23THRUST_200600_302600_NS6detail15normal_iteratorINSA_10device_ptrIdEEEEPS6_PKS6_NS0_5tupleIJSF_S6_EEENSJ_IJSG_SG_EEENS0_18inequality_wrapperI22is_equal_div_10_uniqueIdEEEPmJS6_EEE10hipError_tPvRmT3_T4_T5_T6_T7_T9_mT8_P12ihipStream_tbDpT10_ENKUlT_T0_E_clISt17integral_constantIbLb0EES19_IbLb1EEEEDaS15_S16_EUlS15_E_NS1_11comp_targetILNS1_3genE10ELNS1_11target_archE1200ELNS1_3gpuE4ELNS1_3repE0EEENS1_30default_config_static_selectorELNS0_4arch9wavefront6targetE1EEEvT1_ ; -- Begin function _ZN7rocprim17ROCPRIM_400000_NS6detail17trampoline_kernelINS0_14default_configENS1_25partition_config_selectorILNS1_17partition_subalgoE8EdNS0_10empty_typeEbEEZZNS1_14partition_implILS5_8ELb0ES3_jN6thrust23THRUST_200600_302600_NS6detail15normal_iteratorINSA_10device_ptrIdEEEEPS6_PKS6_NS0_5tupleIJSF_S6_EEENSJ_IJSG_SG_EEENS0_18inequality_wrapperI22is_equal_div_10_uniqueIdEEEPmJS6_EEE10hipError_tPvRmT3_T4_T5_T6_T7_T9_mT8_P12ihipStream_tbDpT10_ENKUlT_T0_E_clISt17integral_constantIbLb0EES19_IbLb1EEEEDaS15_S16_EUlS15_E_NS1_11comp_targetILNS1_3genE10ELNS1_11target_archE1200ELNS1_3gpuE4ELNS1_3repE0EEENS1_30default_config_static_selectorELNS0_4arch9wavefront6targetE1EEEvT1_
	.globl	_ZN7rocprim17ROCPRIM_400000_NS6detail17trampoline_kernelINS0_14default_configENS1_25partition_config_selectorILNS1_17partition_subalgoE8EdNS0_10empty_typeEbEEZZNS1_14partition_implILS5_8ELb0ES3_jN6thrust23THRUST_200600_302600_NS6detail15normal_iteratorINSA_10device_ptrIdEEEEPS6_PKS6_NS0_5tupleIJSF_S6_EEENSJ_IJSG_SG_EEENS0_18inequality_wrapperI22is_equal_div_10_uniqueIdEEEPmJS6_EEE10hipError_tPvRmT3_T4_T5_T6_T7_T9_mT8_P12ihipStream_tbDpT10_ENKUlT_T0_E_clISt17integral_constantIbLb0EES19_IbLb1EEEEDaS15_S16_EUlS15_E_NS1_11comp_targetILNS1_3genE10ELNS1_11target_archE1200ELNS1_3gpuE4ELNS1_3repE0EEENS1_30default_config_static_selectorELNS0_4arch9wavefront6targetE1EEEvT1_
	.p2align	8
	.type	_ZN7rocprim17ROCPRIM_400000_NS6detail17trampoline_kernelINS0_14default_configENS1_25partition_config_selectorILNS1_17partition_subalgoE8EdNS0_10empty_typeEbEEZZNS1_14partition_implILS5_8ELb0ES3_jN6thrust23THRUST_200600_302600_NS6detail15normal_iteratorINSA_10device_ptrIdEEEEPS6_PKS6_NS0_5tupleIJSF_S6_EEENSJ_IJSG_SG_EEENS0_18inequality_wrapperI22is_equal_div_10_uniqueIdEEEPmJS6_EEE10hipError_tPvRmT3_T4_T5_T6_T7_T9_mT8_P12ihipStream_tbDpT10_ENKUlT_T0_E_clISt17integral_constantIbLb0EES19_IbLb1EEEEDaS15_S16_EUlS15_E_NS1_11comp_targetILNS1_3genE10ELNS1_11target_archE1200ELNS1_3gpuE4ELNS1_3repE0EEENS1_30default_config_static_selectorELNS0_4arch9wavefront6targetE1EEEvT1_,@function
_ZN7rocprim17ROCPRIM_400000_NS6detail17trampoline_kernelINS0_14default_configENS1_25partition_config_selectorILNS1_17partition_subalgoE8EdNS0_10empty_typeEbEEZZNS1_14partition_implILS5_8ELb0ES3_jN6thrust23THRUST_200600_302600_NS6detail15normal_iteratorINSA_10device_ptrIdEEEEPS6_PKS6_NS0_5tupleIJSF_S6_EEENSJ_IJSG_SG_EEENS0_18inequality_wrapperI22is_equal_div_10_uniqueIdEEEPmJS6_EEE10hipError_tPvRmT3_T4_T5_T6_T7_T9_mT8_P12ihipStream_tbDpT10_ENKUlT_T0_E_clISt17integral_constantIbLb0EES19_IbLb1EEEEDaS15_S16_EUlS15_E_NS1_11comp_targetILNS1_3genE10ELNS1_11target_archE1200ELNS1_3gpuE4ELNS1_3repE0EEENS1_30default_config_static_selectorELNS0_4arch9wavefront6targetE1EEEvT1_: ; @_ZN7rocprim17ROCPRIM_400000_NS6detail17trampoline_kernelINS0_14default_configENS1_25partition_config_selectorILNS1_17partition_subalgoE8EdNS0_10empty_typeEbEEZZNS1_14partition_implILS5_8ELb0ES3_jN6thrust23THRUST_200600_302600_NS6detail15normal_iteratorINSA_10device_ptrIdEEEEPS6_PKS6_NS0_5tupleIJSF_S6_EEENSJ_IJSG_SG_EEENS0_18inequality_wrapperI22is_equal_div_10_uniqueIdEEEPmJS6_EEE10hipError_tPvRmT3_T4_T5_T6_T7_T9_mT8_P12ihipStream_tbDpT10_ENKUlT_T0_E_clISt17integral_constantIbLb0EES19_IbLb1EEEEDaS15_S16_EUlS15_E_NS1_11comp_targetILNS1_3genE10ELNS1_11target_archE1200ELNS1_3gpuE4ELNS1_3repE0EEENS1_30default_config_static_selectorELNS0_4arch9wavefront6targetE1EEEvT1_
; %bb.0:
	.section	.rodata,"a",@progbits
	.p2align	6, 0x0
	.amdhsa_kernel _ZN7rocprim17ROCPRIM_400000_NS6detail17trampoline_kernelINS0_14default_configENS1_25partition_config_selectorILNS1_17partition_subalgoE8EdNS0_10empty_typeEbEEZZNS1_14partition_implILS5_8ELb0ES3_jN6thrust23THRUST_200600_302600_NS6detail15normal_iteratorINSA_10device_ptrIdEEEEPS6_PKS6_NS0_5tupleIJSF_S6_EEENSJ_IJSG_SG_EEENS0_18inequality_wrapperI22is_equal_div_10_uniqueIdEEEPmJS6_EEE10hipError_tPvRmT3_T4_T5_T6_T7_T9_mT8_P12ihipStream_tbDpT10_ENKUlT_T0_E_clISt17integral_constantIbLb0EES19_IbLb1EEEEDaS15_S16_EUlS15_E_NS1_11comp_targetILNS1_3genE10ELNS1_11target_archE1200ELNS1_3gpuE4ELNS1_3repE0EEENS1_30default_config_static_selectorELNS0_4arch9wavefront6targetE1EEEvT1_
		.amdhsa_group_segment_fixed_size 0
		.amdhsa_private_segment_fixed_size 0
		.amdhsa_kernarg_size 128
		.amdhsa_user_sgpr_count 6
		.amdhsa_user_sgpr_private_segment_buffer 1
		.amdhsa_user_sgpr_dispatch_ptr 0
		.amdhsa_user_sgpr_queue_ptr 0
		.amdhsa_user_sgpr_kernarg_segment_ptr 1
		.amdhsa_user_sgpr_dispatch_id 0
		.amdhsa_user_sgpr_flat_scratch_init 0
		.amdhsa_user_sgpr_private_segment_size 0
		.amdhsa_uses_dynamic_stack 0
		.amdhsa_system_sgpr_private_segment_wavefront_offset 0
		.amdhsa_system_sgpr_workgroup_id_x 1
		.amdhsa_system_sgpr_workgroup_id_y 0
		.amdhsa_system_sgpr_workgroup_id_z 0
		.amdhsa_system_sgpr_workgroup_info 0
		.amdhsa_system_vgpr_workitem_id 0
		.amdhsa_next_free_vgpr 1
		.amdhsa_next_free_sgpr 0
		.amdhsa_reserve_vcc 0
		.amdhsa_reserve_flat_scratch 0
		.amdhsa_float_round_mode_32 0
		.amdhsa_float_round_mode_16_64 0
		.amdhsa_float_denorm_mode_32 3
		.amdhsa_float_denorm_mode_16_64 3
		.amdhsa_dx10_clamp 1
		.amdhsa_ieee_mode 1
		.amdhsa_fp16_overflow 0
		.amdhsa_exception_fp_ieee_invalid_op 0
		.amdhsa_exception_fp_denorm_src 0
		.amdhsa_exception_fp_ieee_div_zero 0
		.amdhsa_exception_fp_ieee_overflow 0
		.amdhsa_exception_fp_ieee_underflow 0
		.amdhsa_exception_fp_ieee_inexact 0
		.amdhsa_exception_int_div_zero 0
	.end_amdhsa_kernel
	.section	.text._ZN7rocprim17ROCPRIM_400000_NS6detail17trampoline_kernelINS0_14default_configENS1_25partition_config_selectorILNS1_17partition_subalgoE8EdNS0_10empty_typeEbEEZZNS1_14partition_implILS5_8ELb0ES3_jN6thrust23THRUST_200600_302600_NS6detail15normal_iteratorINSA_10device_ptrIdEEEEPS6_PKS6_NS0_5tupleIJSF_S6_EEENSJ_IJSG_SG_EEENS0_18inequality_wrapperI22is_equal_div_10_uniqueIdEEEPmJS6_EEE10hipError_tPvRmT3_T4_T5_T6_T7_T9_mT8_P12ihipStream_tbDpT10_ENKUlT_T0_E_clISt17integral_constantIbLb0EES19_IbLb1EEEEDaS15_S16_EUlS15_E_NS1_11comp_targetILNS1_3genE10ELNS1_11target_archE1200ELNS1_3gpuE4ELNS1_3repE0EEENS1_30default_config_static_selectorELNS0_4arch9wavefront6targetE1EEEvT1_,"axG",@progbits,_ZN7rocprim17ROCPRIM_400000_NS6detail17trampoline_kernelINS0_14default_configENS1_25partition_config_selectorILNS1_17partition_subalgoE8EdNS0_10empty_typeEbEEZZNS1_14partition_implILS5_8ELb0ES3_jN6thrust23THRUST_200600_302600_NS6detail15normal_iteratorINSA_10device_ptrIdEEEEPS6_PKS6_NS0_5tupleIJSF_S6_EEENSJ_IJSG_SG_EEENS0_18inequality_wrapperI22is_equal_div_10_uniqueIdEEEPmJS6_EEE10hipError_tPvRmT3_T4_T5_T6_T7_T9_mT8_P12ihipStream_tbDpT10_ENKUlT_T0_E_clISt17integral_constantIbLb0EES19_IbLb1EEEEDaS15_S16_EUlS15_E_NS1_11comp_targetILNS1_3genE10ELNS1_11target_archE1200ELNS1_3gpuE4ELNS1_3repE0EEENS1_30default_config_static_selectorELNS0_4arch9wavefront6targetE1EEEvT1_,comdat
.Lfunc_end76:
	.size	_ZN7rocprim17ROCPRIM_400000_NS6detail17trampoline_kernelINS0_14default_configENS1_25partition_config_selectorILNS1_17partition_subalgoE8EdNS0_10empty_typeEbEEZZNS1_14partition_implILS5_8ELb0ES3_jN6thrust23THRUST_200600_302600_NS6detail15normal_iteratorINSA_10device_ptrIdEEEEPS6_PKS6_NS0_5tupleIJSF_S6_EEENSJ_IJSG_SG_EEENS0_18inequality_wrapperI22is_equal_div_10_uniqueIdEEEPmJS6_EEE10hipError_tPvRmT3_T4_T5_T6_T7_T9_mT8_P12ihipStream_tbDpT10_ENKUlT_T0_E_clISt17integral_constantIbLb0EES19_IbLb1EEEEDaS15_S16_EUlS15_E_NS1_11comp_targetILNS1_3genE10ELNS1_11target_archE1200ELNS1_3gpuE4ELNS1_3repE0EEENS1_30default_config_static_selectorELNS0_4arch9wavefront6targetE1EEEvT1_, .Lfunc_end76-_ZN7rocprim17ROCPRIM_400000_NS6detail17trampoline_kernelINS0_14default_configENS1_25partition_config_selectorILNS1_17partition_subalgoE8EdNS0_10empty_typeEbEEZZNS1_14partition_implILS5_8ELb0ES3_jN6thrust23THRUST_200600_302600_NS6detail15normal_iteratorINSA_10device_ptrIdEEEEPS6_PKS6_NS0_5tupleIJSF_S6_EEENSJ_IJSG_SG_EEENS0_18inequality_wrapperI22is_equal_div_10_uniqueIdEEEPmJS6_EEE10hipError_tPvRmT3_T4_T5_T6_T7_T9_mT8_P12ihipStream_tbDpT10_ENKUlT_T0_E_clISt17integral_constantIbLb0EES19_IbLb1EEEEDaS15_S16_EUlS15_E_NS1_11comp_targetILNS1_3genE10ELNS1_11target_archE1200ELNS1_3gpuE4ELNS1_3repE0EEENS1_30default_config_static_selectorELNS0_4arch9wavefront6targetE1EEEvT1_
                                        ; -- End function
	.set _ZN7rocprim17ROCPRIM_400000_NS6detail17trampoline_kernelINS0_14default_configENS1_25partition_config_selectorILNS1_17partition_subalgoE8EdNS0_10empty_typeEbEEZZNS1_14partition_implILS5_8ELb0ES3_jN6thrust23THRUST_200600_302600_NS6detail15normal_iteratorINSA_10device_ptrIdEEEEPS6_PKS6_NS0_5tupleIJSF_S6_EEENSJ_IJSG_SG_EEENS0_18inequality_wrapperI22is_equal_div_10_uniqueIdEEEPmJS6_EEE10hipError_tPvRmT3_T4_T5_T6_T7_T9_mT8_P12ihipStream_tbDpT10_ENKUlT_T0_E_clISt17integral_constantIbLb0EES19_IbLb1EEEEDaS15_S16_EUlS15_E_NS1_11comp_targetILNS1_3genE10ELNS1_11target_archE1200ELNS1_3gpuE4ELNS1_3repE0EEENS1_30default_config_static_selectorELNS0_4arch9wavefront6targetE1EEEvT1_.num_vgpr, 0
	.set _ZN7rocprim17ROCPRIM_400000_NS6detail17trampoline_kernelINS0_14default_configENS1_25partition_config_selectorILNS1_17partition_subalgoE8EdNS0_10empty_typeEbEEZZNS1_14partition_implILS5_8ELb0ES3_jN6thrust23THRUST_200600_302600_NS6detail15normal_iteratorINSA_10device_ptrIdEEEEPS6_PKS6_NS0_5tupleIJSF_S6_EEENSJ_IJSG_SG_EEENS0_18inequality_wrapperI22is_equal_div_10_uniqueIdEEEPmJS6_EEE10hipError_tPvRmT3_T4_T5_T6_T7_T9_mT8_P12ihipStream_tbDpT10_ENKUlT_T0_E_clISt17integral_constantIbLb0EES19_IbLb1EEEEDaS15_S16_EUlS15_E_NS1_11comp_targetILNS1_3genE10ELNS1_11target_archE1200ELNS1_3gpuE4ELNS1_3repE0EEENS1_30default_config_static_selectorELNS0_4arch9wavefront6targetE1EEEvT1_.num_agpr, 0
	.set _ZN7rocprim17ROCPRIM_400000_NS6detail17trampoline_kernelINS0_14default_configENS1_25partition_config_selectorILNS1_17partition_subalgoE8EdNS0_10empty_typeEbEEZZNS1_14partition_implILS5_8ELb0ES3_jN6thrust23THRUST_200600_302600_NS6detail15normal_iteratorINSA_10device_ptrIdEEEEPS6_PKS6_NS0_5tupleIJSF_S6_EEENSJ_IJSG_SG_EEENS0_18inequality_wrapperI22is_equal_div_10_uniqueIdEEEPmJS6_EEE10hipError_tPvRmT3_T4_T5_T6_T7_T9_mT8_P12ihipStream_tbDpT10_ENKUlT_T0_E_clISt17integral_constantIbLb0EES19_IbLb1EEEEDaS15_S16_EUlS15_E_NS1_11comp_targetILNS1_3genE10ELNS1_11target_archE1200ELNS1_3gpuE4ELNS1_3repE0EEENS1_30default_config_static_selectorELNS0_4arch9wavefront6targetE1EEEvT1_.numbered_sgpr, 0
	.set _ZN7rocprim17ROCPRIM_400000_NS6detail17trampoline_kernelINS0_14default_configENS1_25partition_config_selectorILNS1_17partition_subalgoE8EdNS0_10empty_typeEbEEZZNS1_14partition_implILS5_8ELb0ES3_jN6thrust23THRUST_200600_302600_NS6detail15normal_iteratorINSA_10device_ptrIdEEEEPS6_PKS6_NS0_5tupleIJSF_S6_EEENSJ_IJSG_SG_EEENS0_18inequality_wrapperI22is_equal_div_10_uniqueIdEEEPmJS6_EEE10hipError_tPvRmT3_T4_T5_T6_T7_T9_mT8_P12ihipStream_tbDpT10_ENKUlT_T0_E_clISt17integral_constantIbLb0EES19_IbLb1EEEEDaS15_S16_EUlS15_E_NS1_11comp_targetILNS1_3genE10ELNS1_11target_archE1200ELNS1_3gpuE4ELNS1_3repE0EEENS1_30default_config_static_selectorELNS0_4arch9wavefront6targetE1EEEvT1_.num_named_barrier, 0
	.set _ZN7rocprim17ROCPRIM_400000_NS6detail17trampoline_kernelINS0_14default_configENS1_25partition_config_selectorILNS1_17partition_subalgoE8EdNS0_10empty_typeEbEEZZNS1_14partition_implILS5_8ELb0ES3_jN6thrust23THRUST_200600_302600_NS6detail15normal_iteratorINSA_10device_ptrIdEEEEPS6_PKS6_NS0_5tupleIJSF_S6_EEENSJ_IJSG_SG_EEENS0_18inequality_wrapperI22is_equal_div_10_uniqueIdEEEPmJS6_EEE10hipError_tPvRmT3_T4_T5_T6_T7_T9_mT8_P12ihipStream_tbDpT10_ENKUlT_T0_E_clISt17integral_constantIbLb0EES19_IbLb1EEEEDaS15_S16_EUlS15_E_NS1_11comp_targetILNS1_3genE10ELNS1_11target_archE1200ELNS1_3gpuE4ELNS1_3repE0EEENS1_30default_config_static_selectorELNS0_4arch9wavefront6targetE1EEEvT1_.private_seg_size, 0
	.set _ZN7rocprim17ROCPRIM_400000_NS6detail17trampoline_kernelINS0_14default_configENS1_25partition_config_selectorILNS1_17partition_subalgoE8EdNS0_10empty_typeEbEEZZNS1_14partition_implILS5_8ELb0ES3_jN6thrust23THRUST_200600_302600_NS6detail15normal_iteratorINSA_10device_ptrIdEEEEPS6_PKS6_NS0_5tupleIJSF_S6_EEENSJ_IJSG_SG_EEENS0_18inequality_wrapperI22is_equal_div_10_uniqueIdEEEPmJS6_EEE10hipError_tPvRmT3_T4_T5_T6_T7_T9_mT8_P12ihipStream_tbDpT10_ENKUlT_T0_E_clISt17integral_constantIbLb0EES19_IbLb1EEEEDaS15_S16_EUlS15_E_NS1_11comp_targetILNS1_3genE10ELNS1_11target_archE1200ELNS1_3gpuE4ELNS1_3repE0EEENS1_30default_config_static_selectorELNS0_4arch9wavefront6targetE1EEEvT1_.uses_vcc, 0
	.set _ZN7rocprim17ROCPRIM_400000_NS6detail17trampoline_kernelINS0_14default_configENS1_25partition_config_selectorILNS1_17partition_subalgoE8EdNS0_10empty_typeEbEEZZNS1_14partition_implILS5_8ELb0ES3_jN6thrust23THRUST_200600_302600_NS6detail15normal_iteratorINSA_10device_ptrIdEEEEPS6_PKS6_NS0_5tupleIJSF_S6_EEENSJ_IJSG_SG_EEENS0_18inequality_wrapperI22is_equal_div_10_uniqueIdEEEPmJS6_EEE10hipError_tPvRmT3_T4_T5_T6_T7_T9_mT8_P12ihipStream_tbDpT10_ENKUlT_T0_E_clISt17integral_constantIbLb0EES19_IbLb1EEEEDaS15_S16_EUlS15_E_NS1_11comp_targetILNS1_3genE10ELNS1_11target_archE1200ELNS1_3gpuE4ELNS1_3repE0EEENS1_30default_config_static_selectorELNS0_4arch9wavefront6targetE1EEEvT1_.uses_flat_scratch, 0
	.set _ZN7rocprim17ROCPRIM_400000_NS6detail17trampoline_kernelINS0_14default_configENS1_25partition_config_selectorILNS1_17partition_subalgoE8EdNS0_10empty_typeEbEEZZNS1_14partition_implILS5_8ELb0ES3_jN6thrust23THRUST_200600_302600_NS6detail15normal_iteratorINSA_10device_ptrIdEEEEPS6_PKS6_NS0_5tupleIJSF_S6_EEENSJ_IJSG_SG_EEENS0_18inequality_wrapperI22is_equal_div_10_uniqueIdEEEPmJS6_EEE10hipError_tPvRmT3_T4_T5_T6_T7_T9_mT8_P12ihipStream_tbDpT10_ENKUlT_T0_E_clISt17integral_constantIbLb0EES19_IbLb1EEEEDaS15_S16_EUlS15_E_NS1_11comp_targetILNS1_3genE10ELNS1_11target_archE1200ELNS1_3gpuE4ELNS1_3repE0EEENS1_30default_config_static_selectorELNS0_4arch9wavefront6targetE1EEEvT1_.has_dyn_sized_stack, 0
	.set _ZN7rocprim17ROCPRIM_400000_NS6detail17trampoline_kernelINS0_14default_configENS1_25partition_config_selectorILNS1_17partition_subalgoE8EdNS0_10empty_typeEbEEZZNS1_14partition_implILS5_8ELb0ES3_jN6thrust23THRUST_200600_302600_NS6detail15normal_iteratorINSA_10device_ptrIdEEEEPS6_PKS6_NS0_5tupleIJSF_S6_EEENSJ_IJSG_SG_EEENS0_18inequality_wrapperI22is_equal_div_10_uniqueIdEEEPmJS6_EEE10hipError_tPvRmT3_T4_T5_T6_T7_T9_mT8_P12ihipStream_tbDpT10_ENKUlT_T0_E_clISt17integral_constantIbLb0EES19_IbLb1EEEEDaS15_S16_EUlS15_E_NS1_11comp_targetILNS1_3genE10ELNS1_11target_archE1200ELNS1_3gpuE4ELNS1_3repE0EEENS1_30default_config_static_selectorELNS0_4arch9wavefront6targetE1EEEvT1_.has_recursion, 0
	.set _ZN7rocprim17ROCPRIM_400000_NS6detail17trampoline_kernelINS0_14default_configENS1_25partition_config_selectorILNS1_17partition_subalgoE8EdNS0_10empty_typeEbEEZZNS1_14partition_implILS5_8ELb0ES3_jN6thrust23THRUST_200600_302600_NS6detail15normal_iteratorINSA_10device_ptrIdEEEEPS6_PKS6_NS0_5tupleIJSF_S6_EEENSJ_IJSG_SG_EEENS0_18inequality_wrapperI22is_equal_div_10_uniqueIdEEEPmJS6_EEE10hipError_tPvRmT3_T4_T5_T6_T7_T9_mT8_P12ihipStream_tbDpT10_ENKUlT_T0_E_clISt17integral_constantIbLb0EES19_IbLb1EEEEDaS15_S16_EUlS15_E_NS1_11comp_targetILNS1_3genE10ELNS1_11target_archE1200ELNS1_3gpuE4ELNS1_3repE0EEENS1_30default_config_static_selectorELNS0_4arch9wavefront6targetE1EEEvT1_.has_indirect_call, 0
	.section	.AMDGPU.csdata,"",@progbits
; Kernel info:
; codeLenInByte = 0
; TotalNumSgprs: 4
; NumVgprs: 0
; ScratchSize: 0
; MemoryBound: 0
; FloatMode: 240
; IeeeMode: 1
; LDSByteSize: 0 bytes/workgroup (compile time only)
; SGPRBlocks: 0
; VGPRBlocks: 0
; NumSGPRsForWavesPerEU: 4
; NumVGPRsForWavesPerEU: 1
; Occupancy: 10
; WaveLimiterHint : 0
; COMPUTE_PGM_RSRC2:SCRATCH_EN: 0
; COMPUTE_PGM_RSRC2:USER_SGPR: 6
; COMPUTE_PGM_RSRC2:TRAP_HANDLER: 0
; COMPUTE_PGM_RSRC2:TGID_X_EN: 1
; COMPUTE_PGM_RSRC2:TGID_Y_EN: 0
; COMPUTE_PGM_RSRC2:TGID_Z_EN: 0
; COMPUTE_PGM_RSRC2:TIDIG_COMP_CNT: 0
	.section	.text._ZN7rocprim17ROCPRIM_400000_NS6detail17trampoline_kernelINS0_14default_configENS1_25partition_config_selectorILNS1_17partition_subalgoE8EdNS0_10empty_typeEbEEZZNS1_14partition_implILS5_8ELb0ES3_jN6thrust23THRUST_200600_302600_NS6detail15normal_iteratorINSA_10device_ptrIdEEEEPS6_PKS6_NS0_5tupleIJSF_S6_EEENSJ_IJSG_SG_EEENS0_18inequality_wrapperI22is_equal_div_10_uniqueIdEEEPmJS6_EEE10hipError_tPvRmT3_T4_T5_T6_T7_T9_mT8_P12ihipStream_tbDpT10_ENKUlT_T0_E_clISt17integral_constantIbLb0EES19_IbLb1EEEEDaS15_S16_EUlS15_E_NS1_11comp_targetILNS1_3genE9ELNS1_11target_archE1100ELNS1_3gpuE3ELNS1_3repE0EEENS1_30default_config_static_selectorELNS0_4arch9wavefront6targetE1EEEvT1_,"axG",@progbits,_ZN7rocprim17ROCPRIM_400000_NS6detail17trampoline_kernelINS0_14default_configENS1_25partition_config_selectorILNS1_17partition_subalgoE8EdNS0_10empty_typeEbEEZZNS1_14partition_implILS5_8ELb0ES3_jN6thrust23THRUST_200600_302600_NS6detail15normal_iteratorINSA_10device_ptrIdEEEEPS6_PKS6_NS0_5tupleIJSF_S6_EEENSJ_IJSG_SG_EEENS0_18inequality_wrapperI22is_equal_div_10_uniqueIdEEEPmJS6_EEE10hipError_tPvRmT3_T4_T5_T6_T7_T9_mT8_P12ihipStream_tbDpT10_ENKUlT_T0_E_clISt17integral_constantIbLb0EES19_IbLb1EEEEDaS15_S16_EUlS15_E_NS1_11comp_targetILNS1_3genE9ELNS1_11target_archE1100ELNS1_3gpuE3ELNS1_3repE0EEENS1_30default_config_static_selectorELNS0_4arch9wavefront6targetE1EEEvT1_,comdat
	.protected	_ZN7rocprim17ROCPRIM_400000_NS6detail17trampoline_kernelINS0_14default_configENS1_25partition_config_selectorILNS1_17partition_subalgoE8EdNS0_10empty_typeEbEEZZNS1_14partition_implILS5_8ELb0ES3_jN6thrust23THRUST_200600_302600_NS6detail15normal_iteratorINSA_10device_ptrIdEEEEPS6_PKS6_NS0_5tupleIJSF_S6_EEENSJ_IJSG_SG_EEENS0_18inequality_wrapperI22is_equal_div_10_uniqueIdEEEPmJS6_EEE10hipError_tPvRmT3_T4_T5_T6_T7_T9_mT8_P12ihipStream_tbDpT10_ENKUlT_T0_E_clISt17integral_constantIbLb0EES19_IbLb1EEEEDaS15_S16_EUlS15_E_NS1_11comp_targetILNS1_3genE9ELNS1_11target_archE1100ELNS1_3gpuE3ELNS1_3repE0EEENS1_30default_config_static_selectorELNS0_4arch9wavefront6targetE1EEEvT1_ ; -- Begin function _ZN7rocprim17ROCPRIM_400000_NS6detail17trampoline_kernelINS0_14default_configENS1_25partition_config_selectorILNS1_17partition_subalgoE8EdNS0_10empty_typeEbEEZZNS1_14partition_implILS5_8ELb0ES3_jN6thrust23THRUST_200600_302600_NS6detail15normal_iteratorINSA_10device_ptrIdEEEEPS6_PKS6_NS0_5tupleIJSF_S6_EEENSJ_IJSG_SG_EEENS0_18inequality_wrapperI22is_equal_div_10_uniqueIdEEEPmJS6_EEE10hipError_tPvRmT3_T4_T5_T6_T7_T9_mT8_P12ihipStream_tbDpT10_ENKUlT_T0_E_clISt17integral_constantIbLb0EES19_IbLb1EEEEDaS15_S16_EUlS15_E_NS1_11comp_targetILNS1_3genE9ELNS1_11target_archE1100ELNS1_3gpuE3ELNS1_3repE0EEENS1_30default_config_static_selectorELNS0_4arch9wavefront6targetE1EEEvT1_
	.globl	_ZN7rocprim17ROCPRIM_400000_NS6detail17trampoline_kernelINS0_14default_configENS1_25partition_config_selectorILNS1_17partition_subalgoE8EdNS0_10empty_typeEbEEZZNS1_14partition_implILS5_8ELb0ES3_jN6thrust23THRUST_200600_302600_NS6detail15normal_iteratorINSA_10device_ptrIdEEEEPS6_PKS6_NS0_5tupleIJSF_S6_EEENSJ_IJSG_SG_EEENS0_18inequality_wrapperI22is_equal_div_10_uniqueIdEEEPmJS6_EEE10hipError_tPvRmT3_T4_T5_T6_T7_T9_mT8_P12ihipStream_tbDpT10_ENKUlT_T0_E_clISt17integral_constantIbLb0EES19_IbLb1EEEEDaS15_S16_EUlS15_E_NS1_11comp_targetILNS1_3genE9ELNS1_11target_archE1100ELNS1_3gpuE3ELNS1_3repE0EEENS1_30default_config_static_selectorELNS0_4arch9wavefront6targetE1EEEvT1_
	.p2align	8
	.type	_ZN7rocprim17ROCPRIM_400000_NS6detail17trampoline_kernelINS0_14default_configENS1_25partition_config_selectorILNS1_17partition_subalgoE8EdNS0_10empty_typeEbEEZZNS1_14partition_implILS5_8ELb0ES3_jN6thrust23THRUST_200600_302600_NS6detail15normal_iteratorINSA_10device_ptrIdEEEEPS6_PKS6_NS0_5tupleIJSF_S6_EEENSJ_IJSG_SG_EEENS0_18inequality_wrapperI22is_equal_div_10_uniqueIdEEEPmJS6_EEE10hipError_tPvRmT3_T4_T5_T6_T7_T9_mT8_P12ihipStream_tbDpT10_ENKUlT_T0_E_clISt17integral_constantIbLb0EES19_IbLb1EEEEDaS15_S16_EUlS15_E_NS1_11comp_targetILNS1_3genE9ELNS1_11target_archE1100ELNS1_3gpuE3ELNS1_3repE0EEENS1_30default_config_static_selectorELNS0_4arch9wavefront6targetE1EEEvT1_,@function
_ZN7rocprim17ROCPRIM_400000_NS6detail17trampoline_kernelINS0_14default_configENS1_25partition_config_selectorILNS1_17partition_subalgoE8EdNS0_10empty_typeEbEEZZNS1_14partition_implILS5_8ELb0ES3_jN6thrust23THRUST_200600_302600_NS6detail15normal_iteratorINSA_10device_ptrIdEEEEPS6_PKS6_NS0_5tupleIJSF_S6_EEENSJ_IJSG_SG_EEENS0_18inequality_wrapperI22is_equal_div_10_uniqueIdEEEPmJS6_EEE10hipError_tPvRmT3_T4_T5_T6_T7_T9_mT8_P12ihipStream_tbDpT10_ENKUlT_T0_E_clISt17integral_constantIbLb0EES19_IbLb1EEEEDaS15_S16_EUlS15_E_NS1_11comp_targetILNS1_3genE9ELNS1_11target_archE1100ELNS1_3gpuE3ELNS1_3repE0EEENS1_30default_config_static_selectorELNS0_4arch9wavefront6targetE1EEEvT1_: ; @_ZN7rocprim17ROCPRIM_400000_NS6detail17trampoline_kernelINS0_14default_configENS1_25partition_config_selectorILNS1_17partition_subalgoE8EdNS0_10empty_typeEbEEZZNS1_14partition_implILS5_8ELb0ES3_jN6thrust23THRUST_200600_302600_NS6detail15normal_iteratorINSA_10device_ptrIdEEEEPS6_PKS6_NS0_5tupleIJSF_S6_EEENSJ_IJSG_SG_EEENS0_18inequality_wrapperI22is_equal_div_10_uniqueIdEEEPmJS6_EEE10hipError_tPvRmT3_T4_T5_T6_T7_T9_mT8_P12ihipStream_tbDpT10_ENKUlT_T0_E_clISt17integral_constantIbLb0EES19_IbLb1EEEEDaS15_S16_EUlS15_E_NS1_11comp_targetILNS1_3genE9ELNS1_11target_archE1100ELNS1_3gpuE3ELNS1_3repE0EEENS1_30default_config_static_selectorELNS0_4arch9wavefront6targetE1EEEvT1_
; %bb.0:
	.section	.rodata,"a",@progbits
	.p2align	6, 0x0
	.amdhsa_kernel _ZN7rocprim17ROCPRIM_400000_NS6detail17trampoline_kernelINS0_14default_configENS1_25partition_config_selectorILNS1_17partition_subalgoE8EdNS0_10empty_typeEbEEZZNS1_14partition_implILS5_8ELb0ES3_jN6thrust23THRUST_200600_302600_NS6detail15normal_iteratorINSA_10device_ptrIdEEEEPS6_PKS6_NS0_5tupleIJSF_S6_EEENSJ_IJSG_SG_EEENS0_18inequality_wrapperI22is_equal_div_10_uniqueIdEEEPmJS6_EEE10hipError_tPvRmT3_T4_T5_T6_T7_T9_mT8_P12ihipStream_tbDpT10_ENKUlT_T0_E_clISt17integral_constantIbLb0EES19_IbLb1EEEEDaS15_S16_EUlS15_E_NS1_11comp_targetILNS1_3genE9ELNS1_11target_archE1100ELNS1_3gpuE3ELNS1_3repE0EEENS1_30default_config_static_selectorELNS0_4arch9wavefront6targetE1EEEvT1_
		.amdhsa_group_segment_fixed_size 0
		.amdhsa_private_segment_fixed_size 0
		.amdhsa_kernarg_size 128
		.amdhsa_user_sgpr_count 6
		.amdhsa_user_sgpr_private_segment_buffer 1
		.amdhsa_user_sgpr_dispatch_ptr 0
		.amdhsa_user_sgpr_queue_ptr 0
		.amdhsa_user_sgpr_kernarg_segment_ptr 1
		.amdhsa_user_sgpr_dispatch_id 0
		.amdhsa_user_sgpr_flat_scratch_init 0
		.amdhsa_user_sgpr_private_segment_size 0
		.amdhsa_uses_dynamic_stack 0
		.amdhsa_system_sgpr_private_segment_wavefront_offset 0
		.amdhsa_system_sgpr_workgroup_id_x 1
		.amdhsa_system_sgpr_workgroup_id_y 0
		.amdhsa_system_sgpr_workgroup_id_z 0
		.amdhsa_system_sgpr_workgroup_info 0
		.amdhsa_system_vgpr_workitem_id 0
		.amdhsa_next_free_vgpr 1
		.amdhsa_next_free_sgpr 0
		.amdhsa_reserve_vcc 0
		.amdhsa_reserve_flat_scratch 0
		.amdhsa_float_round_mode_32 0
		.amdhsa_float_round_mode_16_64 0
		.amdhsa_float_denorm_mode_32 3
		.amdhsa_float_denorm_mode_16_64 3
		.amdhsa_dx10_clamp 1
		.amdhsa_ieee_mode 1
		.amdhsa_fp16_overflow 0
		.amdhsa_exception_fp_ieee_invalid_op 0
		.amdhsa_exception_fp_denorm_src 0
		.amdhsa_exception_fp_ieee_div_zero 0
		.amdhsa_exception_fp_ieee_overflow 0
		.amdhsa_exception_fp_ieee_underflow 0
		.amdhsa_exception_fp_ieee_inexact 0
		.amdhsa_exception_int_div_zero 0
	.end_amdhsa_kernel
	.section	.text._ZN7rocprim17ROCPRIM_400000_NS6detail17trampoline_kernelINS0_14default_configENS1_25partition_config_selectorILNS1_17partition_subalgoE8EdNS0_10empty_typeEbEEZZNS1_14partition_implILS5_8ELb0ES3_jN6thrust23THRUST_200600_302600_NS6detail15normal_iteratorINSA_10device_ptrIdEEEEPS6_PKS6_NS0_5tupleIJSF_S6_EEENSJ_IJSG_SG_EEENS0_18inequality_wrapperI22is_equal_div_10_uniqueIdEEEPmJS6_EEE10hipError_tPvRmT3_T4_T5_T6_T7_T9_mT8_P12ihipStream_tbDpT10_ENKUlT_T0_E_clISt17integral_constantIbLb0EES19_IbLb1EEEEDaS15_S16_EUlS15_E_NS1_11comp_targetILNS1_3genE9ELNS1_11target_archE1100ELNS1_3gpuE3ELNS1_3repE0EEENS1_30default_config_static_selectorELNS0_4arch9wavefront6targetE1EEEvT1_,"axG",@progbits,_ZN7rocprim17ROCPRIM_400000_NS6detail17trampoline_kernelINS0_14default_configENS1_25partition_config_selectorILNS1_17partition_subalgoE8EdNS0_10empty_typeEbEEZZNS1_14partition_implILS5_8ELb0ES3_jN6thrust23THRUST_200600_302600_NS6detail15normal_iteratorINSA_10device_ptrIdEEEEPS6_PKS6_NS0_5tupleIJSF_S6_EEENSJ_IJSG_SG_EEENS0_18inequality_wrapperI22is_equal_div_10_uniqueIdEEEPmJS6_EEE10hipError_tPvRmT3_T4_T5_T6_T7_T9_mT8_P12ihipStream_tbDpT10_ENKUlT_T0_E_clISt17integral_constantIbLb0EES19_IbLb1EEEEDaS15_S16_EUlS15_E_NS1_11comp_targetILNS1_3genE9ELNS1_11target_archE1100ELNS1_3gpuE3ELNS1_3repE0EEENS1_30default_config_static_selectorELNS0_4arch9wavefront6targetE1EEEvT1_,comdat
.Lfunc_end77:
	.size	_ZN7rocprim17ROCPRIM_400000_NS6detail17trampoline_kernelINS0_14default_configENS1_25partition_config_selectorILNS1_17partition_subalgoE8EdNS0_10empty_typeEbEEZZNS1_14partition_implILS5_8ELb0ES3_jN6thrust23THRUST_200600_302600_NS6detail15normal_iteratorINSA_10device_ptrIdEEEEPS6_PKS6_NS0_5tupleIJSF_S6_EEENSJ_IJSG_SG_EEENS0_18inequality_wrapperI22is_equal_div_10_uniqueIdEEEPmJS6_EEE10hipError_tPvRmT3_T4_T5_T6_T7_T9_mT8_P12ihipStream_tbDpT10_ENKUlT_T0_E_clISt17integral_constantIbLb0EES19_IbLb1EEEEDaS15_S16_EUlS15_E_NS1_11comp_targetILNS1_3genE9ELNS1_11target_archE1100ELNS1_3gpuE3ELNS1_3repE0EEENS1_30default_config_static_selectorELNS0_4arch9wavefront6targetE1EEEvT1_, .Lfunc_end77-_ZN7rocprim17ROCPRIM_400000_NS6detail17trampoline_kernelINS0_14default_configENS1_25partition_config_selectorILNS1_17partition_subalgoE8EdNS0_10empty_typeEbEEZZNS1_14partition_implILS5_8ELb0ES3_jN6thrust23THRUST_200600_302600_NS6detail15normal_iteratorINSA_10device_ptrIdEEEEPS6_PKS6_NS0_5tupleIJSF_S6_EEENSJ_IJSG_SG_EEENS0_18inequality_wrapperI22is_equal_div_10_uniqueIdEEEPmJS6_EEE10hipError_tPvRmT3_T4_T5_T6_T7_T9_mT8_P12ihipStream_tbDpT10_ENKUlT_T0_E_clISt17integral_constantIbLb0EES19_IbLb1EEEEDaS15_S16_EUlS15_E_NS1_11comp_targetILNS1_3genE9ELNS1_11target_archE1100ELNS1_3gpuE3ELNS1_3repE0EEENS1_30default_config_static_selectorELNS0_4arch9wavefront6targetE1EEEvT1_
                                        ; -- End function
	.set _ZN7rocprim17ROCPRIM_400000_NS6detail17trampoline_kernelINS0_14default_configENS1_25partition_config_selectorILNS1_17partition_subalgoE8EdNS0_10empty_typeEbEEZZNS1_14partition_implILS5_8ELb0ES3_jN6thrust23THRUST_200600_302600_NS6detail15normal_iteratorINSA_10device_ptrIdEEEEPS6_PKS6_NS0_5tupleIJSF_S6_EEENSJ_IJSG_SG_EEENS0_18inequality_wrapperI22is_equal_div_10_uniqueIdEEEPmJS6_EEE10hipError_tPvRmT3_T4_T5_T6_T7_T9_mT8_P12ihipStream_tbDpT10_ENKUlT_T0_E_clISt17integral_constantIbLb0EES19_IbLb1EEEEDaS15_S16_EUlS15_E_NS1_11comp_targetILNS1_3genE9ELNS1_11target_archE1100ELNS1_3gpuE3ELNS1_3repE0EEENS1_30default_config_static_selectorELNS0_4arch9wavefront6targetE1EEEvT1_.num_vgpr, 0
	.set _ZN7rocprim17ROCPRIM_400000_NS6detail17trampoline_kernelINS0_14default_configENS1_25partition_config_selectorILNS1_17partition_subalgoE8EdNS0_10empty_typeEbEEZZNS1_14partition_implILS5_8ELb0ES3_jN6thrust23THRUST_200600_302600_NS6detail15normal_iteratorINSA_10device_ptrIdEEEEPS6_PKS6_NS0_5tupleIJSF_S6_EEENSJ_IJSG_SG_EEENS0_18inequality_wrapperI22is_equal_div_10_uniqueIdEEEPmJS6_EEE10hipError_tPvRmT3_T4_T5_T6_T7_T9_mT8_P12ihipStream_tbDpT10_ENKUlT_T0_E_clISt17integral_constantIbLb0EES19_IbLb1EEEEDaS15_S16_EUlS15_E_NS1_11comp_targetILNS1_3genE9ELNS1_11target_archE1100ELNS1_3gpuE3ELNS1_3repE0EEENS1_30default_config_static_selectorELNS0_4arch9wavefront6targetE1EEEvT1_.num_agpr, 0
	.set _ZN7rocprim17ROCPRIM_400000_NS6detail17trampoline_kernelINS0_14default_configENS1_25partition_config_selectorILNS1_17partition_subalgoE8EdNS0_10empty_typeEbEEZZNS1_14partition_implILS5_8ELb0ES3_jN6thrust23THRUST_200600_302600_NS6detail15normal_iteratorINSA_10device_ptrIdEEEEPS6_PKS6_NS0_5tupleIJSF_S6_EEENSJ_IJSG_SG_EEENS0_18inequality_wrapperI22is_equal_div_10_uniqueIdEEEPmJS6_EEE10hipError_tPvRmT3_T4_T5_T6_T7_T9_mT8_P12ihipStream_tbDpT10_ENKUlT_T0_E_clISt17integral_constantIbLb0EES19_IbLb1EEEEDaS15_S16_EUlS15_E_NS1_11comp_targetILNS1_3genE9ELNS1_11target_archE1100ELNS1_3gpuE3ELNS1_3repE0EEENS1_30default_config_static_selectorELNS0_4arch9wavefront6targetE1EEEvT1_.numbered_sgpr, 0
	.set _ZN7rocprim17ROCPRIM_400000_NS6detail17trampoline_kernelINS0_14default_configENS1_25partition_config_selectorILNS1_17partition_subalgoE8EdNS0_10empty_typeEbEEZZNS1_14partition_implILS5_8ELb0ES3_jN6thrust23THRUST_200600_302600_NS6detail15normal_iteratorINSA_10device_ptrIdEEEEPS6_PKS6_NS0_5tupleIJSF_S6_EEENSJ_IJSG_SG_EEENS0_18inequality_wrapperI22is_equal_div_10_uniqueIdEEEPmJS6_EEE10hipError_tPvRmT3_T4_T5_T6_T7_T9_mT8_P12ihipStream_tbDpT10_ENKUlT_T0_E_clISt17integral_constantIbLb0EES19_IbLb1EEEEDaS15_S16_EUlS15_E_NS1_11comp_targetILNS1_3genE9ELNS1_11target_archE1100ELNS1_3gpuE3ELNS1_3repE0EEENS1_30default_config_static_selectorELNS0_4arch9wavefront6targetE1EEEvT1_.num_named_barrier, 0
	.set _ZN7rocprim17ROCPRIM_400000_NS6detail17trampoline_kernelINS0_14default_configENS1_25partition_config_selectorILNS1_17partition_subalgoE8EdNS0_10empty_typeEbEEZZNS1_14partition_implILS5_8ELb0ES3_jN6thrust23THRUST_200600_302600_NS6detail15normal_iteratorINSA_10device_ptrIdEEEEPS6_PKS6_NS0_5tupleIJSF_S6_EEENSJ_IJSG_SG_EEENS0_18inequality_wrapperI22is_equal_div_10_uniqueIdEEEPmJS6_EEE10hipError_tPvRmT3_T4_T5_T6_T7_T9_mT8_P12ihipStream_tbDpT10_ENKUlT_T0_E_clISt17integral_constantIbLb0EES19_IbLb1EEEEDaS15_S16_EUlS15_E_NS1_11comp_targetILNS1_3genE9ELNS1_11target_archE1100ELNS1_3gpuE3ELNS1_3repE0EEENS1_30default_config_static_selectorELNS0_4arch9wavefront6targetE1EEEvT1_.private_seg_size, 0
	.set _ZN7rocprim17ROCPRIM_400000_NS6detail17trampoline_kernelINS0_14default_configENS1_25partition_config_selectorILNS1_17partition_subalgoE8EdNS0_10empty_typeEbEEZZNS1_14partition_implILS5_8ELb0ES3_jN6thrust23THRUST_200600_302600_NS6detail15normal_iteratorINSA_10device_ptrIdEEEEPS6_PKS6_NS0_5tupleIJSF_S6_EEENSJ_IJSG_SG_EEENS0_18inequality_wrapperI22is_equal_div_10_uniqueIdEEEPmJS6_EEE10hipError_tPvRmT3_T4_T5_T6_T7_T9_mT8_P12ihipStream_tbDpT10_ENKUlT_T0_E_clISt17integral_constantIbLb0EES19_IbLb1EEEEDaS15_S16_EUlS15_E_NS1_11comp_targetILNS1_3genE9ELNS1_11target_archE1100ELNS1_3gpuE3ELNS1_3repE0EEENS1_30default_config_static_selectorELNS0_4arch9wavefront6targetE1EEEvT1_.uses_vcc, 0
	.set _ZN7rocprim17ROCPRIM_400000_NS6detail17trampoline_kernelINS0_14default_configENS1_25partition_config_selectorILNS1_17partition_subalgoE8EdNS0_10empty_typeEbEEZZNS1_14partition_implILS5_8ELb0ES3_jN6thrust23THRUST_200600_302600_NS6detail15normal_iteratorINSA_10device_ptrIdEEEEPS6_PKS6_NS0_5tupleIJSF_S6_EEENSJ_IJSG_SG_EEENS0_18inequality_wrapperI22is_equal_div_10_uniqueIdEEEPmJS6_EEE10hipError_tPvRmT3_T4_T5_T6_T7_T9_mT8_P12ihipStream_tbDpT10_ENKUlT_T0_E_clISt17integral_constantIbLb0EES19_IbLb1EEEEDaS15_S16_EUlS15_E_NS1_11comp_targetILNS1_3genE9ELNS1_11target_archE1100ELNS1_3gpuE3ELNS1_3repE0EEENS1_30default_config_static_selectorELNS0_4arch9wavefront6targetE1EEEvT1_.uses_flat_scratch, 0
	.set _ZN7rocprim17ROCPRIM_400000_NS6detail17trampoline_kernelINS0_14default_configENS1_25partition_config_selectorILNS1_17partition_subalgoE8EdNS0_10empty_typeEbEEZZNS1_14partition_implILS5_8ELb0ES3_jN6thrust23THRUST_200600_302600_NS6detail15normal_iteratorINSA_10device_ptrIdEEEEPS6_PKS6_NS0_5tupleIJSF_S6_EEENSJ_IJSG_SG_EEENS0_18inequality_wrapperI22is_equal_div_10_uniqueIdEEEPmJS6_EEE10hipError_tPvRmT3_T4_T5_T6_T7_T9_mT8_P12ihipStream_tbDpT10_ENKUlT_T0_E_clISt17integral_constantIbLb0EES19_IbLb1EEEEDaS15_S16_EUlS15_E_NS1_11comp_targetILNS1_3genE9ELNS1_11target_archE1100ELNS1_3gpuE3ELNS1_3repE0EEENS1_30default_config_static_selectorELNS0_4arch9wavefront6targetE1EEEvT1_.has_dyn_sized_stack, 0
	.set _ZN7rocprim17ROCPRIM_400000_NS6detail17trampoline_kernelINS0_14default_configENS1_25partition_config_selectorILNS1_17partition_subalgoE8EdNS0_10empty_typeEbEEZZNS1_14partition_implILS5_8ELb0ES3_jN6thrust23THRUST_200600_302600_NS6detail15normal_iteratorINSA_10device_ptrIdEEEEPS6_PKS6_NS0_5tupleIJSF_S6_EEENSJ_IJSG_SG_EEENS0_18inequality_wrapperI22is_equal_div_10_uniqueIdEEEPmJS6_EEE10hipError_tPvRmT3_T4_T5_T6_T7_T9_mT8_P12ihipStream_tbDpT10_ENKUlT_T0_E_clISt17integral_constantIbLb0EES19_IbLb1EEEEDaS15_S16_EUlS15_E_NS1_11comp_targetILNS1_3genE9ELNS1_11target_archE1100ELNS1_3gpuE3ELNS1_3repE0EEENS1_30default_config_static_selectorELNS0_4arch9wavefront6targetE1EEEvT1_.has_recursion, 0
	.set _ZN7rocprim17ROCPRIM_400000_NS6detail17trampoline_kernelINS0_14default_configENS1_25partition_config_selectorILNS1_17partition_subalgoE8EdNS0_10empty_typeEbEEZZNS1_14partition_implILS5_8ELb0ES3_jN6thrust23THRUST_200600_302600_NS6detail15normal_iteratorINSA_10device_ptrIdEEEEPS6_PKS6_NS0_5tupleIJSF_S6_EEENSJ_IJSG_SG_EEENS0_18inequality_wrapperI22is_equal_div_10_uniqueIdEEEPmJS6_EEE10hipError_tPvRmT3_T4_T5_T6_T7_T9_mT8_P12ihipStream_tbDpT10_ENKUlT_T0_E_clISt17integral_constantIbLb0EES19_IbLb1EEEEDaS15_S16_EUlS15_E_NS1_11comp_targetILNS1_3genE9ELNS1_11target_archE1100ELNS1_3gpuE3ELNS1_3repE0EEENS1_30default_config_static_selectorELNS0_4arch9wavefront6targetE1EEEvT1_.has_indirect_call, 0
	.section	.AMDGPU.csdata,"",@progbits
; Kernel info:
; codeLenInByte = 0
; TotalNumSgprs: 4
; NumVgprs: 0
; ScratchSize: 0
; MemoryBound: 0
; FloatMode: 240
; IeeeMode: 1
; LDSByteSize: 0 bytes/workgroup (compile time only)
; SGPRBlocks: 0
; VGPRBlocks: 0
; NumSGPRsForWavesPerEU: 4
; NumVGPRsForWavesPerEU: 1
; Occupancy: 10
; WaveLimiterHint : 0
; COMPUTE_PGM_RSRC2:SCRATCH_EN: 0
; COMPUTE_PGM_RSRC2:USER_SGPR: 6
; COMPUTE_PGM_RSRC2:TRAP_HANDLER: 0
; COMPUTE_PGM_RSRC2:TGID_X_EN: 1
; COMPUTE_PGM_RSRC2:TGID_Y_EN: 0
; COMPUTE_PGM_RSRC2:TGID_Z_EN: 0
; COMPUTE_PGM_RSRC2:TIDIG_COMP_CNT: 0
	.section	.text._ZN7rocprim17ROCPRIM_400000_NS6detail17trampoline_kernelINS0_14default_configENS1_25partition_config_selectorILNS1_17partition_subalgoE8EdNS0_10empty_typeEbEEZZNS1_14partition_implILS5_8ELb0ES3_jN6thrust23THRUST_200600_302600_NS6detail15normal_iteratorINSA_10device_ptrIdEEEEPS6_PKS6_NS0_5tupleIJSF_S6_EEENSJ_IJSG_SG_EEENS0_18inequality_wrapperI22is_equal_div_10_uniqueIdEEEPmJS6_EEE10hipError_tPvRmT3_T4_T5_T6_T7_T9_mT8_P12ihipStream_tbDpT10_ENKUlT_T0_E_clISt17integral_constantIbLb0EES19_IbLb1EEEEDaS15_S16_EUlS15_E_NS1_11comp_targetILNS1_3genE8ELNS1_11target_archE1030ELNS1_3gpuE2ELNS1_3repE0EEENS1_30default_config_static_selectorELNS0_4arch9wavefront6targetE1EEEvT1_,"axG",@progbits,_ZN7rocprim17ROCPRIM_400000_NS6detail17trampoline_kernelINS0_14default_configENS1_25partition_config_selectorILNS1_17partition_subalgoE8EdNS0_10empty_typeEbEEZZNS1_14partition_implILS5_8ELb0ES3_jN6thrust23THRUST_200600_302600_NS6detail15normal_iteratorINSA_10device_ptrIdEEEEPS6_PKS6_NS0_5tupleIJSF_S6_EEENSJ_IJSG_SG_EEENS0_18inequality_wrapperI22is_equal_div_10_uniqueIdEEEPmJS6_EEE10hipError_tPvRmT3_T4_T5_T6_T7_T9_mT8_P12ihipStream_tbDpT10_ENKUlT_T0_E_clISt17integral_constantIbLb0EES19_IbLb1EEEEDaS15_S16_EUlS15_E_NS1_11comp_targetILNS1_3genE8ELNS1_11target_archE1030ELNS1_3gpuE2ELNS1_3repE0EEENS1_30default_config_static_selectorELNS0_4arch9wavefront6targetE1EEEvT1_,comdat
	.protected	_ZN7rocprim17ROCPRIM_400000_NS6detail17trampoline_kernelINS0_14default_configENS1_25partition_config_selectorILNS1_17partition_subalgoE8EdNS0_10empty_typeEbEEZZNS1_14partition_implILS5_8ELb0ES3_jN6thrust23THRUST_200600_302600_NS6detail15normal_iteratorINSA_10device_ptrIdEEEEPS6_PKS6_NS0_5tupleIJSF_S6_EEENSJ_IJSG_SG_EEENS0_18inequality_wrapperI22is_equal_div_10_uniqueIdEEEPmJS6_EEE10hipError_tPvRmT3_T4_T5_T6_T7_T9_mT8_P12ihipStream_tbDpT10_ENKUlT_T0_E_clISt17integral_constantIbLb0EES19_IbLb1EEEEDaS15_S16_EUlS15_E_NS1_11comp_targetILNS1_3genE8ELNS1_11target_archE1030ELNS1_3gpuE2ELNS1_3repE0EEENS1_30default_config_static_selectorELNS0_4arch9wavefront6targetE1EEEvT1_ ; -- Begin function _ZN7rocprim17ROCPRIM_400000_NS6detail17trampoline_kernelINS0_14default_configENS1_25partition_config_selectorILNS1_17partition_subalgoE8EdNS0_10empty_typeEbEEZZNS1_14partition_implILS5_8ELb0ES3_jN6thrust23THRUST_200600_302600_NS6detail15normal_iteratorINSA_10device_ptrIdEEEEPS6_PKS6_NS0_5tupleIJSF_S6_EEENSJ_IJSG_SG_EEENS0_18inequality_wrapperI22is_equal_div_10_uniqueIdEEEPmJS6_EEE10hipError_tPvRmT3_T4_T5_T6_T7_T9_mT8_P12ihipStream_tbDpT10_ENKUlT_T0_E_clISt17integral_constantIbLb0EES19_IbLb1EEEEDaS15_S16_EUlS15_E_NS1_11comp_targetILNS1_3genE8ELNS1_11target_archE1030ELNS1_3gpuE2ELNS1_3repE0EEENS1_30default_config_static_selectorELNS0_4arch9wavefront6targetE1EEEvT1_
	.globl	_ZN7rocprim17ROCPRIM_400000_NS6detail17trampoline_kernelINS0_14default_configENS1_25partition_config_selectorILNS1_17partition_subalgoE8EdNS0_10empty_typeEbEEZZNS1_14partition_implILS5_8ELb0ES3_jN6thrust23THRUST_200600_302600_NS6detail15normal_iteratorINSA_10device_ptrIdEEEEPS6_PKS6_NS0_5tupleIJSF_S6_EEENSJ_IJSG_SG_EEENS0_18inequality_wrapperI22is_equal_div_10_uniqueIdEEEPmJS6_EEE10hipError_tPvRmT3_T4_T5_T6_T7_T9_mT8_P12ihipStream_tbDpT10_ENKUlT_T0_E_clISt17integral_constantIbLb0EES19_IbLb1EEEEDaS15_S16_EUlS15_E_NS1_11comp_targetILNS1_3genE8ELNS1_11target_archE1030ELNS1_3gpuE2ELNS1_3repE0EEENS1_30default_config_static_selectorELNS0_4arch9wavefront6targetE1EEEvT1_
	.p2align	8
	.type	_ZN7rocprim17ROCPRIM_400000_NS6detail17trampoline_kernelINS0_14default_configENS1_25partition_config_selectorILNS1_17partition_subalgoE8EdNS0_10empty_typeEbEEZZNS1_14partition_implILS5_8ELb0ES3_jN6thrust23THRUST_200600_302600_NS6detail15normal_iteratorINSA_10device_ptrIdEEEEPS6_PKS6_NS0_5tupleIJSF_S6_EEENSJ_IJSG_SG_EEENS0_18inequality_wrapperI22is_equal_div_10_uniqueIdEEEPmJS6_EEE10hipError_tPvRmT3_T4_T5_T6_T7_T9_mT8_P12ihipStream_tbDpT10_ENKUlT_T0_E_clISt17integral_constantIbLb0EES19_IbLb1EEEEDaS15_S16_EUlS15_E_NS1_11comp_targetILNS1_3genE8ELNS1_11target_archE1030ELNS1_3gpuE2ELNS1_3repE0EEENS1_30default_config_static_selectorELNS0_4arch9wavefront6targetE1EEEvT1_,@function
_ZN7rocprim17ROCPRIM_400000_NS6detail17trampoline_kernelINS0_14default_configENS1_25partition_config_selectorILNS1_17partition_subalgoE8EdNS0_10empty_typeEbEEZZNS1_14partition_implILS5_8ELb0ES3_jN6thrust23THRUST_200600_302600_NS6detail15normal_iteratorINSA_10device_ptrIdEEEEPS6_PKS6_NS0_5tupleIJSF_S6_EEENSJ_IJSG_SG_EEENS0_18inequality_wrapperI22is_equal_div_10_uniqueIdEEEPmJS6_EEE10hipError_tPvRmT3_T4_T5_T6_T7_T9_mT8_P12ihipStream_tbDpT10_ENKUlT_T0_E_clISt17integral_constantIbLb0EES19_IbLb1EEEEDaS15_S16_EUlS15_E_NS1_11comp_targetILNS1_3genE8ELNS1_11target_archE1030ELNS1_3gpuE2ELNS1_3repE0EEENS1_30default_config_static_selectorELNS0_4arch9wavefront6targetE1EEEvT1_: ; @_ZN7rocprim17ROCPRIM_400000_NS6detail17trampoline_kernelINS0_14default_configENS1_25partition_config_selectorILNS1_17partition_subalgoE8EdNS0_10empty_typeEbEEZZNS1_14partition_implILS5_8ELb0ES3_jN6thrust23THRUST_200600_302600_NS6detail15normal_iteratorINSA_10device_ptrIdEEEEPS6_PKS6_NS0_5tupleIJSF_S6_EEENSJ_IJSG_SG_EEENS0_18inequality_wrapperI22is_equal_div_10_uniqueIdEEEPmJS6_EEE10hipError_tPvRmT3_T4_T5_T6_T7_T9_mT8_P12ihipStream_tbDpT10_ENKUlT_T0_E_clISt17integral_constantIbLb0EES19_IbLb1EEEEDaS15_S16_EUlS15_E_NS1_11comp_targetILNS1_3genE8ELNS1_11target_archE1030ELNS1_3gpuE2ELNS1_3repE0EEENS1_30default_config_static_selectorELNS0_4arch9wavefront6targetE1EEEvT1_
; %bb.0:
	.section	.rodata,"a",@progbits
	.p2align	6, 0x0
	.amdhsa_kernel _ZN7rocprim17ROCPRIM_400000_NS6detail17trampoline_kernelINS0_14default_configENS1_25partition_config_selectorILNS1_17partition_subalgoE8EdNS0_10empty_typeEbEEZZNS1_14partition_implILS5_8ELb0ES3_jN6thrust23THRUST_200600_302600_NS6detail15normal_iteratorINSA_10device_ptrIdEEEEPS6_PKS6_NS0_5tupleIJSF_S6_EEENSJ_IJSG_SG_EEENS0_18inequality_wrapperI22is_equal_div_10_uniqueIdEEEPmJS6_EEE10hipError_tPvRmT3_T4_T5_T6_T7_T9_mT8_P12ihipStream_tbDpT10_ENKUlT_T0_E_clISt17integral_constantIbLb0EES19_IbLb1EEEEDaS15_S16_EUlS15_E_NS1_11comp_targetILNS1_3genE8ELNS1_11target_archE1030ELNS1_3gpuE2ELNS1_3repE0EEENS1_30default_config_static_selectorELNS0_4arch9wavefront6targetE1EEEvT1_
		.amdhsa_group_segment_fixed_size 0
		.amdhsa_private_segment_fixed_size 0
		.amdhsa_kernarg_size 128
		.amdhsa_user_sgpr_count 6
		.amdhsa_user_sgpr_private_segment_buffer 1
		.amdhsa_user_sgpr_dispatch_ptr 0
		.amdhsa_user_sgpr_queue_ptr 0
		.amdhsa_user_sgpr_kernarg_segment_ptr 1
		.amdhsa_user_sgpr_dispatch_id 0
		.amdhsa_user_sgpr_flat_scratch_init 0
		.amdhsa_user_sgpr_private_segment_size 0
		.amdhsa_uses_dynamic_stack 0
		.amdhsa_system_sgpr_private_segment_wavefront_offset 0
		.amdhsa_system_sgpr_workgroup_id_x 1
		.amdhsa_system_sgpr_workgroup_id_y 0
		.amdhsa_system_sgpr_workgroup_id_z 0
		.amdhsa_system_sgpr_workgroup_info 0
		.amdhsa_system_vgpr_workitem_id 0
		.amdhsa_next_free_vgpr 1
		.amdhsa_next_free_sgpr 0
		.amdhsa_reserve_vcc 0
		.amdhsa_reserve_flat_scratch 0
		.amdhsa_float_round_mode_32 0
		.amdhsa_float_round_mode_16_64 0
		.amdhsa_float_denorm_mode_32 3
		.amdhsa_float_denorm_mode_16_64 3
		.amdhsa_dx10_clamp 1
		.amdhsa_ieee_mode 1
		.amdhsa_fp16_overflow 0
		.amdhsa_exception_fp_ieee_invalid_op 0
		.amdhsa_exception_fp_denorm_src 0
		.amdhsa_exception_fp_ieee_div_zero 0
		.amdhsa_exception_fp_ieee_overflow 0
		.amdhsa_exception_fp_ieee_underflow 0
		.amdhsa_exception_fp_ieee_inexact 0
		.amdhsa_exception_int_div_zero 0
	.end_amdhsa_kernel
	.section	.text._ZN7rocprim17ROCPRIM_400000_NS6detail17trampoline_kernelINS0_14default_configENS1_25partition_config_selectorILNS1_17partition_subalgoE8EdNS0_10empty_typeEbEEZZNS1_14partition_implILS5_8ELb0ES3_jN6thrust23THRUST_200600_302600_NS6detail15normal_iteratorINSA_10device_ptrIdEEEEPS6_PKS6_NS0_5tupleIJSF_S6_EEENSJ_IJSG_SG_EEENS0_18inequality_wrapperI22is_equal_div_10_uniqueIdEEEPmJS6_EEE10hipError_tPvRmT3_T4_T5_T6_T7_T9_mT8_P12ihipStream_tbDpT10_ENKUlT_T0_E_clISt17integral_constantIbLb0EES19_IbLb1EEEEDaS15_S16_EUlS15_E_NS1_11comp_targetILNS1_3genE8ELNS1_11target_archE1030ELNS1_3gpuE2ELNS1_3repE0EEENS1_30default_config_static_selectorELNS0_4arch9wavefront6targetE1EEEvT1_,"axG",@progbits,_ZN7rocprim17ROCPRIM_400000_NS6detail17trampoline_kernelINS0_14default_configENS1_25partition_config_selectorILNS1_17partition_subalgoE8EdNS0_10empty_typeEbEEZZNS1_14partition_implILS5_8ELb0ES3_jN6thrust23THRUST_200600_302600_NS6detail15normal_iteratorINSA_10device_ptrIdEEEEPS6_PKS6_NS0_5tupleIJSF_S6_EEENSJ_IJSG_SG_EEENS0_18inequality_wrapperI22is_equal_div_10_uniqueIdEEEPmJS6_EEE10hipError_tPvRmT3_T4_T5_T6_T7_T9_mT8_P12ihipStream_tbDpT10_ENKUlT_T0_E_clISt17integral_constantIbLb0EES19_IbLb1EEEEDaS15_S16_EUlS15_E_NS1_11comp_targetILNS1_3genE8ELNS1_11target_archE1030ELNS1_3gpuE2ELNS1_3repE0EEENS1_30default_config_static_selectorELNS0_4arch9wavefront6targetE1EEEvT1_,comdat
.Lfunc_end78:
	.size	_ZN7rocprim17ROCPRIM_400000_NS6detail17trampoline_kernelINS0_14default_configENS1_25partition_config_selectorILNS1_17partition_subalgoE8EdNS0_10empty_typeEbEEZZNS1_14partition_implILS5_8ELb0ES3_jN6thrust23THRUST_200600_302600_NS6detail15normal_iteratorINSA_10device_ptrIdEEEEPS6_PKS6_NS0_5tupleIJSF_S6_EEENSJ_IJSG_SG_EEENS0_18inequality_wrapperI22is_equal_div_10_uniqueIdEEEPmJS6_EEE10hipError_tPvRmT3_T4_T5_T6_T7_T9_mT8_P12ihipStream_tbDpT10_ENKUlT_T0_E_clISt17integral_constantIbLb0EES19_IbLb1EEEEDaS15_S16_EUlS15_E_NS1_11comp_targetILNS1_3genE8ELNS1_11target_archE1030ELNS1_3gpuE2ELNS1_3repE0EEENS1_30default_config_static_selectorELNS0_4arch9wavefront6targetE1EEEvT1_, .Lfunc_end78-_ZN7rocprim17ROCPRIM_400000_NS6detail17trampoline_kernelINS0_14default_configENS1_25partition_config_selectorILNS1_17partition_subalgoE8EdNS0_10empty_typeEbEEZZNS1_14partition_implILS5_8ELb0ES3_jN6thrust23THRUST_200600_302600_NS6detail15normal_iteratorINSA_10device_ptrIdEEEEPS6_PKS6_NS0_5tupleIJSF_S6_EEENSJ_IJSG_SG_EEENS0_18inequality_wrapperI22is_equal_div_10_uniqueIdEEEPmJS6_EEE10hipError_tPvRmT3_T4_T5_T6_T7_T9_mT8_P12ihipStream_tbDpT10_ENKUlT_T0_E_clISt17integral_constantIbLb0EES19_IbLb1EEEEDaS15_S16_EUlS15_E_NS1_11comp_targetILNS1_3genE8ELNS1_11target_archE1030ELNS1_3gpuE2ELNS1_3repE0EEENS1_30default_config_static_selectorELNS0_4arch9wavefront6targetE1EEEvT1_
                                        ; -- End function
	.set _ZN7rocprim17ROCPRIM_400000_NS6detail17trampoline_kernelINS0_14default_configENS1_25partition_config_selectorILNS1_17partition_subalgoE8EdNS0_10empty_typeEbEEZZNS1_14partition_implILS5_8ELb0ES3_jN6thrust23THRUST_200600_302600_NS6detail15normal_iteratorINSA_10device_ptrIdEEEEPS6_PKS6_NS0_5tupleIJSF_S6_EEENSJ_IJSG_SG_EEENS0_18inequality_wrapperI22is_equal_div_10_uniqueIdEEEPmJS6_EEE10hipError_tPvRmT3_T4_T5_T6_T7_T9_mT8_P12ihipStream_tbDpT10_ENKUlT_T0_E_clISt17integral_constantIbLb0EES19_IbLb1EEEEDaS15_S16_EUlS15_E_NS1_11comp_targetILNS1_3genE8ELNS1_11target_archE1030ELNS1_3gpuE2ELNS1_3repE0EEENS1_30default_config_static_selectorELNS0_4arch9wavefront6targetE1EEEvT1_.num_vgpr, 0
	.set _ZN7rocprim17ROCPRIM_400000_NS6detail17trampoline_kernelINS0_14default_configENS1_25partition_config_selectorILNS1_17partition_subalgoE8EdNS0_10empty_typeEbEEZZNS1_14partition_implILS5_8ELb0ES3_jN6thrust23THRUST_200600_302600_NS6detail15normal_iteratorINSA_10device_ptrIdEEEEPS6_PKS6_NS0_5tupleIJSF_S6_EEENSJ_IJSG_SG_EEENS0_18inequality_wrapperI22is_equal_div_10_uniqueIdEEEPmJS6_EEE10hipError_tPvRmT3_T4_T5_T6_T7_T9_mT8_P12ihipStream_tbDpT10_ENKUlT_T0_E_clISt17integral_constantIbLb0EES19_IbLb1EEEEDaS15_S16_EUlS15_E_NS1_11comp_targetILNS1_3genE8ELNS1_11target_archE1030ELNS1_3gpuE2ELNS1_3repE0EEENS1_30default_config_static_selectorELNS0_4arch9wavefront6targetE1EEEvT1_.num_agpr, 0
	.set _ZN7rocprim17ROCPRIM_400000_NS6detail17trampoline_kernelINS0_14default_configENS1_25partition_config_selectorILNS1_17partition_subalgoE8EdNS0_10empty_typeEbEEZZNS1_14partition_implILS5_8ELb0ES3_jN6thrust23THRUST_200600_302600_NS6detail15normal_iteratorINSA_10device_ptrIdEEEEPS6_PKS6_NS0_5tupleIJSF_S6_EEENSJ_IJSG_SG_EEENS0_18inequality_wrapperI22is_equal_div_10_uniqueIdEEEPmJS6_EEE10hipError_tPvRmT3_T4_T5_T6_T7_T9_mT8_P12ihipStream_tbDpT10_ENKUlT_T0_E_clISt17integral_constantIbLb0EES19_IbLb1EEEEDaS15_S16_EUlS15_E_NS1_11comp_targetILNS1_3genE8ELNS1_11target_archE1030ELNS1_3gpuE2ELNS1_3repE0EEENS1_30default_config_static_selectorELNS0_4arch9wavefront6targetE1EEEvT1_.numbered_sgpr, 0
	.set _ZN7rocprim17ROCPRIM_400000_NS6detail17trampoline_kernelINS0_14default_configENS1_25partition_config_selectorILNS1_17partition_subalgoE8EdNS0_10empty_typeEbEEZZNS1_14partition_implILS5_8ELb0ES3_jN6thrust23THRUST_200600_302600_NS6detail15normal_iteratorINSA_10device_ptrIdEEEEPS6_PKS6_NS0_5tupleIJSF_S6_EEENSJ_IJSG_SG_EEENS0_18inequality_wrapperI22is_equal_div_10_uniqueIdEEEPmJS6_EEE10hipError_tPvRmT3_T4_T5_T6_T7_T9_mT8_P12ihipStream_tbDpT10_ENKUlT_T0_E_clISt17integral_constantIbLb0EES19_IbLb1EEEEDaS15_S16_EUlS15_E_NS1_11comp_targetILNS1_3genE8ELNS1_11target_archE1030ELNS1_3gpuE2ELNS1_3repE0EEENS1_30default_config_static_selectorELNS0_4arch9wavefront6targetE1EEEvT1_.num_named_barrier, 0
	.set _ZN7rocprim17ROCPRIM_400000_NS6detail17trampoline_kernelINS0_14default_configENS1_25partition_config_selectorILNS1_17partition_subalgoE8EdNS0_10empty_typeEbEEZZNS1_14partition_implILS5_8ELb0ES3_jN6thrust23THRUST_200600_302600_NS6detail15normal_iteratorINSA_10device_ptrIdEEEEPS6_PKS6_NS0_5tupleIJSF_S6_EEENSJ_IJSG_SG_EEENS0_18inequality_wrapperI22is_equal_div_10_uniqueIdEEEPmJS6_EEE10hipError_tPvRmT3_T4_T5_T6_T7_T9_mT8_P12ihipStream_tbDpT10_ENKUlT_T0_E_clISt17integral_constantIbLb0EES19_IbLb1EEEEDaS15_S16_EUlS15_E_NS1_11comp_targetILNS1_3genE8ELNS1_11target_archE1030ELNS1_3gpuE2ELNS1_3repE0EEENS1_30default_config_static_selectorELNS0_4arch9wavefront6targetE1EEEvT1_.private_seg_size, 0
	.set _ZN7rocprim17ROCPRIM_400000_NS6detail17trampoline_kernelINS0_14default_configENS1_25partition_config_selectorILNS1_17partition_subalgoE8EdNS0_10empty_typeEbEEZZNS1_14partition_implILS5_8ELb0ES3_jN6thrust23THRUST_200600_302600_NS6detail15normal_iteratorINSA_10device_ptrIdEEEEPS6_PKS6_NS0_5tupleIJSF_S6_EEENSJ_IJSG_SG_EEENS0_18inequality_wrapperI22is_equal_div_10_uniqueIdEEEPmJS6_EEE10hipError_tPvRmT3_T4_T5_T6_T7_T9_mT8_P12ihipStream_tbDpT10_ENKUlT_T0_E_clISt17integral_constantIbLb0EES19_IbLb1EEEEDaS15_S16_EUlS15_E_NS1_11comp_targetILNS1_3genE8ELNS1_11target_archE1030ELNS1_3gpuE2ELNS1_3repE0EEENS1_30default_config_static_selectorELNS0_4arch9wavefront6targetE1EEEvT1_.uses_vcc, 0
	.set _ZN7rocprim17ROCPRIM_400000_NS6detail17trampoline_kernelINS0_14default_configENS1_25partition_config_selectorILNS1_17partition_subalgoE8EdNS0_10empty_typeEbEEZZNS1_14partition_implILS5_8ELb0ES3_jN6thrust23THRUST_200600_302600_NS6detail15normal_iteratorINSA_10device_ptrIdEEEEPS6_PKS6_NS0_5tupleIJSF_S6_EEENSJ_IJSG_SG_EEENS0_18inequality_wrapperI22is_equal_div_10_uniqueIdEEEPmJS6_EEE10hipError_tPvRmT3_T4_T5_T6_T7_T9_mT8_P12ihipStream_tbDpT10_ENKUlT_T0_E_clISt17integral_constantIbLb0EES19_IbLb1EEEEDaS15_S16_EUlS15_E_NS1_11comp_targetILNS1_3genE8ELNS1_11target_archE1030ELNS1_3gpuE2ELNS1_3repE0EEENS1_30default_config_static_selectorELNS0_4arch9wavefront6targetE1EEEvT1_.uses_flat_scratch, 0
	.set _ZN7rocprim17ROCPRIM_400000_NS6detail17trampoline_kernelINS0_14default_configENS1_25partition_config_selectorILNS1_17partition_subalgoE8EdNS0_10empty_typeEbEEZZNS1_14partition_implILS5_8ELb0ES3_jN6thrust23THRUST_200600_302600_NS6detail15normal_iteratorINSA_10device_ptrIdEEEEPS6_PKS6_NS0_5tupleIJSF_S6_EEENSJ_IJSG_SG_EEENS0_18inequality_wrapperI22is_equal_div_10_uniqueIdEEEPmJS6_EEE10hipError_tPvRmT3_T4_T5_T6_T7_T9_mT8_P12ihipStream_tbDpT10_ENKUlT_T0_E_clISt17integral_constantIbLb0EES19_IbLb1EEEEDaS15_S16_EUlS15_E_NS1_11comp_targetILNS1_3genE8ELNS1_11target_archE1030ELNS1_3gpuE2ELNS1_3repE0EEENS1_30default_config_static_selectorELNS0_4arch9wavefront6targetE1EEEvT1_.has_dyn_sized_stack, 0
	.set _ZN7rocprim17ROCPRIM_400000_NS6detail17trampoline_kernelINS0_14default_configENS1_25partition_config_selectorILNS1_17partition_subalgoE8EdNS0_10empty_typeEbEEZZNS1_14partition_implILS5_8ELb0ES3_jN6thrust23THRUST_200600_302600_NS6detail15normal_iteratorINSA_10device_ptrIdEEEEPS6_PKS6_NS0_5tupleIJSF_S6_EEENSJ_IJSG_SG_EEENS0_18inequality_wrapperI22is_equal_div_10_uniqueIdEEEPmJS6_EEE10hipError_tPvRmT3_T4_T5_T6_T7_T9_mT8_P12ihipStream_tbDpT10_ENKUlT_T0_E_clISt17integral_constantIbLb0EES19_IbLb1EEEEDaS15_S16_EUlS15_E_NS1_11comp_targetILNS1_3genE8ELNS1_11target_archE1030ELNS1_3gpuE2ELNS1_3repE0EEENS1_30default_config_static_selectorELNS0_4arch9wavefront6targetE1EEEvT1_.has_recursion, 0
	.set _ZN7rocprim17ROCPRIM_400000_NS6detail17trampoline_kernelINS0_14default_configENS1_25partition_config_selectorILNS1_17partition_subalgoE8EdNS0_10empty_typeEbEEZZNS1_14partition_implILS5_8ELb0ES3_jN6thrust23THRUST_200600_302600_NS6detail15normal_iteratorINSA_10device_ptrIdEEEEPS6_PKS6_NS0_5tupleIJSF_S6_EEENSJ_IJSG_SG_EEENS0_18inequality_wrapperI22is_equal_div_10_uniqueIdEEEPmJS6_EEE10hipError_tPvRmT3_T4_T5_T6_T7_T9_mT8_P12ihipStream_tbDpT10_ENKUlT_T0_E_clISt17integral_constantIbLb0EES19_IbLb1EEEEDaS15_S16_EUlS15_E_NS1_11comp_targetILNS1_3genE8ELNS1_11target_archE1030ELNS1_3gpuE2ELNS1_3repE0EEENS1_30default_config_static_selectorELNS0_4arch9wavefront6targetE1EEEvT1_.has_indirect_call, 0
	.section	.AMDGPU.csdata,"",@progbits
; Kernel info:
; codeLenInByte = 0
; TotalNumSgprs: 4
; NumVgprs: 0
; ScratchSize: 0
; MemoryBound: 0
; FloatMode: 240
; IeeeMode: 1
; LDSByteSize: 0 bytes/workgroup (compile time only)
; SGPRBlocks: 0
; VGPRBlocks: 0
; NumSGPRsForWavesPerEU: 4
; NumVGPRsForWavesPerEU: 1
; Occupancy: 10
; WaveLimiterHint : 0
; COMPUTE_PGM_RSRC2:SCRATCH_EN: 0
; COMPUTE_PGM_RSRC2:USER_SGPR: 6
; COMPUTE_PGM_RSRC2:TRAP_HANDLER: 0
; COMPUTE_PGM_RSRC2:TGID_X_EN: 1
; COMPUTE_PGM_RSRC2:TGID_Y_EN: 0
; COMPUTE_PGM_RSRC2:TGID_Z_EN: 0
; COMPUTE_PGM_RSRC2:TIDIG_COMP_CNT: 0
	.section	.text._ZN6thrust23THRUST_200600_302600_NS11hip_rocprim14__parallel_for6kernelILj256ENS1_20__uninitialized_fill7functorINS0_10device_ptrIfEEfEEmLj1EEEvT0_T1_SA_,"axG",@progbits,_ZN6thrust23THRUST_200600_302600_NS11hip_rocprim14__parallel_for6kernelILj256ENS1_20__uninitialized_fill7functorINS0_10device_ptrIfEEfEEmLj1EEEvT0_T1_SA_,comdat
	.protected	_ZN6thrust23THRUST_200600_302600_NS11hip_rocprim14__parallel_for6kernelILj256ENS1_20__uninitialized_fill7functorINS0_10device_ptrIfEEfEEmLj1EEEvT0_T1_SA_ ; -- Begin function _ZN6thrust23THRUST_200600_302600_NS11hip_rocprim14__parallel_for6kernelILj256ENS1_20__uninitialized_fill7functorINS0_10device_ptrIfEEfEEmLj1EEEvT0_T1_SA_
	.globl	_ZN6thrust23THRUST_200600_302600_NS11hip_rocprim14__parallel_for6kernelILj256ENS1_20__uninitialized_fill7functorINS0_10device_ptrIfEEfEEmLj1EEEvT0_T1_SA_
	.p2align	8
	.type	_ZN6thrust23THRUST_200600_302600_NS11hip_rocprim14__parallel_for6kernelILj256ENS1_20__uninitialized_fill7functorINS0_10device_ptrIfEEfEEmLj1EEEvT0_T1_SA_,@function
_ZN6thrust23THRUST_200600_302600_NS11hip_rocprim14__parallel_for6kernelILj256ENS1_20__uninitialized_fill7functorINS0_10device_ptrIfEEfEEmLj1EEEvT0_T1_SA_: ; @_ZN6thrust23THRUST_200600_302600_NS11hip_rocprim14__parallel_for6kernelILj256ENS1_20__uninitialized_fill7functorINS0_10device_ptrIfEEfEEmLj1EEEvT0_T1_SA_
; %bb.0:
	s_load_dwordx4 s[12:15], s[4:5], 0x10
	s_load_dwordx2 s[0:1], s[4:5], 0x0
	s_load_dword s8, s[4:5], 0x8
	s_lshl_b32 s2, s6, 8
	v_mov_b32_e32 v1, 0xff
	s_waitcnt lgkmcnt(0)
	s_add_u32 s2, s14, s2
	s_addc_u32 s3, s15, 0
	s_sub_u32 s4, s12, s2
	v_mov_b32_e32 v2, 0
	s_subb_u32 s5, s13, s3
	v_cmp_gt_u64_e32 vcc, s[4:5], v[1:2]
	s_mov_b64 s[6:7], -1
	s_cbranch_vccz .LBB79_3
; %bb.1:
	s_andn2_b64 vcc, exec, s[6:7]
	s_cbranch_vccz .LBB79_6
.LBB79_2:
	s_endpgm
.LBB79_3:
	v_cmp_gt_u32_e32 vcc, s4, v0
	s_and_saveexec_b64 s[4:5], vcc
	s_cbranch_execz .LBB79_5
; %bb.4:
	s_lshl_b64 s[6:7], s[2:3], 2
	s_add_u32 s6, s0, s6
	s_addc_u32 s7, s1, s7
	v_lshlrev_b32_e32 v1, 2, v0
	v_mov_b32_e32 v2, s7
	v_add_co_u32_e32 v1, vcc, s6, v1
	v_addc_co_u32_e32 v2, vcc, 0, v2, vcc
	v_mov_b32_e32 v3, s8
	flat_store_dword v[1:2], v3
.LBB79_5:
	s_or_b64 exec, exec, s[4:5]
	s_cbranch_execnz .LBB79_2
.LBB79_6:
	s_lshl_b64 s[2:3], s[2:3], 2
	s_add_u32 s0, s0, s2
	s_addc_u32 s1, s1, s3
	v_lshlrev_b32_e32 v0, 2, v0
	v_mov_b32_e32 v1, s1
	v_add_co_u32_e32 v0, vcc, s0, v0
	v_addc_co_u32_e32 v1, vcc, 0, v1, vcc
	v_mov_b32_e32 v2, s8
	flat_store_dword v[0:1], v2
	s_endpgm
	.section	.rodata,"a",@progbits
	.p2align	6, 0x0
	.amdhsa_kernel _ZN6thrust23THRUST_200600_302600_NS11hip_rocprim14__parallel_for6kernelILj256ENS1_20__uninitialized_fill7functorINS0_10device_ptrIfEEfEEmLj1EEEvT0_T1_SA_
		.amdhsa_group_segment_fixed_size 0
		.amdhsa_private_segment_fixed_size 0
		.amdhsa_kernarg_size 32
		.amdhsa_user_sgpr_count 6
		.amdhsa_user_sgpr_private_segment_buffer 1
		.amdhsa_user_sgpr_dispatch_ptr 0
		.amdhsa_user_sgpr_queue_ptr 0
		.amdhsa_user_sgpr_kernarg_segment_ptr 1
		.amdhsa_user_sgpr_dispatch_id 0
		.amdhsa_user_sgpr_flat_scratch_init 0
		.amdhsa_user_sgpr_private_segment_size 0
		.amdhsa_uses_dynamic_stack 0
		.amdhsa_system_sgpr_private_segment_wavefront_offset 0
		.amdhsa_system_sgpr_workgroup_id_x 1
		.amdhsa_system_sgpr_workgroup_id_y 0
		.amdhsa_system_sgpr_workgroup_id_z 0
		.amdhsa_system_sgpr_workgroup_info 0
		.amdhsa_system_vgpr_workitem_id 0
		.amdhsa_next_free_vgpr 4
		.amdhsa_next_free_sgpr 16
		.amdhsa_reserve_vcc 1
		.amdhsa_reserve_flat_scratch 0
		.amdhsa_float_round_mode_32 0
		.amdhsa_float_round_mode_16_64 0
		.amdhsa_float_denorm_mode_32 3
		.amdhsa_float_denorm_mode_16_64 3
		.amdhsa_dx10_clamp 1
		.amdhsa_ieee_mode 1
		.amdhsa_fp16_overflow 0
		.amdhsa_exception_fp_ieee_invalid_op 0
		.amdhsa_exception_fp_denorm_src 0
		.amdhsa_exception_fp_ieee_div_zero 0
		.amdhsa_exception_fp_ieee_overflow 0
		.amdhsa_exception_fp_ieee_underflow 0
		.amdhsa_exception_fp_ieee_inexact 0
		.amdhsa_exception_int_div_zero 0
	.end_amdhsa_kernel
	.section	.text._ZN6thrust23THRUST_200600_302600_NS11hip_rocprim14__parallel_for6kernelILj256ENS1_20__uninitialized_fill7functorINS0_10device_ptrIfEEfEEmLj1EEEvT0_T1_SA_,"axG",@progbits,_ZN6thrust23THRUST_200600_302600_NS11hip_rocprim14__parallel_for6kernelILj256ENS1_20__uninitialized_fill7functorINS0_10device_ptrIfEEfEEmLj1EEEvT0_T1_SA_,comdat
.Lfunc_end79:
	.size	_ZN6thrust23THRUST_200600_302600_NS11hip_rocprim14__parallel_for6kernelILj256ENS1_20__uninitialized_fill7functorINS0_10device_ptrIfEEfEEmLj1EEEvT0_T1_SA_, .Lfunc_end79-_ZN6thrust23THRUST_200600_302600_NS11hip_rocprim14__parallel_for6kernelILj256ENS1_20__uninitialized_fill7functorINS0_10device_ptrIfEEfEEmLj1EEEvT0_T1_SA_
                                        ; -- End function
	.set _ZN6thrust23THRUST_200600_302600_NS11hip_rocprim14__parallel_for6kernelILj256ENS1_20__uninitialized_fill7functorINS0_10device_ptrIfEEfEEmLj1EEEvT0_T1_SA_.num_vgpr, 4
	.set _ZN6thrust23THRUST_200600_302600_NS11hip_rocprim14__parallel_for6kernelILj256ENS1_20__uninitialized_fill7functorINS0_10device_ptrIfEEfEEmLj1EEEvT0_T1_SA_.num_agpr, 0
	.set _ZN6thrust23THRUST_200600_302600_NS11hip_rocprim14__parallel_for6kernelILj256ENS1_20__uninitialized_fill7functorINS0_10device_ptrIfEEfEEmLj1EEEvT0_T1_SA_.numbered_sgpr, 16
	.set _ZN6thrust23THRUST_200600_302600_NS11hip_rocprim14__parallel_for6kernelILj256ENS1_20__uninitialized_fill7functorINS0_10device_ptrIfEEfEEmLj1EEEvT0_T1_SA_.num_named_barrier, 0
	.set _ZN6thrust23THRUST_200600_302600_NS11hip_rocprim14__parallel_for6kernelILj256ENS1_20__uninitialized_fill7functorINS0_10device_ptrIfEEfEEmLj1EEEvT0_T1_SA_.private_seg_size, 0
	.set _ZN6thrust23THRUST_200600_302600_NS11hip_rocprim14__parallel_for6kernelILj256ENS1_20__uninitialized_fill7functorINS0_10device_ptrIfEEfEEmLj1EEEvT0_T1_SA_.uses_vcc, 1
	.set _ZN6thrust23THRUST_200600_302600_NS11hip_rocprim14__parallel_for6kernelILj256ENS1_20__uninitialized_fill7functorINS0_10device_ptrIfEEfEEmLj1EEEvT0_T1_SA_.uses_flat_scratch, 0
	.set _ZN6thrust23THRUST_200600_302600_NS11hip_rocprim14__parallel_for6kernelILj256ENS1_20__uninitialized_fill7functorINS0_10device_ptrIfEEfEEmLj1EEEvT0_T1_SA_.has_dyn_sized_stack, 0
	.set _ZN6thrust23THRUST_200600_302600_NS11hip_rocprim14__parallel_for6kernelILj256ENS1_20__uninitialized_fill7functorINS0_10device_ptrIfEEfEEmLj1EEEvT0_T1_SA_.has_recursion, 0
	.set _ZN6thrust23THRUST_200600_302600_NS11hip_rocprim14__parallel_for6kernelILj256ENS1_20__uninitialized_fill7functorINS0_10device_ptrIfEEfEEmLj1EEEvT0_T1_SA_.has_indirect_call, 0
	.section	.AMDGPU.csdata,"",@progbits
; Kernel info:
; codeLenInByte = 188
; TotalNumSgprs: 20
; NumVgprs: 4
; ScratchSize: 0
; MemoryBound: 0
; FloatMode: 240
; IeeeMode: 1
; LDSByteSize: 0 bytes/workgroup (compile time only)
; SGPRBlocks: 2
; VGPRBlocks: 0
; NumSGPRsForWavesPerEU: 20
; NumVGPRsForWavesPerEU: 4
; Occupancy: 10
; WaveLimiterHint : 0
; COMPUTE_PGM_RSRC2:SCRATCH_EN: 0
; COMPUTE_PGM_RSRC2:USER_SGPR: 6
; COMPUTE_PGM_RSRC2:TRAP_HANDLER: 0
; COMPUTE_PGM_RSRC2:TGID_X_EN: 1
; COMPUTE_PGM_RSRC2:TGID_Y_EN: 0
; COMPUTE_PGM_RSRC2:TGID_Z_EN: 0
; COMPUTE_PGM_RSRC2:TIDIG_COMP_CNT: 0
	.section	.text._ZN7rocprim17ROCPRIM_400000_NS6detail17trampoline_kernelINS0_14default_configENS1_25partition_config_selectorILNS1_17partition_subalgoE8EfNS0_10empty_typeEbEEZZNS1_14partition_implILS5_8ELb0ES3_jN6thrust23THRUST_200600_302600_NS6detail15normal_iteratorINSA_10device_ptrIfEEEEPS6_PKS6_NS0_5tupleIJSF_S6_EEENSJ_IJSG_SG_EEENS0_18inequality_wrapperINSA_8equal_toIfEEEEPmJS6_EEE10hipError_tPvRmT3_T4_T5_T6_T7_T9_mT8_P12ihipStream_tbDpT10_ENKUlT_T0_E_clISt17integral_constantIbLb0EES1A_EEDaS15_S16_EUlS15_E_NS1_11comp_targetILNS1_3genE0ELNS1_11target_archE4294967295ELNS1_3gpuE0ELNS1_3repE0EEENS1_30default_config_static_selectorELNS0_4arch9wavefront6targetE1EEEvT1_,"axG",@progbits,_ZN7rocprim17ROCPRIM_400000_NS6detail17trampoline_kernelINS0_14default_configENS1_25partition_config_selectorILNS1_17partition_subalgoE8EfNS0_10empty_typeEbEEZZNS1_14partition_implILS5_8ELb0ES3_jN6thrust23THRUST_200600_302600_NS6detail15normal_iteratorINSA_10device_ptrIfEEEEPS6_PKS6_NS0_5tupleIJSF_S6_EEENSJ_IJSG_SG_EEENS0_18inequality_wrapperINSA_8equal_toIfEEEEPmJS6_EEE10hipError_tPvRmT3_T4_T5_T6_T7_T9_mT8_P12ihipStream_tbDpT10_ENKUlT_T0_E_clISt17integral_constantIbLb0EES1A_EEDaS15_S16_EUlS15_E_NS1_11comp_targetILNS1_3genE0ELNS1_11target_archE4294967295ELNS1_3gpuE0ELNS1_3repE0EEENS1_30default_config_static_selectorELNS0_4arch9wavefront6targetE1EEEvT1_,comdat
	.protected	_ZN7rocprim17ROCPRIM_400000_NS6detail17trampoline_kernelINS0_14default_configENS1_25partition_config_selectorILNS1_17partition_subalgoE8EfNS0_10empty_typeEbEEZZNS1_14partition_implILS5_8ELb0ES3_jN6thrust23THRUST_200600_302600_NS6detail15normal_iteratorINSA_10device_ptrIfEEEEPS6_PKS6_NS0_5tupleIJSF_S6_EEENSJ_IJSG_SG_EEENS0_18inequality_wrapperINSA_8equal_toIfEEEEPmJS6_EEE10hipError_tPvRmT3_T4_T5_T6_T7_T9_mT8_P12ihipStream_tbDpT10_ENKUlT_T0_E_clISt17integral_constantIbLb0EES1A_EEDaS15_S16_EUlS15_E_NS1_11comp_targetILNS1_3genE0ELNS1_11target_archE4294967295ELNS1_3gpuE0ELNS1_3repE0EEENS1_30default_config_static_selectorELNS0_4arch9wavefront6targetE1EEEvT1_ ; -- Begin function _ZN7rocprim17ROCPRIM_400000_NS6detail17trampoline_kernelINS0_14default_configENS1_25partition_config_selectorILNS1_17partition_subalgoE8EfNS0_10empty_typeEbEEZZNS1_14partition_implILS5_8ELb0ES3_jN6thrust23THRUST_200600_302600_NS6detail15normal_iteratorINSA_10device_ptrIfEEEEPS6_PKS6_NS0_5tupleIJSF_S6_EEENSJ_IJSG_SG_EEENS0_18inequality_wrapperINSA_8equal_toIfEEEEPmJS6_EEE10hipError_tPvRmT3_T4_T5_T6_T7_T9_mT8_P12ihipStream_tbDpT10_ENKUlT_T0_E_clISt17integral_constantIbLb0EES1A_EEDaS15_S16_EUlS15_E_NS1_11comp_targetILNS1_3genE0ELNS1_11target_archE4294967295ELNS1_3gpuE0ELNS1_3repE0EEENS1_30default_config_static_selectorELNS0_4arch9wavefront6targetE1EEEvT1_
	.globl	_ZN7rocprim17ROCPRIM_400000_NS6detail17trampoline_kernelINS0_14default_configENS1_25partition_config_selectorILNS1_17partition_subalgoE8EfNS0_10empty_typeEbEEZZNS1_14partition_implILS5_8ELb0ES3_jN6thrust23THRUST_200600_302600_NS6detail15normal_iteratorINSA_10device_ptrIfEEEEPS6_PKS6_NS0_5tupleIJSF_S6_EEENSJ_IJSG_SG_EEENS0_18inequality_wrapperINSA_8equal_toIfEEEEPmJS6_EEE10hipError_tPvRmT3_T4_T5_T6_T7_T9_mT8_P12ihipStream_tbDpT10_ENKUlT_T0_E_clISt17integral_constantIbLb0EES1A_EEDaS15_S16_EUlS15_E_NS1_11comp_targetILNS1_3genE0ELNS1_11target_archE4294967295ELNS1_3gpuE0ELNS1_3repE0EEENS1_30default_config_static_selectorELNS0_4arch9wavefront6targetE1EEEvT1_
	.p2align	8
	.type	_ZN7rocprim17ROCPRIM_400000_NS6detail17trampoline_kernelINS0_14default_configENS1_25partition_config_selectorILNS1_17partition_subalgoE8EfNS0_10empty_typeEbEEZZNS1_14partition_implILS5_8ELb0ES3_jN6thrust23THRUST_200600_302600_NS6detail15normal_iteratorINSA_10device_ptrIfEEEEPS6_PKS6_NS0_5tupleIJSF_S6_EEENSJ_IJSG_SG_EEENS0_18inequality_wrapperINSA_8equal_toIfEEEEPmJS6_EEE10hipError_tPvRmT3_T4_T5_T6_T7_T9_mT8_P12ihipStream_tbDpT10_ENKUlT_T0_E_clISt17integral_constantIbLb0EES1A_EEDaS15_S16_EUlS15_E_NS1_11comp_targetILNS1_3genE0ELNS1_11target_archE4294967295ELNS1_3gpuE0ELNS1_3repE0EEENS1_30default_config_static_selectorELNS0_4arch9wavefront6targetE1EEEvT1_,@function
_ZN7rocprim17ROCPRIM_400000_NS6detail17trampoline_kernelINS0_14default_configENS1_25partition_config_selectorILNS1_17partition_subalgoE8EfNS0_10empty_typeEbEEZZNS1_14partition_implILS5_8ELb0ES3_jN6thrust23THRUST_200600_302600_NS6detail15normal_iteratorINSA_10device_ptrIfEEEEPS6_PKS6_NS0_5tupleIJSF_S6_EEENSJ_IJSG_SG_EEENS0_18inequality_wrapperINSA_8equal_toIfEEEEPmJS6_EEE10hipError_tPvRmT3_T4_T5_T6_T7_T9_mT8_P12ihipStream_tbDpT10_ENKUlT_T0_E_clISt17integral_constantIbLb0EES1A_EEDaS15_S16_EUlS15_E_NS1_11comp_targetILNS1_3genE0ELNS1_11target_archE4294967295ELNS1_3gpuE0ELNS1_3repE0EEENS1_30default_config_static_selectorELNS0_4arch9wavefront6targetE1EEEvT1_: ; @_ZN7rocprim17ROCPRIM_400000_NS6detail17trampoline_kernelINS0_14default_configENS1_25partition_config_selectorILNS1_17partition_subalgoE8EfNS0_10empty_typeEbEEZZNS1_14partition_implILS5_8ELb0ES3_jN6thrust23THRUST_200600_302600_NS6detail15normal_iteratorINSA_10device_ptrIfEEEEPS6_PKS6_NS0_5tupleIJSF_S6_EEENSJ_IJSG_SG_EEENS0_18inequality_wrapperINSA_8equal_toIfEEEEPmJS6_EEE10hipError_tPvRmT3_T4_T5_T6_T7_T9_mT8_P12ihipStream_tbDpT10_ENKUlT_T0_E_clISt17integral_constantIbLb0EES1A_EEDaS15_S16_EUlS15_E_NS1_11comp_targetILNS1_3genE0ELNS1_11target_archE4294967295ELNS1_3gpuE0ELNS1_3repE0EEENS1_30default_config_static_selectorELNS0_4arch9wavefront6targetE1EEEvT1_
; %bb.0:
	.section	.rodata,"a",@progbits
	.p2align	6, 0x0
	.amdhsa_kernel _ZN7rocprim17ROCPRIM_400000_NS6detail17trampoline_kernelINS0_14default_configENS1_25partition_config_selectorILNS1_17partition_subalgoE8EfNS0_10empty_typeEbEEZZNS1_14partition_implILS5_8ELb0ES3_jN6thrust23THRUST_200600_302600_NS6detail15normal_iteratorINSA_10device_ptrIfEEEEPS6_PKS6_NS0_5tupleIJSF_S6_EEENSJ_IJSG_SG_EEENS0_18inequality_wrapperINSA_8equal_toIfEEEEPmJS6_EEE10hipError_tPvRmT3_T4_T5_T6_T7_T9_mT8_P12ihipStream_tbDpT10_ENKUlT_T0_E_clISt17integral_constantIbLb0EES1A_EEDaS15_S16_EUlS15_E_NS1_11comp_targetILNS1_3genE0ELNS1_11target_archE4294967295ELNS1_3gpuE0ELNS1_3repE0EEENS1_30default_config_static_selectorELNS0_4arch9wavefront6targetE1EEEvT1_
		.amdhsa_group_segment_fixed_size 0
		.amdhsa_private_segment_fixed_size 0
		.amdhsa_kernarg_size 112
		.amdhsa_user_sgpr_count 6
		.amdhsa_user_sgpr_private_segment_buffer 1
		.amdhsa_user_sgpr_dispatch_ptr 0
		.amdhsa_user_sgpr_queue_ptr 0
		.amdhsa_user_sgpr_kernarg_segment_ptr 1
		.amdhsa_user_sgpr_dispatch_id 0
		.amdhsa_user_sgpr_flat_scratch_init 0
		.amdhsa_user_sgpr_private_segment_size 0
		.amdhsa_uses_dynamic_stack 0
		.amdhsa_system_sgpr_private_segment_wavefront_offset 0
		.amdhsa_system_sgpr_workgroup_id_x 1
		.amdhsa_system_sgpr_workgroup_id_y 0
		.amdhsa_system_sgpr_workgroup_id_z 0
		.amdhsa_system_sgpr_workgroup_info 0
		.amdhsa_system_vgpr_workitem_id 0
		.amdhsa_next_free_vgpr 1
		.amdhsa_next_free_sgpr 0
		.amdhsa_reserve_vcc 0
		.amdhsa_reserve_flat_scratch 0
		.amdhsa_float_round_mode_32 0
		.amdhsa_float_round_mode_16_64 0
		.amdhsa_float_denorm_mode_32 3
		.amdhsa_float_denorm_mode_16_64 3
		.amdhsa_dx10_clamp 1
		.amdhsa_ieee_mode 1
		.amdhsa_fp16_overflow 0
		.amdhsa_exception_fp_ieee_invalid_op 0
		.amdhsa_exception_fp_denorm_src 0
		.amdhsa_exception_fp_ieee_div_zero 0
		.amdhsa_exception_fp_ieee_overflow 0
		.amdhsa_exception_fp_ieee_underflow 0
		.amdhsa_exception_fp_ieee_inexact 0
		.amdhsa_exception_int_div_zero 0
	.end_amdhsa_kernel
	.section	.text._ZN7rocprim17ROCPRIM_400000_NS6detail17trampoline_kernelINS0_14default_configENS1_25partition_config_selectorILNS1_17partition_subalgoE8EfNS0_10empty_typeEbEEZZNS1_14partition_implILS5_8ELb0ES3_jN6thrust23THRUST_200600_302600_NS6detail15normal_iteratorINSA_10device_ptrIfEEEEPS6_PKS6_NS0_5tupleIJSF_S6_EEENSJ_IJSG_SG_EEENS0_18inequality_wrapperINSA_8equal_toIfEEEEPmJS6_EEE10hipError_tPvRmT3_T4_T5_T6_T7_T9_mT8_P12ihipStream_tbDpT10_ENKUlT_T0_E_clISt17integral_constantIbLb0EES1A_EEDaS15_S16_EUlS15_E_NS1_11comp_targetILNS1_3genE0ELNS1_11target_archE4294967295ELNS1_3gpuE0ELNS1_3repE0EEENS1_30default_config_static_selectorELNS0_4arch9wavefront6targetE1EEEvT1_,"axG",@progbits,_ZN7rocprim17ROCPRIM_400000_NS6detail17trampoline_kernelINS0_14default_configENS1_25partition_config_selectorILNS1_17partition_subalgoE8EfNS0_10empty_typeEbEEZZNS1_14partition_implILS5_8ELb0ES3_jN6thrust23THRUST_200600_302600_NS6detail15normal_iteratorINSA_10device_ptrIfEEEEPS6_PKS6_NS0_5tupleIJSF_S6_EEENSJ_IJSG_SG_EEENS0_18inequality_wrapperINSA_8equal_toIfEEEEPmJS6_EEE10hipError_tPvRmT3_T4_T5_T6_T7_T9_mT8_P12ihipStream_tbDpT10_ENKUlT_T0_E_clISt17integral_constantIbLb0EES1A_EEDaS15_S16_EUlS15_E_NS1_11comp_targetILNS1_3genE0ELNS1_11target_archE4294967295ELNS1_3gpuE0ELNS1_3repE0EEENS1_30default_config_static_selectorELNS0_4arch9wavefront6targetE1EEEvT1_,comdat
.Lfunc_end80:
	.size	_ZN7rocprim17ROCPRIM_400000_NS6detail17trampoline_kernelINS0_14default_configENS1_25partition_config_selectorILNS1_17partition_subalgoE8EfNS0_10empty_typeEbEEZZNS1_14partition_implILS5_8ELb0ES3_jN6thrust23THRUST_200600_302600_NS6detail15normal_iteratorINSA_10device_ptrIfEEEEPS6_PKS6_NS0_5tupleIJSF_S6_EEENSJ_IJSG_SG_EEENS0_18inequality_wrapperINSA_8equal_toIfEEEEPmJS6_EEE10hipError_tPvRmT3_T4_T5_T6_T7_T9_mT8_P12ihipStream_tbDpT10_ENKUlT_T0_E_clISt17integral_constantIbLb0EES1A_EEDaS15_S16_EUlS15_E_NS1_11comp_targetILNS1_3genE0ELNS1_11target_archE4294967295ELNS1_3gpuE0ELNS1_3repE0EEENS1_30default_config_static_selectorELNS0_4arch9wavefront6targetE1EEEvT1_, .Lfunc_end80-_ZN7rocprim17ROCPRIM_400000_NS6detail17trampoline_kernelINS0_14default_configENS1_25partition_config_selectorILNS1_17partition_subalgoE8EfNS0_10empty_typeEbEEZZNS1_14partition_implILS5_8ELb0ES3_jN6thrust23THRUST_200600_302600_NS6detail15normal_iteratorINSA_10device_ptrIfEEEEPS6_PKS6_NS0_5tupleIJSF_S6_EEENSJ_IJSG_SG_EEENS0_18inequality_wrapperINSA_8equal_toIfEEEEPmJS6_EEE10hipError_tPvRmT3_T4_T5_T6_T7_T9_mT8_P12ihipStream_tbDpT10_ENKUlT_T0_E_clISt17integral_constantIbLb0EES1A_EEDaS15_S16_EUlS15_E_NS1_11comp_targetILNS1_3genE0ELNS1_11target_archE4294967295ELNS1_3gpuE0ELNS1_3repE0EEENS1_30default_config_static_selectorELNS0_4arch9wavefront6targetE1EEEvT1_
                                        ; -- End function
	.set _ZN7rocprim17ROCPRIM_400000_NS6detail17trampoline_kernelINS0_14default_configENS1_25partition_config_selectorILNS1_17partition_subalgoE8EfNS0_10empty_typeEbEEZZNS1_14partition_implILS5_8ELb0ES3_jN6thrust23THRUST_200600_302600_NS6detail15normal_iteratorINSA_10device_ptrIfEEEEPS6_PKS6_NS0_5tupleIJSF_S6_EEENSJ_IJSG_SG_EEENS0_18inequality_wrapperINSA_8equal_toIfEEEEPmJS6_EEE10hipError_tPvRmT3_T4_T5_T6_T7_T9_mT8_P12ihipStream_tbDpT10_ENKUlT_T0_E_clISt17integral_constantIbLb0EES1A_EEDaS15_S16_EUlS15_E_NS1_11comp_targetILNS1_3genE0ELNS1_11target_archE4294967295ELNS1_3gpuE0ELNS1_3repE0EEENS1_30default_config_static_selectorELNS0_4arch9wavefront6targetE1EEEvT1_.num_vgpr, 0
	.set _ZN7rocprim17ROCPRIM_400000_NS6detail17trampoline_kernelINS0_14default_configENS1_25partition_config_selectorILNS1_17partition_subalgoE8EfNS0_10empty_typeEbEEZZNS1_14partition_implILS5_8ELb0ES3_jN6thrust23THRUST_200600_302600_NS6detail15normal_iteratorINSA_10device_ptrIfEEEEPS6_PKS6_NS0_5tupleIJSF_S6_EEENSJ_IJSG_SG_EEENS0_18inequality_wrapperINSA_8equal_toIfEEEEPmJS6_EEE10hipError_tPvRmT3_T4_T5_T6_T7_T9_mT8_P12ihipStream_tbDpT10_ENKUlT_T0_E_clISt17integral_constantIbLb0EES1A_EEDaS15_S16_EUlS15_E_NS1_11comp_targetILNS1_3genE0ELNS1_11target_archE4294967295ELNS1_3gpuE0ELNS1_3repE0EEENS1_30default_config_static_selectorELNS0_4arch9wavefront6targetE1EEEvT1_.num_agpr, 0
	.set _ZN7rocprim17ROCPRIM_400000_NS6detail17trampoline_kernelINS0_14default_configENS1_25partition_config_selectorILNS1_17partition_subalgoE8EfNS0_10empty_typeEbEEZZNS1_14partition_implILS5_8ELb0ES3_jN6thrust23THRUST_200600_302600_NS6detail15normal_iteratorINSA_10device_ptrIfEEEEPS6_PKS6_NS0_5tupleIJSF_S6_EEENSJ_IJSG_SG_EEENS0_18inequality_wrapperINSA_8equal_toIfEEEEPmJS6_EEE10hipError_tPvRmT3_T4_T5_T6_T7_T9_mT8_P12ihipStream_tbDpT10_ENKUlT_T0_E_clISt17integral_constantIbLb0EES1A_EEDaS15_S16_EUlS15_E_NS1_11comp_targetILNS1_3genE0ELNS1_11target_archE4294967295ELNS1_3gpuE0ELNS1_3repE0EEENS1_30default_config_static_selectorELNS0_4arch9wavefront6targetE1EEEvT1_.numbered_sgpr, 0
	.set _ZN7rocprim17ROCPRIM_400000_NS6detail17trampoline_kernelINS0_14default_configENS1_25partition_config_selectorILNS1_17partition_subalgoE8EfNS0_10empty_typeEbEEZZNS1_14partition_implILS5_8ELb0ES3_jN6thrust23THRUST_200600_302600_NS6detail15normal_iteratorINSA_10device_ptrIfEEEEPS6_PKS6_NS0_5tupleIJSF_S6_EEENSJ_IJSG_SG_EEENS0_18inequality_wrapperINSA_8equal_toIfEEEEPmJS6_EEE10hipError_tPvRmT3_T4_T5_T6_T7_T9_mT8_P12ihipStream_tbDpT10_ENKUlT_T0_E_clISt17integral_constantIbLb0EES1A_EEDaS15_S16_EUlS15_E_NS1_11comp_targetILNS1_3genE0ELNS1_11target_archE4294967295ELNS1_3gpuE0ELNS1_3repE0EEENS1_30default_config_static_selectorELNS0_4arch9wavefront6targetE1EEEvT1_.num_named_barrier, 0
	.set _ZN7rocprim17ROCPRIM_400000_NS6detail17trampoline_kernelINS0_14default_configENS1_25partition_config_selectorILNS1_17partition_subalgoE8EfNS0_10empty_typeEbEEZZNS1_14partition_implILS5_8ELb0ES3_jN6thrust23THRUST_200600_302600_NS6detail15normal_iteratorINSA_10device_ptrIfEEEEPS6_PKS6_NS0_5tupleIJSF_S6_EEENSJ_IJSG_SG_EEENS0_18inequality_wrapperINSA_8equal_toIfEEEEPmJS6_EEE10hipError_tPvRmT3_T4_T5_T6_T7_T9_mT8_P12ihipStream_tbDpT10_ENKUlT_T0_E_clISt17integral_constantIbLb0EES1A_EEDaS15_S16_EUlS15_E_NS1_11comp_targetILNS1_3genE0ELNS1_11target_archE4294967295ELNS1_3gpuE0ELNS1_3repE0EEENS1_30default_config_static_selectorELNS0_4arch9wavefront6targetE1EEEvT1_.private_seg_size, 0
	.set _ZN7rocprim17ROCPRIM_400000_NS6detail17trampoline_kernelINS0_14default_configENS1_25partition_config_selectorILNS1_17partition_subalgoE8EfNS0_10empty_typeEbEEZZNS1_14partition_implILS5_8ELb0ES3_jN6thrust23THRUST_200600_302600_NS6detail15normal_iteratorINSA_10device_ptrIfEEEEPS6_PKS6_NS0_5tupleIJSF_S6_EEENSJ_IJSG_SG_EEENS0_18inequality_wrapperINSA_8equal_toIfEEEEPmJS6_EEE10hipError_tPvRmT3_T4_T5_T6_T7_T9_mT8_P12ihipStream_tbDpT10_ENKUlT_T0_E_clISt17integral_constantIbLb0EES1A_EEDaS15_S16_EUlS15_E_NS1_11comp_targetILNS1_3genE0ELNS1_11target_archE4294967295ELNS1_3gpuE0ELNS1_3repE0EEENS1_30default_config_static_selectorELNS0_4arch9wavefront6targetE1EEEvT1_.uses_vcc, 0
	.set _ZN7rocprim17ROCPRIM_400000_NS6detail17trampoline_kernelINS0_14default_configENS1_25partition_config_selectorILNS1_17partition_subalgoE8EfNS0_10empty_typeEbEEZZNS1_14partition_implILS5_8ELb0ES3_jN6thrust23THRUST_200600_302600_NS6detail15normal_iteratorINSA_10device_ptrIfEEEEPS6_PKS6_NS0_5tupleIJSF_S6_EEENSJ_IJSG_SG_EEENS0_18inequality_wrapperINSA_8equal_toIfEEEEPmJS6_EEE10hipError_tPvRmT3_T4_T5_T6_T7_T9_mT8_P12ihipStream_tbDpT10_ENKUlT_T0_E_clISt17integral_constantIbLb0EES1A_EEDaS15_S16_EUlS15_E_NS1_11comp_targetILNS1_3genE0ELNS1_11target_archE4294967295ELNS1_3gpuE0ELNS1_3repE0EEENS1_30default_config_static_selectorELNS0_4arch9wavefront6targetE1EEEvT1_.uses_flat_scratch, 0
	.set _ZN7rocprim17ROCPRIM_400000_NS6detail17trampoline_kernelINS0_14default_configENS1_25partition_config_selectorILNS1_17partition_subalgoE8EfNS0_10empty_typeEbEEZZNS1_14partition_implILS5_8ELb0ES3_jN6thrust23THRUST_200600_302600_NS6detail15normal_iteratorINSA_10device_ptrIfEEEEPS6_PKS6_NS0_5tupleIJSF_S6_EEENSJ_IJSG_SG_EEENS0_18inequality_wrapperINSA_8equal_toIfEEEEPmJS6_EEE10hipError_tPvRmT3_T4_T5_T6_T7_T9_mT8_P12ihipStream_tbDpT10_ENKUlT_T0_E_clISt17integral_constantIbLb0EES1A_EEDaS15_S16_EUlS15_E_NS1_11comp_targetILNS1_3genE0ELNS1_11target_archE4294967295ELNS1_3gpuE0ELNS1_3repE0EEENS1_30default_config_static_selectorELNS0_4arch9wavefront6targetE1EEEvT1_.has_dyn_sized_stack, 0
	.set _ZN7rocprim17ROCPRIM_400000_NS6detail17trampoline_kernelINS0_14default_configENS1_25partition_config_selectorILNS1_17partition_subalgoE8EfNS0_10empty_typeEbEEZZNS1_14partition_implILS5_8ELb0ES3_jN6thrust23THRUST_200600_302600_NS6detail15normal_iteratorINSA_10device_ptrIfEEEEPS6_PKS6_NS0_5tupleIJSF_S6_EEENSJ_IJSG_SG_EEENS0_18inequality_wrapperINSA_8equal_toIfEEEEPmJS6_EEE10hipError_tPvRmT3_T4_T5_T6_T7_T9_mT8_P12ihipStream_tbDpT10_ENKUlT_T0_E_clISt17integral_constantIbLb0EES1A_EEDaS15_S16_EUlS15_E_NS1_11comp_targetILNS1_3genE0ELNS1_11target_archE4294967295ELNS1_3gpuE0ELNS1_3repE0EEENS1_30default_config_static_selectorELNS0_4arch9wavefront6targetE1EEEvT1_.has_recursion, 0
	.set _ZN7rocprim17ROCPRIM_400000_NS6detail17trampoline_kernelINS0_14default_configENS1_25partition_config_selectorILNS1_17partition_subalgoE8EfNS0_10empty_typeEbEEZZNS1_14partition_implILS5_8ELb0ES3_jN6thrust23THRUST_200600_302600_NS6detail15normal_iteratorINSA_10device_ptrIfEEEEPS6_PKS6_NS0_5tupleIJSF_S6_EEENSJ_IJSG_SG_EEENS0_18inequality_wrapperINSA_8equal_toIfEEEEPmJS6_EEE10hipError_tPvRmT3_T4_T5_T6_T7_T9_mT8_P12ihipStream_tbDpT10_ENKUlT_T0_E_clISt17integral_constantIbLb0EES1A_EEDaS15_S16_EUlS15_E_NS1_11comp_targetILNS1_3genE0ELNS1_11target_archE4294967295ELNS1_3gpuE0ELNS1_3repE0EEENS1_30default_config_static_selectorELNS0_4arch9wavefront6targetE1EEEvT1_.has_indirect_call, 0
	.section	.AMDGPU.csdata,"",@progbits
; Kernel info:
; codeLenInByte = 0
; TotalNumSgprs: 4
; NumVgprs: 0
; ScratchSize: 0
; MemoryBound: 0
; FloatMode: 240
; IeeeMode: 1
; LDSByteSize: 0 bytes/workgroup (compile time only)
; SGPRBlocks: 0
; VGPRBlocks: 0
; NumSGPRsForWavesPerEU: 4
; NumVGPRsForWavesPerEU: 1
; Occupancy: 10
; WaveLimiterHint : 0
; COMPUTE_PGM_RSRC2:SCRATCH_EN: 0
; COMPUTE_PGM_RSRC2:USER_SGPR: 6
; COMPUTE_PGM_RSRC2:TRAP_HANDLER: 0
; COMPUTE_PGM_RSRC2:TGID_X_EN: 1
; COMPUTE_PGM_RSRC2:TGID_Y_EN: 0
; COMPUTE_PGM_RSRC2:TGID_Z_EN: 0
; COMPUTE_PGM_RSRC2:TIDIG_COMP_CNT: 0
	.section	.text._ZN7rocprim17ROCPRIM_400000_NS6detail17trampoline_kernelINS0_14default_configENS1_25partition_config_selectorILNS1_17partition_subalgoE8EfNS0_10empty_typeEbEEZZNS1_14partition_implILS5_8ELb0ES3_jN6thrust23THRUST_200600_302600_NS6detail15normal_iteratorINSA_10device_ptrIfEEEEPS6_PKS6_NS0_5tupleIJSF_S6_EEENSJ_IJSG_SG_EEENS0_18inequality_wrapperINSA_8equal_toIfEEEEPmJS6_EEE10hipError_tPvRmT3_T4_T5_T6_T7_T9_mT8_P12ihipStream_tbDpT10_ENKUlT_T0_E_clISt17integral_constantIbLb0EES1A_EEDaS15_S16_EUlS15_E_NS1_11comp_targetILNS1_3genE5ELNS1_11target_archE942ELNS1_3gpuE9ELNS1_3repE0EEENS1_30default_config_static_selectorELNS0_4arch9wavefront6targetE1EEEvT1_,"axG",@progbits,_ZN7rocprim17ROCPRIM_400000_NS6detail17trampoline_kernelINS0_14default_configENS1_25partition_config_selectorILNS1_17partition_subalgoE8EfNS0_10empty_typeEbEEZZNS1_14partition_implILS5_8ELb0ES3_jN6thrust23THRUST_200600_302600_NS6detail15normal_iteratorINSA_10device_ptrIfEEEEPS6_PKS6_NS0_5tupleIJSF_S6_EEENSJ_IJSG_SG_EEENS0_18inequality_wrapperINSA_8equal_toIfEEEEPmJS6_EEE10hipError_tPvRmT3_T4_T5_T6_T7_T9_mT8_P12ihipStream_tbDpT10_ENKUlT_T0_E_clISt17integral_constantIbLb0EES1A_EEDaS15_S16_EUlS15_E_NS1_11comp_targetILNS1_3genE5ELNS1_11target_archE942ELNS1_3gpuE9ELNS1_3repE0EEENS1_30default_config_static_selectorELNS0_4arch9wavefront6targetE1EEEvT1_,comdat
	.protected	_ZN7rocprim17ROCPRIM_400000_NS6detail17trampoline_kernelINS0_14default_configENS1_25partition_config_selectorILNS1_17partition_subalgoE8EfNS0_10empty_typeEbEEZZNS1_14partition_implILS5_8ELb0ES3_jN6thrust23THRUST_200600_302600_NS6detail15normal_iteratorINSA_10device_ptrIfEEEEPS6_PKS6_NS0_5tupleIJSF_S6_EEENSJ_IJSG_SG_EEENS0_18inequality_wrapperINSA_8equal_toIfEEEEPmJS6_EEE10hipError_tPvRmT3_T4_T5_T6_T7_T9_mT8_P12ihipStream_tbDpT10_ENKUlT_T0_E_clISt17integral_constantIbLb0EES1A_EEDaS15_S16_EUlS15_E_NS1_11comp_targetILNS1_3genE5ELNS1_11target_archE942ELNS1_3gpuE9ELNS1_3repE0EEENS1_30default_config_static_selectorELNS0_4arch9wavefront6targetE1EEEvT1_ ; -- Begin function _ZN7rocprim17ROCPRIM_400000_NS6detail17trampoline_kernelINS0_14default_configENS1_25partition_config_selectorILNS1_17partition_subalgoE8EfNS0_10empty_typeEbEEZZNS1_14partition_implILS5_8ELb0ES3_jN6thrust23THRUST_200600_302600_NS6detail15normal_iteratorINSA_10device_ptrIfEEEEPS6_PKS6_NS0_5tupleIJSF_S6_EEENSJ_IJSG_SG_EEENS0_18inequality_wrapperINSA_8equal_toIfEEEEPmJS6_EEE10hipError_tPvRmT3_T4_T5_T6_T7_T9_mT8_P12ihipStream_tbDpT10_ENKUlT_T0_E_clISt17integral_constantIbLb0EES1A_EEDaS15_S16_EUlS15_E_NS1_11comp_targetILNS1_3genE5ELNS1_11target_archE942ELNS1_3gpuE9ELNS1_3repE0EEENS1_30default_config_static_selectorELNS0_4arch9wavefront6targetE1EEEvT1_
	.globl	_ZN7rocprim17ROCPRIM_400000_NS6detail17trampoline_kernelINS0_14default_configENS1_25partition_config_selectorILNS1_17partition_subalgoE8EfNS0_10empty_typeEbEEZZNS1_14partition_implILS5_8ELb0ES3_jN6thrust23THRUST_200600_302600_NS6detail15normal_iteratorINSA_10device_ptrIfEEEEPS6_PKS6_NS0_5tupleIJSF_S6_EEENSJ_IJSG_SG_EEENS0_18inequality_wrapperINSA_8equal_toIfEEEEPmJS6_EEE10hipError_tPvRmT3_T4_T5_T6_T7_T9_mT8_P12ihipStream_tbDpT10_ENKUlT_T0_E_clISt17integral_constantIbLb0EES1A_EEDaS15_S16_EUlS15_E_NS1_11comp_targetILNS1_3genE5ELNS1_11target_archE942ELNS1_3gpuE9ELNS1_3repE0EEENS1_30default_config_static_selectorELNS0_4arch9wavefront6targetE1EEEvT1_
	.p2align	8
	.type	_ZN7rocprim17ROCPRIM_400000_NS6detail17trampoline_kernelINS0_14default_configENS1_25partition_config_selectorILNS1_17partition_subalgoE8EfNS0_10empty_typeEbEEZZNS1_14partition_implILS5_8ELb0ES3_jN6thrust23THRUST_200600_302600_NS6detail15normal_iteratorINSA_10device_ptrIfEEEEPS6_PKS6_NS0_5tupleIJSF_S6_EEENSJ_IJSG_SG_EEENS0_18inequality_wrapperINSA_8equal_toIfEEEEPmJS6_EEE10hipError_tPvRmT3_T4_T5_T6_T7_T9_mT8_P12ihipStream_tbDpT10_ENKUlT_T0_E_clISt17integral_constantIbLb0EES1A_EEDaS15_S16_EUlS15_E_NS1_11comp_targetILNS1_3genE5ELNS1_11target_archE942ELNS1_3gpuE9ELNS1_3repE0EEENS1_30default_config_static_selectorELNS0_4arch9wavefront6targetE1EEEvT1_,@function
_ZN7rocprim17ROCPRIM_400000_NS6detail17trampoline_kernelINS0_14default_configENS1_25partition_config_selectorILNS1_17partition_subalgoE8EfNS0_10empty_typeEbEEZZNS1_14partition_implILS5_8ELb0ES3_jN6thrust23THRUST_200600_302600_NS6detail15normal_iteratorINSA_10device_ptrIfEEEEPS6_PKS6_NS0_5tupleIJSF_S6_EEENSJ_IJSG_SG_EEENS0_18inequality_wrapperINSA_8equal_toIfEEEEPmJS6_EEE10hipError_tPvRmT3_T4_T5_T6_T7_T9_mT8_P12ihipStream_tbDpT10_ENKUlT_T0_E_clISt17integral_constantIbLb0EES1A_EEDaS15_S16_EUlS15_E_NS1_11comp_targetILNS1_3genE5ELNS1_11target_archE942ELNS1_3gpuE9ELNS1_3repE0EEENS1_30default_config_static_selectorELNS0_4arch9wavefront6targetE1EEEvT1_: ; @_ZN7rocprim17ROCPRIM_400000_NS6detail17trampoline_kernelINS0_14default_configENS1_25partition_config_selectorILNS1_17partition_subalgoE8EfNS0_10empty_typeEbEEZZNS1_14partition_implILS5_8ELb0ES3_jN6thrust23THRUST_200600_302600_NS6detail15normal_iteratorINSA_10device_ptrIfEEEEPS6_PKS6_NS0_5tupleIJSF_S6_EEENSJ_IJSG_SG_EEENS0_18inequality_wrapperINSA_8equal_toIfEEEEPmJS6_EEE10hipError_tPvRmT3_T4_T5_T6_T7_T9_mT8_P12ihipStream_tbDpT10_ENKUlT_T0_E_clISt17integral_constantIbLb0EES1A_EEDaS15_S16_EUlS15_E_NS1_11comp_targetILNS1_3genE5ELNS1_11target_archE942ELNS1_3gpuE9ELNS1_3repE0EEENS1_30default_config_static_selectorELNS0_4arch9wavefront6targetE1EEEvT1_
; %bb.0:
	.section	.rodata,"a",@progbits
	.p2align	6, 0x0
	.amdhsa_kernel _ZN7rocprim17ROCPRIM_400000_NS6detail17trampoline_kernelINS0_14default_configENS1_25partition_config_selectorILNS1_17partition_subalgoE8EfNS0_10empty_typeEbEEZZNS1_14partition_implILS5_8ELb0ES3_jN6thrust23THRUST_200600_302600_NS6detail15normal_iteratorINSA_10device_ptrIfEEEEPS6_PKS6_NS0_5tupleIJSF_S6_EEENSJ_IJSG_SG_EEENS0_18inequality_wrapperINSA_8equal_toIfEEEEPmJS6_EEE10hipError_tPvRmT3_T4_T5_T6_T7_T9_mT8_P12ihipStream_tbDpT10_ENKUlT_T0_E_clISt17integral_constantIbLb0EES1A_EEDaS15_S16_EUlS15_E_NS1_11comp_targetILNS1_3genE5ELNS1_11target_archE942ELNS1_3gpuE9ELNS1_3repE0EEENS1_30default_config_static_selectorELNS0_4arch9wavefront6targetE1EEEvT1_
		.amdhsa_group_segment_fixed_size 0
		.amdhsa_private_segment_fixed_size 0
		.amdhsa_kernarg_size 112
		.amdhsa_user_sgpr_count 6
		.amdhsa_user_sgpr_private_segment_buffer 1
		.amdhsa_user_sgpr_dispatch_ptr 0
		.amdhsa_user_sgpr_queue_ptr 0
		.amdhsa_user_sgpr_kernarg_segment_ptr 1
		.amdhsa_user_sgpr_dispatch_id 0
		.amdhsa_user_sgpr_flat_scratch_init 0
		.amdhsa_user_sgpr_private_segment_size 0
		.amdhsa_uses_dynamic_stack 0
		.amdhsa_system_sgpr_private_segment_wavefront_offset 0
		.amdhsa_system_sgpr_workgroup_id_x 1
		.amdhsa_system_sgpr_workgroup_id_y 0
		.amdhsa_system_sgpr_workgroup_id_z 0
		.amdhsa_system_sgpr_workgroup_info 0
		.amdhsa_system_vgpr_workitem_id 0
		.amdhsa_next_free_vgpr 1
		.amdhsa_next_free_sgpr 0
		.amdhsa_reserve_vcc 0
		.amdhsa_reserve_flat_scratch 0
		.amdhsa_float_round_mode_32 0
		.amdhsa_float_round_mode_16_64 0
		.amdhsa_float_denorm_mode_32 3
		.amdhsa_float_denorm_mode_16_64 3
		.amdhsa_dx10_clamp 1
		.amdhsa_ieee_mode 1
		.amdhsa_fp16_overflow 0
		.amdhsa_exception_fp_ieee_invalid_op 0
		.amdhsa_exception_fp_denorm_src 0
		.amdhsa_exception_fp_ieee_div_zero 0
		.amdhsa_exception_fp_ieee_overflow 0
		.amdhsa_exception_fp_ieee_underflow 0
		.amdhsa_exception_fp_ieee_inexact 0
		.amdhsa_exception_int_div_zero 0
	.end_amdhsa_kernel
	.section	.text._ZN7rocprim17ROCPRIM_400000_NS6detail17trampoline_kernelINS0_14default_configENS1_25partition_config_selectorILNS1_17partition_subalgoE8EfNS0_10empty_typeEbEEZZNS1_14partition_implILS5_8ELb0ES3_jN6thrust23THRUST_200600_302600_NS6detail15normal_iteratorINSA_10device_ptrIfEEEEPS6_PKS6_NS0_5tupleIJSF_S6_EEENSJ_IJSG_SG_EEENS0_18inequality_wrapperINSA_8equal_toIfEEEEPmJS6_EEE10hipError_tPvRmT3_T4_T5_T6_T7_T9_mT8_P12ihipStream_tbDpT10_ENKUlT_T0_E_clISt17integral_constantIbLb0EES1A_EEDaS15_S16_EUlS15_E_NS1_11comp_targetILNS1_3genE5ELNS1_11target_archE942ELNS1_3gpuE9ELNS1_3repE0EEENS1_30default_config_static_selectorELNS0_4arch9wavefront6targetE1EEEvT1_,"axG",@progbits,_ZN7rocprim17ROCPRIM_400000_NS6detail17trampoline_kernelINS0_14default_configENS1_25partition_config_selectorILNS1_17partition_subalgoE8EfNS0_10empty_typeEbEEZZNS1_14partition_implILS5_8ELb0ES3_jN6thrust23THRUST_200600_302600_NS6detail15normal_iteratorINSA_10device_ptrIfEEEEPS6_PKS6_NS0_5tupleIJSF_S6_EEENSJ_IJSG_SG_EEENS0_18inequality_wrapperINSA_8equal_toIfEEEEPmJS6_EEE10hipError_tPvRmT3_T4_T5_T6_T7_T9_mT8_P12ihipStream_tbDpT10_ENKUlT_T0_E_clISt17integral_constantIbLb0EES1A_EEDaS15_S16_EUlS15_E_NS1_11comp_targetILNS1_3genE5ELNS1_11target_archE942ELNS1_3gpuE9ELNS1_3repE0EEENS1_30default_config_static_selectorELNS0_4arch9wavefront6targetE1EEEvT1_,comdat
.Lfunc_end81:
	.size	_ZN7rocprim17ROCPRIM_400000_NS6detail17trampoline_kernelINS0_14default_configENS1_25partition_config_selectorILNS1_17partition_subalgoE8EfNS0_10empty_typeEbEEZZNS1_14partition_implILS5_8ELb0ES3_jN6thrust23THRUST_200600_302600_NS6detail15normal_iteratorINSA_10device_ptrIfEEEEPS6_PKS6_NS0_5tupleIJSF_S6_EEENSJ_IJSG_SG_EEENS0_18inequality_wrapperINSA_8equal_toIfEEEEPmJS6_EEE10hipError_tPvRmT3_T4_T5_T6_T7_T9_mT8_P12ihipStream_tbDpT10_ENKUlT_T0_E_clISt17integral_constantIbLb0EES1A_EEDaS15_S16_EUlS15_E_NS1_11comp_targetILNS1_3genE5ELNS1_11target_archE942ELNS1_3gpuE9ELNS1_3repE0EEENS1_30default_config_static_selectorELNS0_4arch9wavefront6targetE1EEEvT1_, .Lfunc_end81-_ZN7rocprim17ROCPRIM_400000_NS6detail17trampoline_kernelINS0_14default_configENS1_25partition_config_selectorILNS1_17partition_subalgoE8EfNS0_10empty_typeEbEEZZNS1_14partition_implILS5_8ELb0ES3_jN6thrust23THRUST_200600_302600_NS6detail15normal_iteratorINSA_10device_ptrIfEEEEPS6_PKS6_NS0_5tupleIJSF_S6_EEENSJ_IJSG_SG_EEENS0_18inequality_wrapperINSA_8equal_toIfEEEEPmJS6_EEE10hipError_tPvRmT3_T4_T5_T6_T7_T9_mT8_P12ihipStream_tbDpT10_ENKUlT_T0_E_clISt17integral_constantIbLb0EES1A_EEDaS15_S16_EUlS15_E_NS1_11comp_targetILNS1_3genE5ELNS1_11target_archE942ELNS1_3gpuE9ELNS1_3repE0EEENS1_30default_config_static_selectorELNS0_4arch9wavefront6targetE1EEEvT1_
                                        ; -- End function
	.set _ZN7rocprim17ROCPRIM_400000_NS6detail17trampoline_kernelINS0_14default_configENS1_25partition_config_selectorILNS1_17partition_subalgoE8EfNS0_10empty_typeEbEEZZNS1_14partition_implILS5_8ELb0ES3_jN6thrust23THRUST_200600_302600_NS6detail15normal_iteratorINSA_10device_ptrIfEEEEPS6_PKS6_NS0_5tupleIJSF_S6_EEENSJ_IJSG_SG_EEENS0_18inequality_wrapperINSA_8equal_toIfEEEEPmJS6_EEE10hipError_tPvRmT3_T4_T5_T6_T7_T9_mT8_P12ihipStream_tbDpT10_ENKUlT_T0_E_clISt17integral_constantIbLb0EES1A_EEDaS15_S16_EUlS15_E_NS1_11comp_targetILNS1_3genE5ELNS1_11target_archE942ELNS1_3gpuE9ELNS1_3repE0EEENS1_30default_config_static_selectorELNS0_4arch9wavefront6targetE1EEEvT1_.num_vgpr, 0
	.set _ZN7rocprim17ROCPRIM_400000_NS6detail17trampoline_kernelINS0_14default_configENS1_25partition_config_selectorILNS1_17partition_subalgoE8EfNS0_10empty_typeEbEEZZNS1_14partition_implILS5_8ELb0ES3_jN6thrust23THRUST_200600_302600_NS6detail15normal_iteratorINSA_10device_ptrIfEEEEPS6_PKS6_NS0_5tupleIJSF_S6_EEENSJ_IJSG_SG_EEENS0_18inequality_wrapperINSA_8equal_toIfEEEEPmJS6_EEE10hipError_tPvRmT3_T4_T5_T6_T7_T9_mT8_P12ihipStream_tbDpT10_ENKUlT_T0_E_clISt17integral_constantIbLb0EES1A_EEDaS15_S16_EUlS15_E_NS1_11comp_targetILNS1_3genE5ELNS1_11target_archE942ELNS1_3gpuE9ELNS1_3repE0EEENS1_30default_config_static_selectorELNS0_4arch9wavefront6targetE1EEEvT1_.num_agpr, 0
	.set _ZN7rocprim17ROCPRIM_400000_NS6detail17trampoline_kernelINS0_14default_configENS1_25partition_config_selectorILNS1_17partition_subalgoE8EfNS0_10empty_typeEbEEZZNS1_14partition_implILS5_8ELb0ES3_jN6thrust23THRUST_200600_302600_NS6detail15normal_iteratorINSA_10device_ptrIfEEEEPS6_PKS6_NS0_5tupleIJSF_S6_EEENSJ_IJSG_SG_EEENS0_18inequality_wrapperINSA_8equal_toIfEEEEPmJS6_EEE10hipError_tPvRmT3_T4_T5_T6_T7_T9_mT8_P12ihipStream_tbDpT10_ENKUlT_T0_E_clISt17integral_constantIbLb0EES1A_EEDaS15_S16_EUlS15_E_NS1_11comp_targetILNS1_3genE5ELNS1_11target_archE942ELNS1_3gpuE9ELNS1_3repE0EEENS1_30default_config_static_selectorELNS0_4arch9wavefront6targetE1EEEvT1_.numbered_sgpr, 0
	.set _ZN7rocprim17ROCPRIM_400000_NS6detail17trampoline_kernelINS0_14default_configENS1_25partition_config_selectorILNS1_17partition_subalgoE8EfNS0_10empty_typeEbEEZZNS1_14partition_implILS5_8ELb0ES3_jN6thrust23THRUST_200600_302600_NS6detail15normal_iteratorINSA_10device_ptrIfEEEEPS6_PKS6_NS0_5tupleIJSF_S6_EEENSJ_IJSG_SG_EEENS0_18inequality_wrapperINSA_8equal_toIfEEEEPmJS6_EEE10hipError_tPvRmT3_T4_T5_T6_T7_T9_mT8_P12ihipStream_tbDpT10_ENKUlT_T0_E_clISt17integral_constantIbLb0EES1A_EEDaS15_S16_EUlS15_E_NS1_11comp_targetILNS1_3genE5ELNS1_11target_archE942ELNS1_3gpuE9ELNS1_3repE0EEENS1_30default_config_static_selectorELNS0_4arch9wavefront6targetE1EEEvT1_.num_named_barrier, 0
	.set _ZN7rocprim17ROCPRIM_400000_NS6detail17trampoline_kernelINS0_14default_configENS1_25partition_config_selectorILNS1_17partition_subalgoE8EfNS0_10empty_typeEbEEZZNS1_14partition_implILS5_8ELb0ES3_jN6thrust23THRUST_200600_302600_NS6detail15normal_iteratorINSA_10device_ptrIfEEEEPS6_PKS6_NS0_5tupleIJSF_S6_EEENSJ_IJSG_SG_EEENS0_18inequality_wrapperINSA_8equal_toIfEEEEPmJS6_EEE10hipError_tPvRmT3_T4_T5_T6_T7_T9_mT8_P12ihipStream_tbDpT10_ENKUlT_T0_E_clISt17integral_constantIbLb0EES1A_EEDaS15_S16_EUlS15_E_NS1_11comp_targetILNS1_3genE5ELNS1_11target_archE942ELNS1_3gpuE9ELNS1_3repE0EEENS1_30default_config_static_selectorELNS0_4arch9wavefront6targetE1EEEvT1_.private_seg_size, 0
	.set _ZN7rocprim17ROCPRIM_400000_NS6detail17trampoline_kernelINS0_14default_configENS1_25partition_config_selectorILNS1_17partition_subalgoE8EfNS0_10empty_typeEbEEZZNS1_14partition_implILS5_8ELb0ES3_jN6thrust23THRUST_200600_302600_NS6detail15normal_iteratorINSA_10device_ptrIfEEEEPS6_PKS6_NS0_5tupleIJSF_S6_EEENSJ_IJSG_SG_EEENS0_18inequality_wrapperINSA_8equal_toIfEEEEPmJS6_EEE10hipError_tPvRmT3_T4_T5_T6_T7_T9_mT8_P12ihipStream_tbDpT10_ENKUlT_T0_E_clISt17integral_constantIbLb0EES1A_EEDaS15_S16_EUlS15_E_NS1_11comp_targetILNS1_3genE5ELNS1_11target_archE942ELNS1_3gpuE9ELNS1_3repE0EEENS1_30default_config_static_selectorELNS0_4arch9wavefront6targetE1EEEvT1_.uses_vcc, 0
	.set _ZN7rocprim17ROCPRIM_400000_NS6detail17trampoline_kernelINS0_14default_configENS1_25partition_config_selectorILNS1_17partition_subalgoE8EfNS0_10empty_typeEbEEZZNS1_14partition_implILS5_8ELb0ES3_jN6thrust23THRUST_200600_302600_NS6detail15normal_iteratorINSA_10device_ptrIfEEEEPS6_PKS6_NS0_5tupleIJSF_S6_EEENSJ_IJSG_SG_EEENS0_18inequality_wrapperINSA_8equal_toIfEEEEPmJS6_EEE10hipError_tPvRmT3_T4_T5_T6_T7_T9_mT8_P12ihipStream_tbDpT10_ENKUlT_T0_E_clISt17integral_constantIbLb0EES1A_EEDaS15_S16_EUlS15_E_NS1_11comp_targetILNS1_3genE5ELNS1_11target_archE942ELNS1_3gpuE9ELNS1_3repE0EEENS1_30default_config_static_selectorELNS0_4arch9wavefront6targetE1EEEvT1_.uses_flat_scratch, 0
	.set _ZN7rocprim17ROCPRIM_400000_NS6detail17trampoline_kernelINS0_14default_configENS1_25partition_config_selectorILNS1_17partition_subalgoE8EfNS0_10empty_typeEbEEZZNS1_14partition_implILS5_8ELb0ES3_jN6thrust23THRUST_200600_302600_NS6detail15normal_iteratorINSA_10device_ptrIfEEEEPS6_PKS6_NS0_5tupleIJSF_S6_EEENSJ_IJSG_SG_EEENS0_18inequality_wrapperINSA_8equal_toIfEEEEPmJS6_EEE10hipError_tPvRmT3_T4_T5_T6_T7_T9_mT8_P12ihipStream_tbDpT10_ENKUlT_T0_E_clISt17integral_constantIbLb0EES1A_EEDaS15_S16_EUlS15_E_NS1_11comp_targetILNS1_3genE5ELNS1_11target_archE942ELNS1_3gpuE9ELNS1_3repE0EEENS1_30default_config_static_selectorELNS0_4arch9wavefront6targetE1EEEvT1_.has_dyn_sized_stack, 0
	.set _ZN7rocprim17ROCPRIM_400000_NS6detail17trampoline_kernelINS0_14default_configENS1_25partition_config_selectorILNS1_17partition_subalgoE8EfNS0_10empty_typeEbEEZZNS1_14partition_implILS5_8ELb0ES3_jN6thrust23THRUST_200600_302600_NS6detail15normal_iteratorINSA_10device_ptrIfEEEEPS6_PKS6_NS0_5tupleIJSF_S6_EEENSJ_IJSG_SG_EEENS0_18inequality_wrapperINSA_8equal_toIfEEEEPmJS6_EEE10hipError_tPvRmT3_T4_T5_T6_T7_T9_mT8_P12ihipStream_tbDpT10_ENKUlT_T0_E_clISt17integral_constantIbLb0EES1A_EEDaS15_S16_EUlS15_E_NS1_11comp_targetILNS1_3genE5ELNS1_11target_archE942ELNS1_3gpuE9ELNS1_3repE0EEENS1_30default_config_static_selectorELNS0_4arch9wavefront6targetE1EEEvT1_.has_recursion, 0
	.set _ZN7rocprim17ROCPRIM_400000_NS6detail17trampoline_kernelINS0_14default_configENS1_25partition_config_selectorILNS1_17partition_subalgoE8EfNS0_10empty_typeEbEEZZNS1_14partition_implILS5_8ELb0ES3_jN6thrust23THRUST_200600_302600_NS6detail15normal_iteratorINSA_10device_ptrIfEEEEPS6_PKS6_NS0_5tupleIJSF_S6_EEENSJ_IJSG_SG_EEENS0_18inequality_wrapperINSA_8equal_toIfEEEEPmJS6_EEE10hipError_tPvRmT3_T4_T5_T6_T7_T9_mT8_P12ihipStream_tbDpT10_ENKUlT_T0_E_clISt17integral_constantIbLb0EES1A_EEDaS15_S16_EUlS15_E_NS1_11comp_targetILNS1_3genE5ELNS1_11target_archE942ELNS1_3gpuE9ELNS1_3repE0EEENS1_30default_config_static_selectorELNS0_4arch9wavefront6targetE1EEEvT1_.has_indirect_call, 0
	.section	.AMDGPU.csdata,"",@progbits
; Kernel info:
; codeLenInByte = 0
; TotalNumSgprs: 4
; NumVgprs: 0
; ScratchSize: 0
; MemoryBound: 0
; FloatMode: 240
; IeeeMode: 1
; LDSByteSize: 0 bytes/workgroup (compile time only)
; SGPRBlocks: 0
; VGPRBlocks: 0
; NumSGPRsForWavesPerEU: 4
; NumVGPRsForWavesPerEU: 1
; Occupancy: 10
; WaveLimiterHint : 0
; COMPUTE_PGM_RSRC2:SCRATCH_EN: 0
; COMPUTE_PGM_RSRC2:USER_SGPR: 6
; COMPUTE_PGM_RSRC2:TRAP_HANDLER: 0
; COMPUTE_PGM_RSRC2:TGID_X_EN: 1
; COMPUTE_PGM_RSRC2:TGID_Y_EN: 0
; COMPUTE_PGM_RSRC2:TGID_Z_EN: 0
; COMPUTE_PGM_RSRC2:TIDIG_COMP_CNT: 0
	.section	.text._ZN7rocprim17ROCPRIM_400000_NS6detail17trampoline_kernelINS0_14default_configENS1_25partition_config_selectorILNS1_17partition_subalgoE8EfNS0_10empty_typeEbEEZZNS1_14partition_implILS5_8ELb0ES3_jN6thrust23THRUST_200600_302600_NS6detail15normal_iteratorINSA_10device_ptrIfEEEEPS6_PKS6_NS0_5tupleIJSF_S6_EEENSJ_IJSG_SG_EEENS0_18inequality_wrapperINSA_8equal_toIfEEEEPmJS6_EEE10hipError_tPvRmT3_T4_T5_T6_T7_T9_mT8_P12ihipStream_tbDpT10_ENKUlT_T0_E_clISt17integral_constantIbLb0EES1A_EEDaS15_S16_EUlS15_E_NS1_11comp_targetILNS1_3genE4ELNS1_11target_archE910ELNS1_3gpuE8ELNS1_3repE0EEENS1_30default_config_static_selectorELNS0_4arch9wavefront6targetE1EEEvT1_,"axG",@progbits,_ZN7rocprim17ROCPRIM_400000_NS6detail17trampoline_kernelINS0_14default_configENS1_25partition_config_selectorILNS1_17partition_subalgoE8EfNS0_10empty_typeEbEEZZNS1_14partition_implILS5_8ELb0ES3_jN6thrust23THRUST_200600_302600_NS6detail15normal_iteratorINSA_10device_ptrIfEEEEPS6_PKS6_NS0_5tupleIJSF_S6_EEENSJ_IJSG_SG_EEENS0_18inequality_wrapperINSA_8equal_toIfEEEEPmJS6_EEE10hipError_tPvRmT3_T4_T5_T6_T7_T9_mT8_P12ihipStream_tbDpT10_ENKUlT_T0_E_clISt17integral_constantIbLb0EES1A_EEDaS15_S16_EUlS15_E_NS1_11comp_targetILNS1_3genE4ELNS1_11target_archE910ELNS1_3gpuE8ELNS1_3repE0EEENS1_30default_config_static_selectorELNS0_4arch9wavefront6targetE1EEEvT1_,comdat
	.protected	_ZN7rocprim17ROCPRIM_400000_NS6detail17trampoline_kernelINS0_14default_configENS1_25partition_config_selectorILNS1_17partition_subalgoE8EfNS0_10empty_typeEbEEZZNS1_14partition_implILS5_8ELb0ES3_jN6thrust23THRUST_200600_302600_NS6detail15normal_iteratorINSA_10device_ptrIfEEEEPS6_PKS6_NS0_5tupleIJSF_S6_EEENSJ_IJSG_SG_EEENS0_18inequality_wrapperINSA_8equal_toIfEEEEPmJS6_EEE10hipError_tPvRmT3_T4_T5_T6_T7_T9_mT8_P12ihipStream_tbDpT10_ENKUlT_T0_E_clISt17integral_constantIbLb0EES1A_EEDaS15_S16_EUlS15_E_NS1_11comp_targetILNS1_3genE4ELNS1_11target_archE910ELNS1_3gpuE8ELNS1_3repE0EEENS1_30default_config_static_selectorELNS0_4arch9wavefront6targetE1EEEvT1_ ; -- Begin function _ZN7rocprim17ROCPRIM_400000_NS6detail17trampoline_kernelINS0_14default_configENS1_25partition_config_selectorILNS1_17partition_subalgoE8EfNS0_10empty_typeEbEEZZNS1_14partition_implILS5_8ELb0ES3_jN6thrust23THRUST_200600_302600_NS6detail15normal_iteratorINSA_10device_ptrIfEEEEPS6_PKS6_NS0_5tupleIJSF_S6_EEENSJ_IJSG_SG_EEENS0_18inequality_wrapperINSA_8equal_toIfEEEEPmJS6_EEE10hipError_tPvRmT3_T4_T5_T6_T7_T9_mT8_P12ihipStream_tbDpT10_ENKUlT_T0_E_clISt17integral_constantIbLb0EES1A_EEDaS15_S16_EUlS15_E_NS1_11comp_targetILNS1_3genE4ELNS1_11target_archE910ELNS1_3gpuE8ELNS1_3repE0EEENS1_30default_config_static_selectorELNS0_4arch9wavefront6targetE1EEEvT1_
	.globl	_ZN7rocprim17ROCPRIM_400000_NS6detail17trampoline_kernelINS0_14default_configENS1_25partition_config_selectorILNS1_17partition_subalgoE8EfNS0_10empty_typeEbEEZZNS1_14partition_implILS5_8ELb0ES3_jN6thrust23THRUST_200600_302600_NS6detail15normal_iteratorINSA_10device_ptrIfEEEEPS6_PKS6_NS0_5tupleIJSF_S6_EEENSJ_IJSG_SG_EEENS0_18inequality_wrapperINSA_8equal_toIfEEEEPmJS6_EEE10hipError_tPvRmT3_T4_T5_T6_T7_T9_mT8_P12ihipStream_tbDpT10_ENKUlT_T0_E_clISt17integral_constantIbLb0EES1A_EEDaS15_S16_EUlS15_E_NS1_11comp_targetILNS1_3genE4ELNS1_11target_archE910ELNS1_3gpuE8ELNS1_3repE0EEENS1_30default_config_static_selectorELNS0_4arch9wavefront6targetE1EEEvT1_
	.p2align	8
	.type	_ZN7rocprim17ROCPRIM_400000_NS6detail17trampoline_kernelINS0_14default_configENS1_25partition_config_selectorILNS1_17partition_subalgoE8EfNS0_10empty_typeEbEEZZNS1_14partition_implILS5_8ELb0ES3_jN6thrust23THRUST_200600_302600_NS6detail15normal_iteratorINSA_10device_ptrIfEEEEPS6_PKS6_NS0_5tupleIJSF_S6_EEENSJ_IJSG_SG_EEENS0_18inequality_wrapperINSA_8equal_toIfEEEEPmJS6_EEE10hipError_tPvRmT3_T4_T5_T6_T7_T9_mT8_P12ihipStream_tbDpT10_ENKUlT_T0_E_clISt17integral_constantIbLb0EES1A_EEDaS15_S16_EUlS15_E_NS1_11comp_targetILNS1_3genE4ELNS1_11target_archE910ELNS1_3gpuE8ELNS1_3repE0EEENS1_30default_config_static_selectorELNS0_4arch9wavefront6targetE1EEEvT1_,@function
_ZN7rocprim17ROCPRIM_400000_NS6detail17trampoline_kernelINS0_14default_configENS1_25partition_config_selectorILNS1_17partition_subalgoE8EfNS0_10empty_typeEbEEZZNS1_14partition_implILS5_8ELb0ES3_jN6thrust23THRUST_200600_302600_NS6detail15normal_iteratorINSA_10device_ptrIfEEEEPS6_PKS6_NS0_5tupleIJSF_S6_EEENSJ_IJSG_SG_EEENS0_18inequality_wrapperINSA_8equal_toIfEEEEPmJS6_EEE10hipError_tPvRmT3_T4_T5_T6_T7_T9_mT8_P12ihipStream_tbDpT10_ENKUlT_T0_E_clISt17integral_constantIbLb0EES1A_EEDaS15_S16_EUlS15_E_NS1_11comp_targetILNS1_3genE4ELNS1_11target_archE910ELNS1_3gpuE8ELNS1_3repE0EEENS1_30default_config_static_selectorELNS0_4arch9wavefront6targetE1EEEvT1_: ; @_ZN7rocprim17ROCPRIM_400000_NS6detail17trampoline_kernelINS0_14default_configENS1_25partition_config_selectorILNS1_17partition_subalgoE8EfNS0_10empty_typeEbEEZZNS1_14partition_implILS5_8ELb0ES3_jN6thrust23THRUST_200600_302600_NS6detail15normal_iteratorINSA_10device_ptrIfEEEEPS6_PKS6_NS0_5tupleIJSF_S6_EEENSJ_IJSG_SG_EEENS0_18inequality_wrapperINSA_8equal_toIfEEEEPmJS6_EEE10hipError_tPvRmT3_T4_T5_T6_T7_T9_mT8_P12ihipStream_tbDpT10_ENKUlT_T0_E_clISt17integral_constantIbLb0EES1A_EEDaS15_S16_EUlS15_E_NS1_11comp_targetILNS1_3genE4ELNS1_11target_archE910ELNS1_3gpuE8ELNS1_3repE0EEENS1_30default_config_static_selectorELNS0_4arch9wavefront6targetE1EEEvT1_
; %bb.0:
	.section	.rodata,"a",@progbits
	.p2align	6, 0x0
	.amdhsa_kernel _ZN7rocprim17ROCPRIM_400000_NS6detail17trampoline_kernelINS0_14default_configENS1_25partition_config_selectorILNS1_17partition_subalgoE8EfNS0_10empty_typeEbEEZZNS1_14partition_implILS5_8ELb0ES3_jN6thrust23THRUST_200600_302600_NS6detail15normal_iteratorINSA_10device_ptrIfEEEEPS6_PKS6_NS0_5tupleIJSF_S6_EEENSJ_IJSG_SG_EEENS0_18inequality_wrapperINSA_8equal_toIfEEEEPmJS6_EEE10hipError_tPvRmT3_T4_T5_T6_T7_T9_mT8_P12ihipStream_tbDpT10_ENKUlT_T0_E_clISt17integral_constantIbLb0EES1A_EEDaS15_S16_EUlS15_E_NS1_11comp_targetILNS1_3genE4ELNS1_11target_archE910ELNS1_3gpuE8ELNS1_3repE0EEENS1_30default_config_static_selectorELNS0_4arch9wavefront6targetE1EEEvT1_
		.amdhsa_group_segment_fixed_size 0
		.amdhsa_private_segment_fixed_size 0
		.amdhsa_kernarg_size 112
		.amdhsa_user_sgpr_count 6
		.amdhsa_user_sgpr_private_segment_buffer 1
		.amdhsa_user_sgpr_dispatch_ptr 0
		.amdhsa_user_sgpr_queue_ptr 0
		.amdhsa_user_sgpr_kernarg_segment_ptr 1
		.amdhsa_user_sgpr_dispatch_id 0
		.amdhsa_user_sgpr_flat_scratch_init 0
		.amdhsa_user_sgpr_private_segment_size 0
		.amdhsa_uses_dynamic_stack 0
		.amdhsa_system_sgpr_private_segment_wavefront_offset 0
		.amdhsa_system_sgpr_workgroup_id_x 1
		.amdhsa_system_sgpr_workgroup_id_y 0
		.amdhsa_system_sgpr_workgroup_id_z 0
		.amdhsa_system_sgpr_workgroup_info 0
		.amdhsa_system_vgpr_workitem_id 0
		.amdhsa_next_free_vgpr 1
		.amdhsa_next_free_sgpr 0
		.amdhsa_reserve_vcc 0
		.amdhsa_reserve_flat_scratch 0
		.amdhsa_float_round_mode_32 0
		.amdhsa_float_round_mode_16_64 0
		.amdhsa_float_denorm_mode_32 3
		.amdhsa_float_denorm_mode_16_64 3
		.amdhsa_dx10_clamp 1
		.amdhsa_ieee_mode 1
		.amdhsa_fp16_overflow 0
		.amdhsa_exception_fp_ieee_invalid_op 0
		.amdhsa_exception_fp_denorm_src 0
		.amdhsa_exception_fp_ieee_div_zero 0
		.amdhsa_exception_fp_ieee_overflow 0
		.amdhsa_exception_fp_ieee_underflow 0
		.amdhsa_exception_fp_ieee_inexact 0
		.amdhsa_exception_int_div_zero 0
	.end_amdhsa_kernel
	.section	.text._ZN7rocprim17ROCPRIM_400000_NS6detail17trampoline_kernelINS0_14default_configENS1_25partition_config_selectorILNS1_17partition_subalgoE8EfNS0_10empty_typeEbEEZZNS1_14partition_implILS5_8ELb0ES3_jN6thrust23THRUST_200600_302600_NS6detail15normal_iteratorINSA_10device_ptrIfEEEEPS6_PKS6_NS0_5tupleIJSF_S6_EEENSJ_IJSG_SG_EEENS0_18inequality_wrapperINSA_8equal_toIfEEEEPmJS6_EEE10hipError_tPvRmT3_T4_T5_T6_T7_T9_mT8_P12ihipStream_tbDpT10_ENKUlT_T0_E_clISt17integral_constantIbLb0EES1A_EEDaS15_S16_EUlS15_E_NS1_11comp_targetILNS1_3genE4ELNS1_11target_archE910ELNS1_3gpuE8ELNS1_3repE0EEENS1_30default_config_static_selectorELNS0_4arch9wavefront6targetE1EEEvT1_,"axG",@progbits,_ZN7rocprim17ROCPRIM_400000_NS6detail17trampoline_kernelINS0_14default_configENS1_25partition_config_selectorILNS1_17partition_subalgoE8EfNS0_10empty_typeEbEEZZNS1_14partition_implILS5_8ELb0ES3_jN6thrust23THRUST_200600_302600_NS6detail15normal_iteratorINSA_10device_ptrIfEEEEPS6_PKS6_NS0_5tupleIJSF_S6_EEENSJ_IJSG_SG_EEENS0_18inequality_wrapperINSA_8equal_toIfEEEEPmJS6_EEE10hipError_tPvRmT3_T4_T5_T6_T7_T9_mT8_P12ihipStream_tbDpT10_ENKUlT_T0_E_clISt17integral_constantIbLb0EES1A_EEDaS15_S16_EUlS15_E_NS1_11comp_targetILNS1_3genE4ELNS1_11target_archE910ELNS1_3gpuE8ELNS1_3repE0EEENS1_30default_config_static_selectorELNS0_4arch9wavefront6targetE1EEEvT1_,comdat
.Lfunc_end82:
	.size	_ZN7rocprim17ROCPRIM_400000_NS6detail17trampoline_kernelINS0_14default_configENS1_25partition_config_selectorILNS1_17partition_subalgoE8EfNS0_10empty_typeEbEEZZNS1_14partition_implILS5_8ELb0ES3_jN6thrust23THRUST_200600_302600_NS6detail15normal_iteratorINSA_10device_ptrIfEEEEPS6_PKS6_NS0_5tupleIJSF_S6_EEENSJ_IJSG_SG_EEENS0_18inequality_wrapperINSA_8equal_toIfEEEEPmJS6_EEE10hipError_tPvRmT3_T4_T5_T6_T7_T9_mT8_P12ihipStream_tbDpT10_ENKUlT_T0_E_clISt17integral_constantIbLb0EES1A_EEDaS15_S16_EUlS15_E_NS1_11comp_targetILNS1_3genE4ELNS1_11target_archE910ELNS1_3gpuE8ELNS1_3repE0EEENS1_30default_config_static_selectorELNS0_4arch9wavefront6targetE1EEEvT1_, .Lfunc_end82-_ZN7rocprim17ROCPRIM_400000_NS6detail17trampoline_kernelINS0_14default_configENS1_25partition_config_selectorILNS1_17partition_subalgoE8EfNS0_10empty_typeEbEEZZNS1_14partition_implILS5_8ELb0ES3_jN6thrust23THRUST_200600_302600_NS6detail15normal_iteratorINSA_10device_ptrIfEEEEPS6_PKS6_NS0_5tupleIJSF_S6_EEENSJ_IJSG_SG_EEENS0_18inequality_wrapperINSA_8equal_toIfEEEEPmJS6_EEE10hipError_tPvRmT3_T4_T5_T6_T7_T9_mT8_P12ihipStream_tbDpT10_ENKUlT_T0_E_clISt17integral_constantIbLb0EES1A_EEDaS15_S16_EUlS15_E_NS1_11comp_targetILNS1_3genE4ELNS1_11target_archE910ELNS1_3gpuE8ELNS1_3repE0EEENS1_30default_config_static_selectorELNS0_4arch9wavefront6targetE1EEEvT1_
                                        ; -- End function
	.set _ZN7rocprim17ROCPRIM_400000_NS6detail17trampoline_kernelINS0_14default_configENS1_25partition_config_selectorILNS1_17partition_subalgoE8EfNS0_10empty_typeEbEEZZNS1_14partition_implILS5_8ELb0ES3_jN6thrust23THRUST_200600_302600_NS6detail15normal_iteratorINSA_10device_ptrIfEEEEPS6_PKS6_NS0_5tupleIJSF_S6_EEENSJ_IJSG_SG_EEENS0_18inequality_wrapperINSA_8equal_toIfEEEEPmJS6_EEE10hipError_tPvRmT3_T4_T5_T6_T7_T9_mT8_P12ihipStream_tbDpT10_ENKUlT_T0_E_clISt17integral_constantIbLb0EES1A_EEDaS15_S16_EUlS15_E_NS1_11comp_targetILNS1_3genE4ELNS1_11target_archE910ELNS1_3gpuE8ELNS1_3repE0EEENS1_30default_config_static_selectorELNS0_4arch9wavefront6targetE1EEEvT1_.num_vgpr, 0
	.set _ZN7rocprim17ROCPRIM_400000_NS6detail17trampoline_kernelINS0_14default_configENS1_25partition_config_selectorILNS1_17partition_subalgoE8EfNS0_10empty_typeEbEEZZNS1_14partition_implILS5_8ELb0ES3_jN6thrust23THRUST_200600_302600_NS6detail15normal_iteratorINSA_10device_ptrIfEEEEPS6_PKS6_NS0_5tupleIJSF_S6_EEENSJ_IJSG_SG_EEENS0_18inequality_wrapperINSA_8equal_toIfEEEEPmJS6_EEE10hipError_tPvRmT3_T4_T5_T6_T7_T9_mT8_P12ihipStream_tbDpT10_ENKUlT_T0_E_clISt17integral_constantIbLb0EES1A_EEDaS15_S16_EUlS15_E_NS1_11comp_targetILNS1_3genE4ELNS1_11target_archE910ELNS1_3gpuE8ELNS1_3repE0EEENS1_30default_config_static_selectorELNS0_4arch9wavefront6targetE1EEEvT1_.num_agpr, 0
	.set _ZN7rocprim17ROCPRIM_400000_NS6detail17trampoline_kernelINS0_14default_configENS1_25partition_config_selectorILNS1_17partition_subalgoE8EfNS0_10empty_typeEbEEZZNS1_14partition_implILS5_8ELb0ES3_jN6thrust23THRUST_200600_302600_NS6detail15normal_iteratorINSA_10device_ptrIfEEEEPS6_PKS6_NS0_5tupleIJSF_S6_EEENSJ_IJSG_SG_EEENS0_18inequality_wrapperINSA_8equal_toIfEEEEPmJS6_EEE10hipError_tPvRmT3_T4_T5_T6_T7_T9_mT8_P12ihipStream_tbDpT10_ENKUlT_T0_E_clISt17integral_constantIbLb0EES1A_EEDaS15_S16_EUlS15_E_NS1_11comp_targetILNS1_3genE4ELNS1_11target_archE910ELNS1_3gpuE8ELNS1_3repE0EEENS1_30default_config_static_selectorELNS0_4arch9wavefront6targetE1EEEvT1_.numbered_sgpr, 0
	.set _ZN7rocprim17ROCPRIM_400000_NS6detail17trampoline_kernelINS0_14default_configENS1_25partition_config_selectorILNS1_17partition_subalgoE8EfNS0_10empty_typeEbEEZZNS1_14partition_implILS5_8ELb0ES3_jN6thrust23THRUST_200600_302600_NS6detail15normal_iteratorINSA_10device_ptrIfEEEEPS6_PKS6_NS0_5tupleIJSF_S6_EEENSJ_IJSG_SG_EEENS0_18inequality_wrapperINSA_8equal_toIfEEEEPmJS6_EEE10hipError_tPvRmT3_T4_T5_T6_T7_T9_mT8_P12ihipStream_tbDpT10_ENKUlT_T0_E_clISt17integral_constantIbLb0EES1A_EEDaS15_S16_EUlS15_E_NS1_11comp_targetILNS1_3genE4ELNS1_11target_archE910ELNS1_3gpuE8ELNS1_3repE0EEENS1_30default_config_static_selectorELNS0_4arch9wavefront6targetE1EEEvT1_.num_named_barrier, 0
	.set _ZN7rocprim17ROCPRIM_400000_NS6detail17trampoline_kernelINS0_14default_configENS1_25partition_config_selectorILNS1_17partition_subalgoE8EfNS0_10empty_typeEbEEZZNS1_14partition_implILS5_8ELb0ES3_jN6thrust23THRUST_200600_302600_NS6detail15normal_iteratorINSA_10device_ptrIfEEEEPS6_PKS6_NS0_5tupleIJSF_S6_EEENSJ_IJSG_SG_EEENS0_18inequality_wrapperINSA_8equal_toIfEEEEPmJS6_EEE10hipError_tPvRmT3_T4_T5_T6_T7_T9_mT8_P12ihipStream_tbDpT10_ENKUlT_T0_E_clISt17integral_constantIbLb0EES1A_EEDaS15_S16_EUlS15_E_NS1_11comp_targetILNS1_3genE4ELNS1_11target_archE910ELNS1_3gpuE8ELNS1_3repE0EEENS1_30default_config_static_selectorELNS0_4arch9wavefront6targetE1EEEvT1_.private_seg_size, 0
	.set _ZN7rocprim17ROCPRIM_400000_NS6detail17trampoline_kernelINS0_14default_configENS1_25partition_config_selectorILNS1_17partition_subalgoE8EfNS0_10empty_typeEbEEZZNS1_14partition_implILS5_8ELb0ES3_jN6thrust23THRUST_200600_302600_NS6detail15normal_iteratorINSA_10device_ptrIfEEEEPS6_PKS6_NS0_5tupleIJSF_S6_EEENSJ_IJSG_SG_EEENS0_18inequality_wrapperINSA_8equal_toIfEEEEPmJS6_EEE10hipError_tPvRmT3_T4_T5_T6_T7_T9_mT8_P12ihipStream_tbDpT10_ENKUlT_T0_E_clISt17integral_constantIbLb0EES1A_EEDaS15_S16_EUlS15_E_NS1_11comp_targetILNS1_3genE4ELNS1_11target_archE910ELNS1_3gpuE8ELNS1_3repE0EEENS1_30default_config_static_selectorELNS0_4arch9wavefront6targetE1EEEvT1_.uses_vcc, 0
	.set _ZN7rocprim17ROCPRIM_400000_NS6detail17trampoline_kernelINS0_14default_configENS1_25partition_config_selectorILNS1_17partition_subalgoE8EfNS0_10empty_typeEbEEZZNS1_14partition_implILS5_8ELb0ES3_jN6thrust23THRUST_200600_302600_NS6detail15normal_iteratorINSA_10device_ptrIfEEEEPS6_PKS6_NS0_5tupleIJSF_S6_EEENSJ_IJSG_SG_EEENS0_18inequality_wrapperINSA_8equal_toIfEEEEPmJS6_EEE10hipError_tPvRmT3_T4_T5_T6_T7_T9_mT8_P12ihipStream_tbDpT10_ENKUlT_T0_E_clISt17integral_constantIbLb0EES1A_EEDaS15_S16_EUlS15_E_NS1_11comp_targetILNS1_3genE4ELNS1_11target_archE910ELNS1_3gpuE8ELNS1_3repE0EEENS1_30default_config_static_selectorELNS0_4arch9wavefront6targetE1EEEvT1_.uses_flat_scratch, 0
	.set _ZN7rocprim17ROCPRIM_400000_NS6detail17trampoline_kernelINS0_14default_configENS1_25partition_config_selectorILNS1_17partition_subalgoE8EfNS0_10empty_typeEbEEZZNS1_14partition_implILS5_8ELb0ES3_jN6thrust23THRUST_200600_302600_NS6detail15normal_iteratorINSA_10device_ptrIfEEEEPS6_PKS6_NS0_5tupleIJSF_S6_EEENSJ_IJSG_SG_EEENS0_18inequality_wrapperINSA_8equal_toIfEEEEPmJS6_EEE10hipError_tPvRmT3_T4_T5_T6_T7_T9_mT8_P12ihipStream_tbDpT10_ENKUlT_T0_E_clISt17integral_constantIbLb0EES1A_EEDaS15_S16_EUlS15_E_NS1_11comp_targetILNS1_3genE4ELNS1_11target_archE910ELNS1_3gpuE8ELNS1_3repE0EEENS1_30default_config_static_selectorELNS0_4arch9wavefront6targetE1EEEvT1_.has_dyn_sized_stack, 0
	.set _ZN7rocprim17ROCPRIM_400000_NS6detail17trampoline_kernelINS0_14default_configENS1_25partition_config_selectorILNS1_17partition_subalgoE8EfNS0_10empty_typeEbEEZZNS1_14partition_implILS5_8ELb0ES3_jN6thrust23THRUST_200600_302600_NS6detail15normal_iteratorINSA_10device_ptrIfEEEEPS6_PKS6_NS0_5tupleIJSF_S6_EEENSJ_IJSG_SG_EEENS0_18inequality_wrapperINSA_8equal_toIfEEEEPmJS6_EEE10hipError_tPvRmT3_T4_T5_T6_T7_T9_mT8_P12ihipStream_tbDpT10_ENKUlT_T0_E_clISt17integral_constantIbLb0EES1A_EEDaS15_S16_EUlS15_E_NS1_11comp_targetILNS1_3genE4ELNS1_11target_archE910ELNS1_3gpuE8ELNS1_3repE0EEENS1_30default_config_static_selectorELNS0_4arch9wavefront6targetE1EEEvT1_.has_recursion, 0
	.set _ZN7rocprim17ROCPRIM_400000_NS6detail17trampoline_kernelINS0_14default_configENS1_25partition_config_selectorILNS1_17partition_subalgoE8EfNS0_10empty_typeEbEEZZNS1_14partition_implILS5_8ELb0ES3_jN6thrust23THRUST_200600_302600_NS6detail15normal_iteratorINSA_10device_ptrIfEEEEPS6_PKS6_NS0_5tupleIJSF_S6_EEENSJ_IJSG_SG_EEENS0_18inequality_wrapperINSA_8equal_toIfEEEEPmJS6_EEE10hipError_tPvRmT3_T4_T5_T6_T7_T9_mT8_P12ihipStream_tbDpT10_ENKUlT_T0_E_clISt17integral_constantIbLb0EES1A_EEDaS15_S16_EUlS15_E_NS1_11comp_targetILNS1_3genE4ELNS1_11target_archE910ELNS1_3gpuE8ELNS1_3repE0EEENS1_30default_config_static_selectorELNS0_4arch9wavefront6targetE1EEEvT1_.has_indirect_call, 0
	.section	.AMDGPU.csdata,"",@progbits
; Kernel info:
; codeLenInByte = 0
; TotalNumSgprs: 4
; NumVgprs: 0
; ScratchSize: 0
; MemoryBound: 0
; FloatMode: 240
; IeeeMode: 1
; LDSByteSize: 0 bytes/workgroup (compile time only)
; SGPRBlocks: 0
; VGPRBlocks: 0
; NumSGPRsForWavesPerEU: 4
; NumVGPRsForWavesPerEU: 1
; Occupancy: 10
; WaveLimiterHint : 0
; COMPUTE_PGM_RSRC2:SCRATCH_EN: 0
; COMPUTE_PGM_RSRC2:USER_SGPR: 6
; COMPUTE_PGM_RSRC2:TRAP_HANDLER: 0
; COMPUTE_PGM_RSRC2:TGID_X_EN: 1
; COMPUTE_PGM_RSRC2:TGID_Y_EN: 0
; COMPUTE_PGM_RSRC2:TGID_Z_EN: 0
; COMPUTE_PGM_RSRC2:TIDIG_COMP_CNT: 0
	.section	.text._ZN7rocprim17ROCPRIM_400000_NS6detail17trampoline_kernelINS0_14default_configENS1_25partition_config_selectorILNS1_17partition_subalgoE8EfNS0_10empty_typeEbEEZZNS1_14partition_implILS5_8ELb0ES3_jN6thrust23THRUST_200600_302600_NS6detail15normal_iteratorINSA_10device_ptrIfEEEEPS6_PKS6_NS0_5tupleIJSF_S6_EEENSJ_IJSG_SG_EEENS0_18inequality_wrapperINSA_8equal_toIfEEEEPmJS6_EEE10hipError_tPvRmT3_T4_T5_T6_T7_T9_mT8_P12ihipStream_tbDpT10_ENKUlT_T0_E_clISt17integral_constantIbLb0EES1A_EEDaS15_S16_EUlS15_E_NS1_11comp_targetILNS1_3genE3ELNS1_11target_archE908ELNS1_3gpuE7ELNS1_3repE0EEENS1_30default_config_static_selectorELNS0_4arch9wavefront6targetE1EEEvT1_,"axG",@progbits,_ZN7rocprim17ROCPRIM_400000_NS6detail17trampoline_kernelINS0_14default_configENS1_25partition_config_selectorILNS1_17partition_subalgoE8EfNS0_10empty_typeEbEEZZNS1_14partition_implILS5_8ELb0ES3_jN6thrust23THRUST_200600_302600_NS6detail15normal_iteratorINSA_10device_ptrIfEEEEPS6_PKS6_NS0_5tupleIJSF_S6_EEENSJ_IJSG_SG_EEENS0_18inequality_wrapperINSA_8equal_toIfEEEEPmJS6_EEE10hipError_tPvRmT3_T4_T5_T6_T7_T9_mT8_P12ihipStream_tbDpT10_ENKUlT_T0_E_clISt17integral_constantIbLb0EES1A_EEDaS15_S16_EUlS15_E_NS1_11comp_targetILNS1_3genE3ELNS1_11target_archE908ELNS1_3gpuE7ELNS1_3repE0EEENS1_30default_config_static_selectorELNS0_4arch9wavefront6targetE1EEEvT1_,comdat
	.protected	_ZN7rocprim17ROCPRIM_400000_NS6detail17trampoline_kernelINS0_14default_configENS1_25partition_config_selectorILNS1_17partition_subalgoE8EfNS0_10empty_typeEbEEZZNS1_14partition_implILS5_8ELb0ES3_jN6thrust23THRUST_200600_302600_NS6detail15normal_iteratorINSA_10device_ptrIfEEEEPS6_PKS6_NS0_5tupleIJSF_S6_EEENSJ_IJSG_SG_EEENS0_18inequality_wrapperINSA_8equal_toIfEEEEPmJS6_EEE10hipError_tPvRmT3_T4_T5_T6_T7_T9_mT8_P12ihipStream_tbDpT10_ENKUlT_T0_E_clISt17integral_constantIbLb0EES1A_EEDaS15_S16_EUlS15_E_NS1_11comp_targetILNS1_3genE3ELNS1_11target_archE908ELNS1_3gpuE7ELNS1_3repE0EEENS1_30default_config_static_selectorELNS0_4arch9wavefront6targetE1EEEvT1_ ; -- Begin function _ZN7rocprim17ROCPRIM_400000_NS6detail17trampoline_kernelINS0_14default_configENS1_25partition_config_selectorILNS1_17partition_subalgoE8EfNS0_10empty_typeEbEEZZNS1_14partition_implILS5_8ELb0ES3_jN6thrust23THRUST_200600_302600_NS6detail15normal_iteratorINSA_10device_ptrIfEEEEPS6_PKS6_NS0_5tupleIJSF_S6_EEENSJ_IJSG_SG_EEENS0_18inequality_wrapperINSA_8equal_toIfEEEEPmJS6_EEE10hipError_tPvRmT3_T4_T5_T6_T7_T9_mT8_P12ihipStream_tbDpT10_ENKUlT_T0_E_clISt17integral_constantIbLb0EES1A_EEDaS15_S16_EUlS15_E_NS1_11comp_targetILNS1_3genE3ELNS1_11target_archE908ELNS1_3gpuE7ELNS1_3repE0EEENS1_30default_config_static_selectorELNS0_4arch9wavefront6targetE1EEEvT1_
	.globl	_ZN7rocprim17ROCPRIM_400000_NS6detail17trampoline_kernelINS0_14default_configENS1_25partition_config_selectorILNS1_17partition_subalgoE8EfNS0_10empty_typeEbEEZZNS1_14partition_implILS5_8ELb0ES3_jN6thrust23THRUST_200600_302600_NS6detail15normal_iteratorINSA_10device_ptrIfEEEEPS6_PKS6_NS0_5tupleIJSF_S6_EEENSJ_IJSG_SG_EEENS0_18inequality_wrapperINSA_8equal_toIfEEEEPmJS6_EEE10hipError_tPvRmT3_T4_T5_T6_T7_T9_mT8_P12ihipStream_tbDpT10_ENKUlT_T0_E_clISt17integral_constantIbLb0EES1A_EEDaS15_S16_EUlS15_E_NS1_11comp_targetILNS1_3genE3ELNS1_11target_archE908ELNS1_3gpuE7ELNS1_3repE0EEENS1_30default_config_static_selectorELNS0_4arch9wavefront6targetE1EEEvT1_
	.p2align	8
	.type	_ZN7rocprim17ROCPRIM_400000_NS6detail17trampoline_kernelINS0_14default_configENS1_25partition_config_selectorILNS1_17partition_subalgoE8EfNS0_10empty_typeEbEEZZNS1_14partition_implILS5_8ELb0ES3_jN6thrust23THRUST_200600_302600_NS6detail15normal_iteratorINSA_10device_ptrIfEEEEPS6_PKS6_NS0_5tupleIJSF_S6_EEENSJ_IJSG_SG_EEENS0_18inequality_wrapperINSA_8equal_toIfEEEEPmJS6_EEE10hipError_tPvRmT3_T4_T5_T6_T7_T9_mT8_P12ihipStream_tbDpT10_ENKUlT_T0_E_clISt17integral_constantIbLb0EES1A_EEDaS15_S16_EUlS15_E_NS1_11comp_targetILNS1_3genE3ELNS1_11target_archE908ELNS1_3gpuE7ELNS1_3repE0EEENS1_30default_config_static_selectorELNS0_4arch9wavefront6targetE1EEEvT1_,@function
_ZN7rocprim17ROCPRIM_400000_NS6detail17trampoline_kernelINS0_14default_configENS1_25partition_config_selectorILNS1_17partition_subalgoE8EfNS0_10empty_typeEbEEZZNS1_14partition_implILS5_8ELb0ES3_jN6thrust23THRUST_200600_302600_NS6detail15normal_iteratorINSA_10device_ptrIfEEEEPS6_PKS6_NS0_5tupleIJSF_S6_EEENSJ_IJSG_SG_EEENS0_18inequality_wrapperINSA_8equal_toIfEEEEPmJS6_EEE10hipError_tPvRmT3_T4_T5_T6_T7_T9_mT8_P12ihipStream_tbDpT10_ENKUlT_T0_E_clISt17integral_constantIbLb0EES1A_EEDaS15_S16_EUlS15_E_NS1_11comp_targetILNS1_3genE3ELNS1_11target_archE908ELNS1_3gpuE7ELNS1_3repE0EEENS1_30default_config_static_selectorELNS0_4arch9wavefront6targetE1EEEvT1_: ; @_ZN7rocprim17ROCPRIM_400000_NS6detail17trampoline_kernelINS0_14default_configENS1_25partition_config_selectorILNS1_17partition_subalgoE8EfNS0_10empty_typeEbEEZZNS1_14partition_implILS5_8ELb0ES3_jN6thrust23THRUST_200600_302600_NS6detail15normal_iteratorINSA_10device_ptrIfEEEEPS6_PKS6_NS0_5tupleIJSF_S6_EEENSJ_IJSG_SG_EEENS0_18inequality_wrapperINSA_8equal_toIfEEEEPmJS6_EEE10hipError_tPvRmT3_T4_T5_T6_T7_T9_mT8_P12ihipStream_tbDpT10_ENKUlT_T0_E_clISt17integral_constantIbLb0EES1A_EEDaS15_S16_EUlS15_E_NS1_11comp_targetILNS1_3genE3ELNS1_11target_archE908ELNS1_3gpuE7ELNS1_3repE0EEENS1_30default_config_static_selectorELNS0_4arch9wavefront6targetE1EEEvT1_
; %bb.0:
	.section	.rodata,"a",@progbits
	.p2align	6, 0x0
	.amdhsa_kernel _ZN7rocprim17ROCPRIM_400000_NS6detail17trampoline_kernelINS0_14default_configENS1_25partition_config_selectorILNS1_17partition_subalgoE8EfNS0_10empty_typeEbEEZZNS1_14partition_implILS5_8ELb0ES3_jN6thrust23THRUST_200600_302600_NS6detail15normal_iteratorINSA_10device_ptrIfEEEEPS6_PKS6_NS0_5tupleIJSF_S6_EEENSJ_IJSG_SG_EEENS0_18inequality_wrapperINSA_8equal_toIfEEEEPmJS6_EEE10hipError_tPvRmT3_T4_T5_T6_T7_T9_mT8_P12ihipStream_tbDpT10_ENKUlT_T0_E_clISt17integral_constantIbLb0EES1A_EEDaS15_S16_EUlS15_E_NS1_11comp_targetILNS1_3genE3ELNS1_11target_archE908ELNS1_3gpuE7ELNS1_3repE0EEENS1_30default_config_static_selectorELNS0_4arch9wavefront6targetE1EEEvT1_
		.amdhsa_group_segment_fixed_size 0
		.amdhsa_private_segment_fixed_size 0
		.amdhsa_kernarg_size 112
		.amdhsa_user_sgpr_count 6
		.amdhsa_user_sgpr_private_segment_buffer 1
		.amdhsa_user_sgpr_dispatch_ptr 0
		.amdhsa_user_sgpr_queue_ptr 0
		.amdhsa_user_sgpr_kernarg_segment_ptr 1
		.amdhsa_user_sgpr_dispatch_id 0
		.amdhsa_user_sgpr_flat_scratch_init 0
		.amdhsa_user_sgpr_private_segment_size 0
		.amdhsa_uses_dynamic_stack 0
		.amdhsa_system_sgpr_private_segment_wavefront_offset 0
		.amdhsa_system_sgpr_workgroup_id_x 1
		.amdhsa_system_sgpr_workgroup_id_y 0
		.amdhsa_system_sgpr_workgroup_id_z 0
		.amdhsa_system_sgpr_workgroup_info 0
		.amdhsa_system_vgpr_workitem_id 0
		.amdhsa_next_free_vgpr 1
		.amdhsa_next_free_sgpr 0
		.amdhsa_reserve_vcc 0
		.amdhsa_reserve_flat_scratch 0
		.amdhsa_float_round_mode_32 0
		.amdhsa_float_round_mode_16_64 0
		.amdhsa_float_denorm_mode_32 3
		.amdhsa_float_denorm_mode_16_64 3
		.amdhsa_dx10_clamp 1
		.amdhsa_ieee_mode 1
		.amdhsa_fp16_overflow 0
		.amdhsa_exception_fp_ieee_invalid_op 0
		.amdhsa_exception_fp_denorm_src 0
		.amdhsa_exception_fp_ieee_div_zero 0
		.amdhsa_exception_fp_ieee_overflow 0
		.amdhsa_exception_fp_ieee_underflow 0
		.amdhsa_exception_fp_ieee_inexact 0
		.amdhsa_exception_int_div_zero 0
	.end_amdhsa_kernel
	.section	.text._ZN7rocprim17ROCPRIM_400000_NS6detail17trampoline_kernelINS0_14default_configENS1_25partition_config_selectorILNS1_17partition_subalgoE8EfNS0_10empty_typeEbEEZZNS1_14partition_implILS5_8ELb0ES3_jN6thrust23THRUST_200600_302600_NS6detail15normal_iteratorINSA_10device_ptrIfEEEEPS6_PKS6_NS0_5tupleIJSF_S6_EEENSJ_IJSG_SG_EEENS0_18inequality_wrapperINSA_8equal_toIfEEEEPmJS6_EEE10hipError_tPvRmT3_T4_T5_T6_T7_T9_mT8_P12ihipStream_tbDpT10_ENKUlT_T0_E_clISt17integral_constantIbLb0EES1A_EEDaS15_S16_EUlS15_E_NS1_11comp_targetILNS1_3genE3ELNS1_11target_archE908ELNS1_3gpuE7ELNS1_3repE0EEENS1_30default_config_static_selectorELNS0_4arch9wavefront6targetE1EEEvT1_,"axG",@progbits,_ZN7rocprim17ROCPRIM_400000_NS6detail17trampoline_kernelINS0_14default_configENS1_25partition_config_selectorILNS1_17partition_subalgoE8EfNS0_10empty_typeEbEEZZNS1_14partition_implILS5_8ELb0ES3_jN6thrust23THRUST_200600_302600_NS6detail15normal_iteratorINSA_10device_ptrIfEEEEPS6_PKS6_NS0_5tupleIJSF_S6_EEENSJ_IJSG_SG_EEENS0_18inequality_wrapperINSA_8equal_toIfEEEEPmJS6_EEE10hipError_tPvRmT3_T4_T5_T6_T7_T9_mT8_P12ihipStream_tbDpT10_ENKUlT_T0_E_clISt17integral_constantIbLb0EES1A_EEDaS15_S16_EUlS15_E_NS1_11comp_targetILNS1_3genE3ELNS1_11target_archE908ELNS1_3gpuE7ELNS1_3repE0EEENS1_30default_config_static_selectorELNS0_4arch9wavefront6targetE1EEEvT1_,comdat
.Lfunc_end83:
	.size	_ZN7rocprim17ROCPRIM_400000_NS6detail17trampoline_kernelINS0_14default_configENS1_25partition_config_selectorILNS1_17partition_subalgoE8EfNS0_10empty_typeEbEEZZNS1_14partition_implILS5_8ELb0ES3_jN6thrust23THRUST_200600_302600_NS6detail15normal_iteratorINSA_10device_ptrIfEEEEPS6_PKS6_NS0_5tupleIJSF_S6_EEENSJ_IJSG_SG_EEENS0_18inequality_wrapperINSA_8equal_toIfEEEEPmJS6_EEE10hipError_tPvRmT3_T4_T5_T6_T7_T9_mT8_P12ihipStream_tbDpT10_ENKUlT_T0_E_clISt17integral_constantIbLb0EES1A_EEDaS15_S16_EUlS15_E_NS1_11comp_targetILNS1_3genE3ELNS1_11target_archE908ELNS1_3gpuE7ELNS1_3repE0EEENS1_30default_config_static_selectorELNS0_4arch9wavefront6targetE1EEEvT1_, .Lfunc_end83-_ZN7rocprim17ROCPRIM_400000_NS6detail17trampoline_kernelINS0_14default_configENS1_25partition_config_selectorILNS1_17partition_subalgoE8EfNS0_10empty_typeEbEEZZNS1_14partition_implILS5_8ELb0ES3_jN6thrust23THRUST_200600_302600_NS6detail15normal_iteratorINSA_10device_ptrIfEEEEPS6_PKS6_NS0_5tupleIJSF_S6_EEENSJ_IJSG_SG_EEENS0_18inequality_wrapperINSA_8equal_toIfEEEEPmJS6_EEE10hipError_tPvRmT3_T4_T5_T6_T7_T9_mT8_P12ihipStream_tbDpT10_ENKUlT_T0_E_clISt17integral_constantIbLb0EES1A_EEDaS15_S16_EUlS15_E_NS1_11comp_targetILNS1_3genE3ELNS1_11target_archE908ELNS1_3gpuE7ELNS1_3repE0EEENS1_30default_config_static_selectorELNS0_4arch9wavefront6targetE1EEEvT1_
                                        ; -- End function
	.set _ZN7rocprim17ROCPRIM_400000_NS6detail17trampoline_kernelINS0_14default_configENS1_25partition_config_selectorILNS1_17partition_subalgoE8EfNS0_10empty_typeEbEEZZNS1_14partition_implILS5_8ELb0ES3_jN6thrust23THRUST_200600_302600_NS6detail15normal_iteratorINSA_10device_ptrIfEEEEPS6_PKS6_NS0_5tupleIJSF_S6_EEENSJ_IJSG_SG_EEENS0_18inequality_wrapperINSA_8equal_toIfEEEEPmJS6_EEE10hipError_tPvRmT3_T4_T5_T6_T7_T9_mT8_P12ihipStream_tbDpT10_ENKUlT_T0_E_clISt17integral_constantIbLb0EES1A_EEDaS15_S16_EUlS15_E_NS1_11comp_targetILNS1_3genE3ELNS1_11target_archE908ELNS1_3gpuE7ELNS1_3repE0EEENS1_30default_config_static_selectorELNS0_4arch9wavefront6targetE1EEEvT1_.num_vgpr, 0
	.set _ZN7rocprim17ROCPRIM_400000_NS6detail17trampoline_kernelINS0_14default_configENS1_25partition_config_selectorILNS1_17partition_subalgoE8EfNS0_10empty_typeEbEEZZNS1_14partition_implILS5_8ELb0ES3_jN6thrust23THRUST_200600_302600_NS6detail15normal_iteratorINSA_10device_ptrIfEEEEPS6_PKS6_NS0_5tupleIJSF_S6_EEENSJ_IJSG_SG_EEENS0_18inequality_wrapperINSA_8equal_toIfEEEEPmJS6_EEE10hipError_tPvRmT3_T4_T5_T6_T7_T9_mT8_P12ihipStream_tbDpT10_ENKUlT_T0_E_clISt17integral_constantIbLb0EES1A_EEDaS15_S16_EUlS15_E_NS1_11comp_targetILNS1_3genE3ELNS1_11target_archE908ELNS1_3gpuE7ELNS1_3repE0EEENS1_30default_config_static_selectorELNS0_4arch9wavefront6targetE1EEEvT1_.num_agpr, 0
	.set _ZN7rocprim17ROCPRIM_400000_NS6detail17trampoline_kernelINS0_14default_configENS1_25partition_config_selectorILNS1_17partition_subalgoE8EfNS0_10empty_typeEbEEZZNS1_14partition_implILS5_8ELb0ES3_jN6thrust23THRUST_200600_302600_NS6detail15normal_iteratorINSA_10device_ptrIfEEEEPS6_PKS6_NS0_5tupleIJSF_S6_EEENSJ_IJSG_SG_EEENS0_18inequality_wrapperINSA_8equal_toIfEEEEPmJS6_EEE10hipError_tPvRmT3_T4_T5_T6_T7_T9_mT8_P12ihipStream_tbDpT10_ENKUlT_T0_E_clISt17integral_constantIbLb0EES1A_EEDaS15_S16_EUlS15_E_NS1_11comp_targetILNS1_3genE3ELNS1_11target_archE908ELNS1_3gpuE7ELNS1_3repE0EEENS1_30default_config_static_selectorELNS0_4arch9wavefront6targetE1EEEvT1_.numbered_sgpr, 0
	.set _ZN7rocprim17ROCPRIM_400000_NS6detail17trampoline_kernelINS0_14default_configENS1_25partition_config_selectorILNS1_17partition_subalgoE8EfNS0_10empty_typeEbEEZZNS1_14partition_implILS5_8ELb0ES3_jN6thrust23THRUST_200600_302600_NS6detail15normal_iteratorINSA_10device_ptrIfEEEEPS6_PKS6_NS0_5tupleIJSF_S6_EEENSJ_IJSG_SG_EEENS0_18inequality_wrapperINSA_8equal_toIfEEEEPmJS6_EEE10hipError_tPvRmT3_T4_T5_T6_T7_T9_mT8_P12ihipStream_tbDpT10_ENKUlT_T0_E_clISt17integral_constantIbLb0EES1A_EEDaS15_S16_EUlS15_E_NS1_11comp_targetILNS1_3genE3ELNS1_11target_archE908ELNS1_3gpuE7ELNS1_3repE0EEENS1_30default_config_static_selectorELNS0_4arch9wavefront6targetE1EEEvT1_.num_named_barrier, 0
	.set _ZN7rocprim17ROCPRIM_400000_NS6detail17trampoline_kernelINS0_14default_configENS1_25partition_config_selectorILNS1_17partition_subalgoE8EfNS0_10empty_typeEbEEZZNS1_14partition_implILS5_8ELb0ES3_jN6thrust23THRUST_200600_302600_NS6detail15normal_iteratorINSA_10device_ptrIfEEEEPS6_PKS6_NS0_5tupleIJSF_S6_EEENSJ_IJSG_SG_EEENS0_18inequality_wrapperINSA_8equal_toIfEEEEPmJS6_EEE10hipError_tPvRmT3_T4_T5_T6_T7_T9_mT8_P12ihipStream_tbDpT10_ENKUlT_T0_E_clISt17integral_constantIbLb0EES1A_EEDaS15_S16_EUlS15_E_NS1_11comp_targetILNS1_3genE3ELNS1_11target_archE908ELNS1_3gpuE7ELNS1_3repE0EEENS1_30default_config_static_selectorELNS0_4arch9wavefront6targetE1EEEvT1_.private_seg_size, 0
	.set _ZN7rocprim17ROCPRIM_400000_NS6detail17trampoline_kernelINS0_14default_configENS1_25partition_config_selectorILNS1_17partition_subalgoE8EfNS0_10empty_typeEbEEZZNS1_14partition_implILS5_8ELb0ES3_jN6thrust23THRUST_200600_302600_NS6detail15normal_iteratorINSA_10device_ptrIfEEEEPS6_PKS6_NS0_5tupleIJSF_S6_EEENSJ_IJSG_SG_EEENS0_18inequality_wrapperINSA_8equal_toIfEEEEPmJS6_EEE10hipError_tPvRmT3_T4_T5_T6_T7_T9_mT8_P12ihipStream_tbDpT10_ENKUlT_T0_E_clISt17integral_constantIbLb0EES1A_EEDaS15_S16_EUlS15_E_NS1_11comp_targetILNS1_3genE3ELNS1_11target_archE908ELNS1_3gpuE7ELNS1_3repE0EEENS1_30default_config_static_selectorELNS0_4arch9wavefront6targetE1EEEvT1_.uses_vcc, 0
	.set _ZN7rocprim17ROCPRIM_400000_NS6detail17trampoline_kernelINS0_14default_configENS1_25partition_config_selectorILNS1_17partition_subalgoE8EfNS0_10empty_typeEbEEZZNS1_14partition_implILS5_8ELb0ES3_jN6thrust23THRUST_200600_302600_NS6detail15normal_iteratorINSA_10device_ptrIfEEEEPS6_PKS6_NS0_5tupleIJSF_S6_EEENSJ_IJSG_SG_EEENS0_18inequality_wrapperINSA_8equal_toIfEEEEPmJS6_EEE10hipError_tPvRmT3_T4_T5_T6_T7_T9_mT8_P12ihipStream_tbDpT10_ENKUlT_T0_E_clISt17integral_constantIbLb0EES1A_EEDaS15_S16_EUlS15_E_NS1_11comp_targetILNS1_3genE3ELNS1_11target_archE908ELNS1_3gpuE7ELNS1_3repE0EEENS1_30default_config_static_selectorELNS0_4arch9wavefront6targetE1EEEvT1_.uses_flat_scratch, 0
	.set _ZN7rocprim17ROCPRIM_400000_NS6detail17trampoline_kernelINS0_14default_configENS1_25partition_config_selectorILNS1_17partition_subalgoE8EfNS0_10empty_typeEbEEZZNS1_14partition_implILS5_8ELb0ES3_jN6thrust23THRUST_200600_302600_NS6detail15normal_iteratorINSA_10device_ptrIfEEEEPS6_PKS6_NS0_5tupleIJSF_S6_EEENSJ_IJSG_SG_EEENS0_18inequality_wrapperINSA_8equal_toIfEEEEPmJS6_EEE10hipError_tPvRmT3_T4_T5_T6_T7_T9_mT8_P12ihipStream_tbDpT10_ENKUlT_T0_E_clISt17integral_constantIbLb0EES1A_EEDaS15_S16_EUlS15_E_NS1_11comp_targetILNS1_3genE3ELNS1_11target_archE908ELNS1_3gpuE7ELNS1_3repE0EEENS1_30default_config_static_selectorELNS0_4arch9wavefront6targetE1EEEvT1_.has_dyn_sized_stack, 0
	.set _ZN7rocprim17ROCPRIM_400000_NS6detail17trampoline_kernelINS0_14default_configENS1_25partition_config_selectorILNS1_17partition_subalgoE8EfNS0_10empty_typeEbEEZZNS1_14partition_implILS5_8ELb0ES3_jN6thrust23THRUST_200600_302600_NS6detail15normal_iteratorINSA_10device_ptrIfEEEEPS6_PKS6_NS0_5tupleIJSF_S6_EEENSJ_IJSG_SG_EEENS0_18inequality_wrapperINSA_8equal_toIfEEEEPmJS6_EEE10hipError_tPvRmT3_T4_T5_T6_T7_T9_mT8_P12ihipStream_tbDpT10_ENKUlT_T0_E_clISt17integral_constantIbLb0EES1A_EEDaS15_S16_EUlS15_E_NS1_11comp_targetILNS1_3genE3ELNS1_11target_archE908ELNS1_3gpuE7ELNS1_3repE0EEENS1_30default_config_static_selectorELNS0_4arch9wavefront6targetE1EEEvT1_.has_recursion, 0
	.set _ZN7rocprim17ROCPRIM_400000_NS6detail17trampoline_kernelINS0_14default_configENS1_25partition_config_selectorILNS1_17partition_subalgoE8EfNS0_10empty_typeEbEEZZNS1_14partition_implILS5_8ELb0ES3_jN6thrust23THRUST_200600_302600_NS6detail15normal_iteratorINSA_10device_ptrIfEEEEPS6_PKS6_NS0_5tupleIJSF_S6_EEENSJ_IJSG_SG_EEENS0_18inequality_wrapperINSA_8equal_toIfEEEEPmJS6_EEE10hipError_tPvRmT3_T4_T5_T6_T7_T9_mT8_P12ihipStream_tbDpT10_ENKUlT_T0_E_clISt17integral_constantIbLb0EES1A_EEDaS15_S16_EUlS15_E_NS1_11comp_targetILNS1_3genE3ELNS1_11target_archE908ELNS1_3gpuE7ELNS1_3repE0EEENS1_30default_config_static_selectorELNS0_4arch9wavefront6targetE1EEEvT1_.has_indirect_call, 0
	.section	.AMDGPU.csdata,"",@progbits
; Kernel info:
; codeLenInByte = 0
; TotalNumSgprs: 4
; NumVgprs: 0
; ScratchSize: 0
; MemoryBound: 0
; FloatMode: 240
; IeeeMode: 1
; LDSByteSize: 0 bytes/workgroup (compile time only)
; SGPRBlocks: 0
; VGPRBlocks: 0
; NumSGPRsForWavesPerEU: 4
; NumVGPRsForWavesPerEU: 1
; Occupancy: 10
; WaveLimiterHint : 0
; COMPUTE_PGM_RSRC2:SCRATCH_EN: 0
; COMPUTE_PGM_RSRC2:USER_SGPR: 6
; COMPUTE_PGM_RSRC2:TRAP_HANDLER: 0
; COMPUTE_PGM_RSRC2:TGID_X_EN: 1
; COMPUTE_PGM_RSRC2:TGID_Y_EN: 0
; COMPUTE_PGM_RSRC2:TGID_Z_EN: 0
; COMPUTE_PGM_RSRC2:TIDIG_COMP_CNT: 0
	.section	.text._ZN7rocprim17ROCPRIM_400000_NS6detail17trampoline_kernelINS0_14default_configENS1_25partition_config_selectorILNS1_17partition_subalgoE8EfNS0_10empty_typeEbEEZZNS1_14partition_implILS5_8ELb0ES3_jN6thrust23THRUST_200600_302600_NS6detail15normal_iteratorINSA_10device_ptrIfEEEEPS6_PKS6_NS0_5tupleIJSF_S6_EEENSJ_IJSG_SG_EEENS0_18inequality_wrapperINSA_8equal_toIfEEEEPmJS6_EEE10hipError_tPvRmT3_T4_T5_T6_T7_T9_mT8_P12ihipStream_tbDpT10_ENKUlT_T0_E_clISt17integral_constantIbLb0EES1A_EEDaS15_S16_EUlS15_E_NS1_11comp_targetILNS1_3genE2ELNS1_11target_archE906ELNS1_3gpuE6ELNS1_3repE0EEENS1_30default_config_static_selectorELNS0_4arch9wavefront6targetE1EEEvT1_,"axG",@progbits,_ZN7rocprim17ROCPRIM_400000_NS6detail17trampoline_kernelINS0_14default_configENS1_25partition_config_selectorILNS1_17partition_subalgoE8EfNS0_10empty_typeEbEEZZNS1_14partition_implILS5_8ELb0ES3_jN6thrust23THRUST_200600_302600_NS6detail15normal_iteratorINSA_10device_ptrIfEEEEPS6_PKS6_NS0_5tupleIJSF_S6_EEENSJ_IJSG_SG_EEENS0_18inequality_wrapperINSA_8equal_toIfEEEEPmJS6_EEE10hipError_tPvRmT3_T4_T5_T6_T7_T9_mT8_P12ihipStream_tbDpT10_ENKUlT_T0_E_clISt17integral_constantIbLb0EES1A_EEDaS15_S16_EUlS15_E_NS1_11comp_targetILNS1_3genE2ELNS1_11target_archE906ELNS1_3gpuE6ELNS1_3repE0EEENS1_30default_config_static_selectorELNS0_4arch9wavefront6targetE1EEEvT1_,comdat
	.protected	_ZN7rocprim17ROCPRIM_400000_NS6detail17trampoline_kernelINS0_14default_configENS1_25partition_config_selectorILNS1_17partition_subalgoE8EfNS0_10empty_typeEbEEZZNS1_14partition_implILS5_8ELb0ES3_jN6thrust23THRUST_200600_302600_NS6detail15normal_iteratorINSA_10device_ptrIfEEEEPS6_PKS6_NS0_5tupleIJSF_S6_EEENSJ_IJSG_SG_EEENS0_18inequality_wrapperINSA_8equal_toIfEEEEPmJS6_EEE10hipError_tPvRmT3_T4_T5_T6_T7_T9_mT8_P12ihipStream_tbDpT10_ENKUlT_T0_E_clISt17integral_constantIbLb0EES1A_EEDaS15_S16_EUlS15_E_NS1_11comp_targetILNS1_3genE2ELNS1_11target_archE906ELNS1_3gpuE6ELNS1_3repE0EEENS1_30default_config_static_selectorELNS0_4arch9wavefront6targetE1EEEvT1_ ; -- Begin function _ZN7rocprim17ROCPRIM_400000_NS6detail17trampoline_kernelINS0_14default_configENS1_25partition_config_selectorILNS1_17partition_subalgoE8EfNS0_10empty_typeEbEEZZNS1_14partition_implILS5_8ELb0ES3_jN6thrust23THRUST_200600_302600_NS6detail15normal_iteratorINSA_10device_ptrIfEEEEPS6_PKS6_NS0_5tupleIJSF_S6_EEENSJ_IJSG_SG_EEENS0_18inequality_wrapperINSA_8equal_toIfEEEEPmJS6_EEE10hipError_tPvRmT3_T4_T5_T6_T7_T9_mT8_P12ihipStream_tbDpT10_ENKUlT_T0_E_clISt17integral_constantIbLb0EES1A_EEDaS15_S16_EUlS15_E_NS1_11comp_targetILNS1_3genE2ELNS1_11target_archE906ELNS1_3gpuE6ELNS1_3repE0EEENS1_30default_config_static_selectorELNS0_4arch9wavefront6targetE1EEEvT1_
	.globl	_ZN7rocprim17ROCPRIM_400000_NS6detail17trampoline_kernelINS0_14default_configENS1_25partition_config_selectorILNS1_17partition_subalgoE8EfNS0_10empty_typeEbEEZZNS1_14partition_implILS5_8ELb0ES3_jN6thrust23THRUST_200600_302600_NS6detail15normal_iteratorINSA_10device_ptrIfEEEEPS6_PKS6_NS0_5tupleIJSF_S6_EEENSJ_IJSG_SG_EEENS0_18inequality_wrapperINSA_8equal_toIfEEEEPmJS6_EEE10hipError_tPvRmT3_T4_T5_T6_T7_T9_mT8_P12ihipStream_tbDpT10_ENKUlT_T0_E_clISt17integral_constantIbLb0EES1A_EEDaS15_S16_EUlS15_E_NS1_11comp_targetILNS1_3genE2ELNS1_11target_archE906ELNS1_3gpuE6ELNS1_3repE0EEENS1_30default_config_static_selectorELNS0_4arch9wavefront6targetE1EEEvT1_
	.p2align	8
	.type	_ZN7rocprim17ROCPRIM_400000_NS6detail17trampoline_kernelINS0_14default_configENS1_25partition_config_selectorILNS1_17partition_subalgoE8EfNS0_10empty_typeEbEEZZNS1_14partition_implILS5_8ELb0ES3_jN6thrust23THRUST_200600_302600_NS6detail15normal_iteratorINSA_10device_ptrIfEEEEPS6_PKS6_NS0_5tupleIJSF_S6_EEENSJ_IJSG_SG_EEENS0_18inequality_wrapperINSA_8equal_toIfEEEEPmJS6_EEE10hipError_tPvRmT3_T4_T5_T6_T7_T9_mT8_P12ihipStream_tbDpT10_ENKUlT_T0_E_clISt17integral_constantIbLb0EES1A_EEDaS15_S16_EUlS15_E_NS1_11comp_targetILNS1_3genE2ELNS1_11target_archE906ELNS1_3gpuE6ELNS1_3repE0EEENS1_30default_config_static_selectorELNS0_4arch9wavefront6targetE1EEEvT1_,@function
_ZN7rocprim17ROCPRIM_400000_NS6detail17trampoline_kernelINS0_14default_configENS1_25partition_config_selectorILNS1_17partition_subalgoE8EfNS0_10empty_typeEbEEZZNS1_14partition_implILS5_8ELb0ES3_jN6thrust23THRUST_200600_302600_NS6detail15normal_iteratorINSA_10device_ptrIfEEEEPS6_PKS6_NS0_5tupleIJSF_S6_EEENSJ_IJSG_SG_EEENS0_18inequality_wrapperINSA_8equal_toIfEEEEPmJS6_EEE10hipError_tPvRmT3_T4_T5_T6_T7_T9_mT8_P12ihipStream_tbDpT10_ENKUlT_T0_E_clISt17integral_constantIbLb0EES1A_EEDaS15_S16_EUlS15_E_NS1_11comp_targetILNS1_3genE2ELNS1_11target_archE906ELNS1_3gpuE6ELNS1_3repE0EEENS1_30default_config_static_selectorELNS0_4arch9wavefront6targetE1EEEvT1_: ; @_ZN7rocprim17ROCPRIM_400000_NS6detail17trampoline_kernelINS0_14default_configENS1_25partition_config_selectorILNS1_17partition_subalgoE8EfNS0_10empty_typeEbEEZZNS1_14partition_implILS5_8ELb0ES3_jN6thrust23THRUST_200600_302600_NS6detail15normal_iteratorINSA_10device_ptrIfEEEEPS6_PKS6_NS0_5tupleIJSF_S6_EEENSJ_IJSG_SG_EEENS0_18inequality_wrapperINSA_8equal_toIfEEEEPmJS6_EEE10hipError_tPvRmT3_T4_T5_T6_T7_T9_mT8_P12ihipStream_tbDpT10_ENKUlT_T0_E_clISt17integral_constantIbLb0EES1A_EEDaS15_S16_EUlS15_E_NS1_11comp_targetILNS1_3genE2ELNS1_11target_archE906ELNS1_3gpuE6ELNS1_3repE0EEENS1_30default_config_static_selectorELNS0_4arch9wavefront6targetE1EEEvT1_
; %bb.0:
	s_load_dwordx4 s[0:3], s[4:5], 0x8
	s_load_dwordx4 s[36:39], s[4:5], 0x40
	s_load_dwordx2 s[8:9], s[4:5], 0x50
	s_load_dword s12, s[4:5], 0x68
	v_lshrrev_b32_e32 v18, 3, v0
	s_waitcnt lgkmcnt(0)
	s_lshl_b64 s[10:11], s[2:3], 2
	s_add_u32 s13, s0, s10
	s_addc_u32 s14, s1, s11
	s_add_i32 s15, s12, -1
	s_lshl_b32 s0, s15, 12
	s_lshl_b32 s10, s6, 12
	s_add_i32 s7, s2, s0
	s_lshl_b32 s0, s12, 12
	s_add_u32 s0, s2, s0
	s_addc_u32 s1, s3, 0
	v_mov_b32_e32 v2, s1
	v_mov_b32_e32 v1, s0
	v_cmp_le_u64_e32 vcc, s[8:9], v[1:2]
	s_cmp_eq_u32 s6, s15
	s_load_dwordx2 s[38:39], s[38:39], 0x0
	s_cselect_b64 s[40:41], -1, 0
	s_mov_b32 s11, 0
	s_and_b64 s[44:45], s[40:41], vcc
	s_xor_b64 s[42:43], s[44:45], -1
	s_lshl_b64 s[10:11], s[10:11], 2
	s_add_u32 s9, s13, s10
	s_mov_b64 s[0:1], -1
	s_addc_u32 s10, s14, s11
	s_and_b64 vcc, exec, s[42:43]
	s_cbranch_vccz .LBB84_2
; %bb.1:
	v_lshlrev_b32_e32 v5, 2, v0
	v_mov_b32_e32 v2, s10
	v_add_co_u32_e32 v1, vcc, s9, v5
	v_addc_co_u32_e32 v2, vcc, 0, v2, vcc
	v_add_co_u32_e32 v3, vcc, 0x1000, v1
	v_addc_co_u32_e32 v4, vcc, 0, v2, vcc
	flat_load_dword v6, v[1:2]
	flat_load_dword v7, v[1:2] offset:1024
	flat_load_dword v8, v[1:2] offset:2048
	;; [unrolled: 1-line block ×3, first 2 shown]
	flat_load_dword v10, v[3:4]
	flat_load_dword v11, v[3:4] offset:1024
	flat_load_dword v12, v[3:4] offset:2048
	;; [unrolled: 1-line block ×3, first 2 shown]
	v_add_co_u32_e32 v3, vcc, 0x2000, v1
	v_addc_co_u32_e32 v4, vcc, 0, v2, vcc
	flat_load_dword v14, v[3:4]
	flat_load_dword v15, v[3:4] offset:1024
	flat_load_dword v16, v[3:4] offset:2048
	;; [unrolled: 1-line block ×3, first 2 shown]
	v_add_co_u32_e32 v1, vcc, 0x3000, v1
	v_addc_co_u32_e32 v2, vcc, 0, v2, vcc
	flat_load_dword v3, v[1:2]
	flat_load_dword v4, v[1:2] offset:1024
	flat_load_dword v19, v[1:2] offset:2048
	;; [unrolled: 1-line block ×3, first 2 shown]
	v_or_b32_e32 v2, 0x100, v0
	v_or_b32_e32 v21, 0x200, v0
	;; [unrolled: 1-line block ×9, first 2 shown]
	v_and_b32_e32 v1, 28, v18
	v_lshrrev_b32_e32 v2, 3, v2
	v_lshrrev_b32_e32 v21, 3, v21
	;; [unrolled: 1-line block ×9, first 2 shown]
	v_or_b32_e32 v29, 0xa00, v0
	v_add_u32_e32 v1, v1, v5
	v_and_b32_e32 v2, 60, v2
	v_and_b32_e32 v21, 0x5c, v21
	;; [unrolled: 1-line block ×9, first 2 shown]
	v_add_u32_e32 v2, v2, v5
	v_add_u32_e32 v21, v21, v5
	;; [unrolled: 1-line block ×9, first 2 shown]
	s_mov_b64 s[0:1], 0
	s_waitcnt vmcnt(0) lgkmcnt(0)
	ds_write_b32 v1, v6
	ds_write_b32 v2, v7 offset:1024
	ds_write_b32 v21, v8 offset:2048
	;; [unrolled: 1-line block ×9, first 2 shown]
	v_lshrrev_b32_e32 v1, 3, v29
	v_and_b32_e32 v1, 0x15c, v1
	v_add_u32_e32 v1, v1, v5
	ds_write_b32 v1, v16 offset:10240
	v_or_b32_e32 v1, 0xb00, v0
	v_lshrrev_b32_e32 v1, 3, v1
	v_and_b32_e32 v1, 0x17c, v1
	v_add_u32_e32 v1, v1, v5
	ds_write_b32 v1, v17 offset:11264
	v_or_b32_e32 v1, 0xc00, v0
	;; [unrolled: 5-line block ×5, first 2 shown]
	v_lshrrev_b32_e32 v1, 3, v1
	v_and_b32_e32 v1, 0x1fc, v1
	v_add_u32_e32 v1, v1, v5
	ds_write_b32 v1, v20 offset:15360
	s_waitcnt lgkmcnt(0)
	s_barrier
.LBB84_2:
	s_andn2_b64 vcc, exec, s[0:1]
	s_sub_i32 s7, s8, s7
	s_cbranch_vccnz .LBB84_36
; %bb.3:
	v_mov_b32_e32 v1, 0
	v_cmp_gt_u32_e32 vcc, s7, v0
	v_mov_b32_e32 v2, v1
	v_mov_b32_e32 v3, v1
	;; [unrolled: 1-line block ×15, first 2 shown]
	s_and_saveexec_b64 s[0:1], vcc
	s_cbranch_execz .LBB84_5
; %bb.4:
	v_lshlrev_b32_e32 v2, 2, v0
	v_mov_b32_e32 v3, s10
	v_add_co_u32_e32 v2, vcc, s9, v2
	v_addc_co_u32_e32 v3, vcc, 0, v3, vcc
	flat_load_dword v2, v[2:3]
	v_mov_b32_e32 v3, v1
	v_mov_b32_e32 v4, v1
	;; [unrolled: 1-line block ×15, first 2 shown]
	s_waitcnt vmcnt(0) lgkmcnt(0)
	v_mov_b32_e32 v1, v2
	v_mov_b32_e32 v2, v3
	;; [unrolled: 1-line block ×16, first 2 shown]
.LBB84_5:
	s_or_b64 exec, exec, s[0:1]
	v_or_b32_e32 v17, 0x100, v0
	v_cmp_gt_u32_e32 vcc, s7, v17
	s_and_saveexec_b64 s[0:1], vcc
	s_cbranch_execz .LBB84_7
; %bb.6:
	v_lshlrev_b32_e32 v2, 2, v0
	v_mov_b32_e32 v20, s10
	v_add_co_u32_e32 v19, vcc, s9, v2
	v_addc_co_u32_e32 v20, vcc, 0, v20, vcc
	flat_load_dword v2, v[19:20] offset:1024
.LBB84_7:
	s_or_b64 exec, exec, s[0:1]
	v_or_b32_e32 v19, 0x200, v0
	v_cmp_gt_u32_e32 vcc, s7, v19
	s_and_saveexec_b64 s[0:1], vcc
	s_cbranch_execz .LBB84_9
; %bb.8:
	v_lshlrev_b32_e32 v3, 2, v0
	v_mov_b32_e32 v21, s10
	v_add_co_u32_e32 v20, vcc, s9, v3
	v_addc_co_u32_e32 v21, vcc, 0, v21, vcc
	flat_load_dword v3, v[20:21] offset:2048
.LBB84_9:
	;; [unrolled: 12-line block ×3, first 2 shown]
	s_or_b64 exec, exec, s[0:1]
	v_or_b32_e32 v21, 0x400, v0
	v_cmp_gt_u32_e32 vcc, s7, v21
	s_and_saveexec_b64 s[0:1], vcc
	s_cbranch_execz .LBB84_13
; %bb.12:
	v_lshlrev_b32_e32 v5, 2, v21
	v_mov_b32_e32 v23, s10
	v_add_co_u32_e32 v22, vcc, s9, v5
	v_addc_co_u32_e32 v23, vcc, 0, v23, vcc
	flat_load_dword v5, v[22:23]
.LBB84_13:
	s_or_b64 exec, exec, s[0:1]
	v_or_b32_e32 v22, 0x500, v0
	v_cmp_gt_u32_e32 vcc, s7, v22
	s_and_saveexec_b64 s[0:1], vcc
	s_cbranch_execz .LBB84_15
; %bb.14:
	v_lshlrev_b32_e32 v6, 2, v22
	v_mov_b32_e32 v24, s10
	v_add_co_u32_e32 v23, vcc, s9, v6
	v_addc_co_u32_e32 v24, vcc, 0, v24, vcc
	flat_load_dword v6, v[23:24]
.LBB84_15:
	;; [unrolled: 12-line block ×12, first 2 shown]
	s_or_b64 exec, exec, s[0:1]
	v_and_b32_e32 v18, 28, v18
	v_lshlrev_b32_e32 v33, 2, v0
	v_add_u32_e32 v18, v18, v33
	ds_write_b32 v18, v1
	v_lshrrev_b32_e32 v1, 3, v17
	v_and_b32_e32 v1, 60, v1
	v_add_u32_e32 v1, v1, v33
	s_waitcnt vmcnt(0) lgkmcnt(0)
	ds_write_b32 v1, v2 offset:1024
	v_lshrrev_b32_e32 v1, 3, v19
	v_and_b32_e32 v1, 0x7c, v1
	v_add_u32_e32 v1, v1, v33
	ds_write_b32 v1, v3 offset:2048
	v_lshrrev_b32_e32 v1, 3, v20
	v_and_b32_e32 v1, 0x7c, v1
	v_add_u32_e32 v1, v1, v33
	;; [unrolled: 4-line block ×14, first 2 shown]
	ds_write_b32 v1, v16 offset:15360
	s_waitcnt lgkmcnt(0)
	s_barrier
.LBB84_36:
	v_lshlrev_b32_e32 v1, 1, v0
	v_and_b32_e32 v1, 0x1fc, v1
	v_lshl_add_u32 v1, v0, 6, v1
	s_waitcnt lgkmcnt(0)
	ds_read2_b32 v[15:16], v1 offset1:1
	ds_read2_b32 v[13:14], v1 offset0:2 offset1:3
	ds_read2_b32 v[11:12], v1 offset0:4 offset1:5
	;; [unrolled: 1-line block ×7, first 2 shown]
	s_cmp_lg_u32 s6, 0
	s_cselect_b64 s[46:47], -1, 0
	s_cmp_lg_u64 s[2:3], 0
	s_cselect_b64 s[0:1], -1, 0
	s_or_b64 s[0:1], s[46:47], s[0:1]
	v_lshlrev_b32_e32 v17, 4, v0
	s_mov_b64 s[50:51], 0
	s_and_b64 vcc, exec, s[0:1]
	s_waitcnt lgkmcnt(0)
	s_barrier
	s_cbranch_vccz .LBB84_41
; %bb.37:
	v_mov_b32_e32 v19, s10
	v_add_co_u32_e64 v18, vcc, -4, s9
	v_addc_co_u32_e32 v19, vcc, -1, v19, vcc
	flat_load_dword v18, v[18:19]
	v_lshlrev_b32_e32 v19, 2, v0
	s_and_b64 vcc, exec, s[42:43]
	ds_write_b32 v19, v2
	s_cbranch_vccz .LBB84_42
; %bb.38:
	v_cmp_ne_u32_e32 vcc, 0, v0
	s_waitcnt vmcnt(0) lgkmcnt(0)
	v_mov_b32_e32 v20, v18
	s_barrier
	s_and_saveexec_b64 s[0:1], vcc
; %bb.39:
	v_add_u32_e32 v20, -4, v19
	ds_read_b32 v20, v20
; %bb.40:
	s_or_b64 exec, exec, s[0:1]
	v_cmp_neq_f32_e32 vcc, v1, v2
	v_cndmask_b32_e64 v51, 0, 1, vcc
	v_cmp_neq_f32_e32 vcc, v4, v1
	v_cndmask_b32_e64 v52, 0, 1, vcc
	;; [unrolled: 2-line block ×15, first 2 shown]
	s_waitcnt lgkmcnt(0)
	v_cmp_neq_f32_e64 s[48:49], v20, v15
	s_branch .LBB84_46
.LBB84_41:
                                        ; implicit-def: $sgpr48_sgpr49
                                        ; implicit-def: $vgpr51
                                        ; implicit-def: $vgpr52
                                        ; implicit-def: $vgpr53
                                        ; implicit-def: $vgpr54
                                        ; implicit-def: $vgpr55
                                        ; implicit-def: $vgpr56
                                        ; implicit-def: $vgpr57
                                        ; implicit-def: $vgpr58
                                        ; implicit-def: $vgpr59
                                        ; implicit-def: $vgpr65
                                        ; implicit-def: $vgpr64
                                        ; implicit-def: $vgpr63
                                        ; implicit-def: $vgpr62
                                        ; implicit-def: $vgpr61
                                        ; implicit-def: $vgpr60
	s_branch .LBB84_47
.LBB84_42:
                                        ; implicit-def: $sgpr48_sgpr49
                                        ; implicit-def: $vgpr51
                                        ; implicit-def: $vgpr52
                                        ; implicit-def: $vgpr53
                                        ; implicit-def: $vgpr54
                                        ; implicit-def: $vgpr55
                                        ; implicit-def: $vgpr56
                                        ; implicit-def: $vgpr57
                                        ; implicit-def: $vgpr58
                                        ; implicit-def: $vgpr59
                                        ; implicit-def: $vgpr65
                                        ; implicit-def: $vgpr64
                                        ; implicit-def: $vgpr63
                                        ; implicit-def: $vgpr62
                                        ; implicit-def: $vgpr61
                                        ; implicit-def: $vgpr60
	s_cbranch_execz .LBB84_46
; %bb.43:
	v_cmp_ne_u32_e32 vcc, 0, v0
	s_waitcnt vmcnt(0) lgkmcnt(0)
	s_barrier
	s_and_saveexec_b64 s[0:1], vcc
; %bb.44:
	v_add_u32_e32 v18, -4, v19
	ds_read_b32 v18, v18
; %bb.45:
	s_or_b64 exec, exec, s[0:1]
	v_or_b32_e32 v19, 15, v17
	v_cmp_gt_u32_e32 vcc, s7, v19
	v_cmp_neq_f32_e64 s[0:1], v1, v2
	s_and_b64 s[0:1], vcc, s[0:1]
	v_or_b32_e32 v19, 14, v17
	v_cndmask_b32_e64 v51, 0, 1, s[0:1]
	v_cmp_gt_u32_e32 vcc, s7, v19
	v_cmp_neq_f32_e64 s[0:1], v4, v1
	s_and_b64 s[0:1], vcc, s[0:1]
	v_or_b32_e32 v19, 13, v17
	v_cndmask_b32_e64 v52, 0, 1, s[0:1]
	;; [unrolled: 5-line block ×14, first 2 shown]
	v_cmp_gt_u32_e32 vcc, s7, v19
	v_cmp_neq_f32_e64 s[0:1], v15, v16
	s_and_b64 s[0:1], vcc, s[0:1]
	v_cndmask_b32_e64 v65, 0, 1, s[0:1]
	v_cmp_gt_u32_e32 vcc, s7, v17
	s_waitcnt lgkmcnt(0)
	v_cmp_neq_f32_e64 s[0:1], v18, v15
	s_and_b64 s[48:49], vcc, s[0:1]
.LBB84_46:
	s_mov_b64 s[50:51], -1
	s_cbranch_execnz .LBB84_55
.LBB84_47:
	s_waitcnt vmcnt(0) lgkmcnt(0)
	v_lshlrev_b32_e32 v18, 2, v0
	s_and_b64 vcc, exec, s[42:43]
	v_cmp_neq_f32_e64 s[0:1], v1, v2
	v_cmp_neq_f32_e64 s[2:3], v4, v1
	;; [unrolled: 1-line block ×15, first 2 shown]
	ds_write_b32 v18, v2
	s_cbranch_vccz .LBB84_51
; %bb.48:
	v_cmp_ne_u32_e32 vcc, 0, v0
	s_waitcnt lgkmcnt(0)
	s_barrier
                                        ; implicit-def: $sgpr48_sgpr49
	s_and_saveexec_b64 s[52:53], vcc
	s_xor_b64 s[52:53], exec, s[52:53]
	s_cbranch_execz .LBB84_50
; %bb.49:
	v_add_u32_e32 v19, -4, v18
	ds_read_b32 v19, v19
	s_or_b64 s[50:51], s[50:51], exec
	s_waitcnt lgkmcnt(0)
	v_cmp_neq_f32_e64 s[48:49], v19, v15
.LBB84_50:
	s_or_b64 exec, exec, s[52:53]
	v_cndmask_b32_e64 v51, 0, 1, s[0:1]
	v_cndmask_b32_e64 v52, 0, 1, s[2:3]
	;; [unrolled: 1-line block ×15, first 2 shown]
	s_branch .LBB84_55
.LBB84_51:
                                        ; implicit-def: $sgpr48_sgpr49
                                        ; implicit-def: $vgpr51
                                        ; implicit-def: $vgpr52
                                        ; implicit-def: $vgpr53
                                        ; implicit-def: $vgpr54
                                        ; implicit-def: $vgpr55
                                        ; implicit-def: $vgpr56
                                        ; implicit-def: $vgpr57
                                        ; implicit-def: $vgpr58
                                        ; implicit-def: $vgpr59
                                        ; implicit-def: $vgpr65
                                        ; implicit-def: $vgpr64
                                        ; implicit-def: $vgpr63
                                        ; implicit-def: $vgpr62
                                        ; implicit-def: $vgpr61
                                        ; implicit-def: $vgpr60
	s_cbranch_execz .LBB84_55
; %bb.52:
	v_or_b32_e32 v19, 15, v17
	v_cmp_gt_u32_e32 vcc, s7, v19
	v_cmp_neq_f32_e64 s[0:1], v1, v2
	v_or_b32_e32 v19, 14, v17
	s_and_b64 s[2:3], vcc, s[0:1]
	v_cmp_gt_u32_e32 vcc, s7, v19
	v_cmp_neq_f32_e64 s[0:1], v4, v1
	v_or_b32_e32 v19, 13, v17
	s_and_b64 s[8:9], vcc, s[0:1]
	;; [unrolled: 4-line block ×14, first 2 shown]
	v_cmp_gt_u32_e32 vcc, s7, v19
	v_cmp_neq_f32_e64 s[0:1], v15, v16
	s_and_b64 s[52:53], vcc, s[0:1]
	v_cmp_ne_u32_e32 vcc, 0, v0
	s_waitcnt lgkmcnt(0)
	s_barrier
                                        ; implicit-def: $sgpr48_sgpr49
	s_and_saveexec_b64 s[54:55], vcc
	s_cbranch_execz .LBB84_54
; %bb.53:
	v_add_u32_e32 v18, -4, v18
	ds_read_b32 v18, v18
	v_cmp_gt_u32_e32 vcc, s7, v17
	s_or_b64 s[50:51], s[50:51], exec
	s_waitcnt lgkmcnt(0)
	v_cmp_neq_f32_e64 s[0:1], v18, v15
	s_and_b64 s[48:49], vcc, s[0:1]
.LBB84_54:
	s_or_b64 exec, exec, s[54:55]
	v_cndmask_b32_e64 v51, 0, 1, s[2:3]
	v_cndmask_b32_e64 v52, 0, 1, s[8:9]
	;; [unrolled: 1-line block ×15, first 2 shown]
.LBB84_55:
	v_mov_b32_e32 v28, 1
	s_and_saveexec_b64 s[0:1], s[50:51]
; %bb.56:
	v_cndmask_b32_e64 v28, 0, 1, s[48:49]
; %bb.57:
	s_or_b64 exec, exec, s[0:1]
	s_load_dwordx2 s[22:23], s[4:5], 0x60
	s_andn2_b64 vcc, exec, s[44:45]
	s_cbranch_vccnz .LBB84_59
; %bb.58:
	v_cmp_gt_u32_e32 vcc, s7, v17
	s_waitcnt vmcnt(0) lgkmcnt(0)
	v_or_b32_e32 v18, 1, v17
	v_cndmask_b32_e32 v28, 0, v28, vcc
	v_cmp_gt_u32_e32 vcc, s7, v18
	v_or_b32_e32 v18, 2, v17
	v_cndmask_b32_e32 v65, 0, v65, vcc
	v_cmp_gt_u32_e32 vcc, s7, v18
	v_or_b32_e32 v18, 3, v17
	v_cndmask_b32_e32 v64, 0, v64, vcc
	v_cmp_gt_u32_e32 vcc, s7, v18
	v_or_b32_e32 v18, 4, v17
	v_cndmask_b32_e32 v63, 0, v63, vcc
	v_cmp_gt_u32_e32 vcc, s7, v18
	v_or_b32_e32 v18, 5, v17
	v_cndmask_b32_e32 v62, 0, v62, vcc
	v_cmp_gt_u32_e32 vcc, s7, v18
	v_or_b32_e32 v18, 6, v17
	v_cndmask_b32_e32 v61, 0, v61, vcc
	v_cmp_gt_u32_e32 vcc, s7, v18
	v_or_b32_e32 v18, 7, v17
	v_cndmask_b32_e32 v60, 0, v60, vcc
	v_cmp_gt_u32_e32 vcc, s7, v18
	v_or_b32_e32 v18, 8, v17
	v_cndmask_b32_e32 v59, 0, v59, vcc
	v_cmp_gt_u32_e32 vcc, s7, v18
	v_or_b32_e32 v18, 9, v17
	v_cndmask_b32_e32 v58, 0, v58, vcc
	v_cmp_gt_u32_e32 vcc, s7, v18
	v_or_b32_e32 v18, 10, v17
	v_cndmask_b32_e32 v57, 0, v57, vcc
	v_cmp_gt_u32_e32 vcc, s7, v18
	v_or_b32_e32 v18, 11, v17
	v_cndmask_b32_e32 v56, 0, v56, vcc
	v_cmp_gt_u32_e32 vcc, s7, v18
	v_or_b32_e32 v18, 12, v17
	v_cndmask_b32_e32 v55, 0, v55, vcc
	v_cmp_gt_u32_e32 vcc, s7, v18
	v_or_b32_e32 v18, 13, v17
	v_cndmask_b32_e32 v54, 0, v54, vcc
	v_cmp_gt_u32_e32 vcc, s7, v18
	v_or_b32_e32 v18, 14, v17
	v_cndmask_b32_e32 v53, 0, v53, vcc
	v_cmp_gt_u32_e32 vcc, s7, v18
	v_or_b32_e32 v17, 15, v17
	v_cndmask_b32_e32 v52, 0, v52, vcc
	v_cmp_gt_u32_e32 vcc, s7, v17
	v_cndmask_b32_e32 v51, 0, v51, vcc
.LBB84_59:
	v_and_b32_e32 v37, 0xff, v63
	v_and_b32_e32 v39, 0xff, v62
	s_waitcnt vmcnt(0) lgkmcnt(0)
	v_add_u32_sdwa v18, v61, v60 dst_sel:DWORD dst_unused:UNUSED_PAD src0_sel:BYTE_0 src1_sel:BYTE_0
	v_and_b32_e32 v33, 0xff, v65
	v_and_b32_e32 v35, 0xff, v64
	v_add3_u32 v18, v18, v39, v37
	v_and_b32_e32 v31, 0xffff, v28
	v_and_b32_e32 v27, 0xff, v59
	v_add3_u32 v18, v18, v35, v33
	v_and_b32_e32 v29, 0xff, v58
	v_and_b32_e32 v30, 0xff, v57
	v_add3_u32 v18, v18, v31, v27
	v_and_b32_e32 v32, 0xff, v56
	v_and_b32_e32 v34, 0xff, v55
	v_add3_u32 v18, v18, v29, v30
	v_and_b32_e32 v36, 0xff, v54
	v_and_b32_e32 v38, 0xff, v53
	v_add3_u32 v18, v18, v32, v34
	v_and_b32_e32 v40, 0xff, v52
	v_and_b32_e32 v17, 0xff, v51
	v_add3_u32 v18, v18, v36, v38
	v_add3_u32 v44, v18, v40, v17
	v_mbcnt_lo_u32_b32 v17, -1, 0
	v_mbcnt_hi_u32_b32 v41, -1, v17
	v_and_b32_e32 v17, 15, v41
	v_cmp_eq_u32_e64 s[14:15], 0, v17
	v_cmp_lt_u32_e64 s[12:13], 1, v17
	v_cmp_lt_u32_e64 s[10:11], 3, v17
	;; [unrolled: 1-line block ×3, first 2 shown]
	v_and_b32_e32 v17, 16, v41
	v_cmp_eq_u32_e64 s[18:19], 0, v17
	v_or_b32_e32 v17, 63, v0
	v_cmp_lt_u32_e64 s[0:1], 31, v41
	v_lshrrev_b32_e32 v42, 6, v0
	v_cmp_eq_u32_e64 s[2:3], v0, v17
	s_and_b64 vcc, exec, s[46:47]
	s_barrier
	s_cbranch_vccz .LBB84_81
; %bb.60:
	v_mov_b32_dpp v17, v44 row_shr:1 row_mask:0xf bank_mask:0xf
	v_cndmask_b32_e64 v17, v17, 0, s[14:15]
	v_add_u32_e32 v17, v17, v44
	s_nop 1
	v_mov_b32_dpp v18, v17 row_shr:2 row_mask:0xf bank_mask:0xf
	v_cndmask_b32_e64 v18, 0, v18, s[12:13]
	v_add_u32_e32 v17, v17, v18
	s_nop 1
	;; [unrolled: 4-line block ×4, first 2 shown]
	v_mov_b32_dpp v18, v17 row_bcast:15 row_mask:0xf bank_mask:0xf
	v_cndmask_b32_e64 v18, v18, 0, s[18:19]
	v_add_u32_e32 v17, v17, v18
	s_nop 1
	v_mov_b32_dpp v18, v17 row_bcast:31 row_mask:0xf bank_mask:0xf
	v_cndmask_b32_e64 v18, 0, v18, s[0:1]
	v_add_u32_e32 v17, v17, v18
	s_and_saveexec_b64 s[16:17], s[2:3]
; %bb.61:
	v_lshlrev_b32_e32 v18, 2, v42
	ds_write_b32 v18, v17
; %bb.62:
	s_or_b64 exec, exec, s[16:17]
	v_cmp_gt_u32_e32 vcc, 4, v0
	s_waitcnt lgkmcnt(0)
	s_barrier
	s_and_saveexec_b64 s[16:17], vcc
	s_cbranch_execz .LBB84_64
; %bb.63:
	v_lshlrev_b32_e32 v18, 2, v0
	ds_read_b32 v19, v18
	v_and_b32_e32 v20, 3, v41
	v_cmp_ne_u32_e32 vcc, 0, v20
	s_waitcnt lgkmcnt(0)
	v_mov_b32_dpp v21, v19 row_shr:1 row_mask:0xf bank_mask:0xf
	v_cndmask_b32_e32 v21, 0, v21, vcc
	v_add_u32_e32 v19, v21, v19
	v_cmp_lt_u32_e32 vcc, 1, v20
	s_nop 0
	v_mov_b32_dpp v21, v19 row_shr:2 row_mask:0xf bank_mask:0xf
	v_cndmask_b32_e32 v20, 0, v21, vcc
	v_add_u32_e32 v19, v19, v20
	ds_write_b32 v18, v19
.LBB84_64:
	s_or_b64 exec, exec, s[16:17]
	v_cmp_gt_u32_e32 vcc, 64, v0
	v_cmp_lt_u32_e64 s[16:17], 63, v0
	s_waitcnt lgkmcnt(0)
	s_barrier
                                        ; implicit-def: $vgpr43
	s_and_saveexec_b64 s[20:21], s[16:17]
	s_cbranch_execz .LBB84_66
; %bb.65:
	v_lshl_add_u32 v18, v42, 2, -4
	ds_read_b32 v43, v18
	s_waitcnt lgkmcnt(0)
	v_add_u32_e32 v17, v43, v17
.LBB84_66:
	s_or_b64 exec, exec, s[20:21]
	v_subrev_co_u32_e64 v18, s[16:17], 1, v41
	v_and_b32_e32 v19, 64, v41
	v_cmp_lt_i32_e64 s[20:21], v18, v19
	v_cndmask_b32_e64 v18, v18, v41, s[20:21]
	v_lshlrev_b32_e32 v18, 2, v18
	ds_bpermute_b32 v45, v18, v17
	s_and_saveexec_b64 s[20:21], vcc
	s_cbranch_execz .LBB84_86
; %bb.67:
	v_mov_b32_e32 v23, 0
	ds_read_b32 v17, v23 offset:12
	s_and_saveexec_b64 s[24:25], s[16:17]
	s_cbranch_execz .LBB84_69
; %bb.68:
	s_add_i32 s26, s6, 64
	s_mov_b32 s27, 0
	s_lshl_b64 s[26:27], s[26:27], 3
	s_add_u32 s26, s22, s26
	v_mov_b32_e32 v18, 1
	s_addc_u32 s27, s23, s27
	s_waitcnt lgkmcnt(0)
	global_store_dwordx2 v23, v[17:18], s[26:27]
.LBB84_69:
	s_or_b64 exec, exec, s[24:25]
	v_xad_u32 v19, v41, -1, s6
	v_add_u32_e32 v22, 64, v19
	v_lshlrev_b64 v[20:21], 3, v[22:23]
	v_mov_b32_e32 v18, s23
	v_add_co_u32_e32 v24, vcc, s22, v20
	v_addc_co_u32_e32 v25, vcc, v18, v21, vcc
	global_load_dwordx2 v[21:22], v[24:25], off glc
	s_waitcnt vmcnt(0)
	v_cmp_eq_u16_sdwa s[26:27], v22, v23 src0_sel:BYTE_0 src1_sel:DWORD
	s_and_saveexec_b64 s[24:25], s[26:27]
	s_cbranch_execz .LBB84_73
; %bb.70:
	s_mov_b64 s[26:27], 0
	v_mov_b32_e32 v18, 0
.LBB84_71:                              ; =>This Inner Loop Header: Depth=1
	global_load_dwordx2 v[21:22], v[24:25], off glc
	s_waitcnt vmcnt(0)
	v_cmp_ne_u16_sdwa s[28:29], v22, v18 src0_sel:BYTE_0 src1_sel:DWORD
	s_or_b64 s[26:27], s[28:29], s[26:27]
	s_andn2_b64 exec, exec, s[26:27]
	s_cbranch_execnz .LBB84_71
; %bb.72:
	s_or_b64 exec, exec, s[26:27]
.LBB84_73:
	s_or_b64 exec, exec, s[24:25]
	v_and_b32_e32 v47, 63, v41
	v_mov_b32_e32 v46, 2
	v_lshlrev_b64 v[23:24], v41, -1
	v_cmp_ne_u32_e32 vcc, 63, v47
	v_cmp_eq_u16_sdwa s[24:25], v22, v46 src0_sel:BYTE_0 src1_sel:DWORD
	v_addc_co_u32_e32 v25, vcc, 0, v41, vcc
	v_and_b32_e32 v18, s25, v24
	v_lshlrev_b32_e32 v48, 2, v25
	v_or_b32_e32 v18, 0x80000000, v18
	ds_bpermute_b32 v25, v48, v21
	v_and_b32_e32 v20, s24, v23
	v_ffbl_b32_e32 v18, v18
	v_add_u32_e32 v18, 32, v18
	v_ffbl_b32_e32 v20, v20
	v_min_u32_e32 v18, v20, v18
	v_cmp_lt_u32_e32 vcc, v47, v18
	s_waitcnt lgkmcnt(0)
	v_cndmask_b32_e32 v20, 0, v25, vcc
	v_cmp_gt_u32_e32 vcc, 62, v47
	v_add_u32_e32 v20, v20, v21
	v_cndmask_b32_e64 v21, 0, 2, vcc
	v_add_lshl_u32 v49, v21, v41, 2
	ds_bpermute_b32 v21, v49, v20
	v_add_u32_e32 v50, 2, v47
	v_cmp_le_u32_e32 vcc, v50, v18
	v_add_u32_e32 v67, 4, v47
	v_add_u32_e32 v69, 8, v47
	s_waitcnt lgkmcnt(0)
	v_cndmask_b32_e32 v21, 0, v21, vcc
	v_cmp_gt_u32_e32 vcc, 60, v47
	v_add_u32_e32 v20, v20, v21
	v_cndmask_b32_e64 v21, 0, 4, vcc
	v_add_lshl_u32 v66, v21, v41, 2
	ds_bpermute_b32 v21, v66, v20
	v_cmp_le_u32_e32 vcc, v67, v18
	v_add_u32_e32 v71, 16, v47
	v_add_u32_e32 v73, 32, v47
	s_waitcnt lgkmcnt(0)
	v_cndmask_b32_e32 v21, 0, v21, vcc
	v_cmp_gt_u32_e32 vcc, 56, v47
	v_add_u32_e32 v20, v20, v21
	v_cndmask_b32_e64 v21, 0, 8, vcc
	v_add_lshl_u32 v68, v21, v41, 2
	ds_bpermute_b32 v21, v68, v20
	v_cmp_le_u32_e32 vcc, v69, v18
	s_waitcnt lgkmcnt(0)
	v_cndmask_b32_e32 v21, 0, v21, vcc
	v_cmp_gt_u32_e32 vcc, 48, v47
	v_add_u32_e32 v20, v20, v21
	v_cndmask_b32_e64 v21, 0, 16, vcc
	v_add_lshl_u32 v70, v21, v41, 2
	ds_bpermute_b32 v21, v70, v20
	v_cmp_le_u32_e32 vcc, v71, v18
	s_waitcnt lgkmcnt(0)
	v_cndmask_b32_e32 v21, 0, v21, vcc
	v_add_u32_e32 v20, v20, v21
	v_mov_b32_e32 v21, 0x80
	v_lshl_or_b32 v72, v41, 2, v21
	ds_bpermute_b32 v21, v72, v20
	v_cmp_le_u32_e32 vcc, v73, v18
	s_waitcnt lgkmcnt(0)
	v_cndmask_b32_e32 v18, 0, v21, vcc
	v_add_u32_e32 v21, v20, v18
	v_mov_b32_e32 v20, 0
	s_branch .LBB84_76
.LBB84_74:                              ;   in Loop: Header=BB84_76 Depth=1
	s_or_b64 exec, exec, s[24:25]
	v_cmp_eq_u16_sdwa s[24:25], v22, v46 src0_sel:BYTE_0 src1_sel:DWORD
	v_and_b32_e32 v25, s25, v24
	v_or_b32_e32 v25, 0x80000000, v25
	ds_bpermute_b32 v74, v48, v21
	v_and_b32_e32 v26, s24, v23
	v_ffbl_b32_e32 v25, v25
	v_add_u32_e32 v25, 32, v25
	v_ffbl_b32_e32 v26, v26
	v_min_u32_e32 v25, v26, v25
	v_cmp_lt_u32_e32 vcc, v47, v25
	s_waitcnt lgkmcnt(0)
	v_cndmask_b32_e32 v26, 0, v74, vcc
	v_add_u32_e32 v21, v26, v21
	ds_bpermute_b32 v26, v49, v21
	v_cmp_le_u32_e32 vcc, v50, v25
	v_subrev_u32_e32 v19, 64, v19
	s_mov_b64 s[24:25], 0
	s_waitcnt lgkmcnt(0)
	v_cndmask_b32_e32 v26, 0, v26, vcc
	v_add_u32_e32 v21, v21, v26
	ds_bpermute_b32 v26, v66, v21
	v_cmp_le_u32_e32 vcc, v67, v25
	s_waitcnt lgkmcnt(0)
	v_cndmask_b32_e32 v26, 0, v26, vcc
	v_add_u32_e32 v21, v21, v26
	ds_bpermute_b32 v26, v68, v21
	v_cmp_le_u32_e32 vcc, v69, v25
	;; [unrolled: 5-line block ×4, first 2 shown]
	s_waitcnt lgkmcnt(0)
	v_cndmask_b32_e32 v25, 0, v26, vcc
	v_add3_u32 v21, v25, v18, v21
.LBB84_75:                              ;   in Loop: Header=BB84_76 Depth=1
	s_and_b64 vcc, exec, s[24:25]
	s_cbranch_vccnz .LBB84_82
.LBB84_76:                              ; =>This Loop Header: Depth=1
                                        ;     Child Loop BB84_79 Depth 2
	v_cmp_ne_u16_sdwa s[24:25], v22, v46 src0_sel:BYTE_0 src1_sel:DWORD
	v_mov_b32_e32 v18, v21
	s_cmp_lg_u64 s[24:25], exec
	s_mov_b64 s[24:25], -1
                                        ; implicit-def: $vgpr21
                                        ; implicit-def: $vgpr22
	s_cbranch_scc1 .LBB84_75
; %bb.77:                               ;   in Loop: Header=BB84_76 Depth=1
	v_lshlrev_b64 v[21:22], 3, v[19:20]
	v_mov_b32_e32 v26, s23
	v_add_co_u32_e32 v25, vcc, s22, v21
	v_addc_co_u32_e32 v26, vcc, v26, v22, vcc
	global_load_dwordx2 v[21:22], v[25:26], off glc
	s_waitcnt vmcnt(0)
	v_cmp_eq_u16_sdwa s[26:27], v22, v20 src0_sel:BYTE_0 src1_sel:DWORD
	s_and_saveexec_b64 s[24:25], s[26:27]
	s_cbranch_execz .LBB84_74
; %bb.78:                               ;   in Loop: Header=BB84_76 Depth=1
	s_mov_b64 s[26:27], 0
.LBB84_79:                              ;   Parent Loop BB84_76 Depth=1
                                        ; =>  This Inner Loop Header: Depth=2
	global_load_dwordx2 v[21:22], v[25:26], off glc
	s_waitcnt vmcnt(0)
	v_cmp_ne_u16_sdwa s[28:29], v22, v20 src0_sel:BYTE_0 src1_sel:DWORD
	s_or_b64 s[26:27], s[28:29], s[26:27]
	s_andn2_b64 exec, exec, s[26:27]
	s_cbranch_execnz .LBB84_79
; %bb.80:                               ;   in Loop: Header=BB84_76 Depth=1
	s_or_b64 exec, exec, s[26:27]
	s_branch .LBB84_74
.LBB84_81:
                                        ; implicit-def: $vgpr18
                                        ; implicit-def: $vgpr43
	s_load_dwordx2 s[4:5], s[4:5], 0x28
	s_cbranch_execnz .LBB84_87
	s_branch .LBB84_96
.LBB84_82:
	s_and_saveexec_b64 s[24:25], s[16:17]
	s_cbranch_execz .LBB84_84
; %bb.83:
	s_add_i32 s6, s6, 64
	s_mov_b32 s7, 0
	s_lshl_b64 s[6:7], s[6:7], 3
	s_add_u32 s6, s22, s6
	v_add_u32_e32 v19, v18, v17
	v_mov_b32_e32 v20, 2
	s_addc_u32 s7, s23, s7
	v_mov_b32_e32 v21, 0
	global_store_dwordx2 v21, v[19:20], s[6:7]
	ds_write_b64 v21, v[17:18] offset:16896
.LBB84_84:
	s_or_b64 exec, exec, s[24:25]
	v_cmp_eq_u32_e32 vcc, 0, v0
	s_and_b64 exec, exec, vcc
; %bb.85:
	v_mov_b32_e32 v17, 0
	ds_write_b32 v17, v18 offset:12
.LBB84_86:
	s_or_b64 exec, exec, s[20:21]
	v_mov_b32_e32 v17, 0
	s_waitcnt vmcnt(0) lgkmcnt(0)
	s_barrier
	ds_read_b32 v20, v17 offset:12
	s_waitcnt lgkmcnt(0)
	s_barrier
	ds_read_b64 v[17:18], v17 offset:16896
	v_cndmask_b32_e64 v19, v45, v43, s[16:17]
	v_cmp_ne_u32_e32 vcc, 0, v0
	v_cndmask_b32_e32 v19, 0, v19, vcc
	v_add_u32_e32 v43, v20, v19
	s_load_dwordx2 s[4:5], s[4:5], 0x28
	s_branch .LBB84_96
.LBB84_87:
	s_waitcnt lgkmcnt(0)
	v_mov_b32_dpp v17, v44 row_shr:1 row_mask:0xf bank_mask:0xf
	v_cndmask_b32_e64 v17, v17, 0, s[14:15]
	v_add_u32_e32 v17, v17, v44
	s_nop 1
	v_mov_b32_dpp v18, v17 row_shr:2 row_mask:0xf bank_mask:0xf
	v_cndmask_b32_e64 v18, 0, v18, s[12:13]
	v_add_u32_e32 v17, v17, v18
	s_nop 1
	;; [unrolled: 4-line block ×4, first 2 shown]
	v_mov_b32_dpp v18, v17 row_bcast:15 row_mask:0xf bank_mask:0xf
	v_cndmask_b32_e64 v18, v18, 0, s[18:19]
	v_add_u32_e32 v17, v17, v18
	s_nop 1
	v_mov_b32_dpp v18, v17 row_bcast:31 row_mask:0xf bank_mask:0xf
	v_cndmask_b32_e64 v18, 0, v18, s[0:1]
	v_add_u32_e32 v17, v17, v18
	s_and_saveexec_b64 s[0:1], s[2:3]
; %bb.88:
	v_lshlrev_b32_e32 v18, 2, v42
	ds_write_b32 v18, v17
; %bb.89:
	s_or_b64 exec, exec, s[0:1]
	v_cmp_gt_u32_e32 vcc, 4, v0
	s_waitcnt lgkmcnt(0)
	s_barrier
	s_and_saveexec_b64 s[0:1], vcc
	s_cbranch_execz .LBB84_91
; %bb.90:
	v_lshlrev_b32_e32 v18, 2, v0
	ds_read_b32 v19, v18
	v_and_b32_e32 v20, 3, v41
	v_cmp_ne_u32_e32 vcc, 0, v20
	s_waitcnt lgkmcnt(0)
	v_mov_b32_dpp v21, v19 row_shr:1 row_mask:0xf bank_mask:0xf
	v_cndmask_b32_e32 v21, 0, v21, vcc
	v_add_u32_e32 v19, v21, v19
	v_cmp_lt_u32_e32 vcc, 1, v20
	s_nop 0
	v_mov_b32_dpp v21, v19 row_shr:2 row_mask:0xf bank_mask:0xf
	v_cndmask_b32_e32 v20, 0, v21, vcc
	v_add_u32_e32 v19, v19, v20
	ds_write_b32 v18, v19
.LBB84_91:
	s_or_b64 exec, exec, s[0:1]
	v_cmp_lt_u32_e32 vcc, 63, v0
	v_mov_b32_e32 v18, 0
	v_mov_b32_e32 v19, 0
	s_waitcnt lgkmcnt(0)
	s_barrier
	s_and_saveexec_b64 s[0:1], vcc
; %bb.92:
	v_lshl_add_u32 v19, v42, 2, -4
	ds_read_b32 v19, v19
; %bb.93:
	s_or_b64 exec, exec, s[0:1]
	v_subrev_co_u32_e32 v20, vcc, 1, v41
	v_and_b32_e32 v21, 64, v41
	v_cmp_lt_i32_e64 s[0:1], v20, v21
	v_cndmask_b32_e64 v20, v20, v41, s[0:1]
	s_waitcnt lgkmcnt(0)
	v_add_u32_e32 v17, v19, v17
	v_lshlrev_b32_e32 v20, 2, v20
	ds_bpermute_b32 v20, v20, v17
	ds_read_b32 v17, v18 offset:12
	v_cmp_eq_u32_e64 s[0:1], 0, v0
	s_and_saveexec_b64 s[2:3], s[0:1]
	s_cbranch_execz .LBB84_95
; %bb.94:
	v_mov_b32_e32 v21, 0
	v_mov_b32_e32 v18, 2
	s_waitcnt lgkmcnt(0)
	global_store_dwordx2 v21, v[17:18], s[22:23] offset:512
.LBB84_95:
	s_or_b64 exec, exec, s[2:3]
	s_waitcnt lgkmcnt(1)
	v_cndmask_b32_e32 v18, v20, v19, vcc
	v_cndmask_b32_e64 v43, v18, 0, s[0:1]
	s_waitcnt vmcnt(0) lgkmcnt(0)
	s_barrier
	v_mov_b32_e32 v18, 0
.LBB84_96:
	v_add_u32_e32 v49, v43, v31
	v_add_u32_e32 v47, v49, v33
	;; [unrolled: 1-line block ×5, first 2 shown]
	v_add_u32_sdwa v37, v39, v61 dst_sel:DWORD dst_unused:UNUSED_PAD src0_sel:DWORD src1_sel:BYTE_0
	v_add_u32_sdwa v35, v37, v60 dst_sel:DWORD dst_unused:UNUSED_PAD src0_sel:DWORD src1_sel:BYTE_0
	v_add_u32_e32 v33, v35, v27
	v_add_u32_e32 v31, v33, v29
	v_add_u32_e32 v29, v31, v30
	v_add_u32_e32 v27, v29, v32
	v_add_u32_e32 v25, v27, v34
	v_add_u32_e32 v23, v25, v36
	s_movk_i32 s2, 0x101
	v_add_u32_e32 v21, v23, v38
	s_waitcnt lgkmcnt(0)
	v_cmp_gt_u32_e32 vcc, s2, v17
	v_add_u32_e32 v19, v21, v40
	s_mov_b64 s[0:1], -1
	v_and_b32_e32 v66, 1, v28
	s_cbranch_vccnz .LBB84_100
; %bb.97:
	s_and_b64 vcc, exec, s[0:1]
	s_cbranch_vccnz .LBB84_133
.LBB84_98:
	v_cmp_eq_u32_e32 vcc, 0, v0
	s_and_b64 s[0:1], vcc, s[40:41]
	s_and_saveexec_b64 s[2:3], s[0:1]
	s_cbranch_execnz .LBB84_169
.LBB84_99:
	s_endpgm
.LBB84_100:
	v_add_u32_e32 v20, v18, v17
	s_lshl_b64 s[0:1], s[38:39], 2
	s_add_u32 s2, s4, s0
	v_cmp_lt_u32_e32 vcc, v43, v20
	s_addc_u32 s3, s5, s1
	s_or_b64 s[0:1], s[42:43], vcc
	v_cmp_eq_u32_e32 vcc, 1, v66
	s_and_b64 s[6:7], s[0:1], vcc
	s_and_saveexec_b64 s[0:1], s[6:7]
	s_cbranch_execz .LBB84_102
; %bb.101:
	v_mov_b32_e32 v44, 0
	v_lshlrev_b64 v[67:68], 2, v[43:44]
	v_mov_b32_e32 v22, s3
	v_add_co_u32_e32 v67, vcc, s2, v67
	v_addc_co_u32_e32 v68, vcc, v22, v68, vcc
	global_store_dword v[67:68], v15, off
.LBB84_102:
	s_or_b64 exec, exec, s[0:1]
	v_cmp_lt_u32_e32 vcc, v49, v20
	v_and_b32_e32 v22, 1, v65
	s_or_b64 s[0:1], s[42:43], vcc
	v_cmp_eq_u32_e32 vcc, 1, v22
	s_and_b64 s[6:7], s[0:1], vcc
	s_and_saveexec_b64 s[0:1], s[6:7]
	s_cbranch_execz .LBB84_104
; %bb.103:
	v_mov_b32_e32 v50, 0
	v_lshlrev_b64 v[67:68], 2, v[49:50]
	v_mov_b32_e32 v22, s3
	v_add_co_u32_e32 v67, vcc, s2, v67
	v_addc_co_u32_e32 v68, vcc, v22, v68, vcc
	global_store_dword v[67:68], v16, off
.LBB84_104:
	s_or_b64 exec, exec, s[0:1]
	v_cmp_lt_u32_e32 vcc, v47, v20
	v_and_b32_e32 v22, 1, v64
	;; [unrolled: 16-line block ×15, first 2 shown]
	s_or_b64 s[0:1], s[42:43], vcc
	v_cmp_eq_u32_e32 vcc, 1, v20
	s_and_b64 s[6:7], s[0:1], vcc
	s_and_saveexec_b64 s[0:1], s[6:7]
	s_cbranch_execz .LBB84_132
; %bb.131:
	v_mov_b32_e32 v20, 0
	v_lshlrev_b64 v[67:68], 2, v[19:20]
	v_mov_b32_e32 v20, s3
	v_add_co_u32_e32 v67, vcc, s2, v67
	v_addc_co_u32_e32 v68, vcc, v20, v68, vcc
	global_store_dword v[67:68], v2, off
.LBB84_132:
	s_or_b64 exec, exec, s[0:1]
	s_branch .LBB84_98
.LBB84_133:
	v_cmp_eq_u32_e32 vcc, 1, v66
	s_and_saveexec_b64 s[0:1], vcc
; %bb.134:
	v_sub_u32_e32 v20, v43, v18
	v_lshlrev_b32_e32 v20, 2, v20
	ds_write_b32 v20, v15
; %bb.135:
	s_or_b64 exec, exec, s[0:1]
	v_and_b32_e32 v15, 1, v65
	v_cmp_eq_u32_e32 vcc, 1, v15
	s_and_saveexec_b64 s[0:1], vcc
; %bb.136:
	v_sub_u32_e32 v15, v49, v18
	v_lshlrev_b32_e32 v15, 2, v15
	ds_write_b32 v15, v16
; %bb.137:
	s_or_b64 exec, exec, s[0:1]
	v_and_b32_e32 v15, 1, v64
	;; [unrolled: 9-line block ×15, first 2 shown]
	v_cmp_eq_u32_e32 vcc, 1, v1
	s_and_saveexec_b64 s[0:1], vcc
; %bb.164:
	v_sub_u32_e32 v1, v19, v18
	v_lshlrev_b32_e32 v1, 2, v1
	ds_write_b32 v1, v2
; %bb.165:
	s_or_b64 exec, exec, s[0:1]
	v_cmp_lt_u32_e32 vcc, v0, v17
	s_waitcnt vmcnt(0) lgkmcnt(0)
	s_barrier
	s_and_saveexec_b64 s[2:3], vcc
	s_cbranch_execz .LBB84_168
; %bb.166:
	v_mov_b32_e32 v2, 0
	v_mov_b32_e32 v1, v18
	s_lshl_b64 s[0:1], s[38:39], 2
	s_add_u32 s0, s4, s0
	v_lshlrev_b64 v[3:4], 2, v[1:2]
	s_addc_u32 s1, s5, s1
	v_mov_b32_e32 v1, s1
	v_add_co_u32_e32 v3, vcc, s0, v3
	v_addc_co_u32_e32 v4, vcc, v1, v4, vcc
	v_lshlrev_b32_e32 v5, 2, v0
	s_mov_b64 s[4:5], 0
	v_mov_b32_e32 v1, v0
.LBB84_167:                             ; =>This Inner Loop Header: Depth=1
	ds_read_b32 v8, v5
	v_lshlrev_b64 v[6:7], 2, v[1:2]
	v_add_u32_e32 v1, 0x100, v1
	v_cmp_ge_u32_e32 vcc, v1, v17
	v_add_co_u32_e64 v6, s[0:1], v3, v6
	v_add_u32_e32 v5, 0x400, v5
	v_addc_co_u32_e64 v7, s[0:1], v4, v7, s[0:1]
	s_or_b64 s[4:5], vcc, s[4:5]
	s_waitcnt lgkmcnt(0)
	global_store_dword v[6:7], v8, off
	s_andn2_b64 exec, exec, s[4:5]
	s_cbranch_execnz .LBB84_167
.LBB84_168:
	s_or_b64 exec, exec, s[2:3]
	v_cmp_eq_u32_e32 vcc, 0, v0
	s_and_b64 s[0:1], vcc, s[40:41]
	s_and_saveexec_b64 s[2:3], s[0:1]
	s_cbranch_execz .LBB84_99
.LBB84_169:
	v_mov_b32_e32 v0, s39
	v_add_co_u32_e32 v1, vcc, s38, v17
	v_addc_co_u32_e32 v3, vcc, 0, v0, vcc
	v_add_co_u32_e32 v0, vcc, v1, v18
	v_mov_b32_e32 v2, 0
	v_addc_co_u32_e32 v1, vcc, 0, v3, vcc
	global_store_dwordx2 v2, v[0:1], s[36:37]
	s_endpgm
	.section	.rodata,"a",@progbits
	.p2align	6, 0x0
	.amdhsa_kernel _ZN7rocprim17ROCPRIM_400000_NS6detail17trampoline_kernelINS0_14default_configENS1_25partition_config_selectorILNS1_17partition_subalgoE8EfNS0_10empty_typeEbEEZZNS1_14partition_implILS5_8ELb0ES3_jN6thrust23THRUST_200600_302600_NS6detail15normal_iteratorINSA_10device_ptrIfEEEEPS6_PKS6_NS0_5tupleIJSF_S6_EEENSJ_IJSG_SG_EEENS0_18inequality_wrapperINSA_8equal_toIfEEEEPmJS6_EEE10hipError_tPvRmT3_T4_T5_T6_T7_T9_mT8_P12ihipStream_tbDpT10_ENKUlT_T0_E_clISt17integral_constantIbLb0EES1A_EEDaS15_S16_EUlS15_E_NS1_11comp_targetILNS1_3genE2ELNS1_11target_archE906ELNS1_3gpuE6ELNS1_3repE0EEENS1_30default_config_static_selectorELNS0_4arch9wavefront6targetE1EEEvT1_
		.amdhsa_group_segment_fixed_size 16904
		.amdhsa_private_segment_fixed_size 0
		.amdhsa_kernarg_size 112
		.amdhsa_user_sgpr_count 6
		.amdhsa_user_sgpr_private_segment_buffer 1
		.amdhsa_user_sgpr_dispatch_ptr 0
		.amdhsa_user_sgpr_queue_ptr 0
		.amdhsa_user_sgpr_kernarg_segment_ptr 1
		.amdhsa_user_sgpr_dispatch_id 0
		.amdhsa_user_sgpr_flat_scratch_init 0
		.amdhsa_user_sgpr_private_segment_size 0
		.amdhsa_uses_dynamic_stack 0
		.amdhsa_system_sgpr_private_segment_wavefront_offset 0
		.amdhsa_system_sgpr_workgroup_id_x 1
		.amdhsa_system_sgpr_workgroup_id_y 0
		.amdhsa_system_sgpr_workgroup_id_z 0
		.amdhsa_system_sgpr_workgroup_info 0
		.amdhsa_system_vgpr_workitem_id 0
		.amdhsa_next_free_vgpr 75
		.amdhsa_next_free_sgpr 98
		.amdhsa_reserve_vcc 1
		.amdhsa_reserve_flat_scratch 0
		.amdhsa_float_round_mode_32 0
		.amdhsa_float_round_mode_16_64 0
		.amdhsa_float_denorm_mode_32 3
		.amdhsa_float_denorm_mode_16_64 3
		.amdhsa_dx10_clamp 1
		.amdhsa_ieee_mode 1
		.amdhsa_fp16_overflow 0
		.amdhsa_exception_fp_ieee_invalid_op 0
		.amdhsa_exception_fp_denorm_src 0
		.amdhsa_exception_fp_ieee_div_zero 0
		.amdhsa_exception_fp_ieee_overflow 0
		.amdhsa_exception_fp_ieee_underflow 0
		.amdhsa_exception_fp_ieee_inexact 0
		.amdhsa_exception_int_div_zero 0
	.end_amdhsa_kernel
	.section	.text._ZN7rocprim17ROCPRIM_400000_NS6detail17trampoline_kernelINS0_14default_configENS1_25partition_config_selectorILNS1_17partition_subalgoE8EfNS0_10empty_typeEbEEZZNS1_14partition_implILS5_8ELb0ES3_jN6thrust23THRUST_200600_302600_NS6detail15normal_iteratorINSA_10device_ptrIfEEEEPS6_PKS6_NS0_5tupleIJSF_S6_EEENSJ_IJSG_SG_EEENS0_18inequality_wrapperINSA_8equal_toIfEEEEPmJS6_EEE10hipError_tPvRmT3_T4_T5_T6_T7_T9_mT8_P12ihipStream_tbDpT10_ENKUlT_T0_E_clISt17integral_constantIbLb0EES1A_EEDaS15_S16_EUlS15_E_NS1_11comp_targetILNS1_3genE2ELNS1_11target_archE906ELNS1_3gpuE6ELNS1_3repE0EEENS1_30default_config_static_selectorELNS0_4arch9wavefront6targetE1EEEvT1_,"axG",@progbits,_ZN7rocprim17ROCPRIM_400000_NS6detail17trampoline_kernelINS0_14default_configENS1_25partition_config_selectorILNS1_17partition_subalgoE8EfNS0_10empty_typeEbEEZZNS1_14partition_implILS5_8ELb0ES3_jN6thrust23THRUST_200600_302600_NS6detail15normal_iteratorINSA_10device_ptrIfEEEEPS6_PKS6_NS0_5tupleIJSF_S6_EEENSJ_IJSG_SG_EEENS0_18inequality_wrapperINSA_8equal_toIfEEEEPmJS6_EEE10hipError_tPvRmT3_T4_T5_T6_T7_T9_mT8_P12ihipStream_tbDpT10_ENKUlT_T0_E_clISt17integral_constantIbLb0EES1A_EEDaS15_S16_EUlS15_E_NS1_11comp_targetILNS1_3genE2ELNS1_11target_archE906ELNS1_3gpuE6ELNS1_3repE0EEENS1_30default_config_static_selectorELNS0_4arch9wavefront6targetE1EEEvT1_,comdat
.Lfunc_end84:
	.size	_ZN7rocprim17ROCPRIM_400000_NS6detail17trampoline_kernelINS0_14default_configENS1_25partition_config_selectorILNS1_17partition_subalgoE8EfNS0_10empty_typeEbEEZZNS1_14partition_implILS5_8ELb0ES3_jN6thrust23THRUST_200600_302600_NS6detail15normal_iteratorINSA_10device_ptrIfEEEEPS6_PKS6_NS0_5tupleIJSF_S6_EEENSJ_IJSG_SG_EEENS0_18inequality_wrapperINSA_8equal_toIfEEEEPmJS6_EEE10hipError_tPvRmT3_T4_T5_T6_T7_T9_mT8_P12ihipStream_tbDpT10_ENKUlT_T0_E_clISt17integral_constantIbLb0EES1A_EEDaS15_S16_EUlS15_E_NS1_11comp_targetILNS1_3genE2ELNS1_11target_archE906ELNS1_3gpuE6ELNS1_3repE0EEENS1_30default_config_static_selectorELNS0_4arch9wavefront6targetE1EEEvT1_, .Lfunc_end84-_ZN7rocprim17ROCPRIM_400000_NS6detail17trampoline_kernelINS0_14default_configENS1_25partition_config_selectorILNS1_17partition_subalgoE8EfNS0_10empty_typeEbEEZZNS1_14partition_implILS5_8ELb0ES3_jN6thrust23THRUST_200600_302600_NS6detail15normal_iteratorINSA_10device_ptrIfEEEEPS6_PKS6_NS0_5tupleIJSF_S6_EEENSJ_IJSG_SG_EEENS0_18inequality_wrapperINSA_8equal_toIfEEEEPmJS6_EEE10hipError_tPvRmT3_T4_T5_T6_T7_T9_mT8_P12ihipStream_tbDpT10_ENKUlT_T0_E_clISt17integral_constantIbLb0EES1A_EEDaS15_S16_EUlS15_E_NS1_11comp_targetILNS1_3genE2ELNS1_11target_archE906ELNS1_3gpuE6ELNS1_3repE0EEENS1_30default_config_static_selectorELNS0_4arch9wavefront6targetE1EEEvT1_
                                        ; -- End function
	.set _ZN7rocprim17ROCPRIM_400000_NS6detail17trampoline_kernelINS0_14default_configENS1_25partition_config_selectorILNS1_17partition_subalgoE8EfNS0_10empty_typeEbEEZZNS1_14partition_implILS5_8ELb0ES3_jN6thrust23THRUST_200600_302600_NS6detail15normal_iteratorINSA_10device_ptrIfEEEEPS6_PKS6_NS0_5tupleIJSF_S6_EEENSJ_IJSG_SG_EEENS0_18inequality_wrapperINSA_8equal_toIfEEEEPmJS6_EEE10hipError_tPvRmT3_T4_T5_T6_T7_T9_mT8_P12ihipStream_tbDpT10_ENKUlT_T0_E_clISt17integral_constantIbLb0EES1A_EEDaS15_S16_EUlS15_E_NS1_11comp_targetILNS1_3genE2ELNS1_11target_archE906ELNS1_3gpuE6ELNS1_3repE0EEENS1_30default_config_static_selectorELNS0_4arch9wavefront6targetE1EEEvT1_.num_vgpr, 75
	.set _ZN7rocprim17ROCPRIM_400000_NS6detail17trampoline_kernelINS0_14default_configENS1_25partition_config_selectorILNS1_17partition_subalgoE8EfNS0_10empty_typeEbEEZZNS1_14partition_implILS5_8ELb0ES3_jN6thrust23THRUST_200600_302600_NS6detail15normal_iteratorINSA_10device_ptrIfEEEEPS6_PKS6_NS0_5tupleIJSF_S6_EEENSJ_IJSG_SG_EEENS0_18inequality_wrapperINSA_8equal_toIfEEEEPmJS6_EEE10hipError_tPvRmT3_T4_T5_T6_T7_T9_mT8_P12ihipStream_tbDpT10_ENKUlT_T0_E_clISt17integral_constantIbLb0EES1A_EEDaS15_S16_EUlS15_E_NS1_11comp_targetILNS1_3genE2ELNS1_11target_archE906ELNS1_3gpuE6ELNS1_3repE0EEENS1_30default_config_static_selectorELNS0_4arch9wavefront6targetE1EEEvT1_.num_agpr, 0
	.set _ZN7rocprim17ROCPRIM_400000_NS6detail17trampoline_kernelINS0_14default_configENS1_25partition_config_selectorILNS1_17partition_subalgoE8EfNS0_10empty_typeEbEEZZNS1_14partition_implILS5_8ELb0ES3_jN6thrust23THRUST_200600_302600_NS6detail15normal_iteratorINSA_10device_ptrIfEEEEPS6_PKS6_NS0_5tupleIJSF_S6_EEENSJ_IJSG_SG_EEENS0_18inequality_wrapperINSA_8equal_toIfEEEEPmJS6_EEE10hipError_tPvRmT3_T4_T5_T6_T7_T9_mT8_P12ihipStream_tbDpT10_ENKUlT_T0_E_clISt17integral_constantIbLb0EES1A_EEDaS15_S16_EUlS15_E_NS1_11comp_targetILNS1_3genE2ELNS1_11target_archE906ELNS1_3gpuE6ELNS1_3repE0EEENS1_30default_config_static_selectorELNS0_4arch9wavefront6targetE1EEEvT1_.numbered_sgpr, 56
	.set _ZN7rocprim17ROCPRIM_400000_NS6detail17trampoline_kernelINS0_14default_configENS1_25partition_config_selectorILNS1_17partition_subalgoE8EfNS0_10empty_typeEbEEZZNS1_14partition_implILS5_8ELb0ES3_jN6thrust23THRUST_200600_302600_NS6detail15normal_iteratorINSA_10device_ptrIfEEEEPS6_PKS6_NS0_5tupleIJSF_S6_EEENSJ_IJSG_SG_EEENS0_18inequality_wrapperINSA_8equal_toIfEEEEPmJS6_EEE10hipError_tPvRmT3_T4_T5_T6_T7_T9_mT8_P12ihipStream_tbDpT10_ENKUlT_T0_E_clISt17integral_constantIbLb0EES1A_EEDaS15_S16_EUlS15_E_NS1_11comp_targetILNS1_3genE2ELNS1_11target_archE906ELNS1_3gpuE6ELNS1_3repE0EEENS1_30default_config_static_selectorELNS0_4arch9wavefront6targetE1EEEvT1_.num_named_barrier, 0
	.set _ZN7rocprim17ROCPRIM_400000_NS6detail17trampoline_kernelINS0_14default_configENS1_25partition_config_selectorILNS1_17partition_subalgoE8EfNS0_10empty_typeEbEEZZNS1_14partition_implILS5_8ELb0ES3_jN6thrust23THRUST_200600_302600_NS6detail15normal_iteratorINSA_10device_ptrIfEEEEPS6_PKS6_NS0_5tupleIJSF_S6_EEENSJ_IJSG_SG_EEENS0_18inequality_wrapperINSA_8equal_toIfEEEEPmJS6_EEE10hipError_tPvRmT3_T4_T5_T6_T7_T9_mT8_P12ihipStream_tbDpT10_ENKUlT_T0_E_clISt17integral_constantIbLb0EES1A_EEDaS15_S16_EUlS15_E_NS1_11comp_targetILNS1_3genE2ELNS1_11target_archE906ELNS1_3gpuE6ELNS1_3repE0EEENS1_30default_config_static_selectorELNS0_4arch9wavefront6targetE1EEEvT1_.private_seg_size, 0
	.set _ZN7rocprim17ROCPRIM_400000_NS6detail17trampoline_kernelINS0_14default_configENS1_25partition_config_selectorILNS1_17partition_subalgoE8EfNS0_10empty_typeEbEEZZNS1_14partition_implILS5_8ELb0ES3_jN6thrust23THRUST_200600_302600_NS6detail15normal_iteratorINSA_10device_ptrIfEEEEPS6_PKS6_NS0_5tupleIJSF_S6_EEENSJ_IJSG_SG_EEENS0_18inequality_wrapperINSA_8equal_toIfEEEEPmJS6_EEE10hipError_tPvRmT3_T4_T5_T6_T7_T9_mT8_P12ihipStream_tbDpT10_ENKUlT_T0_E_clISt17integral_constantIbLb0EES1A_EEDaS15_S16_EUlS15_E_NS1_11comp_targetILNS1_3genE2ELNS1_11target_archE906ELNS1_3gpuE6ELNS1_3repE0EEENS1_30default_config_static_selectorELNS0_4arch9wavefront6targetE1EEEvT1_.uses_vcc, 1
	.set _ZN7rocprim17ROCPRIM_400000_NS6detail17trampoline_kernelINS0_14default_configENS1_25partition_config_selectorILNS1_17partition_subalgoE8EfNS0_10empty_typeEbEEZZNS1_14partition_implILS5_8ELb0ES3_jN6thrust23THRUST_200600_302600_NS6detail15normal_iteratorINSA_10device_ptrIfEEEEPS6_PKS6_NS0_5tupleIJSF_S6_EEENSJ_IJSG_SG_EEENS0_18inequality_wrapperINSA_8equal_toIfEEEEPmJS6_EEE10hipError_tPvRmT3_T4_T5_T6_T7_T9_mT8_P12ihipStream_tbDpT10_ENKUlT_T0_E_clISt17integral_constantIbLb0EES1A_EEDaS15_S16_EUlS15_E_NS1_11comp_targetILNS1_3genE2ELNS1_11target_archE906ELNS1_3gpuE6ELNS1_3repE0EEENS1_30default_config_static_selectorELNS0_4arch9wavefront6targetE1EEEvT1_.uses_flat_scratch, 0
	.set _ZN7rocprim17ROCPRIM_400000_NS6detail17trampoline_kernelINS0_14default_configENS1_25partition_config_selectorILNS1_17partition_subalgoE8EfNS0_10empty_typeEbEEZZNS1_14partition_implILS5_8ELb0ES3_jN6thrust23THRUST_200600_302600_NS6detail15normal_iteratorINSA_10device_ptrIfEEEEPS6_PKS6_NS0_5tupleIJSF_S6_EEENSJ_IJSG_SG_EEENS0_18inequality_wrapperINSA_8equal_toIfEEEEPmJS6_EEE10hipError_tPvRmT3_T4_T5_T6_T7_T9_mT8_P12ihipStream_tbDpT10_ENKUlT_T0_E_clISt17integral_constantIbLb0EES1A_EEDaS15_S16_EUlS15_E_NS1_11comp_targetILNS1_3genE2ELNS1_11target_archE906ELNS1_3gpuE6ELNS1_3repE0EEENS1_30default_config_static_selectorELNS0_4arch9wavefront6targetE1EEEvT1_.has_dyn_sized_stack, 0
	.set _ZN7rocprim17ROCPRIM_400000_NS6detail17trampoline_kernelINS0_14default_configENS1_25partition_config_selectorILNS1_17partition_subalgoE8EfNS0_10empty_typeEbEEZZNS1_14partition_implILS5_8ELb0ES3_jN6thrust23THRUST_200600_302600_NS6detail15normal_iteratorINSA_10device_ptrIfEEEEPS6_PKS6_NS0_5tupleIJSF_S6_EEENSJ_IJSG_SG_EEENS0_18inequality_wrapperINSA_8equal_toIfEEEEPmJS6_EEE10hipError_tPvRmT3_T4_T5_T6_T7_T9_mT8_P12ihipStream_tbDpT10_ENKUlT_T0_E_clISt17integral_constantIbLb0EES1A_EEDaS15_S16_EUlS15_E_NS1_11comp_targetILNS1_3genE2ELNS1_11target_archE906ELNS1_3gpuE6ELNS1_3repE0EEENS1_30default_config_static_selectorELNS0_4arch9wavefront6targetE1EEEvT1_.has_recursion, 0
	.set _ZN7rocprim17ROCPRIM_400000_NS6detail17trampoline_kernelINS0_14default_configENS1_25partition_config_selectorILNS1_17partition_subalgoE8EfNS0_10empty_typeEbEEZZNS1_14partition_implILS5_8ELb0ES3_jN6thrust23THRUST_200600_302600_NS6detail15normal_iteratorINSA_10device_ptrIfEEEEPS6_PKS6_NS0_5tupleIJSF_S6_EEENSJ_IJSG_SG_EEENS0_18inequality_wrapperINSA_8equal_toIfEEEEPmJS6_EEE10hipError_tPvRmT3_T4_T5_T6_T7_T9_mT8_P12ihipStream_tbDpT10_ENKUlT_T0_E_clISt17integral_constantIbLb0EES1A_EEDaS15_S16_EUlS15_E_NS1_11comp_targetILNS1_3genE2ELNS1_11target_archE906ELNS1_3gpuE6ELNS1_3repE0EEENS1_30default_config_static_selectorELNS0_4arch9wavefront6targetE1EEEvT1_.has_indirect_call, 0
	.section	.AMDGPU.csdata,"",@progbits
; Kernel info:
; codeLenInByte = 8048
; TotalNumSgprs: 60
; NumVgprs: 75
; ScratchSize: 0
; MemoryBound: 0
; FloatMode: 240
; IeeeMode: 1
; LDSByteSize: 16904 bytes/workgroup (compile time only)
; SGPRBlocks: 12
; VGPRBlocks: 18
; NumSGPRsForWavesPerEU: 102
; NumVGPRsForWavesPerEU: 75
; Occupancy: 3
; WaveLimiterHint : 1
; COMPUTE_PGM_RSRC2:SCRATCH_EN: 0
; COMPUTE_PGM_RSRC2:USER_SGPR: 6
; COMPUTE_PGM_RSRC2:TRAP_HANDLER: 0
; COMPUTE_PGM_RSRC2:TGID_X_EN: 1
; COMPUTE_PGM_RSRC2:TGID_Y_EN: 0
; COMPUTE_PGM_RSRC2:TGID_Z_EN: 0
; COMPUTE_PGM_RSRC2:TIDIG_COMP_CNT: 0
	.section	.text._ZN7rocprim17ROCPRIM_400000_NS6detail17trampoline_kernelINS0_14default_configENS1_25partition_config_selectorILNS1_17partition_subalgoE8EfNS0_10empty_typeEbEEZZNS1_14partition_implILS5_8ELb0ES3_jN6thrust23THRUST_200600_302600_NS6detail15normal_iteratorINSA_10device_ptrIfEEEEPS6_PKS6_NS0_5tupleIJSF_S6_EEENSJ_IJSG_SG_EEENS0_18inequality_wrapperINSA_8equal_toIfEEEEPmJS6_EEE10hipError_tPvRmT3_T4_T5_T6_T7_T9_mT8_P12ihipStream_tbDpT10_ENKUlT_T0_E_clISt17integral_constantIbLb0EES1A_EEDaS15_S16_EUlS15_E_NS1_11comp_targetILNS1_3genE10ELNS1_11target_archE1200ELNS1_3gpuE4ELNS1_3repE0EEENS1_30default_config_static_selectorELNS0_4arch9wavefront6targetE1EEEvT1_,"axG",@progbits,_ZN7rocprim17ROCPRIM_400000_NS6detail17trampoline_kernelINS0_14default_configENS1_25partition_config_selectorILNS1_17partition_subalgoE8EfNS0_10empty_typeEbEEZZNS1_14partition_implILS5_8ELb0ES3_jN6thrust23THRUST_200600_302600_NS6detail15normal_iteratorINSA_10device_ptrIfEEEEPS6_PKS6_NS0_5tupleIJSF_S6_EEENSJ_IJSG_SG_EEENS0_18inequality_wrapperINSA_8equal_toIfEEEEPmJS6_EEE10hipError_tPvRmT3_T4_T5_T6_T7_T9_mT8_P12ihipStream_tbDpT10_ENKUlT_T0_E_clISt17integral_constantIbLb0EES1A_EEDaS15_S16_EUlS15_E_NS1_11comp_targetILNS1_3genE10ELNS1_11target_archE1200ELNS1_3gpuE4ELNS1_3repE0EEENS1_30default_config_static_selectorELNS0_4arch9wavefront6targetE1EEEvT1_,comdat
	.protected	_ZN7rocprim17ROCPRIM_400000_NS6detail17trampoline_kernelINS0_14default_configENS1_25partition_config_selectorILNS1_17partition_subalgoE8EfNS0_10empty_typeEbEEZZNS1_14partition_implILS5_8ELb0ES3_jN6thrust23THRUST_200600_302600_NS6detail15normal_iteratorINSA_10device_ptrIfEEEEPS6_PKS6_NS0_5tupleIJSF_S6_EEENSJ_IJSG_SG_EEENS0_18inequality_wrapperINSA_8equal_toIfEEEEPmJS6_EEE10hipError_tPvRmT3_T4_T5_T6_T7_T9_mT8_P12ihipStream_tbDpT10_ENKUlT_T0_E_clISt17integral_constantIbLb0EES1A_EEDaS15_S16_EUlS15_E_NS1_11comp_targetILNS1_3genE10ELNS1_11target_archE1200ELNS1_3gpuE4ELNS1_3repE0EEENS1_30default_config_static_selectorELNS0_4arch9wavefront6targetE1EEEvT1_ ; -- Begin function _ZN7rocprim17ROCPRIM_400000_NS6detail17trampoline_kernelINS0_14default_configENS1_25partition_config_selectorILNS1_17partition_subalgoE8EfNS0_10empty_typeEbEEZZNS1_14partition_implILS5_8ELb0ES3_jN6thrust23THRUST_200600_302600_NS6detail15normal_iteratorINSA_10device_ptrIfEEEEPS6_PKS6_NS0_5tupleIJSF_S6_EEENSJ_IJSG_SG_EEENS0_18inequality_wrapperINSA_8equal_toIfEEEEPmJS6_EEE10hipError_tPvRmT3_T4_T5_T6_T7_T9_mT8_P12ihipStream_tbDpT10_ENKUlT_T0_E_clISt17integral_constantIbLb0EES1A_EEDaS15_S16_EUlS15_E_NS1_11comp_targetILNS1_3genE10ELNS1_11target_archE1200ELNS1_3gpuE4ELNS1_3repE0EEENS1_30default_config_static_selectorELNS0_4arch9wavefront6targetE1EEEvT1_
	.globl	_ZN7rocprim17ROCPRIM_400000_NS6detail17trampoline_kernelINS0_14default_configENS1_25partition_config_selectorILNS1_17partition_subalgoE8EfNS0_10empty_typeEbEEZZNS1_14partition_implILS5_8ELb0ES3_jN6thrust23THRUST_200600_302600_NS6detail15normal_iteratorINSA_10device_ptrIfEEEEPS6_PKS6_NS0_5tupleIJSF_S6_EEENSJ_IJSG_SG_EEENS0_18inequality_wrapperINSA_8equal_toIfEEEEPmJS6_EEE10hipError_tPvRmT3_T4_T5_T6_T7_T9_mT8_P12ihipStream_tbDpT10_ENKUlT_T0_E_clISt17integral_constantIbLb0EES1A_EEDaS15_S16_EUlS15_E_NS1_11comp_targetILNS1_3genE10ELNS1_11target_archE1200ELNS1_3gpuE4ELNS1_3repE0EEENS1_30default_config_static_selectorELNS0_4arch9wavefront6targetE1EEEvT1_
	.p2align	8
	.type	_ZN7rocprim17ROCPRIM_400000_NS6detail17trampoline_kernelINS0_14default_configENS1_25partition_config_selectorILNS1_17partition_subalgoE8EfNS0_10empty_typeEbEEZZNS1_14partition_implILS5_8ELb0ES3_jN6thrust23THRUST_200600_302600_NS6detail15normal_iteratorINSA_10device_ptrIfEEEEPS6_PKS6_NS0_5tupleIJSF_S6_EEENSJ_IJSG_SG_EEENS0_18inequality_wrapperINSA_8equal_toIfEEEEPmJS6_EEE10hipError_tPvRmT3_T4_T5_T6_T7_T9_mT8_P12ihipStream_tbDpT10_ENKUlT_T0_E_clISt17integral_constantIbLb0EES1A_EEDaS15_S16_EUlS15_E_NS1_11comp_targetILNS1_3genE10ELNS1_11target_archE1200ELNS1_3gpuE4ELNS1_3repE0EEENS1_30default_config_static_selectorELNS0_4arch9wavefront6targetE1EEEvT1_,@function
_ZN7rocprim17ROCPRIM_400000_NS6detail17trampoline_kernelINS0_14default_configENS1_25partition_config_selectorILNS1_17partition_subalgoE8EfNS0_10empty_typeEbEEZZNS1_14partition_implILS5_8ELb0ES3_jN6thrust23THRUST_200600_302600_NS6detail15normal_iteratorINSA_10device_ptrIfEEEEPS6_PKS6_NS0_5tupleIJSF_S6_EEENSJ_IJSG_SG_EEENS0_18inequality_wrapperINSA_8equal_toIfEEEEPmJS6_EEE10hipError_tPvRmT3_T4_T5_T6_T7_T9_mT8_P12ihipStream_tbDpT10_ENKUlT_T0_E_clISt17integral_constantIbLb0EES1A_EEDaS15_S16_EUlS15_E_NS1_11comp_targetILNS1_3genE10ELNS1_11target_archE1200ELNS1_3gpuE4ELNS1_3repE0EEENS1_30default_config_static_selectorELNS0_4arch9wavefront6targetE1EEEvT1_: ; @_ZN7rocprim17ROCPRIM_400000_NS6detail17trampoline_kernelINS0_14default_configENS1_25partition_config_selectorILNS1_17partition_subalgoE8EfNS0_10empty_typeEbEEZZNS1_14partition_implILS5_8ELb0ES3_jN6thrust23THRUST_200600_302600_NS6detail15normal_iteratorINSA_10device_ptrIfEEEEPS6_PKS6_NS0_5tupleIJSF_S6_EEENSJ_IJSG_SG_EEENS0_18inequality_wrapperINSA_8equal_toIfEEEEPmJS6_EEE10hipError_tPvRmT3_T4_T5_T6_T7_T9_mT8_P12ihipStream_tbDpT10_ENKUlT_T0_E_clISt17integral_constantIbLb0EES1A_EEDaS15_S16_EUlS15_E_NS1_11comp_targetILNS1_3genE10ELNS1_11target_archE1200ELNS1_3gpuE4ELNS1_3repE0EEENS1_30default_config_static_selectorELNS0_4arch9wavefront6targetE1EEEvT1_
; %bb.0:
	.section	.rodata,"a",@progbits
	.p2align	6, 0x0
	.amdhsa_kernel _ZN7rocprim17ROCPRIM_400000_NS6detail17trampoline_kernelINS0_14default_configENS1_25partition_config_selectorILNS1_17partition_subalgoE8EfNS0_10empty_typeEbEEZZNS1_14partition_implILS5_8ELb0ES3_jN6thrust23THRUST_200600_302600_NS6detail15normal_iteratorINSA_10device_ptrIfEEEEPS6_PKS6_NS0_5tupleIJSF_S6_EEENSJ_IJSG_SG_EEENS0_18inequality_wrapperINSA_8equal_toIfEEEEPmJS6_EEE10hipError_tPvRmT3_T4_T5_T6_T7_T9_mT8_P12ihipStream_tbDpT10_ENKUlT_T0_E_clISt17integral_constantIbLb0EES1A_EEDaS15_S16_EUlS15_E_NS1_11comp_targetILNS1_3genE10ELNS1_11target_archE1200ELNS1_3gpuE4ELNS1_3repE0EEENS1_30default_config_static_selectorELNS0_4arch9wavefront6targetE1EEEvT1_
		.amdhsa_group_segment_fixed_size 0
		.amdhsa_private_segment_fixed_size 0
		.amdhsa_kernarg_size 112
		.amdhsa_user_sgpr_count 6
		.amdhsa_user_sgpr_private_segment_buffer 1
		.amdhsa_user_sgpr_dispatch_ptr 0
		.amdhsa_user_sgpr_queue_ptr 0
		.amdhsa_user_sgpr_kernarg_segment_ptr 1
		.amdhsa_user_sgpr_dispatch_id 0
		.amdhsa_user_sgpr_flat_scratch_init 0
		.amdhsa_user_sgpr_private_segment_size 0
		.amdhsa_uses_dynamic_stack 0
		.amdhsa_system_sgpr_private_segment_wavefront_offset 0
		.amdhsa_system_sgpr_workgroup_id_x 1
		.amdhsa_system_sgpr_workgroup_id_y 0
		.amdhsa_system_sgpr_workgroup_id_z 0
		.amdhsa_system_sgpr_workgroup_info 0
		.amdhsa_system_vgpr_workitem_id 0
		.amdhsa_next_free_vgpr 1
		.amdhsa_next_free_sgpr 0
		.amdhsa_reserve_vcc 0
		.amdhsa_reserve_flat_scratch 0
		.amdhsa_float_round_mode_32 0
		.amdhsa_float_round_mode_16_64 0
		.amdhsa_float_denorm_mode_32 3
		.amdhsa_float_denorm_mode_16_64 3
		.amdhsa_dx10_clamp 1
		.amdhsa_ieee_mode 1
		.amdhsa_fp16_overflow 0
		.amdhsa_exception_fp_ieee_invalid_op 0
		.amdhsa_exception_fp_denorm_src 0
		.amdhsa_exception_fp_ieee_div_zero 0
		.amdhsa_exception_fp_ieee_overflow 0
		.amdhsa_exception_fp_ieee_underflow 0
		.amdhsa_exception_fp_ieee_inexact 0
		.amdhsa_exception_int_div_zero 0
	.end_amdhsa_kernel
	.section	.text._ZN7rocprim17ROCPRIM_400000_NS6detail17trampoline_kernelINS0_14default_configENS1_25partition_config_selectorILNS1_17partition_subalgoE8EfNS0_10empty_typeEbEEZZNS1_14partition_implILS5_8ELb0ES3_jN6thrust23THRUST_200600_302600_NS6detail15normal_iteratorINSA_10device_ptrIfEEEEPS6_PKS6_NS0_5tupleIJSF_S6_EEENSJ_IJSG_SG_EEENS0_18inequality_wrapperINSA_8equal_toIfEEEEPmJS6_EEE10hipError_tPvRmT3_T4_T5_T6_T7_T9_mT8_P12ihipStream_tbDpT10_ENKUlT_T0_E_clISt17integral_constantIbLb0EES1A_EEDaS15_S16_EUlS15_E_NS1_11comp_targetILNS1_3genE10ELNS1_11target_archE1200ELNS1_3gpuE4ELNS1_3repE0EEENS1_30default_config_static_selectorELNS0_4arch9wavefront6targetE1EEEvT1_,"axG",@progbits,_ZN7rocprim17ROCPRIM_400000_NS6detail17trampoline_kernelINS0_14default_configENS1_25partition_config_selectorILNS1_17partition_subalgoE8EfNS0_10empty_typeEbEEZZNS1_14partition_implILS5_8ELb0ES3_jN6thrust23THRUST_200600_302600_NS6detail15normal_iteratorINSA_10device_ptrIfEEEEPS6_PKS6_NS0_5tupleIJSF_S6_EEENSJ_IJSG_SG_EEENS0_18inequality_wrapperINSA_8equal_toIfEEEEPmJS6_EEE10hipError_tPvRmT3_T4_T5_T6_T7_T9_mT8_P12ihipStream_tbDpT10_ENKUlT_T0_E_clISt17integral_constantIbLb0EES1A_EEDaS15_S16_EUlS15_E_NS1_11comp_targetILNS1_3genE10ELNS1_11target_archE1200ELNS1_3gpuE4ELNS1_3repE0EEENS1_30default_config_static_selectorELNS0_4arch9wavefront6targetE1EEEvT1_,comdat
.Lfunc_end85:
	.size	_ZN7rocprim17ROCPRIM_400000_NS6detail17trampoline_kernelINS0_14default_configENS1_25partition_config_selectorILNS1_17partition_subalgoE8EfNS0_10empty_typeEbEEZZNS1_14partition_implILS5_8ELb0ES3_jN6thrust23THRUST_200600_302600_NS6detail15normal_iteratorINSA_10device_ptrIfEEEEPS6_PKS6_NS0_5tupleIJSF_S6_EEENSJ_IJSG_SG_EEENS0_18inequality_wrapperINSA_8equal_toIfEEEEPmJS6_EEE10hipError_tPvRmT3_T4_T5_T6_T7_T9_mT8_P12ihipStream_tbDpT10_ENKUlT_T0_E_clISt17integral_constantIbLb0EES1A_EEDaS15_S16_EUlS15_E_NS1_11comp_targetILNS1_3genE10ELNS1_11target_archE1200ELNS1_3gpuE4ELNS1_3repE0EEENS1_30default_config_static_selectorELNS0_4arch9wavefront6targetE1EEEvT1_, .Lfunc_end85-_ZN7rocprim17ROCPRIM_400000_NS6detail17trampoline_kernelINS0_14default_configENS1_25partition_config_selectorILNS1_17partition_subalgoE8EfNS0_10empty_typeEbEEZZNS1_14partition_implILS5_8ELb0ES3_jN6thrust23THRUST_200600_302600_NS6detail15normal_iteratorINSA_10device_ptrIfEEEEPS6_PKS6_NS0_5tupleIJSF_S6_EEENSJ_IJSG_SG_EEENS0_18inequality_wrapperINSA_8equal_toIfEEEEPmJS6_EEE10hipError_tPvRmT3_T4_T5_T6_T7_T9_mT8_P12ihipStream_tbDpT10_ENKUlT_T0_E_clISt17integral_constantIbLb0EES1A_EEDaS15_S16_EUlS15_E_NS1_11comp_targetILNS1_3genE10ELNS1_11target_archE1200ELNS1_3gpuE4ELNS1_3repE0EEENS1_30default_config_static_selectorELNS0_4arch9wavefront6targetE1EEEvT1_
                                        ; -- End function
	.set _ZN7rocprim17ROCPRIM_400000_NS6detail17trampoline_kernelINS0_14default_configENS1_25partition_config_selectorILNS1_17partition_subalgoE8EfNS0_10empty_typeEbEEZZNS1_14partition_implILS5_8ELb0ES3_jN6thrust23THRUST_200600_302600_NS6detail15normal_iteratorINSA_10device_ptrIfEEEEPS6_PKS6_NS0_5tupleIJSF_S6_EEENSJ_IJSG_SG_EEENS0_18inequality_wrapperINSA_8equal_toIfEEEEPmJS6_EEE10hipError_tPvRmT3_T4_T5_T6_T7_T9_mT8_P12ihipStream_tbDpT10_ENKUlT_T0_E_clISt17integral_constantIbLb0EES1A_EEDaS15_S16_EUlS15_E_NS1_11comp_targetILNS1_3genE10ELNS1_11target_archE1200ELNS1_3gpuE4ELNS1_3repE0EEENS1_30default_config_static_selectorELNS0_4arch9wavefront6targetE1EEEvT1_.num_vgpr, 0
	.set _ZN7rocprim17ROCPRIM_400000_NS6detail17trampoline_kernelINS0_14default_configENS1_25partition_config_selectorILNS1_17partition_subalgoE8EfNS0_10empty_typeEbEEZZNS1_14partition_implILS5_8ELb0ES3_jN6thrust23THRUST_200600_302600_NS6detail15normal_iteratorINSA_10device_ptrIfEEEEPS6_PKS6_NS0_5tupleIJSF_S6_EEENSJ_IJSG_SG_EEENS0_18inequality_wrapperINSA_8equal_toIfEEEEPmJS6_EEE10hipError_tPvRmT3_T4_T5_T6_T7_T9_mT8_P12ihipStream_tbDpT10_ENKUlT_T0_E_clISt17integral_constantIbLb0EES1A_EEDaS15_S16_EUlS15_E_NS1_11comp_targetILNS1_3genE10ELNS1_11target_archE1200ELNS1_3gpuE4ELNS1_3repE0EEENS1_30default_config_static_selectorELNS0_4arch9wavefront6targetE1EEEvT1_.num_agpr, 0
	.set _ZN7rocprim17ROCPRIM_400000_NS6detail17trampoline_kernelINS0_14default_configENS1_25partition_config_selectorILNS1_17partition_subalgoE8EfNS0_10empty_typeEbEEZZNS1_14partition_implILS5_8ELb0ES3_jN6thrust23THRUST_200600_302600_NS6detail15normal_iteratorINSA_10device_ptrIfEEEEPS6_PKS6_NS0_5tupleIJSF_S6_EEENSJ_IJSG_SG_EEENS0_18inequality_wrapperINSA_8equal_toIfEEEEPmJS6_EEE10hipError_tPvRmT3_T4_T5_T6_T7_T9_mT8_P12ihipStream_tbDpT10_ENKUlT_T0_E_clISt17integral_constantIbLb0EES1A_EEDaS15_S16_EUlS15_E_NS1_11comp_targetILNS1_3genE10ELNS1_11target_archE1200ELNS1_3gpuE4ELNS1_3repE0EEENS1_30default_config_static_selectorELNS0_4arch9wavefront6targetE1EEEvT1_.numbered_sgpr, 0
	.set _ZN7rocprim17ROCPRIM_400000_NS6detail17trampoline_kernelINS0_14default_configENS1_25partition_config_selectorILNS1_17partition_subalgoE8EfNS0_10empty_typeEbEEZZNS1_14partition_implILS5_8ELb0ES3_jN6thrust23THRUST_200600_302600_NS6detail15normal_iteratorINSA_10device_ptrIfEEEEPS6_PKS6_NS0_5tupleIJSF_S6_EEENSJ_IJSG_SG_EEENS0_18inequality_wrapperINSA_8equal_toIfEEEEPmJS6_EEE10hipError_tPvRmT3_T4_T5_T6_T7_T9_mT8_P12ihipStream_tbDpT10_ENKUlT_T0_E_clISt17integral_constantIbLb0EES1A_EEDaS15_S16_EUlS15_E_NS1_11comp_targetILNS1_3genE10ELNS1_11target_archE1200ELNS1_3gpuE4ELNS1_3repE0EEENS1_30default_config_static_selectorELNS0_4arch9wavefront6targetE1EEEvT1_.num_named_barrier, 0
	.set _ZN7rocprim17ROCPRIM_400000_NS6detail17trampoline_kernelINS0_14default_configENS1_25partition_config_selectorILNS1_17partition_subalgoE8EfNS0_10empty_typeEbEEZZNS1_14partition_implILS5_8ELb0ES3_jN6thrust23THRUST_200600_302600_NS6detail15normal_iteratorINSA_10device_ptrIfEEEEPS6_PKS6_NS0_5tupleIJSF_S6_EEENSJ_IJSG_SG_EEENS0_18inequality_wrapperINSA_8equal_toIfEEEEPmJS6_EEE10hipError_tPvRmT3_T4_T5_T6_T7_T9_mT8_P12ihipStream_tbDpT10_ENKUlT_T0_E_clISt17integral_constantIbLb0EES1A_EEDaS15_S16_EUlS15_E_NS1_11comp_targetILNS1_3genE10ELNS1_11target_archE1200ELNS1_3gpuE4ELNS1_3repE0EEENS1_30default_config_static_selectorELNS0_4arch9wavefront6targetE1EEEvT1_.private_seg_size, 0
	.set _ZN7rocprim17ROCPRIM_400000_NS6detail17trampoline_kernelINS0_14default_configENS1_25partition_config_selectorILNS1_17partition_subalgoE8EfNS0_10empty_typeEbEEZZNS1_14partition_implILS5_8ELb0ES3_jN6thrust23THRUST_200600_302600_NS6detail15normal_iteratorINSA_10device_ptrIfEEEEPS6_PKS6_NS0_5tupleIJSF_S6_EEENSJ_IJSG_SG_EEENS0_18inequality_wrapperINSA_8equal_toIfEEEEPmJS6_EEE10hipError_tPvRmT3_T4_T5_T6_T7_T9_mT8_P12ihipStream_tbDpT10_ENKUlT_T0_E_clISt17integral_constantIbLb0EES1A_EEDaS15_S16_EUlS15_E_NS1_11comp_targetILNS1_3genE10ELNS1_11target_archE1200ELNS1_3gpuE4ELNS1_3repE0EEENS1_30default_config_static_selectorELNS0_4arch9wavefront6targetE1EEEvT1_.uses_vcc, 0
	.set _ZN7rocprim17ROCPRIM_400000_NS6detail17trampoline_kernelINS0_14default_configENS1_25partition_config_selectorILNS1_17partition_subalgoE8EfNS0_10empty_typeEbEEZZNS1_14partition_implILS5_8ELb0ES3_jN6thrust23THRUST_200600_302600_NS6detail15normal_iteratorINSA_10device_ptrIfEEEEPS6_PKS6_NS0_5tupleIJSF_S6_EEENSJ_IJSG_SG_EEENS0_18inequality_wrapperINSA_8equal_toIfEEEEPmJS6_EEE10hipError_tPvRmT3_T4_T5_T6_T7_T9_mT8_P12ihipStream_tbDpT10_ENKUlT_T0_E_clISt17integral_constantIbLb0EES1A_EEDaS15_S16_EUlS15_E_NS1_11comp_targetILNS1_3genE10ELNS1_11target_archE1200ELNS1_3gpuE4ELNS1_3repE0EEENS1_30default_config_static_selectorELNS0_4arch9wavefront6targetE1EEEvT1_.uses_flat_scratch, 0
	.set _ZN7rocprim17ROCPRIM_400000_NS6detail17trampoline_kernelINS0_14default_configENS1_25partition_config_selectorILNS1_17partition_subalgoE8EfNS0_10empty_typeEbEEZZNS1_14partition_implILS5_8ELb0ES3_jN6thrust23THRUST_200600_302600_NS6detail15normal_iteratorINSA_10device_ptrIfEEEEPS6_PKS6_NS0_5tupleIJSF_S6_EEENSJ_IJSG_SG_EEENS0_18inequality_wrapperINSA_8equal_toIfEEEEPmJS6_EEE10hipError_tPvRmT3_T4_T5_T6_T7_T9_mT8_P12ihipStream_tbDpT10_ENKUlT_T0_E_clISt17integral_constantIbLb0EES1A_EEDaS15_S16_EUlS15_E_NS1_11comp_targetILNS1_3genE10ELNS1_11target_archE1200ELNS1_3gpuE4ELNS1_3repE0EEENS1_30default_config_static_selectorELNS0_4arch9wavefront6targetE1EEEvT1_.has_dyn_sized_stack, 0
	.set _ZN7rocprim17ROCPRIM_400000_NS6detail17trampoline_kernelINS0_14default_configENS1_25partition_config_selectorILNS1_17partition_subalgoE8EfNS0_10empty_typeEbEEZZNS1_14partition_implILS5_8ELb0ES3_jN6thrust23THRUST_200600_302600_NS6detail15normal_iteratorINSA_10device_ptrIfEEEEPS6_PKS6_NS0_5tupleIJSF_S6_EEENSJ_IJSG_SG_EEENS0_18inequality_wrapperINSA_8equal_toIfEEEEPmJS6_EEE10hipError_tPvRmT3_T4_T5_T6_T7_T9_mT8_P12ihipStream_tbDpT10_ENKUlT_T0_E_clISt17integral_constantIbLb0EES1A_EEDaS15_S16_EUlS15_E_NS1_11comp_targetILNS1_3genE10ELNS1_11target_archE1200ELNS1_3gpuE4ELNS1_3repE0EEENS1_30default_config_static_selectorELNS0_4arch9wavefront6targetE1EEEvT1_.has_recursion, 0
	.set _ZN7rocprim17ROCPRIM_400000_NS6detail17trampoline_kernelINS0_14default_configENS1_25partition_config_selectorILNS1_17partition_subalgoE8EfNS0_10empty_typeEbEEZZNS1_14partition_implILS5_8ELb0ES3_jN6thrust23THRUST_200600_302600_NS6detail15normal_iteratorINSA_10device_ptrIfEEEEPS6_PKS6_NS0_5tupleIJSF_S6_EEENSJ_IJSG_SG_EEENS0_18inequality_wrapperINSA_8equal_toIfEEEEPmJS6_EEE10hipError_tPvRmT3_T4_T5_T6_T7_T9_mT8_P12ihipStream_tbDpT10_ENKUlT_T0_E_clISt17integral_constantIbLb0EES1A_EEDaS15_S16_EUlS15_E_NS1_11comp_targetILNS1_3genE10ELNS1_11target_archE1200ELNS1_3gpuE4ELNS1_3repE0EEENS1_30default_config_static_selectorELNS0_4arch9wavefront6targetE1EEEvT1_.has_indirect_call, 0
	.section	.AMDGPU.csdata,"",@progbits
; Kernel info:
; codeLenInByte = 0
; TotalNumSgprs: 4
; NumVgprs: 0
; ScratchSize: 0
; MemoryBound: 0
; FloatMode: 240
; IeeeMode: 1
; LDSByteSize: 0 bytes/workgroup (compile time only)
; SGPRBlocks: 0
; VGPRBlocks: 0
; NumSGPRsForWavesPerEU: 4
; NumVGPRsForWavesPerEU: 1
; Occupancy: 10
; WaveLimiterHint : 0
; COMPUTE_PGM_RSRC2:SCRATCH_EN: 0
; COMPUTE_PGM_RSRC2:USER_SGPR: 6
; COMPUTE_PGM_RSRC2:TRAP_HANDLER: 0
; COMPUTE_PGM_RSRC2:TGID_X_EN: 1
; COMPUTE_PGM_RSRC2:TGID_Y_EN: 0
; COMPUTE_PGM_RSRC2:TGID_Z_EN: 0
; COMPUTE_PGM_RSRC2:TIDIG_COMP_CNT: 0
	.section	.text._ZN7rocprim17ROCPRIM_400000_NS6detail17trampoline_kernelINS0_14default_configENS1_25partition_config_selectorILNS1_17partition_subalgoE8EfNS0_10empty_typeEbEEZZNS1_14partition_implILS5_8ELb0ES3_jN6thrust23THRUST_200600_302600_NS6detail15normal_iteratorINSA_10device_ptrIfEEEEPS6_PKS6_NS0_5tupleIJSF_S6_EEENSJ_IJSG_SG_EEENS0_18inequality_wrapperINSA_8equal_toIfEEEEPmJS6_EEE10hipError_tPvRmT3_T4_T5_T6_T7_T9_mT8_P12ihipStream_tbDpT10_ENKUlT_T0_E_clISt17integral_constantIbLb0EES1A_EEDaS15_S16_EUlS15_E_NS1_11comp_targetILNS1_3genE9ELNS1_11target_archE1100ELNS1_3gpuE3ELNS1_3repE0EEENS1_30default_config_static_selectorELNS0_4arch9wavefront6targetE1EEEvT1_,"axG",@progbits,_ZN7rocprim17ROCPRIM_400000_NS6detail17trampoline_kernelINS0_14default_configENS1_25partition_config_selectorILNS1_17partition_subalgoE8EfNS0_10empty_typeEbEEZZNS1_14partition_implILS5_8ELb0ES3_jN6thrust23THRUST_200600_302600_NS6detail15normal_iteratorINSA_10device_ptrIfEEEEPS6_PKS6_NS0_5tupleIJSF_S6_EEENSJ_IJSG_SG_EEENS0_18inequality_wrapperINSA_8equal_toIfEEEEPmJS6_EEE10hipError_tPvRmT3_T4_T5_T6_T7_T9_mT8_P12ihipStream_tbDpT10_ENKUlT_T0_E_clISt17integral_constantIbLb0EES1A_EEDaS15_S16_EUlS15_E_NS1_11comp_targetILNS1_3genE9ELNS1_11target_archE1100ELNS1_3gpuE3ELNS1_3repE0EEENS1_30default_config_static_selectorELNS0_4arch9wavefront6targetE1EEEvT1_,comdat
	.protected	_ZN7rocprim17ROCPRIM_400000_NS6detail17trampoline_kernelINS0_14default_configENS1_25partition_config_selectorILNS1_17partition_subalgoE8EfNS0_10empty_typeEbEEZZNS1_14partition_implILS5_8ELb0ES3_jN6thrust23THRUST_200600_302600_NS6detail15normal_iteratorINSA_10device_ptrIfEEEEPS6_PKS6_NS0_5tupleIJSF_S6_EEENSJ_IJSG_SG_EEENS0_18inequality_wrapperINSA_8equal_toIfEEEEPmJS6_EEE10hipError_tPvRmT3_T4_T5_T6_T7_T9_mT8_P12ihipStream_tbDpT10_ENKUlT_T0_E_clISt17integral_constantIbLb0EES1A_EEDaS15_S16_EUlS15_E_NS1_11comp_targetILNS1_3genE9ELNS1_11target_archE1100ELNS1_3gpuE3ELNS1_3repE0EEENS1_30default_config_static_selectorELNS0_4arch9wavefront6targetE1EEEvT1_ ; -- Begin function _ZN7rocprim17ROCPRIM_400000_NS6detail17trampoline_kernelINS0_14default_configENS1_25partition_config_selectorILNS1_17partition_subalgoE8EfNS0_10empty_typeEbEEZZNS1_14partition_implILS5_8ELb0ES3_jN6thrust23THRUST_200600_302600_NS6detail15normal_iteratorINSA_10device_ptrIfEEEEPS6_PKS6_NS0_5tupleIJSF_S6_EEENSJ_IJSG_SG_EEENS0_18inequality_wrapperINSA_8equal_toIfEEEEPmJS6_EEE10hipError_tPvRmT3_T4_T5_T6_T7_T9_mT8_P12ihipStream_tbDpT10_ENKUlT_T0_E_clISt17integral_constantIbLb0EES1A_EEDaS15_S16_EUlS15_E_NS1_11comp_targetILNS1_3genE9ELNS1_11target_archE1100ELNS1_3gpuE3ELNS1_3repE0EEENS1_30default_config_static_selectorELNS0_4arch9wavefront6targetE1EEEvT1_
	.globl	_ZN7rocprim17ROCPRIM_400000_NS6detail17trampoline_kernelINS0_14default_configENS1_25partition_config_selectorILNS1_17partition_subalgoE8EfNS0_10empty_typeEbEEZZNS1_14partition_implILS5_8ELb0ES3_jN6thrust23THRUST_200600_302600_NS6detail15normal_iteratorINSA_10device_ptrIfEEEEPS6_PKS6_NS0_5tupleIJSF_S6_EEENSJ_IJSG_SG_EEENS0_18inequality_wrapperINSA_8equal_toIfEEEEPmJS6_EEE10hipError_tPvRmT3_T4_T5_T6_T7_T9_mT8_P12ihipStream_tbDpT10_ENKUlT_T0_E_clISt17integral_constantIbLb0EES1A_EEDaS15_S16_EUlS15_E_NS1_11comp_targetILNS1_3genE9ELNS1_11target_archE1100ELNS1_3gpuE3ELNS1_3repE0EEENS1_30default_config_static_selectorELNS0_4arch9wavefront6targetE1EEEvT1_
	.p2align	8
	.type	_ZN7rocprim17ROCPRIM_400000_NS6detail17trampoline_kernelINS0_14default_configENS1_25partition_config_selectorILNS1_17partition_subalgoE8EfNS0_10empty_typeEbEEZZNS1_14partition_implILS5_8ELb0ES3_jN6thrust23THRUST_200600_302600_NS6detail15normal_iteratorINSA_10device_ptrIfEEEEPS6_PKS6_NS0_5tupleIJSF_S6_EEENSJ_IJSG_SG_EEENS0_18inequality_wrapperINSA_8equal_toIfEEEEPmJS6_EEE10hipError_tPvRmT3_T4_T5_T6_T7_T9_mT8_P12ihipStream_tbDpT10_ENKUlT_T0_E_clISt17integral_constantIbLb0EES1A_EEDaS15_S16_EUlS15_E_NS1_11comp_targetILNS1_3genE9ELNS1_11target_archE1100ELNS1_3gpuE3ELNS1_3repE0EEENS1_30default_config_static_selectorELNS0_4arch9wavefront6targetE1EEEvT1_,@function
_ZN7rocprim17ROCPRIM_400000_NS6detail17trampoline_kernelINS0_14default_configENS1_25partition_config_selectorILNS1_17partition_subalgoE8EfNS0_10empty_typeEbEEZZNS1_14partition_implILS5_8ELb0ES3_jN6thrust23THRUST_200600_302600_NS6detail15normal_iteratorINSA_10device_ptrIfEEEEPS6_PKS6_NS0_5tupleIJSF_S6_EEENSJ_IJSG_SG_EEENS0_18inequality_wrapperINSA_8equal_toIfEEEEPmJS6_EEE10hipError_tPvRmT3_T4_T5_T6_T7_T9_mT8_P12ihipStream_tbDpT10_ENKUlT_T0_E_clISt17integral_constantIbLb0EES1A_EEDaS15_S16_EUlS15_E_NS1_11comp_targetILNS1_3genE9ELNS1_11target_archE1100ELNS1_3gpuE3ELNS1_3repE0EEENS1_30default_config_static_selectorELNS0_4arch9wavefront6targetE1EEEvT1_: ; @_ZN7rocprim17ROCPRIM_400000_NS6detail17trampoline_kernelINS0_14default_configENS1_25partition_config_selectorILNS1_17partition_subalgoE8EfNS0_10empty_typeEbEEZZNS1_14partition_implILS5_8ELb0ES3_jN6thrust23THRUST_200600_302600_NS6detail15normal_iteratorINSA_10device_ptrIfEEEEPS6_PKS6_NS0_5tupleIJSF_S6_EEENSJ_IJSG_SG_EEENS0_18inequality_wrapperINSA_8equal_toIfEEEEPmJS6_EEE10hipError_tPvRmT3_T4_T5_T6_T7_T9_mT8_P12ihipStream_tbDpT10_ENKUlT_T0_E_clISt17integral_constantIbLb0EES1A_EEDaS15_S16_EUlS15_E_NS1_11comp_targetILNS1_3genE9ELNS1_11target_archE1100ELNS1_3gpuE3ELNS1_3repE0EEENS1_30default_config_static_selectorELNS0_4arch9wavefront6targetE1EEEvT1_
; %bb.0:
	.section	.rodata,"a",@progbits
	.p2align	6, 0x0
	.amdhsa_kernel _ZN7rocprim17ROCPRIM_400000_NS6detail17trampoline_kernelINS0_14default_configENS1_25partition_config_selectorILNS1_17partition_subalgoE8EfNS0_10empty_typeEbEEZZNS1_14partition_implILS5_8ELb0ES3_jN6thrust23THRUST_200600_302600_NS6detail15normal_iteratorINSA_10device_ptrIfEEEEPS6_PKS6_NS0_5tupleIJSF_S6_EEENSJ_IJSG_SG_EEENS0_18inequality_wrapperINSA_8equal_toIfEEEEPmJS6_EEE10hipError_tPvRmT3_T4_T5_T6_T7_T9_mT8_P12ihipStream_tbDpT10_ENKUlT_T0_E_clISt17integral_constantIbLb0EES1A_EEDaS15_S16_EUlS15_E_NS1_11comp_targetILNS1_3genE9ELNS1_11target_archE1100ELNS1_3gpuE3ELNS1_3repE0EEENS1_30default_config_static_selectorELNS0_4arch9wavefront6targetE1EEEvT1_
		.amdhsa_group_segment_fixed_size 0
		.amdhsa_private_segment_fixed_size 0
		.amdhsa_kernarg_size 112
		.amdhsa_user_sgpr_count 6
		.amdhsa_user_sgpr_private_segment_buffer 1
		.amdhsa_user_sgpr_dispatch_ptr 0
		.amdhsa_user_sgpr_queue_ptr 0
		.amdhsa_user_sgpr_kernarg_segment_ptr 1
		.amdhsa_user_sgpr_dispatch_id 0
		.amdhsa_user_sgpr_flat_scratch_init 0
		.amdhsa_user_sgpr_private_segment_size 0
		.amdhsa_uses_dynamic_stack 0
		.amdhsa_system_sgpr_private_segment_wavefront_offset 0
		.amdhsa_system_sgpr_workgroup_id_x 1
		.amdhsa_system_sgpr_workgroup_id_y 0
		.amdhsa_system_sgpr_workgroup_id_z 0
		.amdhsa_system_sgpr_workgroup_info 0
		.amdhsa_system_vgpr_workitem_id 0
		.amdhsa_next_free_vgpr 1
		.amdhsa_next_free_sgpr 0
		.amdhsa_reserve_vcc 0
		.amdhsa_reserve_flat_scratch 0
		.amdhsa_float_round_mode_32 0
		.amdhsa_float_round_mode_16_64 0
		.amdhsa_float_denorm_mode_32 3
		.amdhsa_float_denorm_mode_16_64 3
		.amdhsa_dx10_clamp 1
		.amdhsa_ieee_mode 1
		.amdhsa_fp16_overflow 0
		.amdhsa_exception_fp_ieee_invalid_op 0
		.amdhsa_exception_fp_denorm_src 0
		.amdhsa_exception_fp_ieee_div_zero 0
		.amdhsa_exception_fp_ieee_overflow 0
		.amdhsa_exception_fp_ieee_underflow 0
		.amdhsa_exception_fp_ieee_inexact 0
		.amdhsa_exception_int_div_zero 0
	.end_amdhsa_kernel
	.section	.text._ZN7rocprim17ROCPRIM_400000_NS6detail17trampoline_kernelINS0_14default_configENS1_25partition_config_selectorILNS1_17partition_subalgoE8EfNS0_10empty_typeEbEEZZNS1_14partition_implILS5_8ELb0ES3_jN6thrust23THRUST_200600_302600_NS6detail15normal_iteratorINSA_10device_ptrIfEEEEPS6_PKS6_NS0_5tupleIJSF_S6_EEENSJ_IJSG_SG_EEENS0_18inequality_wrapperINSA_8equal_toIfEEEEPmJS6_EEE10hipError_tPvRmT3_T4_T5_T6_T7_T9_mT8_P12ihipStream_tbDpT10_ENKUlT_T0_E_clISt17integral_constantIbLb0EES1A_EEDaS15_S16_EUlS15_E_NS1_11comp_targetILNS1_3genE9ELNS1_11target_archE1100ELNS1_3gpuE3ELNS1_3repE0EEENS1_30default_config_static_selectorELNS0_4arch9wavefront6targetE1EEEvT1_,"axG",@progbits,_ZN7rocprim17ROCPRIM_400000_NS6detail17trampoline_kernelINS0_14default_configENS1_25partition_config_selectorILNS1_17partition_subalgoE8EfNS0_10empty_typeEbEEZZNS1_14partition_implILS5_8ELb0ES3_jN6thrust23THRUST_200600_302600_NS6detail15normal_iteratorINSA_10device_ptrIfEEEEPS6_PKS6_NS0_5tupleIJSF_S6_EEENSJ_IJSG_SG_EEENS0_18inequality_wrapperINSA_8equal_toIfEEEEPmJS6_EEE10hipError_tPvRmT3_T4_T5_T6_T7_T9_mT8_P12ihipStream_tbDpT10_ENKUlT_T0_E_clISt17integral_constantIbLb0EES1A_EEDaS15_S16_EUlS15_E_NS1_11comp_targetILNS1_3genE9ELNS1_11target_archE1100ELNS1_3gpuE3ELNS1_3repE0EEENS1_30default_config_static_selectorELNS0_4arch9wavefront6targetE1EEEvT1_,comdat
.Lfunc_end86:
	.size	_ZN7rocprim17ROCPRIM_400000_NS6detail17trampoline_kernelINS0_14default_configENS1_25partition_config_selectorILNS1_17partition_subalgoE8EfNS0_10empty_typeEbEEZZNS1_14partition_implILS5_8ELb0ES3_jN6thrust23THRUST_200600_302600_NS6detail15normal_iteratorINSA_10device_ptrIfEEEEPS6_PKS6_NS0_5tupleIJSF_S6_EEENSJ_IJSG_SG_EEENS0_18inequality_wrapperINSA_8equal_toIfEEEEPmJS6_EEE10hipError_tPvRmT3_T4_T5_T6_T7_T9_mT8_P12ihipStream_tbDpT10_ENKUlT_T0_E_clISt17integral_constantIbLb0EES1A_EEDaS15_S16_EUlS15_E_NS1_11comp_targetILNS1_3genE9ELNS1_11target_archE1100ELNS1_3gpuE3ELNS1_3repE0EEENS1_30default_config_static_selectorELNS0_4arch9wavefront6targetE1EEEvT1_, .Lfunc_end86-_ZN7rocprim17ROCPRIM_400000_NS6detail17trampoline_kernelINS0_14default_configENS1_25partition_config_selectorILNS1_17partition_subalgoE8EfNS0_10empty_typeEbEEZZNS1_14partition_implILS5_8ELb0ES3_jN6thrust23THRUST_200600_302600_NS6detail15normal_iteratorINSA_10device_ptrIfEEEEPS6_PKS6_NS0_5tupleIJSF_S6_EEENSJ_IJSG_SG_EEENS0_18inequality_wrapperINSA_8equal_toIfEEEEPmJS6_EEE10hipError_tPvRmT3_T4_T5_T6_T7_T9_mT8_P12ihipStream_tbDpT10_ENKUlT_T0_E_clISt17integral_constantIbLb0EES1A_EEDaS15_S16_EUlS15_E_NS1_11comp_targetILNS1_3genE9ELNS1_11target_archE1100ELNS1_3gpuE3ELNS1_3repE0EEENS1_30default_config_static_selectorELNS0_4arch9wavefront6targetE1EEEvT1_
                                        ; -- End function
	.set _ZN7rocprim17ROCPRIM_400000_NS6detail17trampoline_kernelINS0_14default_configENS1_25partition_config_selectorILNS1_17partition_subalgoE8EfNS0_10empty_typeEbEEZZNS1_14partition_implILS5_8ELb0ES3_jN6thrust23THRUST_200600_302600_NS6detail15normal_iteratorINSA_10device_ptrIfEEEEPS6_PKS6_NS0_5tupleIJSF_S6_EEENSJ_IJSG_SG_EEENS0_18inequality_wrapperINSA_8equal_toIfEEEEPmJS6_EEE10hipError_tPvRmT3_T4_T5_T6_T7_T9_mT8_P12ihipStream_tbDpT10_ENKUlT_T0_E_clISt17integral_constantIbLb0EES1A_EEDaS15_S16_EUlS15_E_NS1_11comp_targetILNS1_3genE9ELNS1_11target_archE1100ELNS1_3gpuE3ELNS1_3repE0EEENS1_30default_config_static_selectorELNS0_4arch9wavefront6targetE1EEEvT1_.num_vgpr, 0
	.set _ZN7rocprim17ROCPRIM_400000_NS6detail17trampoline_kernelINS0_14default_configENS1_25partition_config_selectorILNS1_17partition_subalgoE8EfNS0_10empty_typeEbEEZZNS1_14partition_implILS5_8ELb0ES3_jN6thrust23THRUST_200600_302600_NS6detail15normal_iteratorINSA_10device_ptrIfEEEEPS6_PKS6_NS0_5tupleIJSF_S6_EEENSJ_IJSG_SG_EEENS0_18inequality_wrapperINSA_8equal_toIfEEEEPmJS6_EEE10hipError_tPvRmT3_T4_T5_T6_T7_T9_mT8_P12ihipStream_tbDpT10_ENKUlT_T0_E_clISt17integral_constantIbLb0EES1A_EEDaS15_S16_EUlS15_E_NS1_11comp_targetILNS1_3genE9ELNS1_11target_archE1100ELNS1_3gpuE3ELNS1_3repE0EEENS1_30default_config_static_selectorELNS0_4arch9wavefront6targetE1EEEvT1_.num_agpr, 0
	.set _ZN7rocprim17ROCPRIM_400000_NS6detail17trampoline_kernelINS0_14default_configENS1_25partition_config_selectorILNS1_17partition_subalgoE8EfNS0_10empty_typeEbEEZZNS1_14partition_implILS5_8ELb0ES3_jN6thrust23THRUST_200600_302600_NS6detail15normal_iteratorINSA_10device_ptrIfEEEEPS6_PKS6_NS0_5tupleIJSF_S6_EEENSJ_IJSG_SG_EEENS0_18inequality_wrapperINSA_8equal_toIfEEEEPmJS6_EEE10hipError_tPvRmT3_T4_T5_T6_T7_T9_mT8_P12ihipStream_tbDpT10_ENKUlT_T0_E_clISt17integral_constantIbLb0EES1A_EEDaS15_S16_EUlS15_E_NS1_11comp_targetILNS1_3genE9ELNS1_11target_archE1100ELNS1_3gpuE3ELNS1_3repE0EEENS1_30default_config_static_selectorELNS0_4arch9wavefront6targetE1EEEvT1_.numbered_sgpr, 0
	.set _ZN7rocprim17ROCPRIM_400000_NS6detail17trampoline_kernelINS0_14default_configENS1_25partition_config_selectorILNS1_17partition_subalgoE8EfNS0_10empty_typeEbEEZZNS1_14partition_implILS5_8ELb0ES3_jN6thrust23THRUST_200600_302600_NS6detail15normal_iteratorINSA_10device_ptrIfEEEEPS6_PKS6_NS0_5tupleIJSF_S6_EEENSJ_IJSG_SG_EEENS0_18inequality_wrapperINSA_8equal_toIfEEEEPmJS6_EEE10hipError_tPvRmT3_T4_T5_T6_T7_T9_mT8_P12ihipStream_tbDpT10_ENKUlT_T0_E_clISt17integral_constantIbLb0EES1A_EEDaS15_S16_EUlS15_E_NS1_11comp_targetILNS1_3genE9ELNS1_11target_archE1100ELNS1_3gpuE3ELNS1_3repE0EEENS1_30default_config_static_selectorELNS0_4arch9wavefront6targetE1EEEvT1_.num_named_barrier, 0
	.set _ZN7rocprim17ROCPRIM_400000_NS6detail17trampoline_kernelINS0_14default_configENS1_25partition_config_selectorILNS1_17partition_subalgoE8EfNS0_10empty_typeEbEEZZNS1_14partition_implILS5_8ELb0ES3_jN6thrust23THRUST_200600_302600_NS6detail15normal_iteratorINSA_10device_ptrIfEEEEPS6_PKS6_NS0_5tupleIJSF_S6_EEENSJ_IJSG_SG_EEENS0_18inequality_wrapperINSA_8equal_toIfEEEEPmJS6_EEE10hipError_tPvRmT3_T4_T5_T6_T7_T9_mT8_P12ihipStream_tbDpT10_ENKUlT_T0_E_clISt17integral_constantIbLb0EES1A_EEDaS15_S16_EUlS15_E_NS1_11comp_targetILNS1_3genE9ELNS1_11target_archE1100ELNS1_3gpuE3ELNS1_3repE0EEENS1_30default_config_static_selectorELNS0_4arch9wavefront6targetE1EEEvT1_.private_seg_size, 0
	.set _ZN7rocprim17ROCPRIM_400000_NS6detail17trampoline_kernelINS0_14default_configENS1_25partition_config_selectorILNS1_17partition_subalgoE8EfNS0_10empty_typeEbEEZZNS1_14partition_implILS5_8ELb0ES3_jN6thrust23THRUST_200600_302600_NS6detail15normal_iteratorINSA_10device_ptrIfEEEEPS6_PKS6_NS0_5tupleIJSF_S6_EEENSJ_IJSG_SG_EEENS0_18inequality_wrapperINSA_8equal_toIfEEEEPmJS6_EEE10hipError_tPvRmT3_T4_T5_T6_T7_T9_mT8_P12ihipStream_tbDpT10_ENKUlT_T0_E_clISt17integral_constantIbLb0EES1A_EEDaS15_S16_EUlS15_E_NS1_11comp_targetILNS1_3genE9ELNS1_11target_archE1100ELNS1_3gpuE3ELNS1_3repE0EEENS1_30default_config_static_selectorELNS0_4arch9wavefront6targetE1EEEvT1_.uses_vcc, 0
	.set _ZN7rocprim17ROCPRIM_400000_NS6detail17trampoline_kernelINS0_14default_configENS1_25partition_config_selectorILNS1_17partition_subalgoE8EfNS0_10empty_typeEbEEZZNS1_14partition_implILS5_8ELb0ES3_jN6thrust23THRUST_200600_302600_NS6detail15normal_iteratorINSA_10device_ptrIfEEEEPS6_PKS6_NS0_5tupleIJSF_S6_EEENSJ_IJSG_SG_EEENS0_18inequality_wrapperINSA_8equal_toIfEEEEPmJS6_EEE10hipError_tPvRmT3_T4_T5_T6_T7_T9_mT8_P12ihipStream_tbDpT10_ENKUlT_T0_E_clISt17integral_constantIbLb0EES1A_EEDaS15_S16_EUlS15_E_NS1_11comp_targetILNS1_3genE9ELNS1_11target_archE1100ELNS1_3gpuE3ELNS1_3repE0EEENS1_30default_config_static_selectorELNS0_4arch9wavefront6targetE1EEEvT1_.uses_flat_scratch, 0
	.set _ZN7rocprim17ROCPRIM_400000_NS6detail17trampoline_kernelINS0_14default_configENS1_25partition_config_selectorILNS1_17partition_subalgoE8EfNS0_10empty_typeEbEEZZNS1_14partition_implILS5_8ELb0ES3_jN6thrust23THRUST_200600_302600_NS6detail15normal_iteratorINSA_10device_ptrIfEEEEPS6_PKS6_NS0_5tupleIJSF_S6_EEENSJ_IJSG_SG_EEENS0_18inequality_wrapperINSA_8equal_toIfEEEEPmJS6_EEE10hipError_tPvRmT3_T4_T5_T6_T7_T9_mT8_P12ihipStream_tbDpT10_ENKUlT_T0_E_clISt17integral_constantIbLb0EES1A_EEDaS15_S16_EUlS15_E_NS1_11comp_targetILNS1_3genE9ELNS1_11target_archE1100ELNS1_3gpuE3ELNS1_3repE0EEENS1_30default_config_static_selectorELNS0_4arch9wavefront6targetE1EEEvT1_.has_dyn_sized_stack, 0
	.set _ZN7rocprim17ROCPRIM_400000_NS6detail17trampoline_kernelINS0_14default_configENS1_25partition_config_selectorILNS1_17partition_subalgoE8EfNS0_10empty_typeEbEEZZNS1_14partition_implILS5_8ELb0ES3_jN6thrust23THRUST_200600_302600_NS6detail15normal_iteratorINSA_10device_ptrIfEEEEPS6_PKS6_NS0_5tupleIJSF_S6_EEENSJ_IJSG_SG_EEENS0_18inequality_wrapperINSA_8equal_toIfEEEEPmJS6_EEE10hipError_tPvRmT3_T4_T5_T6_T7_T9_mT8_P12ihipStream_tbDpT10_ENKUlT_T0_E_clISt17integral_constantIbLb0EES1A_EEDaS15_S16_EUlS15_E_NS1_11comp_targetILNS1_3genE9ELNS1_11target_archE1100ELNS1_3gpuE3ELNS1_3repE0EEENS1_30default_config_static_selectorELNS0_4arch9wavefront6targetE1EEEvT1_.has_recursion, 0
	.set _ZN7rocprim17ROCPRIM_400000_NS6detail17trampoline_kernelINS0_14default_configENS1_25partition_config_selectorILNS1_17partition_subalgoE8EfNS0_10empty_typeEbEEZZNS1_14partition_implILS5_8ELb0ES3_jN6thrust23THRUST_200600_302600_NS6detail15normal_iteratorINSA_10device_ptrIfEEEEPS6_PKS6_NS0_5tupleIJSF_S6_EEENSJ_IJSG_SG_EEENS0_18inequality_wrapperINSA_8equal_toIfEEEEPmJS6_EEE10hipError_tPvRmT3_T4_T5_T6_T7_T9_mT8_P12ihipStream_tbDpT10_ENKUlT_T0_E_clISt17integral_constantIbLb0EES1A_EEDaS15_S16_EUlS15_E_NS1_11comp_targetILNS1_3genE9ELNS1_11target_archE1100ELNS1_3gpuE3ELNS1_3repE0EEENS1_30default_config_static_selectorELNS0_4arch9wavefront6targetE1EEEvT1_.has_indirect_call, 0
	.section	.AMDGPU.csdata,"",@progbits
; Kernel info:
; codeLenInByte = 0
; TotalNumSgprs: 4
; NumVgprs: 0
; ScratchSize: 0
; MemoryBound: 0
; FloatMode: 240
; IeeeMode: 1
; LDSByteSize: 0 bytes/workgroup (compile time only)
; SGPRBlocks: 0
; VGPRBlocks: 0
; NumSGPRsForWavesPerEU: 4
; NumVGPRsForWavesPerEU: 1
; Occupancy: 10
; WaveLimiterHint : 0
; COMPUTE_PGM_RSRC2:SCRATCH_EN: 0
; COMPUTE_PGM_RSRC2:USER_SGPR: 6
; COMPUTE_PGM_RSRC2:TRAP_HANDLER: 0
; COMPUTE_PGM_RSRC2:TGID_X_EN: 1
; COMPUTE_PGM_RSRC2:TGID_Y_EN: 0
; COMPUTE_PGM_RSRC2:TGID_Z_EN: 0
; COMPUTE_PGM_RSRC2:TIDIG_COMP_CNT: 0
	.section	.text._ZN7rocprim17ROCPRIM_400000_NS6detail17trampoline_kernelINS0_14default_configENS1_25partition_config_selectorILNS1_17partition_subalgoE8EfNS0_10empty_typeEbEEZZNS1_14partition_implILS5_8ELb0ES3_jN6thrust23THRUST_200600_302600_NS6detail15normal_iteratorINSA_10device_ptrIfEEEEPS6_PKS6_NS0_5tupleIJSF_S6_EEENSJ_IJSG_SG_EEENS0_18inequality_wrapperINSA_8equal_toIfEEEEPmJS6_EEE10hipError_tPvRmT3_T4_T5_T6_T7_T9_mT8_P12ihipStream_tbDpT10_ENKUlT_T0_E_clISt17integral_constantIbLb0EES1A_EEDaS15_S16_EUlS15_E_NS1_11comp_targetILNS1_3genE8ELNS1_11target_archE1030ELNS1_3gpuE2ELNS1_3repE0EEENS1_30default_config_static_selectorELNS0_4arch9wavefront6targetE1EEEvT1_,"axG",@progbits,_ZN7rocprim17ROCPRIM_400000_NS6detail17trampoline_kernelINS0_14default_configENS1_25partition_config_selectorILNS1_17partition_subalgoE8EfNS0_10empty_typeEbEEZZNS1_14partition_implILS5_8ELb0ES3_jN6thrust23THRUST_200600_302600_NS6detail15normal_iteratorINSA_10device_ptrIfEEEEPS6_PKS6_NS0_5tupleIJSF_S6_EEENSJ_IJSG_SG_EEENS0_18inequality_wrapperINSA_8equal_toIfEEEEPmJS6_EEE10hipError_tPvRmT3_T4_T5_T6_T7_T9_mT8_P12ihipStream_tbDpT10_ENKUlT_T0_E_clISt17integral_constantIbLb0EES1A_EEDaS15_S16_EUlS15_E_NS1_11comp_targetILNS1_3genE8ELNS1_11target_archE1030ELNS1_3gpuE2ELNS1_3repE0EEENS1_30default_config_static_selectorELNS0_4arch9wavefront6targetE1EEEvT1_,comdat
	.protected	_ZN7rocprim17ROCPRIM_400000_NS6detail17trampoline_kernelINS0_14default_configENS1_25partition_config_selectorILNS1_17partition_subalgoE8EfNS0_10empty_typeEbEEZZNS1_14partition_implILS5_8ELb0ES3_jN6thrust23THRUST_200600_302600_NS6detail15normal_iteratorINSA_10device_ptrIfEEEEPS6_PKS6_NS0_5tupleIJSF_S6_EEENSJ_IJSG_SG_EEENS0_18inequality_wrapperINSA_8equal_toIfEEEEPmJS6_EEE10hipError_tPvRmT3_T4_T5_T6_T7_T9_mT8_P12ihipStream_tbDpT10_ENKUlT_T0_E_clISt17integral_constantIbLb0EES1A_EEDaS15_S16_EUlS15_E_NS1_11comp_targetILNS1_3genE8ELNS1_11target_archE1030ELNS1_3gpuE2ELNS1_3repE0EEENS1_30default_config_static_selectorELNS0_4arch9wavefront6targetE1EEEvT1_ ; -- Begin function _ZN7rocprim17ROCPRIM_400000_NS6detail17trampoline_kernelINS0_14default_configENS1_25partition_config_selectorILNS1_17partition_subalgoE8EfNS0_10empty_typeEbEEZZNS1_14partition_implILS5_8ELb0ES3_jN6thrust23THRUST_200600_302600_NS6detail15normal_iteratorINSA_10device_ptrIfEEEEPS6_PKS6_NS0_5tupleIJSF_S6_EEENSJ_IJSG_SG_EEENS0_18inequality_wrapperINSA_8equal_toIfEEEEPmJS6_EEE10hipError_tPvRmT3_T4_T5_T6_T7_T9_mT8_P12ihipStream_tbDpT10_ENKUlT_T0_E_clISt17integral_constantIbLb0EES1A_EEDaS15_S16_EUlS15_E_NS1_11comp_targetILNS1_3genE8ELNS1_11target_archE1030ELNS1_3gpuE2ELNS1_3repE0EEENS1_30default_config_static_selectorELNS0_4arch9wavefront6targetE1EEEvT1_
	.globl	_ZN7rocprim17ROCPRIM_400000_NS6detail17trampoline_kernelINS0_14default_configENS1_25partition_config_selectorILNS1_17partition_subalgoE8EfNS0_10empty_typeEbEEZZNS1_14partition_implILS5_8ELb0ES3_jN6thrust23THRUST_200600_302600_NS6detail15normal_iteratorINSA_10device_ptrIfEEEEPS6_PKS6_NS0_5tupleIJSF_S6_EEENSJ_IJSG_SG_EEENS0_18inequality_wrapperINSA_8equal_toIfEEEEPmJS6_EEE10hipError_tPvRmT3_T4_T5_T6_T7_T9_mT8_P12ihipStream_tbDpT10_ENKUlT_T0_E_clISt17integral_constantIbLb0EES1A_EEDaS15_S16_EUlS15_E_NS1_11comp_targetILNS1_3genE8ELNS1_11target_archE1030ELNS1_3gpuE2ELNS1_3repE0EEENS1_30default_config_static_selectorELNS0_4arch9wavefront6targetE1EEEvT1_
	.p2align	8
	.type	_ZN7rocprim17ROCPRIM_400000_NS6detail17trampoline_kernelINS0_14default_configENS1_25partition_config_selectorILNS1_17partition_subalgoE8EfNS0_10empty_typeEbEEZZNS1_14partition_implILS5_8ELb0ES3_jN6thrust23THRUST_200600_302600_NS6detail15normal_iteratorINSA_10device_ptrIfEEEEPS6_PKS6_NS0_5tupleIJSF_S6_EEENSJ_IJSG_SG_EEENS0_18inequality_wrapperINSA_8equal_toIfEEEEPmJS6_EEE10hipError_tPvRmT3_T4_T5_T6_T7_T9_mT8_P12ihipStream_tbDpT10_ENKUlT_T0_E_clISt17integral_constantIbLb0EES1A_EEDaS15_S16_EUlS15_E_NS1_11comp_targetILNS1_3genE8ELNS1_11target_archE1030ELNS1_3gpuE2ELNS1_3repE0EEENS1_30default_config_static_selectorELNS0_4arch9wavefront6targetE1EEEvT1_,@function
_ZN7rocprim17ROCPRIM_400000_NS6detail17trampoline_kernelINS0_14default_configENS1_25partition_config_selectorILNS1_17partition_subalgoE8EfNS0_10empty_typeEbEEZZNS1_14partition_implILS5_8ELb0ES3_jN6thrust23THRUST_200600_302600_NS6detail15normal_iteratorINSA_10device_ptrIfEEEEPS6_PKS6_NS0_5tupleIJSF_S6_EEENSJ_IJSG_SG_EEENS0_18inequality_wrapperINSA_8equal_toIfEEEEPmJS6_EEE10hipError_tPvRmT3_T4_T5_T6_T7_T9_mT8_P12ihipStream_tbDpT10_ENKUlT_T0_E_clISt17integral_constantIbLb0EES1A_EEDaS15_S16_EUlS15_E_NS1_11comp_targetILNS1_3genE8ELNS1_11target_archE1030ELNS1_3gpuE2ELNS1_3repE0EEENS1_30default_config_static_selectorELNS0_4arch9wavefront6targetE1EEEvT1_: ; @_ZN7rocprim17ROCPRIM_400000_NS6detail17trampoline_kernelINS0_14default_configENS1_25partition_config_selectorILNS1_17partition_subalgoE8EfNS0_10empty_typeEbEEZZNS1_14partition_implILS5_8ELb0ES3_jN6thrust23THRUST_200600_302600_NS6detail15normal_iteratorINSA_10device_ptrIfEEEEPS6_PKS6_NS0_5tupleIJSF_S6_EEENSJ_IJSG_SG_EEENS0_18inequality_wrapperINSA_8equal_toIfEEEEPmJS6_EEE10hipError_tPvRmT3_T4_T5_T6_T7_T9_mT8_P12ihipStream_tbDpT10_ENKUlT_T0_E_clISt17integral_constantIbLb0EES1A_EEDaS15_S16_EUlS15_E_NS1_11comp_targetILNS1_3genE8ELNS1_11target_archE1030ELNS1_3gpuE2ELNS1_3repE0EEENS1_30default_config_static_selectorELNS0_4arch9wavefront6targetE1EEEvT1_
; %bb.0:
	.section	.rodata,"a",@progbits
	.p2align	6, 0x0
	.amdhsa_kernel _ZN7rocprim17ROCPRIM_400000_NS6detail17trampoline_kernelINS0_14default_configENS1_25partition_config_selectorILNS1_17partition_subalgoE8EfNS0_10empty_typeEbEEZZNS1_14partition_implILS5_8ELb0ES3_jN6thrust23THRUST_200600_302600_NS6detail15normal_iteratorINSA_10device_ptrIfEEEEPS6_PKS6_NS0_5tupleIJSF_S6_EEENSJ_IJSG_SG_EEENS0_18inequality_wrapperINSA_8equal_toIfEEEEPmJS6_EEE10hipError_tPvRmT3_T4_T5_T6_T7_T9_mT8_P12ihipStream_tbDpT10_ENKUlT_T0_E_clISt17integral_constantIbLb0EES1A_EEDaS15_S16_EUlS15_E_NS1_11comp_targetILNS1_3genE8ELNS1_11target_archE1030ELNS1_3gpuE2ELNS1_3repE0EEENS1_30default_config_static_selectorELNS0_4arch9wavefront6targetE1EEEvT1_
		.amdhsa_group_segment_fixed_size 0
		.amdhsa_private_segment_fixed_size 0
		.amdhsa_kernarg_size 112
		.amdhsa_user_sgpr_count 6
		.amdhsa_user_sgpr_private_segment_buffer 1
		.amdhsa_user_sgpr_dispatch_ptr 0
		.amdhsa_user_sgpr_queue_ptr 0
		.amdhsa_user_sgpr_kernarg_segment_ptr 1
		.amdhsa_user_sgpr_dispatch_id 0
		.amdhsa_user_sgpr_flat_scratch_init 0
		.amdhsa_user_sgpr_private_segment_size 0
		.amdhsa_uses_dynamic_stack 0
		.amdhsa_system_sgpr_private_segment_wavefront_offset 0
		.amdhsa_system_sgpr_workgroup_id_x 1
		.amdhsa_system_sgpr_workgroup_id_y 0
		.amdhsa_system_sgpr_workgroup_id_z 0
		.amdhsa_system_sgpr_workgroup_info 0
		.amdhsa_system_vgpr_workitem_id 0
		.amdhsa_next_free_vgpr 1
		.amdhsa_next_free_sgpr 0
		.amdhsa_reserve_vcc 0
		.amdhsa_reserve_flat_scratch 0
		.amdhsa_float_round_mode_32 0
		.amdhsa_float_round_mode_16_64 0
		.amdhsa_float_denorm_mode_32 3
		.amdhsa_float_denorm_mode_16_64 3
		.amdhsa_dx10_clamp 1
		.amdhsa_ieee_mode 1
		.amdhsa_fp16_overflow 0
		.amdhsa_exception_fp_ieee_invalid_op 0
		.amdhsa_exception_fp_denorm_src 0
		.amdhsa_exception_fp_ieee_div_zero 0
		.amdhsa_exception_fp_ieee_overflow 0
		.amdhsa_exception_fp_ieee_underflow 0
		.amdhsa_exception_fp_ieee_inexact 0
		.amdhsa_exception_int_div_zero 0
	.end_amdhsa_kernel
	.section	.text._ZN7rocprim17ROCPRIM_400000_NS6detail17trampoline_kernelINS0_14default_configENS1_25partition_config_selectorILNS1_17partition_subalgoE8EfNS0_10empty_typeEbEEZZNS1_14partition_implILS5_8ELb0ES3_jN6thrust23THRUST_200600_302600_NS6detail15normal_iteratorINSA_10device_ptrIfEEEEPS6_PKS6_NS0_5tupleIJSF_S6_EEENSJ_IJSG_SG_EEENS0_18inequality_wrapperINSA_8equal_toIfEEEEPmJS6_EEE10hipError_tPvRmT3_T4_T5_T6_T7_T9_mT8_P12ihipStream_tbDpT10_ENKUlT_T0_E_clISt17integral_constantIbLb0EES1A_EEDaS15_S16_EUlS15_E_NS1_11comp_targetILNS1_3genE8ELNS1_11target_archE1030ELNS1_3gpuE2ELNS1_3repE0EEENS1_30default_config_static_selectorELNS0_4arch9wavefront6targetE1EEEvT1_,"axG",@progbits,_ZN7rocprim17ROCPRIM_400000_NS6detail17trampoline_kernelINS0_14default_configENS1_25partition_config_selectorILNS1_17partition_subalgoE8EfNS0_10empty_typeEbEEZZNS1_14partition_implILS5_8ELb0ES3_jN6thrust23THRUST_200600_302600_NS6detail15normal_iteratorINSA_10device_ptrIfEEEEPS6_PKS6_NS0_5tupleIJSF_S6_EEENSJ_IJSG_SG_EEENS0_18inequality_wrapperINSA_8equal_toIfEEEEPmJS6_EEE10hipError_tPvRmT3_T4_T5_T6_T7_T9_mT8_P12ihipStream_tbDpT10_ENKUlT_T0_E_clISt17integral_constantIbLb0EES1A_EEDaS15_S16_EUlS15_E_NS1_11comp_targetILNS1_3genE8ELNS1_11target_archE1030ELNS1_3gpuE2ELNS1_3repE0EEENS1_30default_config_static_selectorELNS0_4arch9wavefront6targetE1EEEvT1_,comdat
.Lfunc_end87:
	.size	_ZN7rocprim17ROCPRIM_400000_NS6detail17trampoline_kernelINS0_14default_configENS1_25partition_config_selectorILNS1_17partition_subalgoE8EfNS0_10empty_typeEbEEZZNS1_14partition_implILS5_8ELb0ES3_jN6thrust23THRUST_200600_302600_NS6detail15normal_iteratorINSA_10device_ptrIfEEEEPS6_PKS6_NS0_5tupleIJSF_S6_EEENSJ_IJSG_SG_EEENS0_18inequality_wrapperINSA_8equal_toIfEEEEPmJS6_EEE10hipError_tPvRmT3_T4_T5_T6_T7_T9_mT8_P12ihipStream_tbDpT10_ENKUlT_T0_E_clISt17integral_constantIbLb0EES1A_EEDaS15_S16_EUlS15_E_NS1_11comp_targetILNS1_3genE8ELNS1_11target_archE1030ELNS1_3gpuE2ELNS1_3repE0EEENS1_30default_config_static_selectorELNS0_4arch9wavefront6targetE1EEEvT1_, .Lfunc_end87-_ZN7rocprim17ROCPRIM_400000_NS6detail17trampoline_kernelINS0_14default_configENS1_25partition_config_selectorILNS1_17partition_subalgoE8EfNS0_10empty_typeEbEEZZNS1_14partition_implILS5_8ELb0ES3_jN6thrust23THRUST_200600_302600_NS6detail15normal_iteratorINSA_10device_ptrIfEEEEPS6_PKS6_NS0_5tupleIJSF_S6_EEENSJ_IJSG_SG_EEENS0_18inequality_wrapperINSA_8equal_toIfEEEEPmJS6_EEE10hipError_tPvRmT3_T4_T5_T6_T7_T9_mT8_P12ihipStream_tbDpT10_ENKUlT_T0_E_clISt17integral_constantIbLb0EES1A_EEDaS15_S16_EUlS15_E_NS1_11comp_targetILNS1_3genE8ELNS1_11target_archE1030ELNS1_3gpuE2ELNS1_3repE0EEENS1_30default_config_static_selectorELNS0_4arch9wavefront6targetE1EEEvT1_
                                        ; -- End function
	.set _ZN7rocprim17ROCPRIM_400000_NS6detail17trampoline_kernelINS0_14default_configENS1_25partition_config_selectorILNS1_17partition_subalgoE8EfNS0_10empty_typeEbEEZZNS1_14partition_implILS5_8ELb0ES3_jN6thrust23THRUST_200600_302600_NS6detail15normal_iteratorINSA_10device_ptrIfEEEEPS6_PKS6_NS0_5tupleIJSF_S6_EEENSJ_IJSG_SG_EEENS0_18inequality_wrapperINSA_8equal_toIfEEEEPmJS6_EEE10hipError_tPvRmT3_T4_T5_T6_T7_T9_mT8_P12ihipStream_tbDpT10_ENKUlT_T0_E_clISt17integral_constantIbLb0EES1A_EEDaS15_S16_EUlS15_E_NS1_11comp_targetILNS1_3genE8ELNS1_11target_archE1030ELNS1_3gpuE2ELNS1_3repE0EEENS1_30default_config_static_selectorELNS0_4arch9wavefront6targetE1EEEvT1_.num_vgpr, 0
	.set _ZN7rocprim17ROCPRIM_400000_NS6detail17trampoline_kernelINS0_14default_configENS1_25partition_config_selectorILNS1_17partition_subalgoE8EfNS0_10empty_typeEbEEZZNS1_14partition_implILS5_8ELb0ES3_jN6thrust23THRUST_200600_302600_NS6detail15normal_iteratorINSA_10device_ptrIfEEEEPS6_PKS6_NS0_5tupleIJSF_S6_EEENSJ_IJSG_SG_EEENS0_18inequality_wrapperINSA_8equal_toIfEEEEPmJS6_EEE10hipError_tPvRmT3_T4_T5_T6_T7_T9_mT8_P12ihipStream_tbDpT10_ENKUlT_T0_E_clISt17integral_constantIbLb0EES1A_EEDaS15_S16_EUlS15_E_NS1_11comp_targetILNS1_3genE8ELNS1_11target_archE1030ELNS1_3gpuE2ELNS1_3repE0EEENS1_30default_config_static_selectorELNS0_4arch9wavefront6targetE1EEEvT1_.num_agpr, 0
	.set _ZN7rocprim17ROCPRIM_400000_NS6detail17trampoline_kernelINS0_14default_configENS1_25partition_config_selectorILNS1_17partition_subalgoE8EfNS0_10empty_typeEbEEZZNS1_14partition_implILS5_8ELb0ES3_jN6thrust23THRUST_200600_302600_NS6detail15normal_iteratorINSA_10device_ptrIfEEEEPS6_PKS6_NS0_5tupleIJSF_S6_EEENSJ_IJSG_SG_EEENS0_18inequality_wrapperINSA_8equal_toIfEEEEPmJS6_EEE10hipError_tPvRmT3_T4_T5_T6_T7_T9_mT8_P12ihipStream_tbDpT10_ENKUlT_T0_E_clISt17integral_constantIbLb0EES1A_EEDaS15_S16_EUlS15_E_NS1_11comp_targetILNS1_3genE8ELNS1_11target_archE1030ELNS1_3gpuE2ELNS1_3repE0EEENS1_30default_config_static_selectorELNS0_4arch9wavefront6targetE1EEEvT1_.numbered_sgpr, 0
	.set _ZN7rocprim17ROCPRIM_400000_NS6detail17trampoline_kernelINS0_14default_configENS1_25partition_config_selectorILNS1_17partition_subalgoE8EfNS0_10empty_typeEbEEZZNS1_14partition_implILS5_8ELb0ES3_jN6thrust23THRUST_200600_302600_NS6detail15normal_iteratorINSA_10device_ptrIfEEEEPS6_PKS6_NS0_5tupleIJSF_S6_EEENSJ_IJSG_SG_EEENS0_18inequality_wrapperINSA_8equal_toIfEEEEPmJS6_EEE10hipError_tPvRmT3_T4_T5_T6_T7_T9_mT8_P12ihipStream_tbDpT10_ENKUlT_T0_E_clISt17integral_constantIbLb0EES1A_EEDaS15_S16_EUlS15_E_NS1_11comp_targetILNS1_3genE8ELNS1_11target_archE1030ELNS1_3gpuE2ELNS1_3repE0EEENS1_30default_config_static_selectorELNS0_4arch9wavefront6targetE1EEEvT1_.num_named_barrier, 0
	.set _ZN7rocprim17ROCPRIM_400000_NS6detail17trampoline_kernelINS0_14default_configENS1_25partition_config_selectorILNS1_17partition_subalgoE8EfNS0_10empty_typeEbEEZZNS1_14partition_implILS5_8ELb0ES3_jN6thrust23THRUST_200600_302600_NS6detail15normal_iteratorINSA_10device_ptrIfEEEEPS6_PKS6_NS0_5tupleIJSF_S6_EEENSJ_IJSG_SG_EEENS0_18inequality_wrapperINSA_8equal_toIfEEEEPmJS6_EEE10hipError_tPvRmT3_T4_T5_T6_T7_T9_mT8_P12ihipStream_tbDpT10_ENKUlT_T0_E_clISt17integral_constantIbLb0EES1A_EEDaS15_S16_EUlS15_E_NS1_11comp_targetILNS1_3genE8ELNS1_11target_archE1030ELNS1_3gpuE2ELNS1_3repE0EEENS1_30default_config_static_selectorELNS0_4arch9wavefront6targetE1EEEvT1_.private_seg_size, 0
	.set _ZN7rocprim17ROCPRIM_400000_NS6detail17trampoline_kernelINS0_14default_configENS1_25partition_config_selectorILNS1_17partition_subalgoE8EfNS0_10empty_typeEbEEZZNS1_14partition_implILS5_8ELb0ES3_jN6thrust23THRUST_200600_302600_NS6detail15normal_iteratorINSA_10device_ptrIfEEEEPS6_PKS6_NS0_5tupleIJSF_S6_EEENSJ_IJSG_SG_EEENS0_18inequality_wrapperINSA_8equal_toIfEEEEPmJS6_EEE10hipError_tPvRmT3_T4_T5_T6_T7_T9_mT8_P12ihipStream_tbDpT10_ENKUlT_T0_E_clISt17integral_constantIbLb0EES1A_EEDaS15_S16_EUlS15_E_NS1_11comp_targetILNS1_3genE8ELNS1_11target_archE1030ELNS1_3gpuE2ELNS1_3repE0EEENS1_30default_config_static_selectorELNS0_4arch9wavefront6targetE1EEEvT1_.uses_vcc, 0
	.set _ZN7rocprim17ROCPRIM_400000_NS6detail17trampoline_kernelINS0_14default_configENS1_25partition_config_selectorILNS1_17partition_subalgoE8EfNS0_10empty_typeEbEEZZNS1_14partition_implILS5_8ELb0ES3_jN6thrust23THRUST_200600_302600_NS6detail15normal_iteratorINSA_10device_ptrIfEEEEPS6_PKS6_NS0_5tupleIJSF_S6_EEENSJ_IJSG_SG_EEENS0_18inequality_wrapperINSA_8equal_toIfEEEEPmJS6_EEE10hipError_tPvRmT3_T4_T5_T6_T7_T9_mT8_P12ihipStream_tbDpT10_ENKUlT_T0_E_clISt17integral_constantIbLb0EES1A_EEDaS15_S16_EUlS15_E_NS1_11comp_targetILNS1_3genE8ELNS1_11target_archE1030ELNS1_3gpuE2ELNS1_3repE0EEENS1_30default_config_static_selectorELNS0_4arch9wavefront6targetE1EEEvT1_.uses_flat_scratch, 0
	.set _ZN7rocprim17ROCPRIM_400000_NS6detail17trampoline_kernelINS0_14default_configENS1_25partition_config_selectorILNS1_17partition_subalgoE8EfNS0_10empty_typeEbEEZZNS1_14partition_implILS5_8ELb0ES3_jN6thrust23THRUST_200600_302600_NS6detail15normal_iteratorINSA_10device_ptrIfEEEEPS6_PKS6_NS0_5tupleIJSF_S6_EEENSJ_IJSG_SG_EEENS0_18inequality_wrapperINSA_8equal_toIfEEEEPmJS6_EEE10hipError_tPvRmT3_T4_T5_T6_T7_T9_mT8_P12ihipStream_tbDpT10_ENKUlT_T0_E_clISt17integral_constantIbLb0EES1A_EEDaS15_S16_EUlS15_E_NS1_11comp_targetILNS1_3genE8ELNS1_11target_archE1030ELNS1_3gpuE2ELNS1_3repE0EEENS1_30default_config_static_selectorELNS0_4arch9wavefront6targetE1EEEvT1_.has_dyn_sized_stack, 0
	.set _ZN7rocprim17ROCPRIM_400000_NS6detail17trampoline_kernelINS0_14default_configENS1_25partition_config_selectorILNS1_17partition_subalgoE8EfNS0_10empty_typeEbEEZZNS1_14partition_implILS5_8ELb0ES3_jN6thrust23THRUST_200600_302600_NS6detail15normal_iteratorINSA_10device_ptrIfEEEEPS6_PKS6_NS0_5tupleIJSF_S6_EEENSJ_IJSG_SG_EEENS0_18inequality_wrapperINSA_8equal_toIfEEEEPmJS6_EEE10hipError_tPvRmT3_T4_T5_T6_T7_T9_mT8_P12ihipStream_tbDpT10_ENKUlT_T0_E_clISt17integral_constantIbLb0EES1A_EEDaS15_S16_EUlS15_E_NS1_11comp_targetILNS1_3genE8ELNS1_11target_archE1030ELNS1_3gpuE2ELNS1_3repE0EEENS1_30default_config_static_selectorELNS0_4arch9wavefront6targetE1EEEvT1_.has_recursion, 0
	.set _ZN7rocprim17ROCPRIM_400000_NS6detail17trampoline_kernelINS0_14default_configENS1_25partition_config_selectorILNS1_17partition_subalgoE8EfNS0_10empty_typeEbEEZZNS1_14partition_implILS5_8ELb0ES3_jN6thrust23THRUST_200600_302600_NS6detail15normal_iteratorINSA_10device_ptrIfEEEEPS6_PKS6_NS0_5tupleIJSF_S6_EEENSJ_IJSG_SG_EEENS0_18inequality_wrapperINSA_8equal_toIfEEEEPmJS6_EEE10hipError_tPvRmT3_T4_T5_T6_T7_T9_mT8_P12ihipStream_tbDpT10_ENKUlT_T0_E_clISt17integral_constantIbLb0EES1A_EEDaS15_S16_EUlS15_E_NS1_11comp_targetILNS1_3genE8ELNS1_11target_archE1030ELNS1_3gpuE2ELNS1_3repE0EEENS1_30default_config_static_selectorELNS0_4arch9wavefront6targetE1EEEvT1_.has_indirect_call, 0
	.section	.AMDGPU.csdata,"",@progbits
; Kernel info:
; codeLenInByte = 0
; TotalNumSgprs: 4
; NumVgprs: 0
; ScratchSize: 0
; MemoryBound: 0
; FloatMode: 240
; IeeeMode: 1
; LDSByteSize: 0 bytes/workgroup (compile time only)
; SGPRBlocks: 0
; VGPRBlocks: 0
; NumSGPRsForWavesPerEU: 4
; NumVGPRsForWavesPerEU: 1
; Occupancy: 10
; WaveLimiterHint : 0
; COMPUTE_PGM_RSRC2:SCRATCH_EN: 0
; COMPUTE_PGM_RSRC2:USER_SGPR: 6
; COMPUTE_PGM_RSRC2:TRAP_HANDLER: 0
; COMPUTE_PGM_RSRC2:TGID_X_EN: 1
; COMPUTE_PGM_RSRC2:TGID_Y_EN: 0
; COMPUTE_PGM_RSRC2:TGID_Z_EN: 0
; COMPUTE_PGM_RSRC2:TIDIG_COMP_CNT: 0
	.section	.text._ZN7rocprim17ROCPRIM_400000_NS6detail17trampoline_kernelINS0_14default_configENS1_25partition_config_selectorILNS1_17partition_subalgoE8EfNS0_10empty_typeEbEEZZNS1_14partition_implILS5_8ELb0ES3_jN6thrust23THRUST_200600_302600_NS6detail15normal_iteratorINSA_10device_ptrIfEEEEPS6_PKS6_NS0_5tupleIJSF_S6_EEENSJ_IJSG_SG_EEENS0_18inequality_wrapperINSA_8equal_toIfEEEEPmJS6_EEE10hipError_tPvRmT3_T4_T5_T6_T7_T9_mT8_P12ihipStream_tbDpT10_ENKUlT_T0_E_clISt17integral_constantIbLb1EES1A_EEDaS15_S16_EUlS15_E_NS1_11comp_targetILNS1_3genE0ELNS1_11target_archE4294967295ELNS1_3gpuE0ELNS1_3repE0EEENS1_30default_config_static_selectorELNS0_4arch9wavefront6targetE1EEEvT1_,"axG",@progbits,_ZN7rocprim17ROCPRIM_400000_NS6detail17trampoline_kernelINS0_14default_configENS1_25partition_config_selectorILNS1_17partition_subalgoE8EfNS0_10empty_typeEbEEZZNS1_14partition_implILS5_8ELb0ES3_jN6thrust23THRUST_200600_302600_NS6detail15normal_iteratorINSA_10device_ptrIfEEEEPS6_PKS6_NS0_5tupleIJSF_S6_EEENSJ_IJSG_SG_EEENS0_18inequality_wrapperINSA_8equal_toIfEEEEPmJS6_EEE10hipError_tPvRmT3_T4_T5_T6_T7_T9_mT8_P12ihipStream_tbDpT10_ENKUlT_T0_E_clISt17integral_constantIbLb1EES1A_EEDaS15_S16_EUlS15_E_NS1_11comp_targetILNS1_3genE0ELNS1_11target_archE4294967295ELNS1_3gpuE0ELNS1_3repE0EEENS1_30default_config_static_selectorELNS0_4arch9wavefront6targetE1EEEvT1_,comdat
	.protected	_ZN7rocprim17ROCPRIM_400000_NS6detail17trampoline_kernelINS0_14default_configENS1_25partition_config_selectorILNS1_17partition_subalgoE8EfNS0_10empty_typeEbEEZZNS1_14partition_implILS5_8ELb0ES3_jN6thrust23THRUST_200600_302600_NS6detail15normal_iteratorINSA_10device_ptrIfEEEEPS6_PKS6_NS0_5tupleIJSF_S6_EEENSJ_IJSG_SG_EEENS0_18inequality_wrapperINSA_8equal_toIfEEEEPmJS6_EEE10hipError_tPvRmT3_T4_T5_T6_T7_T9_mT8_P12ihipStream_tbDpT10_ENKUlT_T0_E_clISt17integral_constantIbLb1EES1A_EEDaS15_S16_EUlS15_E_NS1_11comp_targetILNS1_3genE0ELNS1_11target_archE4294967295ELNS1_3gpuE0ELNS1_3repE0EEENS1_30default_config_static_selectorELNS0_4arch9wavefront6targetE1EEEvT1_ ; -- Begin function _ZN7rocprim17ROCPRIM_400000_NS6detail17trampoline_kernelINS0_14default_configENS1_25partition_config_selectorILNS1_17partition_subalgoE8EfNS0_10empty_typeEbEEZZNS1_14partition_implILS5_8ELb0ES3_jN6thrust23THRUST_200600_302600_NS6detail15normal_iteratorINSA_10device_ptrIfEEEEPS6_PKS6_NS0_5tupleIJSF_S6_EEENSJ_IJSG_SG_EEENS0_18inequality_wrapperINSA_8equal_toIfEEEEPmJS6_EEE10hipError_tPvRmT3_T4_T5_T6_T7_T9_mT8_P12ihipStream_tbDpT10_ENKUlT_T0_E_clISt17integral_constantIbLb1EES1A_EEDaS15_S16_EUlS15_E_NS1_11comp_targetILNS1_3genE0ELNS1_11target_archE4294967295ELNS1_3gpuE0ELNS1_3repE0EEENS1_30default_config_static_selectorELNS0_4arch9wavefront6targetE1EEEvT1_
	.globl	_ZN7rocprim17ROCPRIM_400000_NS6detail17trampoline_kernelINS0_14default_configENS1_25partition_config_selectorILNS1_17partition_subalgoE8EfNS0_10empty_typeEbEEZZNS1_14partition_implILS5_8ELb0ES3_jN6thrust23THRUST_200600_302600_NS6detail15normal_iteratorINSA_10device_ptrIfEEEEPS6_PKS6_NS0_5tupleIJSF_S6_EEENSJ_IJSG_SG_EEENS0_18inequality_wrapperINSA_8equal_toIfEEEEPmJS6_EEE10hipError_tPvRmT3_T4_T5_T6_T7_T9_mT8_P12ihipStream_tbDpT10_ENKUlT_T0_E_clISt17integral_constantIbLb1EES1A_EEDaS15_S16_EUlS15_E_NS1_11comp_targetILNS1_3genE0ELNS1_11target_archE4294967295ELNS1_3gpuE0ELNS1_3repE0EEENS1_30default_config_static_selectorELNS0_4arch9wavefront6targetE1EEEvT1_
	.p2align	8
	.type	_ZN7rocprim17ROCPRIM_400000_NS6detail17trampoline_kernelINS0_14default_configENS1_25partition_config_selectorILNS1_17partition_subalgoE8EfNS0_10empty_typeEbEEZZNS1_14partition_implILS5_8ELb0ES3_jN6thrust23THRUST_200600_302600_NS6detail15normal_iteratorINSA_10device_ptrIfEEEEPS6_PKS6_NS0_5tupleIJSF_S6_EEENSJ_IJSG_SG_EEENS0_18inequality_wrapperINSA_8equal_toIfEEEEPmJS6_EEE10hipError_tPvRmT3_T4_T5_T6_T7_T9_mT8_P12ihipStream_tbDpT10_ENKUlT_T0_E_clISt17integral_constantIbLb1EES1A_EEDaS15_S16_EUlS15_E_NS1_11comp_targetILNS1_3genE0ELNS1_11target_archE4294967295ELNS1_3gpuE0ELNS1_3repE0EEENS1_30default_config_static_selectorELNS0_4arch9wavefront6targetE1EEEvT1_,@function
_ZN7rocprim17ROCPRIM_400000_NS6detail17trampoline_kernelINS0_14default_configENS1_25partition_config_selectorILNS1_17partition_subalgoE8EfNS0_10empty_typeEbEEZZNS1_14partition_implILS5_8ELb0ES3_jN6thrust23THRUST_200600_302600_NS6detail15normal_iteratorINSA_10device_ptrIfEEEEPS6_PKS6_NS0_5tupleIJSF_S6_EEENSJ_IJSG_SG_EEENS0_18inequality_wrapperINSA_8equal_toIfEEEEPmJS6_EEE10hipError_tPvRmT3_T4_T5_T6_T7_T9_mT8_P12ihipStream_tbDpT10_ENKUlT_T0_E_clISt17integral_constantIbLb1EES1A_EEDaS15_S16_EUlS15_E_NS1_11comp_targetILNS1_3genE0ELNS1_11target_archE4294967295ELNS1_3gpuE0ELNS1_3repE0EEENS1_30default_config_static_selectorELNS0_4arch9wavefront6targetE1EEEvT1_: ; @_ZN7rocprim17ROCPRIM_400000_NS6detail17trampoline_kernelINS0_14default_configENS1_25partition_config_selectorILNS1_17partition_subalgoE8EfNS0_10empty_typeEbEEZZNS1_14partition_implILS5_8ELb0ES3_jN6thrust23THRUST_200600_302600_NS6detail15normal_iteratorINSA_10device_ptrIfEEEEPS6_PKS6_NS0_5tupleIJSF_S6_EEENSJ_IJSG_SG_EEENS0_18inequality_wrapperINSA_8equal_toIfEEEEPmJS6_EEE10hipError_tPvRmT3_T4_T5_T6_T7_T9_mT8_P12ihipStream_tbDpT10_ENKUlT_T0_E_clISt17integral_constantIbLb1EES1A_EEDaS15_S16_EUlS15_E_NS1_11comp_targetILNS1_3genE0ELNS1_11target_archE4294967295ELNS1_3gpuE0ELNS1_3repE0EEENS1_30default_config_static_selectorELNS0_4arch9wavefront6targetE1EEEvT1_
; %bb.0:
	.section	.rodata,"a",@progbits
	.p2align	6, 0x0
	.amdhsa_kernel _ZN7rocprim17ROCPRIM_400000_NS6detail17trampoline_kernelINS0_14default_configENS1_25partition_config_selectorILNS1_17partition_subalgoE8EfNS0_10empty_typeEbEEZZNS1_14partition_implILS5_8ELb0ES3_jN6thrust23THRUST_200600_302600_NS6detail15normal_iteratorINSA_10device_ptrIfEEEEPS6_PKS6_NS0_5tupleIJSF_S6_EEENSJ_IJSG_SG_EEENS0_18inequality_wrapperINSA_8equal_toIfEEEEPmJS6_EEE10hipError_tPvRmT3_T4_T5_T6_T7_T9_mT8_P12ihipStream_tbDpT10_ENKUlT_T0_E_clISt17integral_constantIbLb1EES1A_EEDaS15_S16_EUlS15_E_NS1_11comp_targetILNS1_3genE0ELNS1_11target_archE4294967295ELNS1_3gpuE0ELNS1_3repE0EEENS1_30default_config_static_selectorELNS0_4arch9wavefront6targetE1EEEvT1_
		.amdhsa_group_segment_fixed_size 0
		.amdhsa_private_segment_fixed_size 0
		.amdhsa_kernarg_size 128
		.amdhsa_user_sgpr_count 6
		.amdhsa_user_sgpr_private_segment_buffer 1
		.amdhsa_user_sgpr_dispatch_ptr 0
		.amdhsa_user_sgpr_queue_ptr 0
		.amdhsa_user_sgpr_kernarg_segment_ptr 1
		.amdhsa_user_sgpr_dispatch_id 0
		.amdhsa_user_sgpr_flat_scratch_init 0
		.amdhsa_user_sgpr_private_segment_size 0
		.amdhsa_uses_dynamic_stack 0
		.amdhsa_system_sgpr_private_segment_wavefront_offset 0
		.amdhsa_system_sgpr_workgroup_id_x 1
		.amdhsa_system_sgpr_workgroup_id_y 0
		.amdhsa_system_sgpr_workgroup_id_z 0
		.amdhsa_system_sgpr_workgroup_info 0
		.amdhsa_system_vgpr_workitem_id 0
		.amdhsa_next_free_vgpr 1
		.amdhsa_next_free_sgpr 0
		.amdhsa_reserve_vcc 0
		.amdhsa_reserve_flat_scratch 0
		.amdhsa_float_round_mode_32 0
		.amdhsa_float_round_mode_16_64 0
		.amdhsa_float_denorm_mode_32 3
		.amdhsa_float_denorm_mode_16_64 3
		.amdhsa_dx10_clamp 1
		.amdhsa_ieee_mode 1
		.amdhsa_fp16_overflow 0
		.amdhsa_exception_fp_ieee_invalid_op 0
		.amdhsa_exception_fp_denorm_src 0
		.amdhsa_exception_fp_ieee_div_zero 0
		.amdhsa_exception_fp_ieee_overflow 0
		.amdhsa_exception_fp_ieee_underflow 0
		.amdhsa_exception_fp_ieee_inexact 0
		.amdhsa_exception_int_div_zero 0
	.end_amdhsa_kernel
	.section	.text._ZN7rocprim17ROCPRIM_400000_NS6detail17trampoline_kernelINS0_14default_configENS1_25partition_config_selectorILNS1_17partition_subalgoE8EfNS0_10empty_typeEbEEZZNS1_14partition_implILS5_8ELb0ES3_jN6thrust23THRUST_200600_302600_NS6detail15normal_iteratorINSA_10device_ptrIfEEEEPS6_PKS6_NS0_5tupleIJSF_S6_EEENSJ_IJSG_SG_EEENS0_18inequality_wrapperINSA_8equal_toIfEEEEPmJS6_EEE10hipError_tPvRmT3_T4_T5_T6_T7_T9_mT8_P12ihipStream_tbDpT10_ENKUlT_T0_E_clISt17integral_constantIbLb1EES1A_EEDaS15_S16_EUlS15_E_NS1_11comp_targetILNS1_3genE0ELNS1_11target_archE4294967295ELNS1_3gpuE0ELNS1_3repE0EEENS1_30default_config_static_selectorELNS0_4arch9wavefront6targetE1EEEvT1_,"axG",@progbits,_ZN7rocprim17ROCPRIM_400000_NS6detail17trampoline_kernelINS0_14default_configENS1_25partition_config_selectorILNS1_17partition_subalgoE8EfNS0_10empty_typeEbEEZZNS1_14partition_implILS5_8ELb0ES3_jN6thrust23THRUST_200600_302600_NS6detail15normal_iteratorINSA_10device_ptrIfEEEEPS6_PKS6_NS0_5tupleIJSF_S6_EEENSJ_IJSG_SG_EEENS0_18inequality_wrapperINSA_8equal_toIfEEEEPmJS6_EEE10hipError_tPvRmT3_T4_T5_T6_T7_T9_mT8_P12ihipStream_tbDpT10_ENKUlT_T0_E_clISt17integral_constantIbLb1EES1A_EEDaS15_S16_EUlS15_E_NS1_11comp_targetILNS1_3genE0ELNS1_11target_archE4294967295ELNS1_3gpuE0ELNS1_3repE0EEENS1_30default_config_static_selectorELNS0_4arch9wavefront6targetE1EEEvT1_,comdat
.Lfunc_end88:
	.size	_ZN7rocprim17ROCPRIM_400000_NS6detail17trampoline_kernelINS0_14default_configENS1_25partition_config_selectorILNS1_17partition_subalgoE8EfNS0_10empty_typeEbEEZZNS1_14partition_implILS5_8ELb0ES3_jN6thrust23THRUST_200600_302600_NS6detail15normal_iteratorINSA_10device_ptrIfEEEEPS6_PKS6_NS0_5tupleIJSF_S6_EEENSJ_IJSG_SG_EEENS0_18inequality_wrapperINSA_8equal_toIfEEEEPmJS6_EEE10hipError_tPvRmT3_T4_T5_T6_T7_T9_mT8_P12ihipStream_tbDpT10_ENKUlT_T0_E_clISt17integral_constantIbLb1EES1A_EEDaS15_S16_EUlS15_E_NS1_11comp_targetILNS1_3genE0ELNS1_11target_archE4294967295ELNS1_3gpuE0ELNS1_3repE0EEENS1_30default_config_static_selectorELNS0_4arch9wavefront6targetE1EEEvT1_, .Lfunc_end88-_ZN7rocprim17ROCPRIM_400000_NS6detail17trampoline_kernelINS0_14default_configENS1_25partition_config_selectorILNS1_17partition_subalgoE8EfNS0_10empty_typeEbEEZZNS1_14partition_implILS5_8ELb0ES3_jN6thrust23THRUST_200600_302600_NS6detail15normal_iteratorINSA_10device_ptrIfEEEEPS6_PKS6_NS0_5tupleIJSF_S6_EEENSJ_IJSG_SG_EEENS0_18inequality_wrapperINSA_8equal_toIfEEEEPmJS6_EEE10hipError_tPvRmT3_T4_T5_T6_T7_T9_mT8_P12ihipStream_tbDpT10_ENKUlT_T0_E_clISt17integral_constantIbLb1EES1A_EEDaS15_S16_EUlS15_E_NS1_11comp_targetILNS1_3genE0ELNS1_11target_archE4294967295ELNS1_3gpuE0ELNS1_3repE0EEENS1_30default_config_static_selectorELNS0_4arch9wavefront6targetE1EEEvT1_
                                        ; -- End function
	.set _ZN7rocprim17ROCPRIM_400000_NS6detail17trampoline_kernelINS0_14default_configENS1_25partition_config_selectorILNS1_17partition_subalgoE8EfNS0_10empty_typeEbEEZZNS1_14partition_implILS5_8ELb0ES3_jN6thrust23THRUST_200600_302600_NS6detail15normal_iteratorINSA_10device_ptrIfEEEEPS6_PKS6_NS0_5tupleIJSF_S6_EEENSJ_IJSG_SG_EEENS0_18inequality_wrapperINSA_8equal_toIfEEEEPmJS6_EEE10hipError_tPvRmT3_T4_T5_T6_T7_T9_mT8_P12ihipStream_tbDpT10_ENKUlT_T0_E_clISt17integral_constantIbLb1EES1A_EEDaS15_S16_EUlS15_E_NS1_11comp_targetILNS1_3genE0ELNS1_11target_archE4294967295ELNS1_3gpuE0ELNS1_3repE0EEENS1_30default_config_static_selectorELNS0_4arch9wavefront6targetE1EEEvT1_.num_vgpr, 0
	.set _ZN7rocprim17ROCPRIM_400000_NS6detail17trampoline_kernelINS0_14default_configENS1_25partition_config_selectorILNS1_17partition_subalgoE8EfNS0_10empty_typeEbEEZZNS1_14partition_implILS5_8ELb0ES3_jN6thrust23THRUST_200600_302600_NS6detail15normal_iteratorINSA_10device_ptrIfEEEEPS6_PKS6_NS0_5tupleIJSF_S6_EEENSJ_IJSG_SG_EEENS0_18inequality_wrapperINSA_8equal_toIfEEEEPmJS6_EEE10hipError_tPvRmT3_T4_T5_T6_T7_T9_mT8_P12ihipStream_tbDpT10_ENKUlT_T0_E_clISt17integral_constantIbLb1EES1A_EEDaS15_S16_EUlS15_E_NS1_11comp_targetILNS1_3genE0ELNS1_11target_archE4294967295ELNS1_3gpuE0ELNS1_3repE0EEENS1_30default_config_static_selectorELNS0_4arch9wavefront6targetE1EEEvT1_.num_agpr, 0
	.set _ZN7rocprim17ROCPRIM_400000_NS6detail17trampoline_kernelINS0_14default_configENS1_25partition_config_selectorILNS1_17partition_subalgoE8EfNS0_10empty_typeEbEEZZNS1_14partition_implILS5_8ELb0ES3_jN6thrust23THRUST_200600_302600_NS6detail15normal_iteratorINSA_10device_ptrIfEEEEPS6_PKS6_NS0_5tupleIJSF_S6_EEENSJ_IJSG_SG_EEENS0_18inequality_wrapperINSA_8equal_toIfEEEEPmJS6_EEE10hipError_tPvRmT3_T4_T5_T6_T7_T9_mT8_P12ihipStream_tbDpT10_ENKUlT_T0_E_clISt17integral_constantIbLb1EES1A_EEDaS15_S16_EUlS15_E_NS1_11comp_targetILNS1_3genE0ELNS1_11target_archE4294967295ELNS1_3gpuE0ELNS1_3repE0EEENS1_30default_config_static_selectorELNS0_4arch9wavefront6targetE1EEEvT1_.numbered_sgpr, 0
	.set _ZN7rocprim17ROCPRIM_400000_NS6detail17trampoline_kernelINS0_14default_configENS1_25partition_config_selectorILNS1_17partition_subalgoE8EfNS0_10empty_typeEbEEZZNS1_14partition_implILS5_8ELb0ES3_jN6thrust23THRUST_200600_302600_NS6detail15normal_iteratorINSA_10device_ptrIfEEEEPS6_PKS6_NS0_5tupleIJSF_S6_EEENSJ_IJSG_SG_EEENS0_18inequality_wrapperINSA_8equal_toIfEEEEPmJS6_EEE10hipError_tPvRmT3_T4_T5_T6_T7_T9_mT8_P12ihipStream_tbDpT10_ENKUlT_T0_E_clISt17integral_constantIbLb1EES1A_EEDaS15_S16_EUlS15_E_NS1_11comp_targetILNS1_3genE0ELNS1_11target_archE4294967295ELNS1_3gpuE0ELNS1_3repE0EEENS1_30default_config_static_selectorELNS0_4arch9wavefront6targetE1EEEvT1_.num_named_barrier, 0
	.set _ZN7rocprim17ROCPRIM_400000_NS6detail17trampoline_kernelINS0_14default_configENS1_25partition_config_selectorILNS1_17partition_subalgoE8EfNS0_10empty_typeEbEEZZNS1_14partition_implILS5_8ELb0ES3_jN6thrust23THRUST_200600_302600_NS6detail15normal_iteratorINSA_10device_ptrIfEEEEPS6_PKS6_NS0_5tupleIJSF_S6_EEENSJ_IJSG_SG_EEENS0_18inequality_wrapperINSA_8equal_toIfEEEEPmJS6_EEE10hipError_tPvRmT3_T4_T5_T6_T7_T9_mT8_P12ihipStream_tbDpT10_ENKUlT_T0_E_clISt17integral_constantIbLb1EES1A_EEDaS15_S16_EUlS15_E_NS1_11comp_targetILNS1_3genE0ELNS1_11target_archE4294967295ELNS1_3gpuE0ELNS1_3repE0EEENS1_30default_config_static_selectorELNS0_4arch9wavefront6targetE1EEEvT1_.private_seg_size, 0
	.set _ZN7rocprim17ROCPRIM_400000_NS6detail17trampoline_kernelINS0_14default_configENS1_25partition_config_selectorILNS1_17partition_subalgoE8EfNS0_10empty_typeEbEEZZNS1_14partition_implILS5_8ELb0ES3_jN6thrust23THRUST_200600_302600_NS6detail15normal_iteratorINSA_10device_ptrIfEEEEPS6_PKS6_NS0_5tupleIJSF_S6_EEENSJ_IJSG_SG_EEENS0_18inequality_wrapperINSA_8equal_toIfEEEEPmJS6_EEE10hipError_tPvRmT3_T4_T5_T6_T7_T9_mT8_P12ihipStream_tbDpT10_ENKUlT_T0_E_clISt17integral_constantIbLb1EES1A_EEDaS15_S16_EUlS15_E_NS1_11comp_targetILNS1_3genE0ELNS1_11target_archE4294967295ELNS1_3gpuE0ELNS1_3repE0EEENS1_30default_config_static_selectorELNS0_4arch9wavefront6targetE1EEEvT1_.uses_vcc, 0
	.set _ZN7rocprim17ROCPRIM_400000_NS6detail17trampoline_kernelINS0_14default_configENS1_25partition_config_selectorILNS1_17partition_subalgoE8EfNS0_10empty_typeEbEEZZNS1_14partition_implILS5_8ELb0ES3_jN6thrust23THRUST_200600_302600_NS6detail15normal_iteratorINSA_10device_ptrIfEEEEPS6_PKS6_NS0_5tupleIJSF_S6_EEENSJ_IJSG_SG_EEENS0_18inequality_wrapperINSA_8equal_toIfEEEEPmJS6_EEE10hipError_tPvRmT3_T4_T5_T6_T7_T9_mT8_P12ihipStream_tbDpT10_ENKUlT_T0_E_clISt17integral_constantIbLb1EES1A_EEDaS15_S16_EUlS15_E_NS1_11comp_targetILNS1_3genE0ELNS1_11target_archE4294967295ELNS1_3gpuE0ELNS1_3repE0EEENS1_30default_config_static_selectorELNS0_4arch9wavefront6targetE1EEEvT1_.uses_flat_scratch, 0
	.set _ZN7rocprim17ROCPRIM_400000_NS6detail17trampoline_kernelINS0_14default_configENS1_25partition_config_selectorILNS1_17partition_subalgoE8EfNS0_10empty_typeEbEEZZNS1_14partition_implILS5_8ELb0ES3_jN6thrust23THRUST_200600_302600_NS6detail15normal_iteratorINSA_10device_ptrIfEEEEPS6_PKS6_NS0_5tupleIJSF_S6_EEENSJ_IJSG_SG_EEENS0_18inequality_wrapperINSA_8equal_toIfEEEEPmJS6_EEE10hipError_tPvRmT3_T4_T5_T6_T7_T9_mT8_P12ihipStream_tbDpT10_ENKUlT_T0_E_clISt17integral_constantIbLb1EES1A_EEDaS15_S16_EUlS15_E_NS1_11comp_targetILNS1_3genE0ELNS1_11target_archE4294967295ELNS1_3gpuE0ELNS1_3repE0EEENS1_30default_config_static_selectorELNS0_4arch9wavefront6targetE1EEEvT1_.has_dyn_sized_stack, 0
	.set _ZN7rocprim17ROCPRIM_400000_NS6detail17trampoline_kernelINS0_14default_configENS1_25partition_config_selectorILNS1_17partition_subalgoE8EfNS0_10empty_typeEbEEZZNS1_14partition_implILS5_8ELb0ES3_jN6thrust23THRUST_200600_302600_NS6detail15normal_iteratorINSA_10device_ptrIfEEEEPS6_PKS6_NS0_5tupleIJSF_S6_EEENSJ_IJSG_SG_EEENS0_18inequality_wrapperINSA_8equal_toIfEEEEPmJS6_EEE10hipError_tPvRmT3_T4_T5_T6_T7_T9_mT8_P12ihipStream_tbDpT10_ENKUlT_T0_E_clISt17integral_constantIbLb1EES1A_EEDaS15_S16_EUlS15_E_NS1_11comp_targetILNS1_3genE0ELNS1_11target_archE4294967295ELNS1_3gpuE0ELNS1_3repE0EEENS1_30default_config_static_selectorELNS0_4arch9wavefront6targetE1EEEvT1_.has_recursion, 0
	.set _ZN7rocprim17ROCPRIM_400000_NS6detail17trampoline_kernelINS0_14default_configENS1_25partition_config_selectorILNS1_17partition_subalgoE8EfNS0_10empty_typeEbEEZZNS1_14partition_implILS5_8ELb0ES3_jN6thrust23THRUST_200600_302600_NS6detail15normal_iteratorINSA_10device_ptrIfEEEEPS6_PKS6_NS0_5tupleIJSF_S6_EEENSJ_IJSG_SG_EEENS0_18inequality_wrapperINSA_8equal_toIfEEEEPmJS6_EEE10hipError_tPvRmT3_T4_T5_T6_T7_T9_mT8_P12ihipStream_tbDpT10_ENKUlT_T0_E_clISt17integral_constantIbLb1EES1A_EEDaS15_S16_EUlS15_E_NS1_11comp_targetILNS1_3genE0ELNS1_11target_archE4294967295ELNS1_3gpuE0ELNS1_3repE0EEENS1_30default_config_static_selectorELNS0_4arch9wavefront6targetE1EEEvT1_.has_indirect_call, 0
	.section	.AMDGPU.csdata,"",@progbits
; Kernel info:
; codeLenInByte = 0
; TotalNumSgprs: 4
; NumVgprs: 0
; ScratchSize: 0
; MemoryBound: 0
; FloatMode: 240
; IeeeMode: 1
; LDSByteSize: 0 bytes/workgroup (compile time only)
; SGPRBlocks: 0
; VGPRBlocks: 0
; NumSGPRsForWavesPerEU: 4
; NumVGPRsForWavesPerEU: 1
; Occupancy: 10
; WaveLimiterHint : 0
; COMPUTE_PGM_RSRC2:SCRATCH_EN: 0
; COMPUTE_PGM_RSRC2:USER_SGPR: 6
; COMPUTE_PGM_RSRC2:TRAP_HANDLER: 0
; COMPUTE_PGM_RSRC2:TGID_X_EN: 1
; COMPUTE_PGM_RSRC2:TGID_Y_EN: 0
; COMPUTE_PGM_RSRC2:TGID_Z_EN: 0
; COMPUTE_PGM_RSRC2:TIDIG_COMP_CNT: 0
	.section	.text._ZN7rocprim17ROCPRIM_400000_NS6detail17trampoline_kernelINS0_14default_configENS1_25partition_config_selectorILNS1_17partition_subalgoE8EfNS0_10empty_typeEbEEZZNS1_14partition_implILS5_8ELb0ES3_jN6thrust23THRUST_200600_302600_NS6detail15normal_iteratorINSA_10device_ptrIfEEEEPS6_PKS6_NS0_5tupleIJSF_S6_EEENSJ_IJSG_SG_EEENS0_18inequality_wrapperINSA_8equal_toIfEEEEPmJS6_EEE10hipError_tPvRmT3_T4_T5_T6_T7_T9_mT8_P12ihipStream_tbDpT10_ENKUlT_T0_E_clISt17integral_constantIbLb1EES1A_EEDaS15_S16_EUlS15_E_NS1_11comp_targetILNS1_3genE5ELNS1_11target_archE942ELNS1_3gpuE9ELNS1_3repE0EEENS1_30default_config_static_selectorELNS0_4arch9wavefront6targetE1EEEvT1_,"axG",@progbits,_ZN7rocprim17ROCPRIM_400000_NS6detail17trampoline_kernelINS0_14default_configENS1_25partition_config_selectorILNS1_17partition_subalgoE8EfNS0_10empty_typeEbEEZZNS1_14partition_implILS5_8ELb0ES3_jN6thrust23THRUST_200600_302600_NS6detail15normal_iteratorINSA_10device_ptrIfEEEEPS6_PKS6_NS0_5tupleIJSF_S6_EEENSJ_IJSG_SG_EEENS0_18inequality_wrapperINSA_8equal_toIfEEEEPmJS6_EEE10hipError_tPvRmT3_T4_T5_T6_T7_T9_mT8_P12ihipStream_tbDpT10_ENKUlT_T0_E_clISt17integral_constantIbLb1EES1A_EEDaS15_S16_EUlS15_E_NS1_11comp_targetILNS1_3genE5ELNS1_11target_archE942ELNS1_3gpuE9ELNS1_3repE0EEENS1_30default_config_static_selectorELNS0_4arch9wavefront6targetE1EEEvT1_,comdat
	.protected	_ZN7rocprim17ROCPRIM_400000_NS6detail17trampoline_kernelINS0_14default_configENS1_25partition_config_selectorILNS1_17partition_subalgoE8EfNS0_10empty_typeEbEEZZNS1_14partition_implILS5_8ELb0ES3_jN6thrust23THRUST_200600_302600_NS6detail15normal_iteratorINSA_10device_ptrIfEEEEPS6_PKS6_NS0_5tupleIJSF_S6_EEENSJ_IJSG_SG_EEENS0_18inequality_wrapperINSA_8equal_toIfEEEEPmJS6_EEE10hipError_tPvRmT3_T4_T5_T6_T7_T9_mT8_P12ihipStream_tbDpT10_ENKUlT_T0_E_clISt17integral_constantIbLb1EES1A_EEDaS15_S16_EUlS15_E_NS1_11comp_targetILNS1_3genE5ELNS1_11target_archE942ELNS1_3gpuE9ELNS1_3repE0EEENS1_30default_config_static_selectorELNS0_4arch9wavefront6targetE1EEEvT1_ ; -- Begin function _ZN7rocprim17ROCPRIM_400000_NS6detail17trampoline_kernelINS0_14default_configENS1_25partition_config_selectorILNS1_17partition_subalgoE8EfNS0_10empty_typeEbEEZZNS1_14partition_implILS5_8ELb0ES3_jN6thrust23THRUST_200600_302600_NS6detail15normal_iteratorINSA_10device_ptrIfEEEEPS6_PKS6_NS0_5tupleIJSF_S6_EEENSJ_IJSG_SG_EEENS0_18inequality_wrapperINSA_8equal_toIfEEEEPmJS6_EEE10hipError_tPvRmT3_T4_T5_T6_T7_T9_mT8_P12ihipStream_tbDpT10_ENKUlT_T0_E_clISt17integral_constantIbLb1EES1A_EEDaS15_S16_EUlS15_E_NS1_11comp_targetILNS1_3genE5ELNS1_11target_archE942ELNS1_3gpuE9ELNS1_3repE0EEENS1_30default_config_static_selectorELNS0_4arch9wavefront6targetE1EEEvT1_
	.globl	_ZN7rocprim17ROCPRIM_400000_NS6detail17trampoline_kernelINS0_14default_configENS1_25partition_config_selectorILNS1_17partition_subalgoE8EfNS0_10empty_typeEbEEZZNS1_14partition_implILS5_8ELb0ES3_jN6thrust23THRUST_200600_302600_NS6detail15normal_iteratorINSA_10device_ptrIfEEEEPS6_PKS6_NS0_5tupleIJSF_S6_EEENSJ_IJSG_SG_EEENS0_18inequality_wrapperINSA_8equal_toIfEEEEPmJS6_EEE10hipError_tPvRmT3_T4_T5_T6_T7_T9_mT8_P12ihipStream_tbDpT10_ENKUlT_T0_E_clISt17integral_constantIbLb1EES1A_EEDaS15_S16_EUlS15_E_NS1_11comp_targetILNS1_3genE5ELNS1_11target_archE942ELNS1_3gpuE9ELNS1_3repE0EEENS1_30default_config_static_selectorELNS0_4arch9wavefront6targetE1EEEvT1_
	.p2align	8
	.type	_ZN7rocprim17ROCPRIM_400000_NS6detail17trampoline_kernelINS0_14default_configENS1_25partition_config_selectorILNS1_17partition_subalgoE8EfNS0_10empty_typeEbEEZZNS1_14partition_implILS5_8ELb0ES3_jN6thrust23THRUST_200600_302600_NS6detail15normal_iteratorINSA_10device_ptrIfEEEEPS6_PKS6_NS0_5tupleIJSF_S6_EEENSJ_IJSG_SG_EEENS0_18inequality_wrapperINSA_8equal_toIfEEEEPmJS6_EEE10hipError_tPvRmT3_T4_T5_T6_T7_T9_mT8_P12ihipStream_tbDpT10_ENKUlT_T0_E_clISt17integral_constantIbLb1EES1A_EEDaS15_S16_EUlS15_E_NS1_11comp_targetILNS1_3genE5ELNS1_11target_archE942ELNS1_3gpuE9ELNS1_3repE0EEENS1_30default_config_static_selectorELNS0_4arch9wavefront6targetE1EEEvT1_,@function
_ZN7rocprim17ROCPRIM_400000_NS6detail17trampoline_kernelINS0_14default_configENS1_25partition_config_selectorILNS1_17partition_subalgoE8EfNS0_10empty_typeEbEEZZNS1_14partition_implILS5_8ELb0ES3_jN6thrust23THRUST_200600_302600_NS6detail15normal_iteratorINSA_10device_ptrIfEEEEPS6_PKS6_NS0_5tupleIJSF_S6_EEENSJ_IJSG_SG_EEENS0_18inequality_wrapperINSA_8equal_toIfEEEEPmJS6_EEE10hipError_tPvRmT3_T4_T5_T6_T7_T9_mT8_P12ihipStream_tbDpT10_ENKUlT_T0_E_clISt17integral_constantIbLb1EES1A_EEDaS15_S16_EUlS15_E_NS1_11comp_targetILNS1_3genE5ELNS1_11target_archE942ELNS1_3gpuE9ELNS1_3repE0EEENS1_30default_config_static_selectorELNS0_4arch9wavefront6targetE1EEEvT1_: ; @_ZN7rocprim17ROCPRIM_400000_NS6detail17trampoline_kernelINS0_14default_configENS1_25partition_config_selectorILNS1_17partition_subalgoE8EfNS0_10empty_typeEbEEZZNS1_14partition_implILS5_8ELb0ES3_jN6thrust23THRUST_200600_302600_NS6detail15normal_iteratorINSA_10device_ptrIfEEEEPS6_PKS6_NS0_5tupleIJSF_S6_EEENSJ_IJSG_SG_EEENS0_18inequality_wrapperINSA_8equal_toIfEEEEPmJS6_EEE10hipError_tPvRmT3_T4_T5_T6_T7_T9_mT8_P12ihipStream_tbDpT10_ENKUlT_T0_E_clISt17integral_constantIbLb1EES1A_EEDaS15_S16_EUlS15_E_NS1_11comp_targetILNS1_3genE5ELNS1_11target_archE942ELNS1_3gpuE9ELNS1_3repE0EEENS1_30default_config_static_selectorELNS0_4arch9wavefront6targetE1EEEvT1_
; %bb.0:
	.section	.rodata,"a",@progbits
	.p2align	6, 0x0
	.amdhsa_kernel _ZN7rocprim17ROCPRIM_400000_NS6detail17trampoline_kernelINS0_14default_configENS1_25partition_config_selectorILNS1_17partition_subalgoE8EfNS0_10empty_typeEbEEZZNS1_14partition_implILS5_8ELb0ES3_jN6thrust23THRUST_200600_302600_NS6detail15normal_iteratorINSA_10device_ptrIfEEEEPS6_PKS6_NS0_5tupleIJSF_S6_EEENSJ_IJSG_SG_EEENS0_18inequality_wrapperINSA_8equal_toIfEEEEPmJS6_EEE10hipError_tPvRmT3_T4_T5_T6_T7_T9_mT8_P12ihipStream_tbDpT10_ENKUlT_T0_E_clISt17integral_constantIbLb1EES1A_EEDaS15_S16_EUlS15_E_NS1_11comp_targetILNS1_3genE5ELNS1_11target_archE942ELNS1_3gpuE9ELNS1_3repE0EEENS1_30default_config_static_selectorELNS0_4arch9wavefront6targetE1EEEvT1_
		.amdhsa_group_segment_fixed_size 0
		.amdhsa_private_segment_fixed_size 0
		.amdhsa_kernarg_size 128
		.amdhsa_user_sgpr_count 6
		.amdhsa_user_sgpr_private_segment_buffer 1
		.amdhsa_user_sgpr_dispatch_ptr 0
		.amdhsa_user_sgpr_queue_ptr 0
		.amdhsa_user_sgpr_kernarg_segment_ptr 1
		.amdhsa_user_sgpr_dispatch_id 0
		.amdhsa_user_sgpr_flat_scratch_init 0
		.amdhsa_user_sgpr_private_segment_size 0
		.amdhsa_uses_dynamic_stack 0
		.amdhsa_system_sgpr_private_segment_wavefront_offset 0
		.amdhsa_system_sgpr_workgroup_id_x 1
		.amdhsa_system_sgpr_workgroup_id_y 0
		.amdhsa_system_sgpr_workgroup_id_z 0
		.amdhsa_system_sgpr_workgroup_info 0
		.amdhsa_system_vgpr_workitem_id 0
		.amdhsa_next_free_vgpr 1
		.amdhsa_next_free_sgpr 0
		.amdhsa_reserve_vcc 0
		.amdhsa_reserve_flat_scratch 0
		.amdhsa_float_round_mode_32 0
		.amdhsa_float_round_mode_16_64 0
		.amdhsa_float_denorm_mode_32 3
		.amdhsa_float_denorm_mode_16_64 3
		.amdhsa_dx10_clamp 1
		.amdhsa_ieee_mode 1
		.amdhsa_fp16_overflow 0
		.amdhsa_exception_fp_ieee_invalid_op 0
		.amdhsa_exception_fp_denorm_src 0
		.amdhsa_exception_fp_ieee_div_zero 0
		.amdhsa_exception_fp_ieee_overflow 0
		.amdhsa_exception_fp_ieee_underflow 0
		.amdhsa_exception_fp_ieee_inexact 0
		.amdhsa_exception_int_div_zero 0
	.end_amdhsa_kernel
	.section	.text._ZN7rocprim17ROCPRIM_400000_NS6detail17trampoline_kernelINS0_14default_configENS1_25partition_config_selectorILNS1_17partition_subalgoE8EfNS0_10empty_typeEbEEZZNS1_14partition_implILS5_8ELb0ES3_jN6thrust23THRUST_200600_302600_NS6detail15normal_iteratorINSA_10device_ptrIfEEEEPS6_PKS6_NS0_5tupleIJSF_S6_EEENSJ_IJSG_SG_EEENS0_18inequality_wrapperINSA_8equal_toIfEEEEPmJS6_EEE10hipError_tPvRmT3_T4_T5_T6_T7_T9_mT8_P12ihipStream_tbDpT10_ENKUlT_T0_E_clISt17integral_constantIbLb1EES1A_EEDaS15_S16_EUlS15_E_NS1_11comp_targetILNS1_3genE5ELNS1_11target_archE942ELNS1_3gpuE9ELNS1_3repE0EEENS1_30default_config_static_selectorELNS0_4arch9wavefront6targetE1EEEvT1_,"axG",@progbits,_ZN7rocprim17ROCPRIM_400000_NS6detail17trampoline_kernelINS0_14default_configENS1_25partition_config_selectorILNS1_17partition_subalgoE8EfNS0_10empty_typeEbEEZZNS1_14partition_implILS5_8ELb0ES3_jN6thrust23THRUST_200600_302600_NS6detail15normal_iteratorINSA_10device_ptrIfEEEEPS6_PKS6_NS0_5tupleIJSF_S6_EEENSJ_IJSG_SG_EEENS0_18inequality_wrapperINSA_8equal_toIfEEEEPmJS6_EEE10hipError_tPvRmT3_T4_T5_T6_T7_T9_mT8_P12ihipStream_tbDpT10_ENKUlT_T0_E_clISt17integral_constantIbLb1EES1A_EEDaS15_S16_EUlS15_E_NS1_11comp_targetILNS1_3genE5ELNS1_11target_archE942ELNS1_3gpuE9ELNS1_3repE0EEENS1_30default_config_static_selectorELNS0_4arch9wavefront6targetE1EEEvT1_,comdat
.Lfunc_end89:
	.size	_ZN7rocprim17ROCPRIM_400000_NS6detail17trampoline_kernelINS0_14default_configENS1_25partition_config_selectorILNS1_17partition_subalgoE8EfNS0_10empty_typeEbEEZZNS1_14partition_implILS5_8ELb0ES3_jN6thrust23THRUST_200600_302600_NS6detail15normal_iteratorINSA_10device_ptrIfEEEEPS6_PKS6_NS0_5tupleIJSF_S6_EEENSJ_IJSG_SG_EEENS0_18inequality_wrapperINSA_8equal_toIfEEEEPmJS6_EEE10hipError_tPvRmT3_T4_T5_T6_T7_T9_mT8_P12ihipStream_tbDpT10_ENKUlT_T0_E_clISt17integral_constantIbLb1EES1A_EEDaS15_S16_EUlS15_E_NS1_11comp_targetILNS1_3genE5ELNS1_11target_archE942ELNS1_3gpuE9ELNS1_3repE0EEENS1_30default_config_static_selectorELNS0_4arch9wavefront6targetE1EEEvT1_, .Lfunc_end89-_ZN7rocprim17ROCPRIM_400000_NS6detail17trampoline_kernelINS0_14default_configENS1_25partition_config_selectorILNS1_17partition_subalgoE8EfNS0_10empty_typeEbEEZZNS1_14partition_implILS5_8ELb0ES3_jN6thrust23THRUST_200600_302600_NS6detail15normal_iteratorINSA_10device_ptrIfEEEEPS6_PKS6_NS0_5tupleIJSF_S6_EEENSJ_IJSG_SG_EEENS0_18inequality_wrapperINSA_8equal_toIfEEEEPmJS6_EEE10hipError_tPvRmT3_T4_T5_T6_T7_T9_mT8_P12ihipStream_tbDpT10_ENKUlT_T0_E_clISt17integral_constantIbLb1EES1A_EEDaS15_S16_EUlS15_E_NS1_11comp_targetILNS1_3genE5ELNS1_11target_archE942ELNS1_3gpuE9ELNS1_3repE0EEENS1_30default_config_static_selectorELNS0_4arch9wavefront6targetE1EEEvT1_
                                        ; -- End function
	.set _ZN7rocprim17ROCPRIM_400000_NS6detail17trampoline_kernelINS0_14default_configENS1_25partition_config_selectorILNS1_17partition_subalgoE8EfNS0_10empty_typeEbEEZZNS1_14partition_implILS5_8ELb0ES3_jN6thrust23THRUST_200600_302600_NS6detail15normal_iteratorINSA_10device_ptrIfEEEEPS6_PKS6_NS0_5tupleIJSF_S6_EEENSJ_IJSG_SG_EEENS0_18inequality_wrapperINSA_8equal_toIfEEEEPmJS6_EEE10hipError_tPvRmT3_T4_T5_T6_T7_T9_mT8_P12ihipStream_tbDpT10_ENKUlT_T0_E_clISt17integral_constantIbLb1EES1A_EEDaS15_S16_EUlS15_E_NS1_11comp_targetILNS1_3genE5ELNS1_11target_archE942ELNS1_3gpuE9ELNS1_3repE0EEENS1_30default_config_static_selectorELNS0_4arch9wavefront6targetE1EEEvT1_.num_vgpr, 0
	.set _ZN7rocprim17ROCPRIM_400000_NS6detail17trampoline_kernelINS0_14default_configENS1_25partition_config_selectorILNS1_17partition_subalgoE8EfNS0_10empty_typeEbEEZZNS1_14partition_implILS5_8ELb0ES3_jN6thrust23THRUST_200600_302600_NS6detail15normal_iteratorINSA_10device_ptrIfEEEEPS6_PKS6_NS0_5tupleIJSF_S6_EEENSJ_IJSG_SG_EEENS0_18inequality_wrapperINSA_8equal_toIfEEEEPmJS6_EEE10hipError_tPvRmT3_T4_T5_T6_T7_T9_mT8_P12ihipStream_tbDpT10_ENKUlT_T0_E_clISt17integral_constantIbLb1EES1A_EEDaS15_S16_EUlS15_E_NS1_11comp_targetILNS1_3genE5ELNS1_11target_archE942ELNS1_3gpuE9ELNS1_3repE0EEENS1_30default_config_static_selectorELNS0_4arch9wavefront6targetE1EEEvT1_.num_agpr, 0
	.set _ZN7rocprim17ROCPRIM_400000_NS6detail17trampoline_kernelINS0_14default_configENS1_25partition_config_selectorILNS1_17partition_subalgoE8EfNS0_10empty_typeEbEEZZNS1_14partition_implILS5_8ELb0ES3_jN6thrust23THRUST_200600_302600_NS6detail15normal_iteratorINSA_10device_ptrIfEEEEPS6_PKS6_NS0_5tupleIJSF_S6_EEENSJ_IJSG_SG_EEENS0_18inequality_wrapperINSA_8equal_toIfEEEEPmJS6_EEE10hipError_tPvRmT3_T4_T5_T6_T7_T9_mT8_P12ihipStream_tbDpT10_ENKUlT_T0_E_clISt17integral_constantIbLb1EES1A_EEDaS15_S16_EUlS15_E_NS1_11comp_targetILNS1_3genE5ELNS1_11target_archE942ELNS1_3gpuE9ELNS1_3repE0EEENS1_30default_config_static_selectorELNS0_4arch9wavefront6targetE1EEEvT1_.numbered_sgpr, 0
	.set _ZN7rocprim17ROCPRIM_400000_NS6detail17trampoline_kernelINS0_14default_configENS1_25partition_config_selectorILNS1_17partition_subalgoE8EfNS0_10empty_typeEbEEZZNS1_14partition_implILS5_8ELb0ES3_jN6thrust23THRUST_200600_302600_NS6detail15normal_iteratorINSA_10device_ptrIfEEEEPS6_PKS6_NS0_5tupleIJSF_S6_EEENSJ_IJSG_SG_EEENS0_18inequality_wrapperINSA_8equal_toIfEEEEPmJS6_EEE10hipError_tPvRmT3_T4_T5_T6_T7_T9_mT8_P12ihipStream_tbDpT10_ENKUlT_T0_E_clISt17integral_constantIbLb1EES1A_EEDaS15_S16_EUlS15_E_NS1_11comp_targetILNS1_3genE5ELNS1_11target_archE942ELNS1_3gpuE9ELNS1_3repE0EEENS1_30default_config_static_selectorELNS0_4arch9wavefront6targetE1EEEvT1_.num_named_barrier, 0
	.set _ZN7rocprim17ROCPRIM_400000_NS6detail17trampoline_kernelINS0_14default_configENS1_25partition_config_selectorILNS1_17partition_subalgoE8EfNS0_10empty_typeEbEEZZNS1_14partition_implILS5_8ELb0ES3_jN6thrust23THRUST_200600_302600_NS6detail15normal_iteratorINSA_10device_ptrIfEEEEPS6_PKS6_NS0_5tupleIJSF_S6_EEENSJ_IJSG_SG_EEENS0_18inequality_wrapperINSA_8equal_toIfEEEEPmJS6_EEE10hipError_tPvRmT3_T4_T5_T6_T7_T9_mT8_P12ihipStream_tbDpT10_ENKUlT_T0_E_clISt17integral_constantIbLb1EES1A_EEDaS15_S16_EUlS15_E_NS1_11comp_targetILNS1_3genE5ELNS1_11target_archE942ELNS1_3gpuE9ELNS1_3repE0EEENS1_30default_config_static_selectorELNS0_4arch9wavefront6targetE1EEEvT1_.private_seg_size, 0
	.set _ZN7rocprim17ROCPRIM_400000_NS6detail17trampoline_kernelINS0_14default_configENS1_25partition_config_selectorILNS1_17partition_subalgoE8EfNS0_10empty_typeEbEEZZNS1_14partition_implILS5_8ELb0ES3_jN6thrust23THRUST_200600_302600_NS6detail15normal_iteratorINSA_10device_ptrIfEEEEPS6_PKS6_NS0_5tupleIJSF_S6_EEENSJ_IJSG_SG_EEENS0_18inequality_wrapperINSA_8equal_toIfEEEEPmJS6_EEE10hipError_tPvRmT3_T4_T5_T6_T7_T9_mT8_P12ihipStream_tbDpT10_ENKUlT_T0_E_clISt17integral_constantIbLb1EES1A_EEDaS15_S16_EUlS15_E_NS1_11comp_targetILNS1_3genE5ELNS1_11target_archE942ELNS1_3gpuE9ELNS1_3repE0EEENS1_30default_config_static_selectorELNS0_4arch9wavefront6targetE1EEEvT1_.uses_vcc, 0
	.set _ZN7rocprim17ROCPRIM_400000_NS6detail17trampoline_kernelINS0_14default_configENS1_25partition_config_selectorILNS1_17partition_subalgoE8EfNS0_10empty_typeEbEEZZNS1_14partition_implILS5_8ELb0ES3_jN6thrust23THRUST_200600_302600_NS6detail15normal_iteratorINSA_10device_ptrIfEEEEPS6_PKS6_NS0_5tupleIJSF_S6_EEENSJ_IJSG_SG_EEENS0_18inequality_wrapperINSA_8equal_toIfEEEEPmJS6_EEE10hipError_tPvRmT3_T4_T5_T6_T7_T9_mT8_P12ihipStream_tbDpT10_ENKUlT_T0_E_clISt17integral_constantIbLb1EES1A_EEDaS15_S16_EUlS15_E_NS1_11comp_targetILNS1_3genE5ELNS1_11target_archE942ELNS1_3gpuE9ELNS1_3repE0EEENS1_30default_config_static_selectorELNS0_4arch9wavefront6targetE1EEEvT1_.uses_flat_scratch, 0
	.set _ZN7rocprim17ROCPRIM_400000_NS6detail17trampoline_kernelINS0_14default_configENS1_25partition_config_selectorILNS1_17partition_subalgoE8EfNS0_10empty_typeEbEEZZNS1_14partition_implILS5_8ELb0ES3_jN6thrust23THRUST_200600_302600_NS6detail15normal_iteratorINSA_10device_ptrIfEEEEPS6_PKS6_NS0_5tupleIJSF_S6_EEENSJ_IJSG_SG_EEENS0_18inequality_wrapperINSA_8equal_toIfEEEEPmJS6_EEE10hipError_tPvRmT3_T4_T5_T6_T7_T9_mT8_P12ihipStream_tbDpT10_ENKUlT_T0_E_clISt17integral_constantIbLb1EES1A_EEDaS15_S16_EUlS15_E_NS1_11comp_targetILNS1_3genE5ELNS1_11target_archE942ELNS1_3gpuE9ELNS1_3repE0EEENS1_30default_config_static_selectorELNS0_4arch9wavefront6targetE1EEEvT1_.has_dyn_sized_stack, 0
	.set _ZN7rocprim17ROCPRIM_400000_NS6detail17trampoline_kernelINS0_14default_configENS1_25partition_config_selectorILNS1_17partition_subalgoE8EfNS0_10empty_typeEbEEZZNS1_14partition_implILS5_8ELb0ES3_jN6thrust23THRUST_200600_302600_NS6detail15normal_iteratorINSA_10device_ptrIfEEEEPS6_PKS6_NS0_5tupleIJSF_S6_EEENSJ_IJSG_SG_EEENS0_18inequality_wrapperINSA_8equal_toIfEEEEPmJS6_EEE10hipError_tPvRmT3_T4_T5_T6_T7_T9_mT8_P12ihipStream_tbDpT10_ENKUlT_T0_E_clISt17integral_constantIbLb1EES1A_EEDaS15_S16_EUlS15_E_NS1_11comp_targetILNS1_3genE5ELNS1_11target_archE942ELNS1_3gpuE9ELNS1_3repE0EEENS1_30default_config_static_selectorELNS0_4arch9wavefront6targetE1EEEvT1_.has_recursion, 0
	.set _ZN7rocprim17ROCPRIM_400000_NS6detail17trampoline_kernelINS0_14default_configENS1_25partition_config_selectorILNS1_17partition_subalgoE8EfNS0_10empty_typeEbEEZZNS1_14partition_implILS5_8ELb0ES3_jN6thrust23THRUST_200600_302600_NS6detail15normal_iteratorINSA_10device_ptrIfEEEEPS6_PKS6_NS0_5tupleIJSF_S6_EEENSJ_IJSG_SG_EEENS0_18inequality_wrapperINSA_8equal_toIfEEEEPmJS6_EEE10hipError_tPvRmT3_T4_T5_T6_T7_T9_mT8_P12ihipStream_tbDpT10_ENKUlT_T0_E_clISt17integral_constantIbLb1EES1A_EEDaS15_S16_EUlS15_E_NS1_11comp_targetILNS1_3genE5ELNS1_11target_archE942ELNS1_3gpuE9ELNS1_3repE0EEENS1_30default_config_static_selectorELNS0_4arch9wavefront6targetE1EEEvT1_.has_indirect_call, 0
	.section	.AMDGPU.csdata,"",@progbits
; Kernel info:
; codeLenInByte = 0
; TotalNumSgprs: 4
; NumVgprs: 0
; ScratchSize: 0
; MemoryBound: 0
; FloatMode: 240
; IeeeMode: 1
; LDSByteSize: 0 bytes/workgroup (compile time only)
; SGPRBlocks: 0
; VGPRBlocks: 0
; NumSGPRsForWavesPerEU: 4
; NumVGPRsForWavesPerEU: 1
; Occupancy: 10
; WaveLimiterHint : 0
; COMPUTE_PGM_RSRC2:SCRATCH_EN: 0
; COMPUTE_PGM_RSRC2:USER_SGPR: 6
; COMPUTE_PGM_RSRC2:TRAP_HANDLER: 0
; COMPUTE_PGM_RSRC2:TGID_X_EN: 1
; COMPUTE_PGM_RSRC2:TGID_Y_EN: 0
; COMPUTE_PGM_RSRC2:TGID_Z_EN: 0
; COMPUTE_PGM_RSRC2:TIDIG_COMP_CNT: 0
	.section	.text._ZN7rocprim17ROCPRIM_400000_NS6detail17trampoline_kernelINS0_14default_configENS1_25partition_config_selectorILNS1_17partition_subalgoE8EfNS0_10empty_typeEbEEZZNS1_14partition_implILS5_8ELb0ES3_jN6thrust23THRUST_200600_302600_NS6detail15normal_iteratorINSA_10device_ptrIfEEEEPS6_PKS6_NS0_5tupleIJSF_S6_EEENSJ_IJSG_SG_EEENS0_18inequality_wrapperINSA_8equal_toIfEEEEPmJS6_EEE10hipError_tPvRmT3_T4_T5_T6_T7_T9_mT8_P12ihipStream_tbDpT10_ENKUlT_T0_E_clISt17integral_constantIbLb1EES1A_EEDaS15_S16_EUlS15_E_NS1_11comp_targetILNS1_3genE4ELNS1_11target_archE910ELNS1_3gpuE8ELNS1_3repE0EEENS1_30default_config_static_selectorELNS0_4arch9wavefront6targetE1EEEvT1_,"axG",@progbits,_ZN7rocprim17ROCPRIM_400000_NS6detail17trampoline_kernelINS0_14default_configENS1_25partition_config_selectorILNS1_17partition_subalgoE8EfNS0_10empty_typeEbEEZZNS1_14partition_implILS5_8ELb0ES3_jN6thrust23THRUST_200600_302600_NS6detail15normal_iteratorINSA_10device_ptrIfEEEEPS6_PKS6_NS0_5tupleIJSF_S6_EEENSJ_IJSG_SG_EEENS0_18inequality_wrapperINSA_8equal_toIfEEEEPmJS6_EEE10hipError_tPvRmT3_T4_T5_T6_T7_T9_mT8_P12ihipStream_tbDpT10_ENKUlT_T0_E_clISt17integral_constantIbLb1EES1A_EEDaS15_S16_EUlS15_E_NS1_11comp_targetILNS1_3genE4ELNS1_11target_archE910ELNS1_3gpuE8ELNS1_3repE0EEENS1_30default_config_static_selectorELNS0_4arch9wavefront6targetE1EEEvT1_,comdat
	.protected	_ZN7rocprim17ROCPRIM_400000_NS6detail17trampoline_kernelINS0_14default_configENS1_25partition_config_selectorILNS1_17partition_subalgoE8EfNS0_10empty_typeEbEEZZNS1_14partition_implILS5_8ELb0ES3_jN6thrust23THRUST_200600_302600_NS6detail15normal_iteratorINSA_10device_ptrIfEEEEPS6_PKS6_NS0_5tupleIJSF_S6_EEENSJ_IJSG_SG_EEENS0_18inequality_wrapperINSA_8equal_toIfEEEEPmJS6_EEE10hipError_tPvRmT3_T4_T5_T6_T7_T9_mT8_P12ihipStream_tbDpT10_ENKUlT_T0_E_clISt17integral_constantIbLb1EES1A_EEDaS15_S16_EUlS15_E_NS1_11comp_targetILNS1_3genE4ELNS1_11target_archE910ELNS1_3gpuE8ELNS1_3repE0EEENS1_30default_config_static_selectorELNS0_4arch9wavefront6targetE1EEEvT1_ ; -- Begin function _ZN7rocprim17ROCPRIM_400000_NS6detail17trampoline_kernelINS0_14default_configENS1_25partition_config_selectorILNS1_17partition_subalgoE8EfNS0_10empty_typeEbEEZZNS1_14partition_implILS5_8ELb0ES3_jN6thrust23THRUST_200600_302600_NS6detail15normal_iteratorINSA_10device_ptrIfEEEEPS6_PKS6_NS0_5tupleIJSF_S6_EEENSJ_IJSG_SG_EEENS0_18inequality_wrapperINSA_8equal_toIfEEEEPmJS6_EEE10hipError_tPvRmT3_T4_T5_T6_T7_T9_mT8_P12ihipStream_tbDpT10_ENKUlT_T0_E_clISt17integral_constantIbLb1EES1A_EEDaS15_S16_EUlS15_E_NS1_11comp_targetILNS1_3genE4ELNS1_11target_archE910ELNS1_3gpuE8ELNS1_3repE0EEENS1_30default_config_static_selectorELNS0_4arch9wavefront6targetE1EEEvT1_
	.globl	_ZN7rocprim17ROCPRIM_400000_NS6detail17trampoline_kernelINS0_14default_configENS1_25partition_config_selectorILNS1_17partition_subalgoE8EfNS0_10empty_typeEbEEZZNS1_14partition_implILS5_8ELb0ES3_jN6thrust23THRUST_200600_302600_NS6detail15normal_iteratorINSA_10device_ptrIfEEEEPS6_PKS6_NS0_5tupleIJSF_S6_EEENSJ_IJSG_SG_EEENS0_18inequality_wrapperINSA_8equal_toIfEEEEPmJS6_EEE10hipError_tPvRmT3_T4_T5_T6_T7_T9_mT8_P12ihipStream_tbDpT10_ENKUlT_T0_E_clISt17integral_constantIbLb1EES1A_EEDaS15_S16_EUlS15_E_NS1_11comp_targetILNS1_3genE4ELNS1_11target_archE910ELNS1_3gpuE8ELNS1_3repE0EEENS1_30default_config_static_selectorELNS0_4arch9wavefront6targetE1EEEvT1_
	.p2align	8
	.type	_ZN7rocprim17ROCPRIM_400000_NS6detail17trampoline_kernelINS0_14default_configENS1_25partition_config_selectorILNS1_17partition_subalgoE8EfNS0_10empty_typeEbEEZZNS1_14partition_implILS5_8ELb0ES3_jN6thrust23THRUST_200600_302600_NS6detail15normal_iteratorINSA_10device_ptrIfEEEEPS6_PKS6_NS0_5tupleIJSF_S6_EEENSJ_IJSG_SG_EEENS0_18inequality_wrapperINSA_8equal_toIfEEEEPmJS6_EEE10hipError_tPvRmT3_T4_T5_T6_T7_T9_mT8_P12ihipStream_tbDpT10_ENKUlT_T0_E_clISt17integral_constantIbLb1EES1A_EEDaS15_S16_EUlS15_E_NS1_11comp_targetILNS1_3genE4ELNS1_11target_archE910ELNS1_3gpuE8ELNS1_3repE0EEENS1_30default_config_static_selectorELNS0_4arch9wavefront6targetE1EEEvT1_,@function
_ZN7rocprim17ROCPRIM_400000_NS6detail17trampoline_kernelINS0_14default_configENS1_25partition_config_selectorILNS1_17partition_subalgoE8EfNS0_10empty_typeEbEEZZNS1_14partition_implILS5_8ELb0ES3_jN6thrust23THRUST_200600_302600_NS6detail15normal_iteratorINSA_10device_ptrIfEEEEPS6_PKS6_NS0_5tupleIJSF_S6_EEENSJ_IJSG_SG_EEENS0_18inequality_wrapperINSA_8equal_toIfEEEEPmJS6_EEE10hipError_tPvRmT3_T4_T5_T6_T7_T9_mT8_P12ihipStream_tbDpT10_ENKUlT_T0_E_clISt17integral_constantIbLb1EES1A_EEDaS15_S16_EUlS15_E_NS1_11comp_targetILNS1_3genE4ELNS1_11target_archE910ELNS1_3gpuE8ELNS1_3repE0EEENS1_30default_config_static_selectorELNS0_4arch9wavefront6targetE1EEEvT1_: ; @_ZN7rocprim17ROCPRIM_400000_NS6detail17trampoline_kernelINS0_14default_configENS1_25partition_config_selectorILNS1_17partition_subalgoE8EfNS0_10empty_typeEbEEZZNS1_14partition_implILS5_8ELb0ES3_jN6thrust23THRUST_200600_302600_NS6detail15normal_iteratorINSA_10device_ptrIfEEEEPS6_PKS6_NS0_5tupleIJSF_S6_EEENSJ_IJSG_SG_EEENS0_18inequality_wrapperINSA_8equal_toIfEEEEPmJS6_EEE10hipError_tPvRmT3_T4_T5_T6_T7_T9_mT8_P12ihipStream_tbDpT10_ENKUlT_T0_E_clISt17integral_constantIbLb1EES1A_EEDaS15_S16_EUlS15_E_NS1_11comp_targetILNS1_3genE4ELNS1_11target_archE910ELNS1_3gpuE8ELNS1_3repE0EEENS1_30default_config_static_selectorELNS0_4arch9wavefront6targetE1EEEvT1_
; %bb.0:
	.section	.rodata,"a",@progbits
	.p2align	6, 0x0
	.amdhsa_kernel _ZN7rocprim17ROCPRIM_400000_NS6detail17trampoline_kernelINS0_14default_configENS1_25partition_config_selectorILNS1_17partition_subalgoE8EfNS0_10empty_typeEbEEZZNS1_14partition_implILS5_8ELb0ES3_jN6thrust23THRUST_200600_302600_NS6detail15normal_iteratorINSA_10device_ptrIfEEEEPS6_PKS6_NS0_5tupleIJSF_S6_EEENSJ_IJSG_SG_EEENS0_18inequality_wrapperINSA_8equal_toIfEEEEPmJS6_EEE10hipError_tPvRmT3_T4_T5_T6_T7_T9_mT8_P12ihipStream_tbDpT10_ENKUlT_T0_E_clISt17integral_constantIbLb1EES1A_EEDaS15_S16_EUlS15_E_NS1_11comp_targetILNS1_3genE4ELNS1_11target_archE910ELNS1_3gpuE8ELNS1_3repE0EEENS1_30default_config_static_selectorELNS0_4arch9wavefront6targetE1EEEvT1_
		.amdhsa_group_segment_fixed_size 0
		.amdhsa_private_segment_fixed_size 0
		.amdhsa_kernarg_size 128
		.amdhsa_user_sgpr_count 6
		.amdhsa_user_sgpr_private_segment_buffer 1
		.amdhsa_user_sgpr_dispatch_ptr 0
		.amdhsa_user_sgpr_queue_ptr 0
		.amdhsa_user_sgpr_kernarg_segment_ptr 1
		.amdhsa_user_sgpr_dispatch_id 0
		.amdhsa_user_sgpr_flat_scratch_init 0
		.amdhsa_user_sgpr_private_segment_size 0
		.amdhsa_uses_dynamic_stack 0
		.amdhsa_system_sgpr_private_segment_wavefront_offset 0
		.amdhsa_system_sgpr_workgroup_id_x 1
		.amdhsa_system_sgpr_workgroup_id_y 0
		.amdhsa_system_sgpr_workgroup_id_z 0
		.amdhsa_system_sgpr_workgroup_info 0
		.amdhsa_system_vgpr_workitem_id 0
		.amdhsa_next_free_vgpr 1
		.amdhsa_next_free_sgpr 0
		.amdhsa_reserve_vcc 0
		.amdhsa_reserve_flat_scratch 0
		.amdhsa_float_round_mode_32 0
		.amdhsa_float_round_mode_16_64 0
		.amdhsa_float_denorm_mode_32 3
		.amdhsa_float_denorm_mode_16_64 3
		.amdhsa_dx10_clamp 1
		.amdhsa_ieee_mode 1
		.amdhsa_fp16_overflow 0
		.amdhsa_exception_fp_ieee_invalid_op 0
		.amdhsa_exception_fp_denorm_src 0
		.amdhsa_exception_fp_ieee_div_zero 0
		.amdhsa_exception_fp_ieee_overflow 0
		.amdhsa_exception_fp_ieee_underflow 0
		.amdhsa_exception_fp_ieee_inexact 0
		.amdhsa_exception_int_div_zero 0
	.end_amdhsa_kernel
	.section	.text._ZN7rocprim17ROCPRIM_400000_NS6detail17trampoline_kernelINS0_14default_configENS1_25partition_config_selectorILNS1_17partition_subalgoE8EfNS0_10empty_typeEbEEZZNS1_14partition_implILS5_8ELb0ES3_jN6thrust23THRUST_200600_302600_NS6detail15normal_iteratorINSA_10device_ptrIfEEEEPS6_PKS6_NS0_5tupleIJSF_S6_EEENSJ_IJSG_SG_EEENS0_18inequality_wrapperINSA_8equal_toIfEEEEPmJS6_EEE10hipError_tPvRmT3_T4_T5_T6_T7_T9_mT8_P12ihipStream_tbDpT10_ENKUlT_T0_E_clISt17integral_constantIbLb1EES1A_EEDaS15_S16_EUlS15_E_NS1_11comp_targetILNS1_3genE4ELNS1_11target_archE910ELNS1_3gpuE8ELNS1_3repE0EEENS1_30default_config_static_selectorELNS0_4arch9wavefront6targetE1EEEvT1_,"axG",@progbits,_ZN7rocprim17ROCPRIM_400000_NS6detail17trampoline_kernelINS0_14default_configENS1_25partition_config_selectorILNS1_17partition_subalgoE8EfNS0_10empty_typeEbEEZZNS1_14partition_implILS5_8ELb0ES3_jN6thrust23THRUST_200600_302600_NS6detail15normal_iteratorINSA_10device_ptrIfEEEEPS6_PKS6_NS0_5tupleIJSF_S6_EEENSJ_IJSG_SG_EEENS0_18inequality_wrapperINSA_8equal_toIfEEEEPmJS6_EEE10hipError_tPvRmT3_T4_T5_T6_T7_T9_mT8_P12ihipStream_tbDpT10_ENKUlT_T0_E_clISt17integral_constantIbLb1EES1A_EEDaS15_S16_EUlS15_E_NS1_11comp_targetILNS1_3genE4ELNS1_11target_archE910ELNS1_3gpuE8ELNS1_3repE0EEENS1_30default_config_static_selectorELNS0_4arch9wavefront6targetE1EEEvT1_,comdat
.Lfunc_end90:
	.size	_ZN7rocprim17ROCPRIM_400000_NS6detail17trampoline_kernelINS0_14default_configENS1_25partition_config_selectorILNS1_17partition_subalgoE8EfNS0_10empty_typeEbEEZZNS1_14partition_implILS5_8ELb0ES3_jN6thrust23THRUST_200600_302600_NS6detail15normal_iteratorINSA_10device_ptrIfEEEEPS6_PKS6_NS0_5tupleIJSF_S6_EEENSJ_IJSG_SG_EEENS0_18inequality_wrapperINSA_8equal_toIfEEEEPmJS6_EEE10hipError_tPvRmT3_T4_T5_T6_T7_T9_mT8_P12ihipStream_tbDpT10_ENKUlT_T0_E_clISt17integral_constantIbLb1EES1A_EEDaS15_S16_EUlS15_E_NS1_11comp_targetILNS1_3genE4ELNS1_11target_archE910ELNS1_3gpuE8ELNS1_3repE0EEENS1_30default_config_static_selectorELNS0_4arch9wavefront6targetE1EEEvT1_, .Lfunc_end90-_ZN7rocprim17ROCPRIM_400000_NS6detail17trampoline_kernelINS0_14default_configENS1_25partition_config_selectorILNS1_17partition_subalgoE8EfNS0_10empty_typeEbEEZZNS1_14partition_implILS5_8ELb0ES3_jN6thrust23THRUST_200600_302600_NS6detail15normal_iteratorINSA_10device_ptrIfEEEEPS6_PKS6_NS0_5tupleIJSF_S6_EEENSJ_IJSG_SG_EEENS0_18inequality_wrapperINSA_8equal_toIfEEEEPmJS6_EEE10hipError_tPvRmT3_T4_T5_T6_T7_T9_mT8_P12ihipStream_tbDpT10_ENKUlT_T0_E_clISt17integral_constantIbLb1EES1A_EEDaS15_S16_EUlS15_E_NS1_11comp_targetILNS1_3genE4ELNS1_11target_archE910ELNS1_3gpuE8ELNS1_3repE0EEENS1_30default_config_static_selectorELNS0_4arch9wavefront6targetE1EEEvT1_
                                        ; -- End function
	.set _ZN7rocprim17ROCPRIM_400000_NS6detail17trampoline_kernelINS0_14default_configENS1_25partition_config_selectorILNS1_17partition_subalgoE8EfNS0_10empty_typeEbEEZZNS1_14partition_implILS5_8ELb0ES3_jN6thrust23THRUST_200600_302600_NS6detail15normal_iteratorINSA_10device_ptrIfEEEEPS6_PKS6_NS0_5tupleIJSF_S6_EEENSJ_IJSG_SG_EEENS0_18inequality_wrapperINSA_8equal_toIfEEEEPmJS6_EEE10hipError_tPvRmT3_T4_T5_T6_T7_T9_mT8_P12ihipStream_tbDpT10_ENKUlT_T0_E_clISt17integral_constantIbLb1EES1A_EEDaS15_S16_EUlS15_E_NS1_11comp_targetILNS1_3genE4ELNS1_11target_archE910ELNS1_3gpuE8ELNS1_3repE0EEENS1_30default_config_static_selectorELNS0_4arch9wavefront6targetE1EEEvT1_.num_vgpr, 0
	.set _ZN7rocprim17ROCPRIM_400000_NS6detail17trampoline_kernelINS0_14default_configENS1_25partition_config_selectorILNS1_17partition_subalgoE8EfNS0_10empty_typeEbEEZZNS1_14partition_implILS5_8ELb0ES3_jN6thrust23THRUST_200600_302600_NS6detail15normal_iteratorINSA_10device_ptrIfEEEEPS6_PKS6_NS0_5tupleIJSF_S6_EEENSJ_IJSG_SG_EEENS0_18inequality_wrapperINSA_8equal_toIfEEEEPmJS6_EEE10hipError_tPvRmT3_T4_T5_T6_T7_T9_mT8_P12ihipStream_tbDpT10_ENKUlT_T0_E_clISt17integral_constantIbLb1EES1A_EEDaS15_S16_EUlS15_E_NS1_11comp_targetILNS1_3genE4ELNS1_11target_archE910ELNS1_3gpuE8ELNS1_3repE0EEENS1_30default_config_static_selectorELNS0_4arch9wavefront6targetE1EEEvT1_.num_agpr, 0
	.set _ZN7rocprim17ROCPRIM_400000_NS6detail17trampoline_kernelINS0_14default_configENS1_25partition_config_selectorILNS1_17partition_subalgoE8EfNS0_10empty_typeEbEEZZNS1_14partition_implILS5_8ELb0ES3_jN6thrust23THRUST_200600_302600_NS6detail15normal_iteratorINSA_10device_ptrIfEEEEPS6_PKS6_NS0_5tupleIJSF_S6_EEENSJ_IJSG_SG_EEENS0_18inequality_wrapperINSA_8equal_toIfEEEEPmJS6_EEE10hipError_tPvRmT3_T4_T5_T6_T7_T9_mT8_P12ihipStream_tbDpT10_ENKUlT_T0_E_clISt17integral_constantIbLb1EES1A_EEDaS15_S16_EUlS15_E_NS1_11comp_targetILNS1_3genE4ELNS1_11target_archE910ELNS1_3gpuE8ELNS1_3repE0EEENS1_30default_config_static_selectorELNS0_4arch9wavefront6targetE1EEEvT1_.numbered_sgpr, 0
	.set _ZN7rocprim17ROCPRIM_400000_NS6detail17trampoline_kernelINS0_14default_configENS1_25partition_config_selectorILNS1_17partition_subalgoE8EfNS0_10empty_typeEbEEZZNS1_14partition_implILS5_8ELb0ES3_jN6thrust23THRUST_200600_302600_NS6detail15normal_iteratorINSA_10device_ptrIfEEEEPS6_PKS6_NS0_5tupleIJSF_S6_EEENSJ_IJSG_SG_EEENS0_18inequality_wrapperINSA_8equal_toIfEEEEPmJS6_EEE10hipError_tPvRmT3_T4_T5_T6_T7_T9_mT8_P12ihipStream_tbDpT10_ENKUlT_T0_E_clISt17integral_constantIbLb1EES1A_EEDaS15_S16_EUlS15_E_NS1_11comp_targetILNS1_3genE4ELNS1_11target_archE910ELNS1_3gpuE8ELNS1_3repE0EEENS1_30default_config_static_selectorELNS0_4arch9wavefront6targetE1EEEvT1_.num_named_barrier, 0
	.set _ZN7rocprim17ROCPRIM_400000_NS6detail17trampoline_kernelINS0_14default_configENS1_25partition_config_selectorILNS1_17partition_subalgoE8EfNS0_10empty_typeEbEEZZNS1_14partition_implILS5_8ELb0ES3_jN6thrust23THRUST_200600_302600_NS6detail15normal_iteratorINSA_10device_ptrIfEEEEPS6_PKS6_NS0_5tupleIJSF_S6_EEENSJ_IJSG_SG_EEENS0_18inequality_wrapperINSA_8equal_toIfEEEEPmJS6_EEE10hipError_tPvRmT3_T4_T5_T6_T7_T9_mT8_P12ihipStream_tbDpT10_ENKUlT_T0_E_clISt17integral_constantIbLb1EES1A_EEDaS15_S16_EUlS15_E_NS1_11comp_targetILNS1_3genE4ELNS1_11target_archE910ELNS1_3gpuE8ELNS1_3repE0EEENS1_30default_config_static_selectorELNS0_4arch9wavefront6targetE1EEEvT1_.private_seg_size, 0
	.set _ZN7rocprim17ROCPRIM_400000_NS6detail17trampoline_kernelINS0_14default_configENS1_25partition_config_selectorILNS1_17partition_subalgoE8EfNS0_10empty_typeEbEEZZNS1_14partition_implILS5_8ELb0ES3_jN6thrust23THRUST_200600_302600_NS6detail15normal_iteratorINSA_10device_ptrIfEEEEPS6_PKS6_NS0_5tupleIJSF_S6_EEENSJ_IJSG_SG_EEENS0_18inequality_wrapperINSA_8equal_toIfEEEEPmJS6_EEE10hipError_tPvRmT3_T4_T5_T6_T7_T9_mT8_P12ihipStream_tbDpT10_ENKUlT_T0_E_clISt17integral_constantIbLb1EES1A_EEDaS15_S16_EUlS15_E_NS1_11comp_targetILNS1_3genE4ELNS1_11target_archE910ELNS1_3gpuE8ELNS1_3repE0EEENS1_30default_config_static_selectorELNS0_4arch9wavefront6targetE1EEEvT1_.uses_vcc, 0
	.set _ZN7rocprim17ROCPRIM_400000_NS6detail17trampoline_kernelINS0_14default_configENS1_25partition_config_selectorILNS1_17partition_subalgoE8EfNS0_10empty_typeEbEEZZNS1_14partition_implILS5_8ELb0ES3_jN6thrust23THRUST_200600_302600_NS6detail15normal_iteratorINSA_10device_ptrIfEEEEPS6_PKS6_NS0_5tupleIJSF_S6_EEENSJ_IJSG_SG_EEENS0_18inequality_wrapperINSA_8equal_toIfEEEEPmJS6_EEE10hipError_tPvRmT3_T4_T5_T6_T7_T9_mT8_P12ihipStream_tbDpT10_ENKUlT_T0_E_clISt17integral_constantIbLb1EES1A_EEDaS15_S16_EUlS15_E_NS1_11comp_targetILNS1_3genE4ELNS1_11target_archE910ELNS1_3gpuE8ELNS1_3repE0EEENS1_30default_config_static_selectorELNS0_4arch9wavefront6targetE1EEEvT1_.uses_flat_scratch, 0
	.set _ZN7rocprim17ROCPRIM_400000_NS6detail17trampoline_kernelINS0_14default_configENS1_25partition_config_selectorILNS1_17partition_subalgoE8EfNS0_10empty_typeEbEEZZNS1_14partition_implILS5_8ELb0ES3_jN6thrust23THRUST_200600_302600_NS6detail15normal_iteratorINSA_10device_ptrIfEEEEPS6_PKS6_NS0_5tupleIJSF_S6_EEENSJ_IJSG_SG_EEENS0_18inequality_wrapperINSA_8equal_toIfEEEEPmJS6_EEE10hipError_tPvRmT3_T4_T5_T6_T7_T9_mT8_P12ihipStream_tbDpT10_ENKUlT_T0_E_clISt17integral_constantIbLb1EES1A_EEDaS15_S16_EUlS15_E_NS1_11comp_targetILNS1_3genE4ELNS1_11target_archE910ELNS1_3gpuE8ELNS1_3repE0EEENS1_30default_config_static_selectorELNS0_4arch9wavefront6targetE1EEEvT1_.has_dyn_sized_stack, 0
	.set _ZN7rocprim17ROCPRIM_400000_NS6detail17trampoline_kernelINS0_14default_configENS1_25partition_config_selectorILNS1_17partition_subalgoE8EfNS0_10empty_typeEbEEZZNS1_14partition_implILS5_8ELb0ES3_jN6thrust23THRUST_200600_302600_NS6detail15normal_iteratorINSA_10device_ptrIfEEEEPS6_PKS6_NS0_5tupleIJSF_S6_EEENSJ_IJSG_SG_EEENS0_18inequality_wrapperINSA_8equal_toIfEEEEPmJS6_EEE10hipError_tPvRmT3_T4_T5_T6_T7_T9_mT8_P12ihipStream_tbDpT10_ENKUlT_T0_E_clISt17integral_constantIbLb1EES1A_EEDaS15_S16_EUlS15_E_NS1_11comp_targetILNS1_3genE4ELNS1_11target_archE910ELNS1_3gpuE8ELNS1_3repE0EEENS1_30default_config_static_selectorELNS0_4arch9wavefront6targetE1EEEvT1_.has_recursion, 0
	.set _ZN7rocprim17ROCPRIM_400000_NS6detail17trampoline_kernelINS0_14default_configENS1_25partition_config_selectorILNS1_17partition_subalgoE8EfNS0_10empty_typeEbEEZZNS1_14partition_implILS5_8ELb0ES3_jN6thrust23THRUST_200600_302600_NS6detail15normal_iteratorINSA_10device_ptrIfEEEEPS6_PKS6_NS0_5tupleIJSF_S6_EEENSJ_IJSG_SG_EEENS0_18inequality_wrapperINSA_8equal_toIfEEEEPmJS6_EEE10hipError_tPvRmT3_T4_T5_T6_T7_T9_mT8_P12ihipStream_tbDpT10_ENKUlT_T0_E_clISt17integral_constantIbLb1EES1A_EEDaS15_S16_EUlS15_E_NS1_11comp_targetILNS1_3genE4ELNS1_11target_archE910ELNS1_3gpuE8ELNS1_3repE0EEENS1_30default_config_static_selectorELNS0_4arch9wavefront6targetE1EEEvT1_.has_indirect_call, 0
	.section	.AMDGPU.csdata,"",@progbits
; Kernel info:
; codeLenInByte = 0
; TotalNumSgprs: 4
; NumVgprs: 0
; ScratchSize: 0
; MemoryBound: 0
; FloatMode: 240
; IeeeMode: 1
; LDSByteSize: 0 bytes/workgroup (compile time only)
; SGPRBlocks: 0
; VGPRBlocks: 0
; NumSGPRsForWavesPerEU: 4
; NumVGPRsForWavesPerEU: 1
; Occupancy: 10
; WaveLimiterHint : 0
; COMPUTE_PGM_RSRC2:SCRATCH_EN: 0
; COMPUTE_PGM_RSRC2:USER_SGPR: 6
; COMPUTE_PGM_RSRC2:TRAP_HANDLER: 0
; COMPUTE_PGM_RSRC2:TGID_X_EN: 1
; COMPUTE_PGM_RSRC2:TGID_Y_EN: 0
; COMPUTE_PGM_RSRC2:TGID_Z_EN: 0
; COMPUTE_PGM_RSRC2:TIDIG_COMP_CNT: 0
	.section	.text._ZN7rocprim17ROCPRIM_400000_NS6detail17trampoline_kernelINS0_14default_configENS1_25partition_config_selectorILNS1_17partition_subalgoE8EfNS0_10empty_typeEbEEZZNS1_14partition_implILS5_8ELb0ES3_jN6thrust23THRUST_200600_302600_NS6detail15normal_iteratorINSA_10device_ptrIfEEEEPS6_PKS6_NS0_5tupleIJSF_S6_EEENSJ_IJSG_SG_EEENS0_18inequality_wrapperINSA_8equal_toIfEEEEPmJS6_EEE10hipError_tPvRmT3_T4_T5_T6_T7_T9_mT8_P12ihipStream_tbDpT10_ENKUlT_T0_E_clISt17integral_constantIbLb1EES1A_EEDaS15_S16_EUlS15_E_NS1_11comp_targetILNS1_3genE3ELNS1_11target_archE908ELNS1_3gpuE7ELNS1_3repE0EEENS1_30default_config_static_selectorELNS0_4arch9wavefront6targetE1EEEvT1_,"axG",@progbits,_ZN7rocprim17ROCPRIM_400000_NS6detail17trampoline_kernelINS0_14default_configENS1_25partition_config_selectorILNS1_17partition_subalgoE8EfNS0_10empty_typeEbEEZZNS1_14partition_implILS5_8ELb0ES3_jN6thrust23THRUST_200600_302600_NS6detail15normal_iteratorINSA_10device_ptrIfEEEEPS6_PKS6_NS0_5tupleIJSF_S6_EEENSJ_IJSG_SG_EEENS0_18inequality_wrapperINSA_8equal_toIfEEEEPmJS6_EEE10hipError_tPvRmT3_T4_T5_T6_T7_T9_mT8_P12ihipStream_tbDpT10_ENKUlT_T0_E_clISt17integral_constantIbLb1EES1A_EEDaS15_S16_EUlS15_E_NS1_11comp_targetILNS1_3genE3ELNS1_11target_archE908ELNS1_3gpuE7ELNS1_3repE0EEENS1_30default_config_static_selectorELNS0_4arch9wavefront6targetE1EEEvT1_,comdat
	.protected	_ZN7rocprim17ROCPRIM_400000_NS6detail17trampoline_kernelINS0_14default_configENS1_25partition_config_selectorILNS1_17partition_subalgoE8EfNS0_10empty_typeEbEEZZNS1_14partition_implILS5_8ELb0ES3_jN6thrust23THRUST_200600_302600_NS6detail15normal_iteratorINSA_10device_ptrIfEEEEPS6_PKS6_NS0_5tupleIJSF_S6_EEENSJ_IJSG_SG_EEENS0_18inequality_wrapperINSA_8equal_toIfEEEEPmJS6_EEE10hipError_tPvRmT3_T4_T5_T6_T7_T9_mT8_P12ihipStream_tbDpT10_ENKUlT_T0_E_clISt17integral_constantIbLb1EES1A_EEDaS15_S16_EUlS15_E_NS1_11comp_targetILNS1_3genE3ELNS1_11target_archE908ELNS1_3gpuE7ELNS1_3repE0EEENS1_30default_config_static_selectorELNS0_4arch9wavefront6targetE1EEEvT1_ ; -- Begin function _ZN7rocprim17ROCPRIM_400000_NS6detail17trampoline_kernelINS0_14default_configENS1_25partition_config_selectorILNS1_17partition_subalgoE8EfNS0_10empty_typeEbEEZZNS1_14partition_implILS5_8ELb0ES3_jN6thrust23THRUST_200600_302600_NS6detail15normal_iteratorINSA_10device_ptrIfEEEEPS6_PKS6_NS0_5tupleIJSF_S6_EEENSJ_IJSG_SG_EEENS0_18inequality_wrapperINSA_8equal_toIfEEEEPmJS6_EEE10hipError_tPvRmT3_T4_T5_T6_T7_T9_mT8_P12ihipStream_tbDpT10_ENKUlT_T0_E_clISt17integral_constantIbLb1EES1A_EEDaS15_S16_EUlS15_E_NS1_11comp_targetILNS1_3genE3ELNS1_11target_archE908ELNS1_3gpuE7ELNS1_3repE0EEENS1_30default_config_static_selectorELNS0_4arch9wavefront6targetE1EEEvT1_
	.globl	_ZN7rocprim17ROCPRIM_400000_NS6detail17trampoline_kernelINS0_14default_configENS1_25partition_config_selectorILNS1_17partition_subalgoE8EfNS0_10empty_typeEbEEZZNS1_14partition_implILS5_8ELb0ES3_jN6thrust23THRUST_200600_302600_NS6detail15normal_iteratorINSA_10device_ptrIfEEEEPS6_PKS6_NS0_5tupleIJSF_S6_EEENSJ_IJSG_SG_EEENS0_18inequality_wrapperINSA_8equal_toIfEEEEPmJS6_EEE10hipError_tPvRmT3_T4_T5_T6_T7_T9_mT8_P12ihipStream_tbDpT10_ENKUlT_T0_E_clISt17integral_constantIbLb1EES1A_EEDaS15_S16_EUlS15_E_NS1_11comp_targetILNS1_3genE3ELNS1_11target_archE908ELNS1_3gpuE7ELNS1_3repE0EEENS1_30default_config_static_selectorELNS0_4arch9wavefront6targetE1EEEvT1_
	.p2align	8
	.type	_ZN7rocprim17ROCPRIM_400000_NS6detail17trampoline_kernelINS0_14default_configENS1_25partition_config_selectorILNS1_17partition_subalgoE8EfNS0_10empty_typeEbEEZZNS1_14partition_implILS5_8ELb0ES3_jN6thrust23THRUST_200600_302600_NS6detail15normal_iteratorINSA_10device_ptrIfEEEEPS6_PKS6_NS0_5tupleIJSF_S6_EEENSJ_IJSG_SG_EEENS0_18inequality_wrapperINSA_8equal_toIfEEEEPmJS6_EEE10hipError_tPvRmT3_T4_T5_T6_T7_T9_mT8_P12ihipStream_tbDpT10_ENKUlT_T0_E_clISt17integral_constantIbLb1EES1A_EEDaS15_S16_EUlS15_E_NS1_11comp_targetILNS1_3genE3ELNS1_11target_archE908ELNS1_3gpuE7ELNS1_3repE0EEENS1_30default_config_static_selectorELNS0_4arch9wavefront6targetE1EEEvT1_,@function
_ZN7rocprim17ROCPRIM_400000_NS6detail17trampoline_kernelINS0_14default_configENS1_25partition_config_selectorILNS1_17partition_subalgoE8EfNS0_10empty_typeEbEEZZNS1_14partition_implILS5_8ELb0ES3_jN6thrust23THRUST_200600_302600_NS6detail15normal_iteratorINSA_10device_ptrIfEEEEPS6_PKS6_NS0_5tupleIJSF_S6_EEENSJ_IJSG_SG_EEENS0_18inequality_wrapperINSA_8equal_toIfEEEEPmJS6_EEE10hipError_tPvRmT3_T4_T5_T6_T7_T9_mT8_P12ihipStream_tbDpT10_ENKUlT_T0_E_clISt17integral_constantIbLb1EES1A_EEDaS15_S16_EUlS15_E_NS1_11comp_targetILNS1_3genE3ELNS1_11target_archE908ELNS1_3gpuE7ELNS1_3repE0EEENS1_30default_config_static_selectorELNS0_4arch9wavefront6targetE1EEEvT1_: ; @_ZN7rocprim17ROCPRIM_400000_NS6detail17trampoline_kernelINS0_14default_configENS1_25partition_config_selectorILNS1_17partition_subalgoE8EfNS0_10empty_typeEbEEZZNS1_14partition_implILS5_8ELb0ES3_jN6thrust23THRUST_200600_302600_NS6detail15normal_iteratorINSA_10device_ptrIfEEEEPS6_PKS6_NS0_5tupleIJSF_S6_EEENSJ_IJSG_SG_EEENS0_18inequality_wrapperINSA_8equal_toIfEEEEPmJS6_EEE10hipError_tPvRmT3_T4_T5_T6_T7_T9_mT8_P12ihipStream_tbDpT10_ENKUlT_T0_E_clISt17integral_constantIbLb1EES1A_EEDaS15_S16_EUlS15_E_NS1_11comp_targetILNS1_3genE3ELNS1_11target_archE908ELNS1_3gpuE7ELNS1_3repE0EEENS1_30default_config_static_selectorELNS0_4arch9wavefront6targetE1EEEvT1_
; %bb.0:
	.section	.rodata,"a",@progbits
	.p2align	6, 0x0
	.amdhsa_kernel _ZN7rocprim17ROCPRIM_400000_NS6detail17trampoline_kernelINS0_14default_configENS1_25partition_config_selectorILNS1_17partition_subalgoE8EfNS0_10empty_typeEbEEZZNS1_14partition_implILS5_8ELb0ES3_jN6thrust23THRUST_200600_302600_NS6detail15normal_iteratorINSA_10device_ptrIfEEEEPS6_PKS6_NS0_5tupleIJSF_S6_EEENSJ_IJSG_SG_EEENS0_18inequality_wrapperINSA_8equal_toIfEEEEPmJS6_EEE10hipError_tPvRmT3_T4_T5_T6_T7_T9_mT8_P12ihipStream_tbDpT10_ENKUlT_T0_E_clISt17integral_constantIbLb1EES1A_EEDaS15_S16_EUlS15_E_NS1_11comp_targetILNS1_3genE3ELNS1_11target_archE908ELNS1_3gpuE7ELNS1_3repE0EEENS1_30default_config_static_selectorELNS0_4arch9wavefront6targetE1EEEvT1_
		.amdhsa_group_segment_fixed_size 0
		.amdhsa_private_segment_fixed_size 0
		.amdhsa_kernarg_size 128
		.amdhsa_user_sgpr_count 6
		.amdhsa_user_sgpr_private_segment_buffer 1
		.amdhsa_user_sgpr_dispatch_ptr 0
		.amdhsa_user_sgpr_queue_ptr 0
		.amdhsa_user_sgpr_kernarg_segment_ptr 1
		.amdhsa_user_sgpr_dispatch_id 0
		.amdhsa_user_sgpr_flat_scratch_init 0
		.amdhsa_user_sgpr_private_segment_size 0
		.amdhsa_uses_dynamic_stack 0
		.amdhsa_system_sgpr_private_segment_wavefront_offset 0
		.amdhsa_system_sgpr_workgroup_id_x 1
		.amdhsa_system_sgpr_workgroup_id_y 0
		.amdhsa_system_sgpr_workgroup_id_z 0
		.amdhsa_system_sgpr_workgroup_info 0
		.amdhsa_system_vgpr_workitem_id 0
		.amdhsa_next_free_vgpr 1
		.amdhsa_next_free_sgpr 0
		.amdhsa_reserve_vcc 0
		.amdhsa_reserve_flat_scratch 0
		.amdhsa_float_round_mode_32 0
		.amdhsa_float_round_mode_16_64 0
		.amdhsa_float_denorm_mode_32 3
		.amdhsa_float_denorm_mode_16_64 3
		.amdhsa_dx10_clamp 1
		.amdhsa_ieee_mode 1
		.amdhsa_fp16_overflow 0
		.amdhsa_exception_fp_ieee_invalid_op 0
		.amdhsa_exception_fp_denorm_src 0
		.amdhsa_exception_fp_ieee_div_zero 0
		.amdhsa_exception_fp_ieee_overflow 0
		.amdhsa_exception_fp_ieee_underflow 0
		.amdhsa_exception_fp_ieee_inexact 0
		.amdhsa_exception_int_div_zero 0
	.end_amdhsa_kernel
	.section	.text._ZN7rocprim17ROCPRIM_400000_NS6detail17trampoline_kernelINS0_14default_configENS1_25partition_config_selectorILNS1_17partition_subalgoE8EfNS0_10empty_typeEbEEZZNS1_14partition_implILS5_8ELb0ES3_jN6thrust23THRUST_200600_302600_NS6detail15normal_iteratorINSA_10device_ptrIfEEEEPS6_PKS6_NS0_5tupleIJSF_S6_EEENSJ_IJSG_SG_EEENS0_18inequality_wrapperINSA_8equal_toIfEEEEPmJS6_EEE10hipError_tPvRmT3_T4_T5_T6_T7_T9_mT8_P12ihipStream_tbDpT10_ENKUlT_T0_E_clISt17integral_constantIbLb1EES1A_EEDaS15_S16_EUlS15_E_NS1_11comp_targetILNS1_3genE3ELNS1_11target_archE908ELNS1_3gpuE7ELNS1_3repE0EEENS1_30default_config_static_selectorELNS0_4arch9wavefront6targetE1EEEvT1_,"axG",@progbits,_ZN7rocprim17ROCPRIM_400000_NS6detail17trampoline_kernelINS0_14default_configENS1_25partition_config_selectorILNS1_17partition_subalgoE8EfNS0_10empty_typeEbEEZZNS1_14partition_implILS5_8ELb0ES3_jN6thrust23THRUST_200600_302600_NS6detail15normal_iteratorINSA_10device_ptrIfEEEEPS6_PKS6_NS0_5tupleIJSF_S6_EEENSJ_IJSG_SG_EEENS0_18inequality_wrapperINSA_8equal_toIfEEEEPmJS6_EEE10hipError_tPvRmT3_T4_T5_T6_T7_T9_mT8_P12ihipStream_tbDpT10_ENKUlT_T0_E_clISt17integral_constantIbLb1EES1A_EEDaS15_S16_EUlS15_E_NS1_11comp_targetILNS1_3genE3ELNS1_11target_archE908ELNS1_3gpuE7ELNS1_3repE0EEENS1_30default_config_static_selectorELNS0_4arch9wavefront6targetE1EEEvT1_,comdat
.Lfunc_end91:
	.size	_ZN7rocprim17ROCPRIM_400000_NS6detail17trampoline_kernelINS0_14default_configENS1_25partition_config_selectorILNS1_17partition_subalgoE8EfNS0_10empty_typeEbEEZZNS1_14partition_implILS5_8ELb0ES3_jN6thrust23THRUST_200600_302600_NS6detail15normal_iteratorINSA_10device_ptrIfEEEEPS6_PKS6_NS0_5tupleIJSF_S6_EEENSJ_IJSG_SG_EEENS0_18inequality_wrapperINSA_8equal_toIfEEEEPmJS6_EEE10hipError_tPvRmT3_T4_T5_T6_T7_T9_mT8_P12ihipStream_tbDpT10_ENKUlT_T0_E_clISt17integral_constantIbLb1EES1A_EEDaS15_S16_EUlS15_E_NS1_11comp_targetILNS1_3genE3ELNS1_11target_archE908ELNS1_3gpuE7ELNS1_3repE0EEENS1_30default_config_static_selectorELNS0_4arch9wavefront6targetE1EEEvT1_, .Lfunc_end91-_ZN7rocprim17ROCPRIM_400000_NS6detail17trampoline_kernelINS0_14default_configENS1_25partition_config_selectorILNS1_17partition_subalgoE8EfNS0_10empty_typeEbEEZZNS1_14partition_implILS5_8ELb0ES3_jN6thrust23THRUST_200600_302600_NS6detail15normal_iteratorINSA_10device_ptrIfEEEEPS6_PKS6_NS0_5tupleIJSF_S6_EEENSJ_IJSG_SG_EEENS0_18inequality_wrapperINSA_8equal_toIfEEEEPmJS6_EEE10hipError_tPvRmT3_T4_T5_T6_T7_T9_mT8_P12ihipStream_tbDpT10_ENKUlT_T0_E_clISt17integral_constantIbLb1EES1A_EEDaS15_S16_EUlS15_E_NS1_11comp_targetILNS1_3genE3ELNS1_11target_archE908ELNS1_3gpuE7ELNS1_3repE0EEENS1_30default_config_static_selectorELNS0_4arch9wavefront6targetE1EEEvT1_
                                        ; -- End function
	.set _ZN7rocprim17ROCPRIM_400000_NS6detail17trampoline_kernelINS0_14default_configENS1_25partition_config_selectorILNS1_17partition_subalgoE8EfNS0_10empty_typeEbEEZZNS1_14partition_implILS5_8ELb0ES3_jN6thrust23THRUST_200600_302600_NS6detail15normal_iteratorINSA_10device_ptrIfEEEEPS6_PKS6_NS0_5tupleIJSF_S6_EEENSJ_IJSG_SG_EEENS0_18inequality_wrapperINSA_8equal_toIfEEEEPmJS6_EEE10hipError_tPvRmT3_T4_T5_T6_T7_T9_mT8_P12ihipStream_tbDpT10_ENKUlT_T0_E_clISt17integral_constantIbLb1EES1A_EEDaS15_S16_EUlS15_E_NS1_11comp_targetILNS1_3genE3ELNS1_11target_archE908ELNS1_3gpuE7ELNS1_3repE0EEENS1_30default_config_static_selectorELNS0_4arch9wavefront6targetE1EEEvT1_.num_vgpr, 0
	.set _ZN7rocprim17ROCPRIM_400000_NS6detail17trampoline_kernelINS0_14default_configENS1_25partition_config_selectorILNS1_17partition_subalgoE8EfNS0_10empty_typeEbEEZZNS1_14partition_implILS5_8ELb0ES3_jN6thrust23THRUST_200600_302600_NS6detail15normal_iteratorINSA_10device_ptrIfEEEEPS6_PKS6_NS0_5tupleIJSF_S6_EEENSJ_IJSG_SG_EEENS0_18inequality_wrapperINSA_8equal_toIfEEEEPmJS6_EEE10hipError_tPvRmT3_T4_T5_T6_T7_T9_mT8_P12ihipStream_tbDpT10_ENKUlT_T0_E_clISt17integral_constantIbLb1EES1A_EEDaS15_S16_EUlS15_E_NS1_11comp_targetILNS1_3genE3ELNS1_11target_archE908ELNS1_3gpuE7ELNS1_3repE0EEENS1_30default_config_static_selectorELNS0_4arch9wavefront6targetE1EEEvT1_.num_agpr, 0
	.set _ZN7rocprim17ROCPRIM_400000_NS6detail17trampoline_kernelINS0_14default_configENS1_25partition_config_selectorILNS1_17partition_subalgoE8EfNS0_10empty_typeEbEEZZNS1_14partition_implILS5_8ELb0ES3_jN6thrust23THRUST_200600_302600_NS6detail15normal_iteratorINSA_10device_ptrIfEEEEPS6_PKS6_NS0_5tupleIJSF_S6_EEENSJ_IJSG_SG_EEENS0_18inequality_wrapperINSA_8equal_toIfEEEEPmJS6_EEE10hipError_tPvRmT3_T4_T5_T6_T7_T9_mT8_P12ihipStream_tbDpT10_ENKUlT_T0_E_clISt17integral_constantIbLb1EES1A_EEDaS15_S16_EUlS15_E_NS1_11comp_targetILNS1_3genE3ELNS1_11target_archE908ELNS1_3gpuE7ELNS1_3repE0EEENS1_30default_config_static_selectorELNS0_4arch9wavefront6targetE1EEEvT1_.numbered_sgpr, 0
	.set _ZN7rocprim17ROCPRIM_400000_NS6detail17trampoline_kernelINS0_14default_configENS1_25partition_config_selectorILNS1_17partition_subalgoE8EfNS0_10empty_typeEbEEZZNS1_14partition_implILS5_8ELb0ES3_jN6thrust23THRUST_200600_302600_NS6detail15normal_iteratorINSA_10device_ptrIfEEEEPS6_PKS6_NS0_5tupleIJSF_S6_EEENSJ_IJSG_SG_EEENS0_18inequality_wrapperINSA_8equal_toIfEEEEPmJS6_EEE10hipError_tPvRmT3_T4_T5_T6_T7_T9_mT8_P12ihipStream_tbDpT10_ENKUlT_T0_E_clISt17integral_constantIbLb1EES1A_EEDaS15_S16_EUlS15_E_NS1_11comp_targetILNS1_3genE3ELNS1_11target_archE908ELNS1_3gpuE7ELNS1_3repE0EEENS1_30default_config_static_selectorELNS0_4arch9wavefront6targetE1EEEvT1_.num_named_barrier, 0
	.set _ZN7rocprim17ROCPRIM_400000_NS6detail17trampoline_kernelINS0_14default_configENS1_25partition_config_selectorILNS1_17partition_subalgoE8EfNS0_10empty_typeEbEEZZNS1_14partition_implILS5_8ELb0ES3_jN6thrust23THRUST_200600_302600_NS6detail15normal_iteratorINSA_10device_ptrIfEEEEPS6_PKS6_NS0_5tupleIJSF_S6_EEENSJ_IJSG_SG_EEENS0_18inequality_wrapperINSA_8equal_toIfEEEEPmJS6_EEE10hipError_tPvRmT3_T4_T5_T6_T7_T9_mT8_P12ihipStream_tbDpT10_ENKUlT_T0_E_clISt17integral_constantIbLb1EES1A_EEDaS15_S16_EUlS15_E_NS1_11comp_targetILNS1_3genE3ELNS1_11target_archE908ELNS1_3gpuE7ELNS1_3repE0EEENS1_30default_config_static_selectorELNS0_4arch9wavefront6targetE1EEEvT1_.private_seg_size, 0
	.set _ZN7rocprim17ROCPRIM_400000_NS6detail17trampoline_kernelINS0_14default_configENS1_25partition_config_selectorILNS1_17partition_subalgoE8EfNS0_10empty_typeEbEEZZNS1_14partition_implILS5_8ELb0ES3_jN6thrust23THRUST_200600_302600_NS6detail15normal_iteratorINSA_10device_ptrIfEEEEPS6_PKS6_NS0_5tupleIJSF_S6_EEENSJ_IJSG_SG_EEENS0_18inequality_wrapperINSA_8equal_toIfEEEEPmJS6_EEE10hipError_tPvRmT3_T4_T5_T6_T7_T9_mT8_P12ihipStream_tbDpT10_ENKUlT_T0_E_clISt17integral_constantIbLb1EES1A_EEDaS15_S16_EUlS15_E_NS1_11comp_targetILNS1_3genE3ELNS1_11target_archE908ELNS1_3gpuE7ELNS1_3repE0EEENS1_30default_config_static_selectorELNS0_4arch9wavefront6targetE1EEEvT1_.uses_vcc, 0
	.set _ZN7rocprim17ROCPRIM_400000_NS6detail17trampoline_kernelINS0_14default_configENS1_25partition_config_selectorILNS1_17partition_subalgoE8EfNS0_10empty_typeEbEEZZNS1_14partition_implILS5_8ELb0ES3_jN6thrust23THRUST_200600_302600_NS6detail15normal_iteratorINSA_10device_ptrIfEEEEPS6_PKS6_NS0_5tupleIJSF_S6_EEENSJ_IJSG_SG_EEENS0_18inequality_wrapperINSA_8equal_toIfEEEEPmJS6_EEE10hipError_tPvRmT3_T4_T5_T6_T7_T9_mT8_P12ihipStream_tbDpT10_ENKUlT_T0_E_clISt17integral_constantIbLb1EES1A_EEDaS15_S16_EUlS15_E_NS1_11comp_targetILNS1_3genE3ELNS1_11target_archE908ELNS1_3gpuE7ELNS1_3repE0EEENS1_30default_config_static_selectorELNS0_4arch9wavefront6targetE1EEEvT1_.uses_flat_scratch, 0
	.set _ZN7rocprim17ROCPRIM_400000_NS6detail17trampoline_kernelINS0_14default_configENS1_25partition_config_selectorILNS1_17partition_subalgoE8EfNS0_10empty_typeEbEEZZNS1_14partition_implILS5_8ELb0ES3_jN6thrust23THRUST_200600_302600_NS6detail15normal_iteratorINSA_10device_ptrIfEEEEPS6_PKS6_NS0_5tupleIJSF_S6_EEENSJ_IJSG_SG_EEENS0_18inequality_wrapperINSA_8equal_toIfEEEEPmJS6_EEE10hipError_tPvRmT3_T4_T5_T6_T7_T9_mT8_P12ihipStream_tbDpT10_ENKUlT_T0_E_clISt17integral_constantIbLb1EES1A_EEDaS15_S16_EUlS15_E_NS1_11comp_targetILNS1_3genE3ELNS1_11target_archE908ELNS1_3gpuE7ELNS1_3repE0EEENS1_30default_config_static_selectorELNS0_4arch9wavefront6targetE1EEEvT1_.has_dyn_sized_stack, 0
	.set _ZN7rocprim17ROCPRIM_400000_NS6detail17trampoline_kernelINS0_14default_configENS1_25partition_config_selectorILNS1_17partition_subalgoE8EfNS0_10empty_typeEbEEZZNS1_14partition_implILS5_8ELb0ES3_jN6thrust23THRUST_200600_302600_NS6detail15normal_iteratorINSA_10device_ptrIfEEEEPS6_PKS6_NS0_5tupleIJSF_S6_EEENSJ_IJSG_SG_EEENS0_18inequality_wrapperINSA_8equal_toIfEEEEPmJS6_EEE10hipError_tPvRmT3_T4_T5_T6_T7_T9_mT8_P12ihipStream_tbDpT10_ENKUlT_T0_E_clISt17integral_constantIbLb1EES1A_EEDaS15_S16_EUlS15_E_NS1_11comp_targetILNS1_3genE3ELNS1_11target_archE908ELNS1_3gpuE7ELNS1_3repE0EEENS1_30default_config_static_selectorELNS0_4arch9wavefront6targetE1EEEvT1_.has_recursion, 0
	.set _ZN7rocprim17ROCPRIM_400000_NS6detail17trampoline_kernelINS0_14default_configENS1_25partition_config_selectorILNS1_17partition_subalgoE8EfNS0_10empty_typeEbEEZZNS1_14partition_implILS5_8ELb0ES3_jN6thrust23THRUST_200600_302600_NS6detail15normal_iteratorINSA_10device_ptrIfEEEEPS6_PKS6_NS0_5tupleIJSF_S6_EEENSJ_IJSG_SG_EEENS0_18inequality_wrapperINSA_8equal_toIfEEEEPmJS6_EEE10hipError_tPvRmT3_T4_T5_T6_T7_T9_mT8_P12ihipStream_tbDpT10_ENKUlT_T0_E_clISt17integral_constantIbLb1EES1A_EEDaS15_S16_EUlS15_E_NS1_11comp_targetILNS1_3genE3ELNS1_11target_archE908ELNS1_3gpuE7ELNS1_3repE0EEENS1_30default_config_static_selectorELNS0_4arch9wavefront6targetE1EEEvT1_.has_indirect_call, 0
	.section	.AMDGPU.csdata,"",@progbits
; Kernel info:
; codeLenInByte = 0
; TotalNumSgprs: 4
; NumVgprs: 0
; ScratchSize: 0
; MemoryBound: 0
; FloatMode: 240
; IeeeMode: 1
; LDSByteSize: 0 bytes/workgroup (compile time only)
; SGPRBlocks: 0
; VGPRBlocks: 0
; NumSGPRsForWavesPerEU: 4
; NumVGPRsForWavesPerEU: 1
; Occupancy: 10
; WaveLimiterHint : 0
; COMPUTE_PGM_RSRC2:SCRATCH_EN: 0
; COMPUTE_PGM_RSRC2:USER_SGPR: 6
; COMPUTE_PGM_RSRC2:TRAP_HANDLER: 0
; COMPUTE_PGM_RSRC2:TGID_X_EN: 1
; COMPUTE_PGM_RSRC2:TGID_Y_EN: 0
; COMPUTE_PGM_RSRC2:TGID_Z_EN: 0
; COMPUTE_PGM_RSRC2:TIDIG_COMP_CNT: 0
	.section	.text._ZN7rocprim17ROCPRIM_400000_NS6detail17trampoline_kernelINS0_14default_configENS1_25partition_config_selectorILNS1_17partition_subalgoE8EfNS0_10empty_typeEbEEZZNS1_14partition_implILS5_8ELb0ES3_jN6thrust23THRUST_200600_302600_NS6detail15normal_iteratorINSA_10device_ptrIfEEEEPS6_PKS6_NS0_5tupleIJSF_S6_EEENSJ_IJSG_SG_EEENS0_18inequality_wrapperINSA_8equal_toIfEEEEPmJS6_EEE10hipError_tPvRmT3_T4_T5_T6_T7_T9_mT8_P12ihipStream_tbDpT10_ENKUlT_T0_E_clISt17integral_constantIbLb1EES1A_EEDaS15_S16_EUlS15_E_NS1_11comp_targetILNS1_3genE2ELNS1_11target_archE906ELNS1_3gpuE6ELNS1_3repE0EEENS1_30default_config_static_selectorELNS0_4arch9wavefront6targetE1EEEvT1_,"axG",@progbits,_ZN7rocprim17ROCPRIM_400000_NS6detail17trampoline_kernelINS0_14default_configENS1_25partition_config_selectorILNS1_17partition_subalgoE8EfNS0_10empty_typeEbEEZZNS1_14partition_implILS5_8ELb0ES3_jN6thrust23THRUST_200600_302600_NS6detail15normal_iteratorINSA_10device_ptrIfEEEEPS6_PKS6_NS0_5tupleIJSF_S6_EEENSJ_IJSG_SG_EEENS0_18inequality_wrapperINSA_8equal_toIfEEEEPmJS6_EEE10hipError_tPvRmT3_T4_T5_T6_T7_T9_mT8_P12ihipStream_tbDpT10_ENKUlT_T0_E_clISt17integral_constantIbLb1EES1A_EEDaS15_S16_EUlS15_E_NS1_11comp_targetILNS1_3genE2ELNS1_11target_archE906ELNS1_3gpuE6ELNS1_3repE0EEENS1_30default_config_static_selectorELNS0_4arch9wavefront6targetE1EEEvT1_,comdat
	.protected	_ZN7rocprim17ROCPRIM_400000_NS6detail17trampoline_kernelINS0_14default_configENS1_25partition_config_selectorILNS1_17partition_subalgoE8EfNS0_10empty_typeEbEEZZNS1_14partition_implILS5_8ELb0ES3_jN6thrust23THRUST_200600_302600_NS6detail15normal_iteratorINSA_10device_ptrIfEEEEPS6_PKS6_NS0_5tupleIJSF_S6_EEENSJ_IJSG_SG_EEENS0_18inequality_wrapperINSA_8equal_toIfEEEEPmJS6_EEE10hipError_tPvRmT3_T4_T5_T6_T7_T9_mT8_P12ihipStream_tbDpT10_ENKUlT_T0_E_clISt17integral_constantIbLb1EES1A_EEDaS15_S16_EUlS15_E_NS1_11comp_targetILNS1_3genE2ELNS1_11target_archE906ELNS1_3gpuE6ELNS1_3repE0EEENS1_30default_config_static_selectorELNS0_4arch9wavefront6targetE1EEEvT1_ ; -- Begin function _ZN7rocprim17ROCPRIM_400000_NS6detail17trampoline_kernelINS0_14default_configENS1_25partition_config_selectorILNS1_17partition_subalgoE8EfNS0_10empty_typeEbEEZZNS1_14partition_implILS5_8ELb0ES3_jN6thrust23THRUST_200600_302600_NS6detail15normal_iteratorINSA_10device_ptrIfEEEEPS6_PKS6_NS0_5tupleIJSF_S6_EEENSJ_IJSG_SG_EEENS0_18inequality_wrapperINSA_8equal_toIfEEEEPmJS6_EEE10hipError_tPvRmT3_T4_T5_T6_T7_T9_mT8_P12ihipStream_tbDpT10_ENKUlT_T0_E_clISt17integral_constantIbLb1EES1A_EEDaS15_S16_EUlS15_E_NS1_11comp_targetILNS1_3genE2ELNS1_11target_archE906ELNS1_3gpuE6ELNS1_3repE0EEENS1_30default_config_static_selectorELNS0_4arch9wavefront6targetE1EEEvT1_
	.globl	_ZN7rocprim17ROCPRIM_400000_NS6detail17trampoline_kernelINS0_14default_configENS1_25partition_config_selectorILNS1_17partition_subalgoE8EfNS0_10empty_typeEbEEZZNS1_14partition_implILS5_8ELb0ES3_jN6thrust23THRUST_200600_302600_NS6detail15normal_iteratorINSA_10device_ptrIfEEEEPS6_PKS6_NS0_5tupleIJSF_S6_EEENSJ_IJSG_SG_EEENS0_18inequality_wrapperINSA_8equal_toIfEEEEPmJS6_EEE10hipError_tPvRmT3_T4_T5_T6_T7_T9_mT8_P12ihipStream_tbDpT10_ENKUlT_T0_E_clISt17integral_constantIbLb1EES1A_EEDaS15_S16_EUlS15_E_NS1_11comp_targetILNS1_3genE2ELNS1_11target_archE906ELNS1_3gpuE6ELNS1_3repE0EEENS1_30default_config_static_selectorELNS0_4arch9wavefront6targetE1EEEvT1_
	.p2align	8
	.type	_ZN7rocprim17ROCPRIM_400000_NS6detail17trampoline_kernelINS0_14default_configENS1_25partition_config_selectorILNS1_17partition_subalgoE8EfNS0_10empty_typeEbEEZZNS1_14partition_implILS5_8ELb0ES3_jN6thrust23THRUST_200600_302600_NS6detail15normal_iteratorINSA_10device_ptrIfEEEEPS6_PKS6_NS0_5tupleIJSF_S6_EEENSJ_IJSG_SG_EEENS0_18inequality_wrapperINSA_8equal_toIfEEEEPmJS6_EEE10hipError_tPvRmT3_T4_T5_T6_T7_T9_mT8_P12ihipStream_tbDpT10_ENKUlT_T0_E_clISt17integral_constantIbLb1EES1A_EEDaS15_S16_EUlS15_E_NS1_11comp_targetILNS1_3genE2ELNS1_11target_archE906ELNS1_3gpuE6ELNS1_3repE0EEENS1_30default_config_static_selectorELNS0_4arch9wavefront6targetE1EEEvT1_,@function
_ZN7rocprim17ROCPRIM_400000_NS6detail17trampoline_kernelINS0_14default_configENS1_25partition_config_selectorILNS1_17partition_subalgoE8EfNS0_10empty_typeEbEEZZNS1_14partition_implILS5_8ELb0ES3_jN6thrust23THRUST_200600_302600_NS6detail15normal_iteratorINSA_10device_ptrIfEEEEPS6_PKS6_NS0_5tupleIJSF_S6_EEENSJ_IJSG_SG_EEENS0_18inequality_wrapperINSA_8equal_toIfEEEEPmJS6_EEE10hipError_tPvRmT3_T4_T5_T6_T7_T9_mT8_P12ihipStream_tbDpT10_ENKUlT_T0_E_clISt17integral_constantIbLb1EES1A_EEDaS15_S16_EUlS15_E_NS1_11comp_targetILNS1_3genE2ELNS1_11target_archE906ELNS1_3gpuE6ELNS1_3repE0EEENS1_30default_config_static_selectorELNS0_4arch9wavefront6targetE1EEEvT1_: ; @_ZN7rocprim17ROCPRIM_400000_NS6detail17trampoline_kernelINS0_14default_configENS1_25partition_config_selectorILNS1_17partition_subalgoE8EfNS0_10empty_typeEbEEZZNS1_14partition_implILS5_8ELb0ES3_jN6thrust23THRUST_200600_302600_NS6detail15normal_iteratorINSA_10device_ptrIfEEEEPS6_PKS6_NS0_5tupleIJSF_S6_EEENSJ_IJSG_SG_EEENS0_18inequality_wrapperINSA_8equal_toIfEEEEPmJS6_EEE10hipError_tPvRmT3_T4_T5_T6_T7_T9_mT8_P12ihipStream_tbDpT10_ENKUlT_T0_E_clISt17integral_constantIbLb1EES1A_EEDaS15_S16_EUlS15_E_NS1_11comp_targetILNS1_3genE2ELNS1_11target_archE906ELNS1_3gpuE6ELNS1_3repE0EEENS1_30default_config_static_selectorELNS0_4arch9wavefront6targetE1EEEvT1_
; %bb.0:
	s_endpgm
	.section	.rodata,"a",@progbits
	.p2align	6, 0x0
	.amdhsa_kernel _ZN7rocprim17ROCPRIM_400000_NS6detail17trampoline_kernelINS0_14default_configENS1_25partition_config_selectorILNS1_17partition_subalgoE8EfNS0_10empty_typeEbEEZZNS1_14partition_implILS5_8ELb0ES3_jN6thrust23THRUST_200600_302600_NS6detail15normal_iteratorINSA_10device_ptrIfEEEEPS6_PKS6_NS0_5tupleIJSF_S6_EEENSJ_IJSG_SG_EEENS0_18inequality_wrapperINSA_8equal_toIfEEEEPmJS6_EEE10hipError_tPvRmT3_T4_T5_T6_T7_T9_mT8_P12ihipStream_tbDpT10_ENKUlT_T0_E_clISt17integral_constantIbLb1EES1A_EEDaS15_S16_EUlS15_E_NS1_11comp_targetILNS1_3genE2ELNS1_11target_archE906ELNS1_3gpuE6ELNS1_3repE0EEENS1_30default_config_static_selectorELNS0_4arch9wavefront6targetE1EEEvT1_
		.amdhsa_group_segment_fixed_size 0
		.amdhsa_private_segment_fixed_size 0
		.amdhsa_kernarg_size 128
		.amdhsa_user_sgpr_count 6
		.amdhsa_user_sgpr_private_segment_buffer 1
		.amdhsa_user_sgpr_dispatch_ptr 0
		.amdhsa_user_sgpr_queue_ptr 0
		.amdhsa_user_sgpr_kernarg_segment_ptr 1
		.amdhsa_user_sgpr_dispatch_id 0
		.amdhsa_user_sgpr_flat_scratch_init 0
		.amdhsa_user_sgpr_private_segment_size 0
		.amdhsa_uses_dynamic_stack 0
		.amdhsa_system_sgpr_private_segment_wavefront_offset 0
		.amdhsa_system_sgpr_workgroup_id_x 1
		.amdhsa_system_sgpr_workgroup_id_y 0
		.amdhsa_system_sgpr_workgroup_id_z 0
		.amdhsa_system_sgpr_workgroup_info 0
		.amdhsa_system_vgpr_workitem_id 0
		.amdhsa_next_free_vgpr 1
		.amdhsa_next_free_sgpr 0
		.amdhsa_reserve_vcc 0
		.amdhsa_reserve_flat_scratch 0
		.amdhsa_float_round_mode_32 0
		.amdhsa_float_round_mode_16_64 0
		.amdhsa_float_denorm_mode_32 3
		.amdhsa_float_denorm_mode_16_64 3
		.amdhsa_dx10_clamp 1
		.amdhsa_ieee_mode 1
		.amdhsa_fp16_overflow 0
		.amdhsa_exception_fp_ieee_invalid_op 0
		.amdhsa_exception_fp_denorm_src 0
		.amdhsa_exception_fp_ieee_div_zero 0
		.amdhsa_exception_fp_ieee_overflow 0
		.amdhsa_exception_fp_ieee_underflow 0
		.amdhsa_exception_fp_ieee_inexact 0
		.amdhsa_exception_int_div_zero 0
	.end_amdhsa_kernel
	.section	.text._ZN7rocprim17ROCPRIM_400000_NS6detail17trampoline_kernelINS0_14default_configENS1_25partition_config_selectorILNS1_17partition_subalgoE8EfNS0_10empty_typeEbEEZZNS1_14partition_implILS5_8ELb0ES3_jN6thrust23THRUST_200600_302600_NS6detail15normal_iteratorINSA_10device_ptrIfEEEEPS6_PKS6_NS0_5tupleIJSF_S6_EEENSJ_IJSG_SG_EEENS0_18inequality_wrapperINSA_8equal_toIfEEEEPmJS6_EEE10hipError_tPvRmT3_T4_T5_T6_T7_T9_mT8_P12ihipStream_tbDpT10_ENKUlT_T0_E_clISt17integral_constantIbLb1EES1A_EEDaS15_S16_EUlS15_E_NS1_11comp_targetILNS1_3genE2ELNS1_11target_archE906ELNS1_3gpuE6ELNS1_3repE0EEENS1_30default_config_static_selectorELNS0_4arch9wavefront6targetE1EEEvT1_,"axG",@progbits,_ZN7rocprim17ROCPRIM_400000_NS6detail17trampoline_kernelINS0_14default_configENS1_25partition_config_selectorILNS1_17partition_subalgoE8EfNS0_10empty_typeEbEEZZNS1_14partition_implILS5_8ELb0ES3_jN6thrust23THRUST_200600_302600_NS6detail15normal_iteratorINSA_10device_ptrIfEEEEPS6_PKS6_NS0_5tupleIJSF_S6_EEENSJ_IJSG_SG_EEENS0_18inequality_wrapperINSA_8equal_toIfEEEEPmJS6_EEE10hipError_tPvRmT3_T4_T5_T6_T7_T9_mT8_P12ihipStream_tbDpT10_ENKUlT_T0_E_clISt17integral_constantIbLb1EES1A_EEDaS15_S16_EUlS15_E_NS1_11comp_targetILNS1_3genE2ELNS1_11target_archE906ELNS1_3gpuE6ELNS1_3repE0EEENS1_30default_config_static_selectorELNS0_4arch9wavefront6targetE1EEEvT1_,comdat
.Lfunc_end92:
	.size	_ZN7rocprim17ROCPRIM_400000_NS6detail17trampoline_kernelINS0_14default_configENS1_25partition_config_selectorILNS1_17partition_subalgoE8EfNS0_10empty_typeEbEEZZNS1_14partition_implILS5_8ELb0ES3_jN6thrust23THRUST_200600_302600_NS6detail15normal_iteratorINSA_10device_ptrIfEEEEPS6_PKS6_NS0_5tupleIJSF_S6_EEENSJ_IJSG_SG_EEENS0_18inequality_wrapperINSA_8equal_toIfEEEEPmJS6_EEE10hipError_tPvRmT3_T4_T5_T6_T7_T9_mT8_P12ihipStream_tbDpT10_ENKUlT_T0_E_clISt17integral_constantIbLb1EES1A_EEDaS15_S16_EUlS15_E_NS1_11comp_targetILNS1_3genE2ELNS1_11target_archE906ELNS1_3gpuE6ELNS1_3repE0EEENS1_30default_config_static_selectorELNS0_4arch9wavefront6targetE1EEEvT1_, .Lfunc_end92-_ZN7rocprim17ROCPRIM_400000_NS6detail17trampoline_kernelINS0_14default_configENS1_25partition_config_selectorILNS1_17partition_subalgoE8EfNS0_10empty_typeEbEEZZNS1_14partition_implILS5_8ELb0ES3_jN6thrust23THRUST_200600_302600_NS6detail15normal_iteratorINSA_10device_ptrIfEEEEPS6_PKS6_NS0_5tupleIJSF_S6_EEENSJ_IJSG_SG_EEENS0_18inequality_wrapperINSA_8equal_toIfEEEEPmJS6_EEE10hipError_tPvRmT3_T4_T5_T6_T7_T9_mT8_P12ihipStream_tbDpT10_ENKUlT_T0_E_clISt17integral_constantIbLb1EES1A_EEDaS15_S16_EUlS15_E_NS1_11comp_targetILNS1_3genE2ELNS1_11target_archE906ELNS1_3gpuE6ELNS1_3repE0EEENS1_30default_config_static_selectorELNS0_4arch9wavefront6targetE1EEEvT1_
                                        ; -- End function
	.set _ZN7rocprim17ROCPRIM_400000_NS6detail17trampoline_kernelINS0_14default_configENS1_25partition_config_selectorILNS1_17partition_subalgoE8EfNS0_10empty_typeEbEEZZNS1_14partition_implILS5_8ELb0ES3_jN6thrust23THRUST_200600_302600_NS6detail15normal_iteratorINSA_10device_ptrIfEEEEPS6_PKS6_NS0_5tupleIJSF_S6_EEENSJ_IJSG_SG_EEENS0_18inequality_wrapperINSA_8equal_toIfEEEEPmJS6_EEE10hipError_tPvRmT3_T4_T5_T6_T7_T9_mT8_P12ihipStream_tbDpT10_ENKUlT_T0_E_clISt17integral_constantIbLb1EES1A_EEDaS15_S16_EUlS15_E_NS1_11comp_targetILNS1_3genE2ELNS1_11target_archE906ELNS1_3gpuE6ELNS1_3repE0EEENS1_30default_config_static_selectorELNS0_4arch9wavefront6targetE1EEEvT1_.num_vgpr, 0
	.set _ZN7rocprim17ROCPRIM_400000_NS6detail17trampoline_kernelINS0_14default_configENS1_25partition_config_selectorILNS1_17partition_subalgoE8EfNS0_10empty_typeEbEEZZNS1_14partition_implILS5_8ELb0ES3_jN6thrust23THRUST_200600_302600_NS6detail15normal_iteratorINSA_10device_ptrIfEEEEPS6_PKS6_NS0_5tupleIJSF_S6_EEENSJ_IJSG_SG_EEENS0_18inequality_wrapperINSA_8equal_toIfEEEEPmJS6_EEE10hipError_tPvRmT3_T4_T5_T6_T7_T9_mT8_P12ihipStream_tbDpT10_ENKUlT_T0_E_clISt17integral_constantIbLb1EES1A_EEDaS15_S16_EUlS15_E_NS1_11comp_targetILNS1_3genE2ELNS1_11target_archE906ELNS1_3gpuE6ELNS1_3repE0EEENS1_30default_config_static_selectorELNS0_4arch9wavefront6targetE1EEEvT1_.num_agpr, 0
	.set _ZN7rocprim17ROCPRIM_400000_NS6detail17trampoline_kernelINS0_14default_configENS1_25partition_config_selectorILNS1_17partition_subalgoE8EfNS0_10empty_typeEbEEZZNS1_14partition_implILS5_8ELb0ES3_jN6thrust23THRUST_200600_302600_NS6detail15normal_iteratorINSA_10device_ptrIfEEEEPS6_PKS6_NS0_5tupleIJSF_S6_EEENSJ_IJSG_SG_EEENS0_18inequality_wrapperINSA_8equal_toIfEEEEPmJS6_EEE10hipError_tPvRmT3_T4_T5_T6_T7_T9_mT8_P12ihipStream_tbDpT10_ENKUlT_T0_E_clISt17integral_constantIbLb1EES1A_EEDaS15_S16_EUlS15_E_NS1_11comp_targetILNS1_3genE2ELNS1_11target_archE906ELNS1_3gpuE6ELNS1_3repE0EEENS1_30default_config_static_selectorELNS0_4arch9wavefront6targetE1EEEvT1_.numbered_sgpr, 0
	.set _ZN7rocprim17ROCPRIM_400000_NS6detail17trampoline_kernelINS0_14default_configENS1_25partition_config_selectorILNS1_17partition_subalgoE8EfNS0_10empty_typeEbEEZZNS1_14partition_implILS5_8ELb0ES3_jN6thrust23THRUST_200600_302600_NS6detail15normal_iteratorINSA_10device_ptrIfEEEEPS6_PKS6_NS0_5tupleIJSF_S6_EEENSJ_IJSG_SG_EEENS0_18inequality_wrapperINSA_8equal_toIfEEEEPmJS6_EEE10hipError_tPvRmT3_T4_T5_T6_T7_T9_mT8_P12ihipStream_tbDpT10_ENKUlT_T0_E_clISt17integral_constantIbLb1EES1A_EEDaS15_S16_EUlS15_E_NS1_11comp_targetILNS1_3genE2ELNS1_11target_archE906ELNS1_3gpuE6ELNS1_3repE0EEENS1_30default_config_static_selectorELNS0_4arch9wavefront6targetE1EEEvT1_.num_named_barrier, 0
	.set _ZN7rocprim17ROCPRIM_400000_NS6detail17trampoline_kernelINS0_14default_configENS1_25partition_config_selectorILNS1_17partition_subalgoE8EfNS0_10empty_typeEbEEZZNS1_14partition_implILS5_8ELb0ES3_jN6thrust23THRUST_200600_302600_NS6detail15normal_iteratorINSA_10device_ptrIfEEEEPS6_PKS6_NS0_5tupleIJSF_S6_EEENSJ_IJSG_SG_EEENS0_18inequality_wrapperINSA_8equal_toIfEEEEPmJS6_EEE10hipError_tPvRmT3_T4_T5_T6_T7_T9_mT8_P12ihipStream_tbDpT10_ENKUlT_T0_E_clISt17integral_constantIbLb1EES1A_EEDaS15_S16_EUlS15_E_NS1_11comp_targetILNS1_3genE2ELNS1_11target_archE906ELNS1_3gpuE6ELNS1_3repE0EEENS1_30default_config_static_selectorELNS0_4arch9wavefront6targetE1EEEvT1_.private_seg_size, 0
	.set _ZN7rocprim17ROCPRIM_400000_NS6detail17trampoline_kernelINS0_14default_configENS1_25partition_config_selectorILNS1_17partition_subalgoE8EfNS0_10empty_typeEbEEZZNS1_14partition_implILS5_8ELb0ES3_jN6thrust23THRUST_200600_302600_NS6detail15normal_iteratorINSA_10device_ptrIfEEEEPS6_PKS6_NS0_5tupleIJSF_S6_EEENSJ_IJSG_SG_EEENS0_18inequality_wrapperINSA_8equal_toIfEEEEPmJS6_EEE10hipError_tPvRmT3_T4_T5_T6_T7_T9_mT8_P12ihipStream_tbDpT10_ENKUlT_T0_E_clISt17integral_constantIbLb1EES1A_EEDaS15_S16_EUlS15_E_NS1_11comp_targetILNS1_3genE2ELNS1_11target_archE906ELNS1_3gpuE6ELNS1_3repE0EEENS1_30default_config_static_selectorELNS0_4arch9wavefront6targetE1EEEvT1_.uses_vcc, 0
	.set _ZN7rocprim17ROCPRIM_400000_NS6detail17trampoline_kernelINS0_14default_configENS1_25partition_config_selectorILNS1_17partition_subalgoE8EfNS0_10empty_typeEbEEZZNS1_14partition_implILS5_8ELb0ES3_jN6thrust23THRUST_200600_302600_NS6detail15normal_iteratorINSA_10device_ptrIfEEEEPS6_PKS6_NS0_5tupleIJSF_S6_EEENSJ_IJSG_SG_EEENS0_18inequality_wrapperINSA_8equal_toIfEEEEPmJS6_EEE10hipError_tPvRmT3_T4_T5_T6_T7_T9_mT8_P12ihipStream_tbDpT10_ENKUlT_T0_E_clISt17integral_constantIbLb1EES1A_EEDaS15_S16_EUlS15_E_NS1_11comp_targetILNS1_3genE2ELNS1_11target_archE906ELNS1_3gpuE6ELNS1_3repE0EEENS1_30default_config_static_selectorELNS0_4arch9wavefront6targetE1EEEvT1_.uses_flat_scratch, 0
	.set _ZN7rocprim17ROCPRIM_400000_NS6detail17trampoline_kernelINS0_14default_configENS1_25partition_config_selectorILNS1_17partition_subalgoE8EfNS0_10empty_typeEbEEZZNS1_14partition_implILS5_8ELb0ES3_jN6thrust23THRUST_200600_302600_NS6detail15normal_iteratorINSA_10device_ptrIfEEEEPS6_PKS6_NS0_5tupleIJSF_S6_EEENSJ_IJSG_SG_EEENS0_18inequality_wrapperINSA_8equal_toIfEEEEPmJS6_EEE10hipError_tPvRmT3_T4_T5_T6_T7_T9_mT8_P12ihipStream_tbDpT10_ENKUlT_T0_E_clISt17integral_constantIbLb1EES1A_EEDaS15_S16_EUlS15_E_NS1_11comp_targetILNS1_3genE2ELNS1_11target_archE906ELNS1_3gpuE6ELNS1_3repE0EEENS1_30default_config_static_selectorELNS0_4arch9wavefront6targetE1EEEvT1_.has_dyn_sized_stack, 0
	.set _ZN7rocprim17ROCPRIM_400000_NS6detail17trampoline_kernelINS0_14default_configENS1_25partition_config_selectorILNS1_17partition_subalgoE8EfNS0_10empty_typeEbEEZZNS1_14partition_implILS5_8ELb0ES3_jN6thrust23THRUST_200600_302600_NS6detail15normal_iteratorINSA_10device_ptrIfEEEEPS6_PKS6_NS0_5tupleIJSF_S6_EEENSJ_IJSG_SG_EEENS0_18inequality_wrapperINSA_8equal_toIfEEEEPmJS6_EEE10hipError_tPvRmT3_T4_T5_T6_T7_T9_mT8_P12ihipStream_tbDpT10_ENKUlT_T0_E_clISt17integral_constantIbLb1EES1A_EEDaS15_S16_EUlS15_E_NS1_11comp_targetILNS1_3genE2ELNS1_11target_archE906ELNS1_3gpuE6ELNS1_3repE0EEENS1_30default_config_static_selectorELNS0_4arch9wavefront6targetE1EEEvT1_.has_recursion, 0
	.set _ZN7rocprim17ROCPRIM_400000_NS6detail17trampoline_kernelINS0_14default_configENS1_25partition_config_selectorILNS1_17partition_subalgoE8EfNS0_10empty_typeEbEEZZNS1_14partition_implILS5_8ELb0ES3_jN6thrust23THRUST_200600_302600_NS6detail15normal_iteratorINSA_10device_ptrIfEEEEPS6_PKS6_NS0_5tupleIJSF_S6_EEENSJ_IJSG_SG_EEENS0_18inequality_wrapperINSA_8equal_toIfEEEEPmJS6_EEE10hipError_tPvRmT3_T4_T5_T6_T7_T9_mT8_P12ihipStream_tbDpT10_ENKUlT_T0_E_clISt17integral_constantIbLb1EES1A_EEDaS15_S16_EUlS15_E_NS1_11comp_targetILNS1_3genE2ELNS1_11target_archE906ELNS1_3gpuE6ELNS1_3repE0EEENS1_30default_config_static_selectorELNS0_4arch9wavefront6targetE1EEEvT1_.has_indirect_call, 0
	.section	.AMDGPU.csdata,"",@progbits
; Kernel info:
; codeLenInByte = 4
; TotalNumSgprs: 4
; NumVgprs: 0
; ScratchSize: 0
; MemoryBound: 0
; FloatMode: 240
; IeeeMode: 1
; LDSByteSize: 0 bytes/workgroup (compile time only)
; SGPRBlocks: 0
; VGPRBlocks: 0
; NumSGPRsForWavesPerEU: 4
; NumVGPRsForWavesPerEU: 1
; Occupancy: 10
; WaveLimiterHint : 0
; COMPUTE_PGM_RSRC2:SCRATCH_EN: 0
; COMPUTE_PGM_RSRC2:USER_SGPR: 6
; COMPUTE_PGM_RSRC2:TRAP_HANDLER: 0
; COMPUTE_PGM_RSRC2:TGID_X_EN: 1
; COMPUTE_PGM_RSRC2:TGID_Y_EN: 0
; COMPUTE_PGM_RSRC2:TGID_Z_EN: 0
; COMPUTE_PGM_RSRC2:TIDIG_COMP_CNT: 0
	.section	.text._ZN7rocprim17ROCPRIM_400000_NS6detail17trampoline_kernelINS0_14default_configENS1_25partition_config_selectorILNS1_17partition_subalgoE8EfNS0_10empty_typeEbEEZZNS1_14partition_implILS5_8ELb0ES3_jN6thrust23THRUST_200600_302600_NS6detail15normal_iteratorINSA_10device_ptrIfEEEEPS6_PKS6_NS0_5tupleIJSF_S6_EEENSJ_IJSG_SG_EEENS0_18inequality_wrapperINSA_8equal_toIfEEEEPmJS6_EEE10hipError_tPvRmT3_T4_T5_T6_T7_T9_mT8_P12ihipStream_tbDpT10_ENKUlT_T0_E_clISt17integral_constantIbLb1EES1A_EEDaS15_S16_EUlS15_E_NS1_11comp_targetILNS1_3genE10ELNS1_11target_archE1200ELNS1_3gpuE4ELNS1_3repE0EEENS1_30default_config_static_selectorELNS0_4arch9wavefront6targetE1EEEvT1_,"axG",@progbits,_ZN7rocprim17ROCPRIM_400000_NS6detail17trampoline_kernelINS0_14default_configENS1_25partition_config_selectorILNS1_17partition_subalgoE8EfNS0_10empty_typeEbEEZZNS1_14partition_implILS5_8ELb0ES3_jN6thrust23THRUST_200600_302600_NS6detail15normal_iteratorINSA_10device_ptrIfEEEEPS6_PKS6_NS0_5tupleIJSF_S6_EEENSJ_IJSG_SG_EEENS0_18inequality_wrapperINSA_8equal_toIfEEEEPmJS6_EEE10hipError_tPvRmT3_T4_T5_T6_T7_T9_mT8_P12ihipStream_tbDpT10_ENKUlT_T0_E_clISt17integral_constantIbLb1EES1A_EEDaS15_S16_EUlS15_E_NS1_11comp_targetILNS1_3genE10ELNS1_11target_archE1200ELNS1_3gpuE4ELNS1_3repE0EEENS1_30default_config_static_selectorELNS0_4arch9wavefront6targetE1EEEvT1_,comdat
	.protected	_ZN7rocprim17ROCPRIM_400000_NS6detail17trampoline_kernelINS0_14default_configENS1_25partition_config_selectorILNS1_17partition_subalgoE8EfNS0_10empty_typeEbEEZZNS1_14partition_implILS5_8ELb0ES3_jN6thrust23THRUST_200600_302600_NS6detail15normal_iteratorINSA_10device_ptrIfEEEEPS6_PKS6_NS0_5tupleIJSF_S6_EEENSJ_IJSG_SG_EEENS0_18inequality_wrapperINSA_8equal_toIfEEEEPmJS6_EEE10hipError_tPvRmT3_T4_T5_T6_T7_T9_mT8_P12ihipStream_tbDpT10_ENKUlT_T0_E_clISt17integral_constantIbLb1EES1A_EEDaS15_S16_EUlS15_E_NS1_11comp_targetILNS1_3genE10ELNS1_11target_archE1200ELNS1_3gpuE4ELNS1_3repE0EEENS1_30default_config_static_selectorELNS0_4arch9wavefront6targetE1EEEvT1_ ; -- Begin function _ZN7rocprim17ROCPRIM_400000_NS6detail17trampoline_kernelINS0_14default_configENS1_25partition_config_selectorILNS1_17partition_subalgoE8EfNS0_10empty_typeEbEEZZNS1_14partition_implILS5_8ELb0ES3_jN6thrust23THRUST_200600_302600_NS6detail15normal_iteratorINSA_10device_ptrIfEEEEPS6_PKS6_NS0_5tupleIJSF_S6_EEENSJ_IJSG_SG_EEENS0_18inequality_wrapperINSA_8equal_toIfEEEEPmJS6_EEE10hipError_tPvRmT3_T4_T5_T6_T7_T9_mT8_P12ihipStream_tbDpT10_ENKUlT_T0_E_clISt17integral_constantIbLb1EES1A_EEDaS15_S16_EUlS15_E_NS1_11comp_targetILNS1_3genE10ELNS1_11target_archE1200ELNS1_3gpuE4ELNS1_3repE0EEENS1_30default_config_static_selectorELNS0_4arch9wavefront6targetE1EEEvT1_
	.globl	_ZN7rocprim17ROCPRIM_400000_NS6detail17trampoline_kernelINS0_14default_configENS1_25partition_config_selectorILNS1_17partition_subalgoE8EfNS0_10empty_typeEbEEZZNS1_14partition_implILS5_8ELb0ES3_jN6thrust23THRUST_200600_302600_NS6detail15normal_iteratorINSA_10device_ptrIfEEEEPS6_PKS6_NS0_5tupleIJSF_S6_EEENSJ_IJSG_SG_EEENS0_18inequality_wrapperINSA_8equal_toIfEEEEPmJS6_EEE10hipError_tPvRmT3_T4_T5_T6_T7_T9_mT8_P12ihipStream_tbDpT10_ENKUlT_T0_E_clISt17integral_constantIbLb1EES1A_EEDaS15_S16_EUlS15_E_NS1_11comp_targetILNS1_3genE10ELNS1_11target_archE1200ELNS1_3gpuE4ELNS1_3repE0EEENS1_30default_config_static_selectorELNS0_4arch9wavefront6targetE1EEEvT1_
	.p2align	8
	.type	_ZN7rocprim17ROCPRIM_400000_NS6detail17trampoline_kernelINS0_14default_configENS1_25partition_config_selectorILNS1_17partition_subalgoE8EfNS0_10empty_typeEbEEZZNS1_14partition_implILS5_8ELb0ES3_jN6thrust23THRUST_200600_302600_NS6detail15normal_iteratorINSA_10device_ptrIfEEEEPS6_PKS6_NS0_5tupleIJSF_S6_EEENSJ_IJSG_SG_EEENS0_18inequality_wrapperINSA_8equal_toIfEEEEPmJS6_EEE10hipError_tPvRmT3_T4_T5_T6_T7_T9_mT8_P12ihipStream_tbDpT10_ENKUlT_T0_E_clISt17integral_constantIbLb1EES1A_EEDaS15_S16_EUlS15_E_NS1_11comp_targetILNS1_3genE10ELNS1_11target_archE1200ELNS1_3gpuE4ELNS1_3repE0EEENS1_30default_config_static_selectorELNS0_4arch9wavefront6targetE1EEEvT1_,@function
_ZN7rocprim17ROCPRIM_400000_NS6detail17trampoline_kernelINS0_14default_configENS1_25partition_config_selectorILNS1_17partition_subalgoE8EfNS0_10empty_typeEbEEZZNS1_14partition_implILS5_8ELb0ES3_jN6thrust23THRUST_200600_302600_NS6detail15normal_iteratorINSA_10device_ptrIfEEEEPS6_PKS6_NS0_5tupleIJSF_S6_EEENSJ_IJSG_SG_EEENS0_18inequality_wrapperINSA_8equal_toIfEEEEPmJS6_EEE10hipError_tPvRmT3_T4_T5_T6_T7_T9_mT8_P12ihipStream_tbDpT10_ENKUlT_T0_E_clISt17integral_constantIbLb1EES1A_EEDaS15_S16_EUlS15_E_NS1_11comp_targetILNS1_3genE10ELNS1_11target_archE1200ELNS1_3gpuE4ELNS1_3repE0EEENS1_30default_config_static_selectorELNS0_4arch9wavefront6targetE1EEEvT1_: ; @_ZN7rocprim17ROCPRIM_400000_NS6detail17trampoline_kernelINS0_14default_configENS1_25partition_config_selectorILNS1_17partition_subalgoE8EfNS0_10empty_typeEbEEZZNS1_14partition_implILS5_8ELb0ES3_jN6thrust23THRUST_200600_302600_NS6detail15normal_iteratorINSA_10device_ptrIfEEEEPS6_PKS6_NS0_5tupleIJSF_S6_EEENSJ_IJSG_SG_EEENS0_18inequality_wrapperINSA_8equal_toIfEEEEPmJS6_EEE10hipError_tPvRmT3_T4_T5_T6_T7_T9_mT8_P12ihipStream_tbDpT10_ENKUlT_T0_E_clISt17integral_constantIbLb1EES1A_EEDaS15_S16_EUlS15_E_NS1_11comp_targetILNS1_3genE10ELNS1_11target_archE1200ELNS1_3gpuE4ELNS1_3repE0EEENS1_30default_config_static_selectorELNS0_4arch9wavefront6targetE1EEEvT1_
; %bb.0:
	.section	.rodata,"a",@progbits
	.p2align	6, 0x0
	.amdhsa_kernel _ZN7rocprim17ROCPRIM_400000_NS6detail17trampoline_kernelINS0_14default_configENS1_25partition_config_selectorILNS1_17partition_subalgoE8EfNS0_10empty_typeEbEEZZNS1_14partition_implILS5_8ELb0ES3_jN6thrust23THRUST_200600_302600_NS6detail15normal_iteratorINSA_10device_ptrIfEEEEPS6_PKS6_NS0_5tupleIJSF_S6_EEENSJ_IJSG_SG_EEENS0_18inequality_wrapperINSA_8equal_toIfEEEEPmJS6_EEE10hipError_tPvRmT3_T4_T5_T6_T7_T9_mT8_P12ihipStream_tbDpT10_ENKUlT_T0_E_clISt17integral_constantIbLb1EES1A_EEDaS15_S16_EUlS15_E_NS1_11comp_targetILNS1_3genE10ELNS1_11target_archE1200ELNS1_3gpuE4ELNS1_3repE0EEENS1_30default_config_static_selectorELNS0_4arch9wavefront6targetE1EEEvT1_
		.amdhsa_group_segment_fixed_size 0
		.amdhsa_private_segment_fixed_size 0
		.amdhsa_kernarg_size 128
		.amdhsa_user_sgpr_count 6
		.amdhsa_user_sgpr_private_segment_buffer 1
		.amdhsa_user_sgpr_dispatch_ptr 0
		.amdhsa_user_sgpr_queue_ptr 0
		.amdhsa_user_sgpr_kernarg_segment_ptr 1
		.amdhsa_user_sgpr_dispatch_id 0
		.amdhsa_user_sgpr_flat_scratch_init 0
		.amdhsa_user_sgpr_private_segment_size 0
		.amdhsa_uses_dynamic_stack 0
		.amdhsa_system_sgpr_private_segment_wavefront_offset 0
		.amdhsa_system_sgpr_workgroup_id_x 1
		.amdhsa_system_sgpr_workgroup_id_y 0
		.amdhsa_system_sgpr_workgroup_id_z 0
		.amdhsa_system_sgpr_workgroup_info 0
		.amdhsa_system_vgpr_workitem_id 0
		.amdhsa_next_free_vgpr 1
		.amdhsa_next_free_sgpr 0
		.amdhsa_reserve_vcc 0
		.amdhsa_reserve_flat_scratch 0
		.amdhsa_float_round_mode_32 0
		.amdhsa_float_round_mode_16_64 0
		.amdhsa_float_denorm_mode_32 3
		.amdhsa_float_denorm_mode_16_64 3
		.amdhsa_dx10_clamp 1
		.amdhsa_ieee_mode 1
		.amdhsa_fp16_overflow 0
		.amdhsa_exception_fp_ieee_invalid_op 0
		.amdhsa_exception_fp_denorm_src 0
		.amdhsa_exception_fp_ieee_div_zero 0
		.amdhsa_exception_fp_ieee_overflow 0
		.amdhsa_exception_fp_ieee_underflow 0
		.amdhsa_exception_fp_ieee_inexact 0
		.amdhsa_exception_int_div_zero 0
	.end_amdhsa_kernel
	.section	.text._ZN7rocprim17ROCPRIM_400000_NS6detail17trampoline_kernelINS0_14default_configENS1_25partition_config_selectorILNS1_17partition_subalgoE8EfNS0_10empty_typeEbEEZZNS1_14partition_implILS5_8ELb0ES3_jN6thrust23THRUST_200600_302600_NS6detail15normal_iteratorINSA_10device_ptrIfEEEEPS6_PKS6_NS0_5tupleIJSF_S6_EEENSJ_IJSG_SG_EEENS0_18inequality_wrapperINSA_8equal_toIfEEEEPmJS6_EEE10hipError_tPvRmT3_T4_T5_T6_T7_T9_mT8_P12ihipStream_tbDpT10_ENKUlT_T0_E_clISt17integral_constantIbLb1EES1A_EEDaS15_S16_EUlS15_E_NS1_11comp_targetILNS1_3genE10ELNS1_11target_archE1200ELNS1_3gpuE4ELNS1_3repE0EEENS1_30default_config_static_selectorELNS0_4arch9wavefront6targetE1EEEvT1_,"axG",@progbits,_ZN7rocprim17ROCPRIM_400000_NS6detail17trampoline_kernelINS0_14default_configENS1_25partition_config_selectorILNS1_17partition_subalgoE8EfNS0_10empty_typeEbEEZZNS1_14partition_implILS5_8ELb0ES3_jN6thrust23THRUST_200600_302600_NS6detail15normal_iteratorINSA_10device_ptrIfEEEEPS6_PKS6_NS0_5tupleIJSF_S6_EEENSJ_IJSG_SG_EEENS0_18inequality_wrapperINSA_8equal_toIfEEEEPmJS6_EEE10hipError_tPvRmT3_T4_T5_T6_T7_T9_mT8_P12ihipStream_tbDpT10_ENKUlT_T0_E_clISt17integral_constantIbLb1EES1A_EEDaS15_S16_EUlS15_E_NS1_11comp_targetILNS1_3genE10ELNS1_11target_archE1200ELNS1_3gpuE4ELNS1_3repE0EEENS1_30default_config_static_selectorELNS0_4arch9wavefront6targetE1EEEvT1_,comdat
.Lfunc_end93:
	.size	_ZN7rocprim17ROCPRIM_400000_NS6detail17trampoline_kernelINS0_14default_configENS1_25partition_config_selectorILNS1_17partition_subalgoE8EfNS0_10empty_typeEbEEZZNS1_14partition_implILS5_8ELb0ES3_jN6thrust23THRUST_200600_302600_NS6detail15normal_iteratorINSA_10device_ptrIfEEEEPS6_PKS6_NS0_5tupleIJSF_S6_EEENSJ_IJSG_SG_EEENS0_18inequality_wrapperINSA_8equal_toIfEEEEPmJS6_EEE10hipError_tPvRmT3_T4_T5_T6_T7_T9_mT8_P12ihipStream_tbDpT10_ENKUlT_T0_E_clISt17integral_constantIbLb1EES1A_EEDaS15_S16_EUlS15_E_NS1_11comp_targetILNS1_3genE10ELNS1_11target_archE1200ELNS1_3gpuE4ELNS1_3repE0EEENS1_30default_config_static_selectorELNS0_4arch9wavefront6targetE1EEEvT1_, .Lfunc_end93-_ZN7rocprim17ROCPRIM_400000_NS6detail17trampoline_kernelINS0_14default_configENS1_25partition_config_selectorILNS1_17partition_subalgoE8EfNS0_10empty_typeEbEEZZNS1_14partition_implILS5_8ELb0ES3_jN6thrust23THRUST_200600_302600_NS6detail15normal_iteratorINSA_10device_ptrIfEEEEPS6_PKS6_NS0_5tupleIJSF_S6_EEENSJ_IJSG_SG_EEENS0_18inequality_wrapperINSA_8equal_toIfEEEEPmJS6_EEE10hipError_tPvRmT3_T4_T5_T6_T7_T9_mT8_P12ihipStream_tbDpT10_ENKUlT_T0_E_clISt17integral_constantIbLb1EES1A_EEDaS15_S16_EUlS15_E_NS1_11comp_targetILNS1_3genE10ELNS1_11target_archE1200ELNS1_3gpuE4ELNS1_3repE0EEENS1_30default_config_static_selectorELNS0_4arch9wavefront6targetE1EEEvT1_
                                        ; -- End function
	.set _ZN7rocprim17ROCPRIM_400000_NS6detail17trampoline_kernelINS0_14default_configENS1_25partition_config_selectorILNS1_17partition_subalgoE8EfNS0_10empty_typeEbEEZZNS1_14partition_implILS5_8ELb0ES3_jN6thrust23THRUST_200600_302600_NS6detail15normal_iteratorINSA_10device_ptrIfEEEEPS6_PKS6_NS0_5tupleIJSF_S6_EEENSJ_IJSG_SG_EEENS0_18inequality_wrapperINSA_8equal_toIfEEEEPmJS6_EEE10hipError_tPvRmT3_T4_T5_T6_T7_T9_mT8_P12ihipStream_tbDpT10_ENKUlT_T0_E_clISt17integral_constantIbLb1EES1A_EEDaS15_S16_EUlS15_E_NS1_11comp_targetILNS1_3genE10ELNS1_11target_archE1200ELNS1_3gpuE4ELNS1_3repE0EEENS1_30default_config_static_selectorELNS0_4arch9wavefront6targetE1EEEvT1_.num_vgpr, 0
	.set _ZN7rocprim17ROCPRIM_400000_NS6detail17trampoline_kernelINS0_14default_configENS1_25partition_config_selectorILNS1_17partition_subalgoE8EfNS0_10empty_typeEbEEZZNS1_14partition_implILS5_8ELb0ES3_jN6thrust23THRUST_200600_302600_NS6detail15normal_iteratorINSA_10device_ptrIfEEEEPS6_PKS6_NS0_5tupleIJSF_S6_EEENSJ_IJSG_SG_EEENS0_18inequality_wrapperINSA_8equal_toIfEEEEPmJS6_EEE10hipError_tPvRmT3_T4_T5_T6_T7_T9_mT8_P12ihipStream_tbDpT10_ENKUlT_T0_E_clISt17integral_constantIbLb1EES1A_EEDaS15_S16_EUlS15_E_NS1_11comp_targetILNS1_3genE10ELNS1_11target_archE1200ELNS1_3gpuE4ELNS1_3repE0EEENS1_30default_config_static_selectorELNS0_4arch9wavefront6targetE1EEEvT1_.num_agpr, 0
	.set _ZN7rocprim17ROCPRIM_400000_NS6detail17trampoline_kernelINS0_14default_configENS1_25partition_config_selectorILNS1_17partition_subalgoE8EfNS0_10empty_typeEbEEZZNS1_14partition_implILS5_8ELb0ES3_jN6thrust23THRUST_200600_302600_NS6detail15normal_iteratorINSA_10device_ptrIfEEEEPS6_PKS6_NS0_5tupleIJSF_S6_EEENSJ_IJSG_SG_EEENS0_18inequality_wrapperINSA_8equal_toIfEEEEPmJS6_EEE10hipError_tPvRmT3_T4_T5_T6_T7_T9_mT8_P12ihipStream_tbDpT10_ENKUlT_T0_E_clISt17integral_constantIbLb1EES1A_EEDaS15_S16_EUlS15_E_NS1_11comp_targetILNS1_3genE10ELNS1_11target_archE1200ELNS1_3gpuE4ELNS1_3repE0EEENS1_30default_config_static_selectorELNS0_4arch9wavefront6targetE1EEEvT1_.numbered_sgpr, 0
	.set _ZN7rocprim17ROCPRIM_400000_NS6detail17trampoline_kernelINS0_14default_configENS1_25partition_config_selectorILNS1_17partition_subalgoE8EfNS0_10empty_typeEbEEZZNS1_14partition_implILS5_8ELb0ES3_jN6thrust23THRUST_200600_302600_NS6detail15normal_iteratorINSA_10device_ptrIfEEEEPS6_PKS6_NS0_5tupleIJSF_S6_EEENSJ_IJSG_SG_EEENS0_18inequality_wrapperINSA_8equal_toIfEEEEPmJS6_EEE10hipError_tPvRmT3_T4_T5_T6_T7_T9_mT8_P12ihipStream_tbDpT10_ENKUlT_T0_E_clISt17integral_constantIbLb1EES1A_EEDaS15_S16_EUlS15_E_NS1_11comp_targetILNS1_3genE10ELNS1_11target_archE1200ELNS1_3gpuE4ELNS1_3repE0EEENS1_30default_config_static_selectorELNS0_4arch9wavefront6targetE1EEEvT1_.num_named_barrier, 0
	.set _ZN7rocprim17ROCPRIM_400000_NS6detail17trampoline_kernelINS0_14default_configENS1_25partition_config_selectorILNS1_17partition_subalgoE8EfNS0_10empty_typeEbEEZZNS1_14partition_implILS5_8ELb0ES3_jN6thrust23THRUST_200600_302600_NS6detail15normal_iteratorINSA_10device_ptrIfEEEEPS6_PKS6_NS0_5tupleIJSF_S6_EEENSJ_IJSG_SG_EEENS0_18inequality_wrapperINSA_8equal_toIfEEEEPmJS6_EEE10hipError_tPvRmT3_T4_T5_T6_T7_T9_mT8_P12ihipStream_tbDpT10_ENKUlT_T0_E_clISt17integral_constantIbLb1EES1A_EEDaS15_S16_EUlS15_E_NS1_11comp_targetILNS1_3genE10ELNS1_11target_archE1200ELNS1_3gpuE4ELNS1_3repE0EEENS1_30default_config_static_selectorELNS0_4arch9wavefront6targetE1EEEvT1_.private_seg_size, 0
	.set _ZN7rocprim17ROCPRIM_400000_NS6detail17trampoline_kernelINS0_14default_configENS1_25partition_config_selectorILNS1_17partition_subalgoE8EfNS0_10empty_typeEbEEZZNS1_14partition_implILS5_8ELb0ES3_jN6thrust23THRUST_200600_302600_NS6detail15normal_iteratorINSA_10device_ptrIfEEEEPS6_PKS6_NS0_5tupleIJSF_S6_EEENSJ_IJSG_SG_EEENS0_18inequality_wrapperINSA_8equal_toIfEEEEPmJS6_EEE10hipError_tPvRmT3_T4_T5_T6_T7_T9_mT8_P12ihipStream_tbDpT10_ENKUlT_T0_E_clISt17integral_constantIbLb1EES1A_EEDaS15_S16_EUlS15_E_NS1_11comp_targetILNS1_3genE10ELNS1_11target_archE1200ELNS1_3gpuE4ELNS1_3repE0EEENS1_30default_config_static_selectorELNS0_4arch9wavefront6targetE1EEEvT1_.uses_vcc, 0
	.set _ZN7rocprim17ROCPRIM_400000_NS6detail17trampoline_kernelINS0_14default_configENS1_25partition_config_selectorILNS1_17partition_subalgoE8EfNS0_10empty_typeEbEEZZNS1_14partition_implILS5_8ELb0ES3_jN6thrust23THRUST_200600_302600_NS6detail15normal_iteratorINSA_10device_ptrIfEEEEPS6_PKS6_NS0_5tupleIJSF_S6_EEENSJ_IJSG_SG_EEENS0_18inequality_wrapperINSA_8equal_toIfEEEEPmJS6_EEE10hipError_tPvRmT3_T4_T5_T6_T7_T9_mT8_P12ihipStream_tbDpT10_ENKUlT_T0_E_clISt17integral_constantIbLb1EES1A_EEDaS15_S16_EUlS15_E_NS1_11comp_targetILNS1_3genE10ELNS1_11target_archE1200ELNS1_3gpuE4ELNS1_3repE0EEENS1_30default_config_static_selectorELNS0_4arch9wavefront6targetE1EEEvT1_.uses_flat_scratch, 0
	.set _ZN7rocprim17ROCPRIM_400000_NS6detail17trampoline_kernelINS0_14default_configENS1_25partition_config_selectorILNS1_17partition_subalgoE8EfNS0_10empty_typeEbEEZZNS1_14partition_implILS5_8ELb0ES3_jN6thrust23THRUST_200600_302600_NS6detail15normal_iteratorINSA_10device_ptrIfEEEEPS6_PKS6_NS0_5tupleIJSF_S6_EEENSJ_IJSG_SG_EEENS0_18inequality_wrapperINSA_8equal_toIfEEEEPmJS6_EEE10hipError_tPvRmT3_T4_T5_T6_T7_T9_mT8_P12ihipStream_tbDpT10_ENKUlT_T0_E_clISt17integral_constantIbLb1EES1A_EEDaS15_S16_EUlS15_E_NS1_11comp_targetILNS1_3genE10ELNS1_11target_archE1200ELNS1_3gpuE4ELNS1_3repE0EEENS1_30default_config_static_selectorELNS0_4arch9wavefront6targetE1EEEvT1_.has_dyn_sized_stack, 0
	.set _ZN7rocprim17ROCPRIM_400000_NS6detail17trampoline_kernelINS0_14default_configENS1_25partition_config_selectorILNS1_17partition_subalgoE8EfNS0_10empty_typeEbEEZZNS1_14partition_implILS5_8ELb0ES3_jN6thrust23THRUST_200600_302600_NS6detail15normal_iteratorINSA_10device_ptrIfEEEEPS6_PKS6_NS0_5tupleIJSF_S6_EEENSJ_IJSG_SG_EEENS0_18inequality_wrapperINSA_8equal_toIfEEEEPmJS6_EEE10hipError_tPvRmT3_T4_T5_T6_T7_T9_mT8_P12ihipStream_tbDpT10_ENKUlT_T0_E_clISt17integral_constantIbLb1EES1A_EEDaS15_S16_EUlS15_E_NS1_11comp_targetILNS1_3genE10ELNS1_11target_archE1200ELNS1_3gpuE4ELNS1_3repE0EEENS1_30default_config_static_selectorELNS0_4arch9wavefront6targetE1EEEvT1_.has_recursion, 0
	.set _ZN7rocprim17ROCPRIM_400000_NS6detail17trampoline_kernelINS0_14default_configENS1_25partition_config_selectorILNS1_17partition_subalgoE8EfNS0_10empty_typeEbEEZZNS1_14partition_implILS5_8ELb0ES3_jN6thrust23THRUST_200600_302600_NS6detail15normal_iteratorINSA_10device_ptrIfEEEEPS6_PKS6_NS0_5tupleIJSF_S6_EEENSJ_IJSG_SG_EEENS0_18inequality_wrapperINSA_8equal_toIfEEEEPmJS6_EEE10hipError_tPvRmT3_T4_T5_T6_T7_T9_mT8_P12ihipStream_tbDpT10_ENKUlT_T0_E_clISt17integral_constantIbLb1EES1A_EEDaS15_S16_EUlS15_E_NS1_11comp_targetILNS1_3genE10ELNS1_11target_archE1200ELNS1_3gpuE4ELNS1_3repE0EEENS1_30default_config_static_selectorELNS0_4arch9wavefront6targetE1EEEvT1_.has_indirect_call, 0
	.section	.AMDGPU.csdata,"",@progbits
; Kernel info:
; codeLenInByte = 0
; TotalNumSgprs: 4
; NumVgprs: 0
; ScratchSize: 0
; MemoryBound: 0
; FloatMode: 240
; IeeeMode: 1
; LDSByteSize: 0 bytes/workgroup (compile time only)
; SGPRBlocks: 0
; VGPRBlocks: 0
; NumSGPRsForWavesPerEU: 4
; NumVGPRsForWavesPerEU: 1
; Occupancy: 10
; WaveLimiterHint : 0
; COMPUTE_PGM_RSRC2:SCRATCH_EN: 0
; COMPUTE_PGM_RSRC2:USER_SGPR: 6
; COMPUTE_PGM_RSRC2:TRAP_HANDLER: 0
; COMPUTE_PGM_RSRC2:TGID_X_EN: 1
; COMPUTE_PGM_RSRC2:TGID_Y_EN: 0
; COMPUTE_PGM_RSRC2:TGID_Z_EN: 0
; COMPUTE_PGM_RSRC2:TIDIG_COMP_CNT: 0
	.section	.text._ZN7rocprim17ROCPRIM_400000_NS6detail17trampoline_kernelINS0_14default_configENS1_25partition_config_selectorILNS1_17partition_subalgoE8EfNS0_10empty_typeEbEEZZNS1_14partition_implILS5_8ELb0ES3_jN6thrust23THRUST_200600_302600_NS6detail15normal_iteratorINSA_10device_ptrIfEEEEPS6_PKS6_NS0_5tupleIJSF_S6_EEENSJ_IJSG_SG_EEENS0_18inequality_wrapperINSA_8equal_toIfEEEEPmJS6_EEE10hipError_tPvRmT3_T4_T5_T6_T7_T9_mT8_P12ihipStream_tbDpT10_ENKUlT_T0_E_clISt17integral_constantIbLb1EES1A_EEDaS15_S16_EUlS15_E_NS1_11comp_targetILNS1_3genE9ELNS1_11target_archE1100ELNS1_3gpuE3ELNS1_3repE0EEENS1_30default_config_static_selectorELNS0_4arch9wavefront6targetE1EEEvT1_,"axG",@progbits,_ZN7rocprim17ROCPRIM_400000_NS6detail17trampoline_kernelINS0_14default_configENS1_25partition_config_selectorILNS1_17partition_subalgoE8EfNS0_10empty_typeEbEEZZNS1_14partition_implILS5_8ELb0ES3_jN6thrust23THRUST_200600_302600_NS6detail15normal_iteratorINSA_10device_ptrIfEEEEPS6_PKS6_NS0_5tupleIJSF_S6_EEENSJ_IJSG_SG_EEENS0_18inequality_wrapperINSA_8equal_toIfEEEEPmJS6_EEE10hipError_tPvRmT3_T4_T5_T6_T7_T9_mT8_P12ihipStream_tbDpT10_ENKUlT_T0_E_clISt17integral_constantIbLb1EES1A_EEDaS15_S16_EUlS15_E_NS1_11comp_targetILNS1_3genE9ELNS1_11target_archE1100ELNS1_3gpuE3ELNS1_3repE0EEENS1_30default_config_static_selectorELNS0_4arch9wavefront6targetE1EEEvT1_,comdat
	.protected	_ZN7rocprim17ROCPRIM_400000_NS6detail17trampoline_kernelINS0_14default_configENS1_25partition_config_selectorILNS1_17partition_subalgoE8EfNS0_10empty_typeEbEEZZNS1_14partition_implILS5_8ELb0ES3_jN6thrust23THRUST_200600_302600_NS6detail15normal_iteratorINSA_10device_ptrIfEEEEPS6_PKS6_NS0_5tupleIJSF_S6_EEENSJ_IJSG_SG_EEENS0_18inequality_wrapperINSA_8equal_toIfEEEEPmJS6_EEE10hipError_tPvRmT3_T4_T5_T6_T7_T9_mT8_P12ihipStream_tbDpT10_ENKUlT_T0_E_clISt17integral_constantIbLb1EES1A_EEDaS15_S16_EUlS15_E_NS1_11comp_targetILNS1_3genE9ELNS1_11target_archE1100ELNS1_3gpuE3ELNS1_3repE0EEENS1_30default_config_static_selectorELNS0_4arch9wavefront6targetE1EEEvT1_ ; -- Begin function _ZN7rocprim17ROCPRIM_400000_NS6detail17trampoline_kernelINS0_14default_configENS1_25partition_config_selectorILNS1_17partition_subalgoE8EfNS0_10empty_typeEbEEZZNS1_14partition_implILS5_8ELb0ES3_jN6thrust23THRUST_200600_302600_NS6detail15normal_iteratorINSA_10device_ptrIfEEEEPS6_PKS6_NS0_5tupleIJSF_S6_EEENSJ_IJSG_SG_EEENS0_18inequality_wrapperINSA_8equal_toIfEEEEPmJS6_EEE10hipError_tPvRmT3_T4_T5_T6_T7_T9_mT8_P12ihipStream_tbDpT10_ENKUlT_T0_E_clISt17integral_constantIbLb1EES1A_EEDaS15_S16_EUlS15_E_NS1_11comp_targetILNS1_3genE9ELNS1_11target_archE1100ELNS1_3gpuE3ELNS1_3repE0EEENS1_30default_config_static_selectorELNS0_4arch9wavefront6targetE1EEEvT1_
	.globl	_ZN7rocprim17ROCPRIM_400000_NS6detail17trampoline_kernelINS0_14default_configENS1_25partition_config_selectorILNS1_17partition_subalgoE8EfNS0_10empty_typeEbEEZZNS1_14partition_implILS5_8ELb0ES3_jN6thrust23THRUST_200600_302600_NS6detail15normal_iteratorINSA_10device_ptrIfEEEEPS6_PKS6_NS0_5tupleIJSF_S6_EEENSJ_IJSG_SG_EEENS0_18inequality_wrapperINSA_8equal_toIfEEEEPmJS6_EEE10hipError_tPvRmT3_T4_T5_T6_T7_T9_mT8_P12ihipStream_tbDpT10_ENKUlT_T0_E_clISt17integral_constantIbLb1EES1A_EEDaS15_S16_EUlS15_E_NS1_11comp_targetILNS1_3genE9ELNS1_11target_archE1100ELNS1_3gpuE3ELNS1_3repE0EEENS1_30default_config_static_selectorELNS0_4arch9wavefront6targetE1EEEvT1_
	.p2align	8
	.type	_ZN7rocprim17ROCPRIM_400000_NS6detail17trampoline_kernelINS0_14default_configENS1_25partition_config_selectorILNS1_17partition_subalgoE8EfNS0_10empty_typeEbEEZZNS1_14partition_implILS5_8ELb0ES3_jN6thrust23THRUST_200600_302600_NS6detail15normal_iteratorINSA_10device_ptrIfEEEEPS6_PKS6_NS0_5tupleIJSF_S6_EEENSJ_IJSG_SG_EEENS0_18inequality_wrapperINSA_8equal_toIfEEEEPmJS6_EEE10hipError_tPvRmT3_T4_T5_T6_T7_T9_mT8_P12ihipStream_tbDpT10_ENKUlT_T0_E_clISt17integral_constantIbLb1EES1A_EEDaS15_S16_EUlS15_E_NS1_11comp_targetILNS1_3genE9ELNS1_11target_archE1100ELNS1_3gpuE3ELNS1_3repE0EEENS1_30default_config_static_selectorELNS0_4arch9wavefront6targetE1EEEvT1_,@function
_ZN7rocprim17ROCPRIM_400000_NS6detail17trampoline_kernelINS0_14default_configENS1_25partition_config_selectorILNS1_17partition_subalgoE8EfNS0_10empty_typeEbEEZZNS1_14partition_implILS5_8ELb0ES3_jN6thrust23THRUST_200600_302600_NS6detail15normal_iteratorINSA_10device_ptrIfEEEEPS6_PKS6_NS0_5tupleIJSF_S6_EEENSJ_IJSG_SG_EEENS0_18inequality_wrapperINSA_8equal_toIfEEEEPmJS6_EEE10hipError_tPvRmT3_T4_T5_T6_T7_T9_mT8_P12ihipStream_tbDpT10_ENKUlT_T0_E_clISt17integral_constantIbLb1EES1A_EEDaS15_S16_EUlS15_E_NS1_11comp_targetILNS1_3genE9ELNS1_11target_archE1100ELNS1_3gpuE3ELNS1_3repE0EEENS1_30default_config_static_selectorELNS0_4arch9wavefront6targetE1EEEvT1_: ; @_ZN7rocprim17ROCPRIM_400000_NS6detail17trampoline_kernelINS0_14default_configENS1_25partition_config_selectorILNS1_17partition_subalgoE8EfNS0_10empty_typeEbEEZZNS1_14partition_implILS5_8ELb0ES3_jN6thrust23THRUST_200600_302600_NS6detail15normal_iteratorINSA_10device_ptrIfEEEEPS6_PKS6_NS0_5tupleIJSF_S6_EEENSJ_IJSG_SG_EEENS0_18inequality_wrapperINSA_8equal_toIfEEEEPmJS6_EEE10hipError_tPvRmT3_T4_T5_T6_T7_T9_mT8_P12ihipStream_tbDpT10_ENKUlT_T0_E_clISt17integral_constantIbLb1EES1A_EEDaS15_S16_EUlS15_E_NS1_11comp_targetILNS1_3genE9ELNS1_11target_archE1100ELNS1_3gpuE3ELNS1_3repE0EEENS1_30default_config_static_selectorELNS0_4arch9wavefront6targetE1EEEvT1_
; %bb.0:
	.section	.rodata,"a",@progbits
	.p2align	6, 0x0
	.amdhsa_kernel _ZN7rocprim17ROCPRIM_400000_NS6detail17trampoline_kernelINS0_14default_configENS1_25partition_config_selectorILNS1_17partition_subalgoE8EfNS0_10empty_typeEbEEZZNS1_14partition_implILS5_8ELb0ES3_jN6thrust23THRUST_200600_302600_NS6detail15normal_iteratorINSA_10device_ptrIfEEEEPS6_PKS6_NS0_5tupleIJSF_S6_EEENSJ_IJSG_SG_EEENS0_18inequality_wrapperINSA_8equal_toIfEEEEPmJS6_EEE10hipError_tPvRmT3_T4_T5_T6_T7_T9_mT8_P12ihipStream_tbDpT10_ENKUlT_T0_E_clISt17integral_constantIbLb1EES1A_EEDaS15_S16_EUlS15_E_NS1_11comp_targetILNS1_3genE9ELNS1_11target_archE1100ELNS1_3gpuE3ELNS1_3repE0EEENS1_30default_config_static_selectorELNS0_4arch9wavefront6targetE1EEEvT1_
		.amdhsa_group_segment_fixed_size 0
		.amdhsa_private_segment_fixed_size 0
		.amdhsa_kernarg_size 128
		.amdhsa_user_sgpr_count 6
		.amdhsa_user_sgpr_private_segment_buffer 1
		.amdhsa_user_sgpr_dispatch_ptr 0
		.amdhsa_user_sgpr_queue_ptr 0
		.amdhsa_user_sgpr_kernarg_segment_ptr 1
		.amdhsa_user_sgpr_dispatch_id 0
		.amdhsa_user_sgpr_flat_scratch_init 0
		.amdhsa_user_sgpr_private_segment_size 0
		.amdhsa_uses_dynamic_stack 0
		.amdhsa_system_sgpr_private_segment_wavefront_offset 0
		.amdhsa_system_sgpr_workgroup_id_x 1
		.amdhsa_system_sgpr_workgroup_id_y 0
		.amdhsa_system_sgpr_workgroup_id_z 0
		.amdhsa_system_sgpr_workgroup_info 0
		.amdhsa_system_vgpr_workitem_id 0
		.amdhsa_next_free_vgpr 1
		.amdhsa_next_free_sgpr 0
		.amdhsa_reserve_vcc 0
		.amdhsa_reserve_flat_scratch 0
		.amdhsa_float_round_mode_32 0
		.amdhsa_float_round_mode_16_64 0
		.amdhsa_float_denorm_mode_32 3
		.amdhsa_float_denorm_mode_16_64 3
		.amdhsa_dx10_clamp 1
		.amdhsa_ieee_mode 1
		.amdhsa_fp16_overflow 0
		.amdhsa_exception_fp_ieee_invalid_op 0
		.amdhsa_exception_fp_denorm_src 0
		.amdhsa_exception_fp_ieee_div_zero 0
		.amdhsa_exception_fp_ieee_overflow 0
		.amdhsa_exception_fp_ieee_underflow 0
		.amdhsa_exception_fp_ieee_inexact 0
		.amdhsa_exception_int_div_zero 0
	.end_amdhsa_kernel
	.section	.text._ZN7rocprim17ROCPRIM_400000_NS6detail17trampoline_kernelINS0_14default_configENS1_25partition_config_selectorILNS1_17partition_subalgoE8EfNS0_10empty_typeEbEEZZNS1_14partition_implILS5_8ELb0ES3_jN6thrust23THRUST_200600_302600_NS6detail15normal_iteratorINSA_10device_ptrIfEEEEPS6_PKS6_NS0_5tupleIJSF_S6_EEENSJ_IJSG_SG_EEENS0_18inequality_wrapperINSA_8equal_toIfEEEEPmJS6_EEE10hipError_tPvRmT3_T4_T5_T6_T7_T9_mT8_P12ihipStream_tbDpT10_ENKUlT_T0_E_clISt17integral_constantIbLb1EES1A_EEDaS15_S16_EUlS15_E_NS1_11comp_targetILNS1_3genE9ELNS1_11target_archE1100ELNS1_3gpuE3ELNS1_3repE0EEENS1_30default_config_static_selectorELNS0_4arch9wavefront6targetE1EEEvT1_,"axG",@progbits,_ZN7rocprim17ROCPRIM_400000_NS6detail17trampoline_kernelINS0_14default_configENS1_25partition_config_selectorILNS1_17partition_subalgoE8EfNS0_10empty_typeEbEEZZNS1_14partition_implILS5_8ELb0ES3_jN6thrust23THRUST_200600_302600_NS6detail15normal_iteratorINSA_10device_ptrIfEEEEPS6_PKS6_NS0_5tupleIJSF_S6_EEENSJ_IJSG_SG_EEENS0_18inequality_wrapperINSA_8equal_toIfEEEEPmJS6_EEE10hipError_tPvRmT3_T4_T5_T6_T7_T9_mT8_P12ihipStream_tbDpT10_ENKUlT_T0_E_clISt17integral_constantIbLb1EES1A_EEDaS15_S16_EUlS15_E_NS1_11comp_targetILNS1_3genE9ELNS1_11target_archE1100ELNS1_3gpuE3ELNS1_3repE0EEENS1_30default_config_static_selectorELNS0_4arch9wavefront6targetE1EEEvT1_,comdat
.Lfunc_end94:
	.size	_ZN7rocprim17ROCPRIM_400000_NS6detail17trampoline_kernelINS0_14default_configENS1_25partition_config_selectorILNS1_17partition_subalgoE8EfNS0_10empty_typeEbEEZZNS1_14partition_implILS5_8ELb0ES3_jN6thrust23THRUST_200600_302600_NS6detail15normal_iteratorINSA_10device_ptrIfEEEEPS6_PKS6_NS0_5tupleIJSF_S6_EEENSJ_IJSG_SG_EEENS0_18inequality_wrapperINSA_8equal_toIfEEEEPmJS6_EEE10hipError_tPvRmT3_T4_T5_T6_T7_T9_mT8_P12ihipStream_tbDpT10_ENKUlT_T0_E_clISt17integral_constantIbLb1EES1A_EEDaS15_S16_EUlS15_E_NS1_11comp_targetILNS1_3genE9ELNS1_11target_archE1100ELNS1_3gpuE3ELNS1_3repE0EEENS1_30default_config_static_selectorELNS0_4arch9wavefront6targetE1EEEvT1_, .Lfunc_end94-_ZN7rocprim17ROCPRIM_400000_NS6detail17trampoline_kernelINS0_14default_configENS1_25partition_config_selectorILNS1_17partition_subalgoE8EfNS0_10empty_typeEbEEZZNS1_14partition_implILS5_8ELb0ES3_jN6thrust23THRUST_200600_302600_NS6detail15normal_iteratorINSA_10device_ptrIfEEEEPS6_PKS6_NS0_5tupleIJSF_S6_EEENSJ_IJSG_SG_EEENS0_18inequality_wrapperINSA_8equal_toIfEEEEPmJS6_EEE10hipError_tPvRmT3_T4_T5_T6_T7_T9_mT8_P12ihipStream_tbDpT10_ENKUlT_T0_E_clISt17integral_constantIbLb1EES1A_EEDaS15_S16_EUlS15_E_NS1_11comp_targetILNS1_3genE9ELNS1_11target_archE1100ELNS1_3gpuE3ELNS1_3repE0EEENS1_30default_config_static_selectorELNS0_4arch9wavefront6targetE1EEEvT1_
                                        ; -- End function
	.set _ZN7rocprim17ROCPRIM_400000_NS6detail17trampoline_kernelINS0_14default_configENS1_25partition_config_selectorILNS1_17partition_subalgoE8EfNS0_10empty_typeEbEEZZNS1_14partition_implILS5_8ELb0ES3_jN6thrust23THRUST_200600_302600_NS6detail15normal_iteratorINSA_10device_ptrIfEEEEPS6_PKS6_NS0_5tupleIJSF_S6_EEENSJ_IJSG_SG_EEENS0_18inequality_wrapperINSA_8equal_toIfEEEEPmJS6_EEE10hipError_tPvRmT3_T4_T5_T6_T7_T9_mT8_P12ihipStream_tbDpT10_ENKUlT_T0_E_clISt17integral_constantIbLb1EES1A_EEDaS15_S16_EUlS15_E_NS1_11comp_targetILNS1_3genE9ELNS1_11target_archE1100ELNS1_3gpuE3ELNS1_3repE0EEENS1_30default_config_static_selectorELNS0_4arch9wavefront6targetE1EEEvT1_.num_vgpr, 0
	.set _ZN7rocprim17ROCPRIM_400000_NS6detail17trampoline_kernelINS0_14default_configENS1_25partition_config_selectorILNS1_17partition_subalgoE8EfNS0_10empty_typeEbEEZZNS1_14partition_implILS5_8ELb0ES3_jN6thrust23THRUST_200600_302600_NS6detail15normal_iteratorINSA_10device_ptrIfEEEEPS6_PKS6_NS0_5tupleIJSF_S6_EEENSJ_IJSG_SG_EEENS0_18inequality_wrapperINSA_8equal_toIfEEEEPmJS6_EEE10hipError_tPvRmT3_T4_T5_T6_T7_T9_mT8_P12ihipStream_tbDpT10_ENKUlT_T0_E_clISt17integral_constantIbLb1EES1A_EEDaS15_S16_EUlS15_E_NS1_11comp_targetILNS1_3genE9ELNS1_11target_archE1100ELNS1_3gpuE3ELNS1_3repE0EEENS1_30default_config_static_selectorELNS0_4arch9wavefront6targetE1EEEvT1_.num_agpr, 0
	.set _ZN7rocprim17ROCPRIM_400000_NS6detail17trampoline_kernelINS0_14default_configENS1_25partition_config_selectorILNS1_17partition_subalgoE8EfNS0_10empty_typeEbEEZZNS1_14partition_implILS5_8ELb0ES3_jN6thrust23THRUST_200600_302600_NS6detail15normal_iteratorINSA_10device_ptrIfEEEEPS6_PKS6_NS0_5tupleIJSF_S6_EEENSJ_IJSG_SG_EEENS0_18inequality_wrapperINSA_8equal_toIfEEEEPmJS6_EEE10hipError_tPvRmT3_T4_T5_T6_T7_T9_mT8_P12ihipStream_tbDpT10_ENKUlT_T0_E_clISt17integral_constantIbLb1EES1A_EEDaS15_S16_EUlS15_E_NS1_11comp_targetILNS1_3genE9ELNS1_11target_archE1100ELNS1_3gpuE3ELNS1_3repE0EEENS1_30default_config_static_selectorELNS0_4arch9wavefront6targetE1EEEvT1_.numbered_sgpr, 0
	.set _ZN7rocprim17ROCPRIM_400000_NS6detail17trampoline_kernelINS0_14default_configENS1_25partition_config_selectorILNS1_17partition_subalgoE8EfNS0_10empty_typeEbEEZZNS1_14partition_implILS5_8ELb0ES3_jN6thrust23THRUST_200600_302600_NS6detail15normal_iteratorINSA_10device_ptrIfEEEEPS6_PKS6_NS0_5tupleIJSF_S6_EEENSJ_IJSG_SG_EEENS0_18inequality_wrapperINSA_8equal_toIfEEEEPmJS6_EEE10hipError_tPvRmT3_T4_T5_T6_T7_T9_mT8_P12ihipStream_tbDpT10_ENKUlT_T0_E_clISt17integral_constantIbLb1EES1A_EEDaS15_S16_EUlS15_E_NS1_11comp_targetILNS1_3genE9ELNS1_11target_archE1100ELNS1_3gpuE3ELNS1_3repE0EEENS1_30default_config_static_selectorELNS0_4arch9wavefront6targetE1EEEvT1_.num_named_barrier, 0
	.set _ZN7rocprim17ROCPRIM_400000_NS6detail17trampoline_kernelINS0_14default_configENS1_25partition_config_selectorILNS1_17partition_subalgoE8EfNS0_10empty_typeEbEEZZNS1_14partition_implILS5_8ELb0ES3_jN6thrust23THRUST_200600_302600_NS6detail15normal_iteratorINSA_10device_ptrIfEEEEPS6_PKS6_NS0_5tupleIJSF_S6_EEENSJ_IJSG_SG_EEENS0_18inequality_wrapperINSA_8equal_toIfEEEEPmJS6_EEE10hipError_tPvRmT3_T4_T5_T6_T7_T9_mT8_P12ihipStream_tbDpT10_ENKUlT_T0_E_clISt17integral_constantIbLb1EES1A_EEDaS15_S16_EUlS15_E_NS1_11comp_targetILNS1_3genE9ELNS1_11target_archE1100ELNS1_3gpuE3ELNS1_3repE0EEENS1_30default_config_static_selectorELNS0_4arch9wavefront6targetE1EEEvT1_.private_seg_size, 0
	.set _ZN7rocprim17ROCPRIM_400000_NS6detail17trampoline_kernelINS0_14default_configENS1_25partition_config_selectorILNS1_17partition_subalgoE8EfNS0_10empty_typeEbEEZZNS1_14partition_implILS5_8ELb0ES3_jN6thrust23THRUST_200600_302600_NS6detail15normal_iteratorINSA_10device_ptrIfEEEEPS6_PKS6_NS0_5tupleIJSF_S6_EEENSJ_IJSG_SG_EEENS0_18inequality_wrapperINSA_8equal_toIfEEEEPmJS6_EEE10hipError_tPvRmT3_T4_T5_T6_T7_T9_mT8_P12ihipStream_tbDpT10_ENKUlT_T0_E_clISt17integral_constantIbLb1EES1A_EEDaS15_S16_EUlS15_E_NS1_11comp_targetILNS1_3genE9ELNS1_11target_archE1100ELNS1_3gpuE3ELNS1_3repE0EEENS1_30default_config_static_selectorELNS0_4arch9wavefront6targetE1EEEvT1_.uses_vcc, 0
	.set _ZN7rocprim17ROCPRIM_400000_NS6detail17trampoline_kernelINS0_14default_configENS1_25partition_config_selectorILNS1_17partition_subalgoE8EfNS0_10empty_typeEbEEZZNS1_14partition_implILS5_8ELb0ES3_jN6thrust23THRUST_200600_302600_NS6detail15normal_iteratorINSA_10device_ptrIfEEEEPS6_PKS6_NS0_5tupleIJSF_S6_EEENSJ_IJSG_SG_EEENS0_18inequality_wrapperINSA_8equal_toIfEEEEPmJS6_EEE10hipError_tPvRmT3_T4_T5_T6_T7_T9_mT8_P12ihipStream_tbDpT10_ENKUlT_T0_E_clISt17integral_constantIbLb1EES1A_EEDaS15_S16_EUlS15_E_NS1_11comp_targetILNS1_3genE9ELNS1_11target_archE1100ELNS1_3gpuE3ELNS1_3repE0EEENS1_30default_config_static_selectorELNS0_4arch9wavefront6targetE1EEEvT1_.uses_flat_scratch, 0
	.set _ZN7rocprim17ROCPRIM_400000_NS6detail17trampoline_kernelINS0_14default_configENS1_25partition_config_selectorILNS1_17partition_subalgoE8EfNS0_10empty_typeEbEEZZNS1_14partition_implILS5_8ELb0ES3_jN6thrust23THRUST_200600_302600_NS6detail15normal_iteratorINSA_10device_ptrIfEEEEPS6_PKS6_NS0_5tupleIJSF_S6_EEENSJ_IJSG_SG_EEENS0_18inequality_wrapperINSA_8equal_toIfEEEEPmJS6_EEE10hipError_tPvRmT3_T4_T5_T6_T7_T9_mT8_P12ihipStream_tbDpT10_ENKUlT_T0_E_clISt17integral_constantIbLb1EES1A_EEDaS15_S16_EUlS15_E_NS1_11comp_targetILNS1_3genE9ELNS1_11target_archE1100ELNS1_3gpuE3ELNS1_3repE0EEENS1_30default_config_static_selectorELNS0_4arch9wavefront6targetE1EEEvT1_.has_dyn_sized_stack, 0
	.set _ZN7rocprim17ROCPRIM_400000_NS6detail17trampoline_kernelINS0_14default_configENS1_25partition_config_selectorILNS1_17partition_subalgoE8EfNS0_10empty_typeEbEEZZNS1_14partition_implILS5_8ELb0ES3_jN6thrust23THRUST_200600_302600_NS6detail15normal_iteratorINSA_10device_ptrIfEEEEPS6_PKS6_NS0_5tupleIJSF_S6_EEENSJ_IJSG_SG_EEENS0_18inequality_wrapperINSA_8equal_toIfEEEEPmJS6_EEE10hipError_tPvRmT3_T4_T5_T6_T7_T9_mT8_P12ihipStream_tbDpT10_ENKUlT_T0_E_clISt17integral_constantIbLb1EES1A_EEDaS15_S16_EUlS15_E_NS1_11comp_targetILNS1_3genE9ELNS1_11target_archE1100ELNS1_3gpuE3ELNS1_3repE0EEENS1_30default_config_static_selectorELNS0_4arch9wavefront6targetE1EEEvT1_.has_recursion, 0
	.set _ZN7rocprim17ROCPRIM_400000_NS6detail17trampoline_kernelINS0_14default_configENS1_25partition_config_selectorILNS1_17partition_subalgoE8EfNS0_10empty_typeEbEEZZNS1_14partition_implILS5_8ELb0ES3_jN6thrust23THRUST_200600_302600_NS6detail15normal_iteratorINSA_10device_ptrIfEEEEPS6_PKS6_NS0_5tupleIJSF_S6_EEENSJ_IJSG_SG_EEENS0_18inequality_wrapperINSA_8equal_toIfEEEEPmJS6_EEE10hipError_tPvRmT3_T4_T5_T6_T7_T9_mT8_P12ihipStream_tbDpT10_ENKUlT_T0_E_clISt17integral_constantIbLb1EES1A_EEDaS15_S16_EUlS15_E_NS1_11comp_targetILNS1_3genE9ELNS1_11target_archE1100ELNS1_3gpuE3ELNS1_3repE0EEENS1_30default_config_static_selectorELNS0_4arch9wavefront6targetE1EEEvT1_.has_indirect_call, 0
	.section	.AMDGPU.csdata,"",@progbits
; Kernel info:
; codeLenInByte = 0
; TotalNumSgprs: 4
; NumVgprs: 0
; ScratchSize: 0
; MemoryBound: 0
; FloatMode: 240
; IeeeMode: 1
; LDSByteSize: 0 bytes/workgroup (compile time only)
; SGPRBlocks: 0
; VGPRBlocks: 0
; NumSGPRsForWavesPerEU: 4
; NumVGPRsForWavesPerEU: 1
; Occupancy: 10
; WaveLimiterHint : 0
; COMPUTE_PGM_RSRC2:SCRATCH_EN: 0
; COMPUTE_PGM_RSRC2:USER_SGPR: 6
; COMPUTE_PGM_RSRC2:TRAP_HANDLER: 0
; COMPUTE_PGM_RSRC2:TGID_X_EN: 1
; COMPUTE_PGM_RSRC2:TGID_Y_EN: 0
; COMPUTE_PGM_RSRC2:TGID_Z_EN: 0
; COMPUTE_PGM_RSRC2:TIDIG_COMP_CNT: 0
	.section	.text._ZN7rocprim17ROCPRIM_400000_NS6detail17trampoline_kernelINS0_14default_configENS1_25partition_config_selectorILNS1_17partition_subalgoE8EfNS0_10empty_typeEbEEZZNS1_14partition_implILS5_8ELb0ES3_jN6thrust23THRUST_200600_302600_NS6detail15normal_iteratorINSA_10device_ptrIfEEEEPS6_PKS6_NS0_5tupleIJSF_S6_EEENSJ_IJSG_SG_EEENS0_18inequality_wrapperINSA_8equal_toIfEEEEPmJS6_EEE10hipError_tPvRmT3_T4_T5_T6_T7_T9_mT8_P12ihipStream_tbDpT10_ENKUlT_T0_E_clISt17integral_constantIbLb1EES1A_EEDaS15_S16_EUlS15_E_NS1_11comp_targetILNS1_3genE8ELNS1_11target_archE1030ELNS1_3gpuE2ELNS1_3repE0EEENS1_30default_config_static_selectorELNS0_4arch9wavefront6targetE1EEEvT1_,"axG",@progbits,_ZN7rocprim17ROCPRIM_400000_NS6detail17trampoline_kernelINS0_14default_configENS1_25partition_config_selectorILNS1_17partition_subalgoE8EfNS0_10empty_typeEbEEZZNS1_14partition_implILS5_8ELb0ES3_jN6thrust23THRUST_200600_302600_NS6detail15normal_iteratorINSA_10device_ptrIfEEEEPS6_PKS6_NS0_5tupleIJSF_S6_EEENSJ_IJSG_SG_EEENS0_18inequality_wrapperINSA_8equal_toIfEEEEPmJS6_EEE10hipError_tPvRmT3_T4_T5_T6_T7_T9_mT8_P12ihipStream_tbDpT10_ENKUlT_T0_E_clISt17integral_constantIbLb1EES1A_EEDaS15_S16_EUlS15_E_NS1_11comp_targetILNS1_3genE8ELNS1_11target_archE1030ELNS1_3gpuE2ELNS1_3repE0EEENS1_30default_config_static_selectorELNS0_4arch9wavefront6targetE1EEEvT1_,comdat
	.protected	_ZN7rocprim17ROCPRIM_400000_NS6detail17trampoline_kernelINS0_14default_configENS1_25partition_config_selectorILNS1_17partition_subalgoE8EfNS0_10empty_typeEbEEZZNS1_14partition_implILS5_8ELb0ES3_jN6thrust23THRUST_200600_302600_NS6detail15normal_iteratorINSA_10device_ptrIfEEEEPS6_PKS6_NS0_5tupleIJSF_S6_EEENSJ_IJSG_SG_EEENS0_18inequality_wrapperINSA_8equal_toIfEEEEPmJS6_EEE10hipError_tPvRmT3_T4_T5_T6_T7_T9_mT8_P12ihipStream_tbDpT10_ENKUlT_T0_E_clISt17integral_constantIbLb1EES1A_EEDaS15_S16_EUlS15_E_NS1_11comp_targetILNS1_3genE8ELNS1_11target_archE1030ELNS1_3gpuE2ELNS1_3repE0EEENS1_30default_config_static_selectorELNS0_4arch9wavefront6targetE1EEEvT1_ ; -- Begin function _ZN7rocprim17ROCPRIM_400000_NS6detail17trampoline_kernelINS0_14default_configENS1_25partition_config_selectorILNS1_17partition_subalgoE8EfNS0_10empty_typeEbEEZZNS1_14partition_implILS5_8ELb0ES3_jN6thrust23THRUST_200600_302600_NS6detail15normal_iteratorINSA_10device_ptrIfEEEEPS6_PKS6_NS0_5tupleIJSF_S6_EEENSJ_IJSG_SG_EEENS0_18inequality_wrapperINSA_8equal_toIfEEEEPmJS6_EEE10hipError_tPvRmT3_T4_T5_T6_T7_T9_mT8_P12ihipStream_tbDpT10_ENKUlT_T0_E_clISt17integral_constantIbLb1EES1A_EEDaS15_S16_EUlS15_E_NS1_11comp_targetILNS1_3genE8ELNS1_11target_archE1030ELNS1_3gpuE2ELNS1_3repE0EEENS1_30default_config_static_selectorELNS0_4arch9wavefront6targetE1EEEvT1_
	.globl	_ZN7rocprim17ROCPRIM_400000_NS6detail17trampoline_kernelINS0_14default_configENS1_25partition_config_selectorILNS1_17partition_subalgoE8EfNS0_10empty_typeEbEEZZNS1_14partition_implILS5_8ELb0ES3_jN6thrust23THRUST_200600_302600_NS6detail15normal_iteratorINSA_10device_ptrIfEEEEPS6_PKS6_NS0_5tupleIJSF_S6_EEENSJ_IJSG_SG_EEENS0_18inequality_wrapperINSA_8equal_toIfEEEEPmJS6_EEE10hipError_tPvRmT3_T4_T5_T6_T7_T9_mT8_P12ihipStream_tbDpT10_ENKUlT_T0_E_clISt17integral_constantIbLb1EES1A_EEDaS15_S16_EUlS15_E_NS1_11comp_targetILNS1_3genE8ELNS1_11target_archE1030ELNS1_3gpuE2ELNS1_3repE0EEENS1_30default_config_static_selectorELNS0_4arch9wavefront6targetE1EEEvT1_
	.p2align	8
	.type	_ZN7rocprim17ROCPRIM_400000_NS6detail17trampoline_kernelINS0_14default_configENS1_25partition_config_selectorILNS1_17partition_subalgoE8EfNS0_10empty_typeEbEEZZNS1_14partition_implILS5_8ELb0ES3_jN6thrust23THRUST_200600_302600_NS6detail15normal_iteratorINSA_10device_ptrIfEEEEPS6_PKS6_NS0_5tupleIJSF_S6_EEENSJ_IJSG_SG_EEENS0_18inequality_wrapperINSA_8equal_toIfEEEEPmJS6_EEE10hipError_tPvRmT3_T4_T5_T6_T7_T9_mT8_P12ihipStream_tbDpT10_ENKUlT_T0_E_clISt17integral_constantIbLb1EES1A_EEDaS15_S16_EUlS15_E_NS1_11comp_targetILNS1_3genE8ELNS1_11target_archE1030ELNS1_3gpuE2ELNS1_3repE0EEENS1_30default_config_static_selectorELNS0_4arch9wavefront6targetE1EEEvT1_,@function
_ZN7rocprim17ROCPRIM_400000_NS6detail17trampoline_kernelINS0_14default_configENS1_25partition_config_selectorILNS1_17partition_subalgoE8EfNS0_10empty_typeEbEEZZNS1_14partition_implILS5_8ELb0ES3_jN6thrust23THRUST_200600_302600_NS6detail15normal_iteratorINSA_10device_ptrIfEEEEPS6_PKS6_NS0_5tupleIJSF_S6_EEENSJ_IJSG_SG_EEENS0_18inequality_wrapperINSA_8equal_toIfEEEEPmJS6_EEE10hipError_tPvRmT3_T4_T5_T6_T7_T9_mT8_P12ihipStream_tbDpT10_ENKUlT_T0_E_clISt17integral_constantIbLb1EES1A_EEDaS15_S16_EUlS15_E_NS1_11comp_targetILNS1_3genE8ELNS1_11target_archE1030ELNS1_3gpuE2ELNS1_3repE0EEENS1_30default_config_static_selectorELNS0_4arch9wavefront6targetE1EEEvT1_: ; @_ZN7rocprim17ROCPRIM_400000_NS6detail17trampoline_kernelINS0_14default_configENS1_25partition_config_selectorILNS1_17partition_subalgoE8EfNS0_10empty_typeEbEEZZNS1_14partition_implILS5_8ELb0ES3_jN6thrust23THRUST_200600_302600_NS6detail15normal_iteratorINSA_10device_ptrIfEEEEPS6_PKS6_NS0_5tupleIJSF_S6_EEENSJ_IJSG_SG_EEENS0_18inequality_wrapperINSA_8equal_toIfEEEEPmJS6_EEE10hipError_tPvRmT3_T4_T5_T6_T7_T9_mT8_P12ihipStream_tbDpT10_ENKUlT_T0_E_clISt17integral_constantIbLb1EES1A_EEDaS15_S16_EUlS15_E_NS1_11comp_targetILNS1_3genE8ELNS1_11target_archE1030ELNS1_3gpuE2ELNS1_3repE0EEENS1_30default_config_static_selectorELNS0_4arch9wavefront6targetE1EEEvT1_
; %bb.0:
	.section	.rodata,"a",@progbits
	.p2align	6, 0x0
	.amdhsa_kernel _ZN7rocprim17ROCPRIM_400000_NS6detail17trampoline_kernelINS0_14default_configENS1_25partition_config_selectorILNS1_17partition_subalgoE8EfNS0_10empty_typeEbEEZZNS1_14partition_implILS5_8ELb0ES3_jN6thrust23THRUST_200600_302600_NS6detail15normal_iteratorINSA_10device_ptrIfEEEEPS6_PKS6_NS0_5tupleIJSF_S6_EEENSJ_IJSG_SG_EEENS0_18inequality_wrapperINSA_8equal_toIfEEEEPmJS6_EEE10hipError_tPvRmT3_T4_T5_T6_T7_T9_mT8_P12ihipStream_tbDpT10_ENKUlT_T0_E_clISt17integral_constantIbLb1EES1A_EEDaS15_S16_EUlS15_E_NS1_11comp_targetILNS1_3genE8ELNS1_11target_archE1030ELNS1_3gpuE2ELNS1_3repE0EEENS1_30default_config_static_selectorELNS0_4arch9wavefront6targetE1EEEvT1_
		.amdhsa_group_segment_fixed_size 0
		.amdhsa_private_segment_fixed_size 0
		.amdhsa_kernarg_size 128
		.amdhsa_user_sgpr_count 6
		.amdhsa_user_sgpr_private_segment_buffer 1
		.amdhsa_user_sgpr_dispatch_ptr 0
		.amdhsa_user_sgpr_queue_ptr 0
		.amdhsa_user_sgpr_kernarg_segment_ptr 1
		.amdhsa_user_sgpr_dispatch_id 0
		.amdhsa_user_sgpr_flat_scratch_init 0
		.amdhsa_user_sgpr_private_segment_size 0
		.amdhsa_uses_dynamic_stack 0
		.amdhsa_system_sgpr_private_segment_wavefront_offset 0
		.amdhsa_system_sgpr_workgroup_id_x 1
		.amdhsa_system_sgpr_workgroup_id_y 0
		.amdhsa_system_sgpr_workgroup_id_z 0
		.amdhsa_system_sgpr_workgroup_info 0
		.amdhsa_system_vgpr_workitem_id 0
		.amdhsa_next_free_vgpr 1
		.amdhsa_next_free_sgpr 0
		.amdhsa_reserve_vcc 0
		.amdhsa_reserve_flat_scratch 0
		.amdhsa_float_round_mode_32 0
		.amdhsa_float_round_mode_16_64 0
		.amdhsa_float_denorm_mode_32 3
		.amdhsa_float_denorm_mode_16_64 3
		.amdhsa_dx10_clamp 1
		.amdhsa_ieee_mode 1
		.amdhsa_fp16_overflow 0
		.amdhsa_exception_fp_ieee_invalid_op 0
		.amdhsa_exception_fp_denorm_src 0
		.amdhsa_exception_fp_ieee_div_zero 0
		.amdhsa_exception_fp_ieee_overflow 0
		.amdhsa_exception_fp_ieee_underflow 0
		.amdhsa_exception_fp_ieee_inexact 0
		.amdhsa_exception_int_div_zero 0
	.end_amdhsa_kernel
	.section	.text._ZN7rocprim17ROCPRIM_400000_NS6detail17trampoline_kernelINS0_14default_configENS1_25partition_config_selectorILNS1_17partition_subalgoE8EfNS0_10empty_typeEbEEZZNS1_14partition_implILS5_8ELb0ES3_jN6thrust23THRUST_200600_302600_NS6detail15normal_iteratorINSA_10device_ptrIfEEEEPS6_PKS6_NS0_5tupleIJSF_S6_EEENSJ_IJSG_SG_EEENS0_18inequality_wrapperINSA_8equal_toIfEEEEPmJS6_EEE10hipError_tPvRmT3_T4_T5_T6_T7_T9_mT8_P12ihipStream_tbDpT10_ENKUlT_T0_E_clISt17integral_constantIbLb1EES1A_EEDaS15_S16_EUlS15_E_NS1_11comp_targetILNS1_3genE8ELNS1_11target_archE1030ELNS1_3gpuE2ELNS1_3repE0EEENS1_30default_config_static_selectorELNS0_4arch9wavefront6targetE1EEEvT1_,"axG",@progbits,_ZN7rocprim17ROCPRIM_400000_NS6detail17trampoline_kernelINS0_14default_configENS1_25partition_config_selectorILNS1_17partition_subalgoE8EfNS0_10empty_typeEbEEZZNS1_14partition_implILS5_8ELb0ES3_jN6thrust23THRUST_200600_302600_NS6detail15normal_iteratorINSA_10device_ptrIfEEEEPS6_PKS6_NS0_5tupleIJSF_S6_EEENSJ_IJSG_SG_EEENS0_18inequality_wrapperINSA_8equal_toIfEEEEPmJS6_EEE10hipError_tPvRmT3_T4_T5_T6_T7_T9_mT8_P12ihipStream_tbDpT10_ENKUlT_T0_E_clISt17integral_constantIbLb1EES1A_EEDaS15_S16_EUlS15_E_NS1_11comp_targetILNS1_3genE8ELNS1_11target_archE1030ELNS1_3gpuE2ELNS1_3repE0EEENS1_30default_config_static_selectorELNS0_4arch9wavefront6targetE1EEEvT1_,comdat
.Lfunc_end95:
	.size	_ZN7rocprim17ROCPRIM_400000_NS6detail17trampoline_kernelINS0_14default_configENS1_25partition_config_selectorILNS1_17partition_subalgoE8EfNS0_10empty_typeEbEEZZNS1_14partition_implILS5_8ELb0ES3_jN6thrust23THRUST_200600_302600_NS6detail15normal_iteratorINSA_10device_ptrIfEEEEPS6_PKS6_NS0_5tupleIJSF_S6_EEENSJ_IJSG_SG_EEENS0_18inequality_wrapperINSA_8equal_toIfEEEEPmJS6_EEE10hipError_tPvRmT3_T4_T5_T6_T7_T9_mT8_P12ihipStream_tbDpT10_ENKUlT_T0_E_clISt17integral_constantIbLb1EES1A_EEDaS15_S16_EUlS15_E_NS1_11comp_targetILNS1_3genE8ELNS1_11target_archE1030ELNS1_3gpuE2ELNS1_3repE0EEENS1_30default_config_static_selectorELNS0_4arch9wavefront6targetE1EEEvT1_, .Lfunc_end95-_ZN7rocprim17ROCPRIM_400000_NS6detail17trampoline_kernelINS0_14default_configENS1_25partition_config_selectorILNS1_17partition_subalgoE8EfNS0_10empty_typeEbEEZZNS1_14partition_implILS5_8ELb0ES3_jN6thrust23THRUST_200600_302600_NS6detail15normal_iteratorINSA_10device_ptrIfEEEEPS6_PKS6_NS0_5tupleIJSF_S6_EEENSJ_IJSG_SG_EEENS0_18inequality_wrapperINSA_8equal_toIfEEEEPmJS6_EEE10hipError_tPvRmT3_T4_T5_T6_T7_T9_mT8_P12ihipStream_tbDpT10_ENKUlT_T0_E_clISt17integral_constantIbLb1EES1A_EEDaS15_S16_EUlS15_E_NS1_11comp_targetILNS1_3genE8ELNS1_11target_archE1030ELNS1_3gpuE2ELNS1_3repE0EEENS1_30default_config_static_selectorELNS0_4arch9wavefront6targetE1EEEvT1_
                                        ; -- End function
	.set _ZN7rocprim17ROCPRIM_400000_NS6detail17trampoline_kernelINS0_14default_configENS1_25partition_config_selectorILNS1_17partition_subalgoE8EfNS0_10empty_typeEbEEZZNS1_14partition_implILS5_8ELb0ES3_jN6thrust23THRUST_200600_302600_NS6detail15normal_iteratorINSA_10device_ptrIfEEEEPS6_PKS6_NS0_5tupleIJSF_S6_EEENSJ_IJSG_SG_EEENS0_18inequality_wrapperINSA_8equal_toIfEEEEPmJS6_EEE10hipError_tPvRmT3_T4_T5_T6_T7_T9_mT8_P12ihipStream_tbDpT10_ENKUlT_T0_E_clISt17integral_constantIbLb1EES1A_EEDaS15_S16_EUlS15_E_NS1_11comp_targetILNS1_3genE8ELNS1_11target_archE1030ELNS1_3gpuE2ELNS1_3repE0EEENS1_30default_config_static_selectorELNS0_4arch9wavefront6targetE1EEEvT1_.num_vgpr, 0
	.set _ZN7rocprim17ROCPRIM_400000_NS6detail17trampoline_kernelINS0_14default_configENS1_25partition_config_selectorILNS1_17partition_subalgoE8EfNS0_10empty_typeEbEEZZNS1_14partition_implILS5_8ELb0ES3_jN6thrust23THRUST_200600_302600_NS6detail15normal_iteratorINSA_10device_ptrIfEEEEPS6_PKS6_NS0_5tupleIJSF_S6_EEENSJ_IJSG_SG_EEENS0_18inequality_wrapperINSA_8equal_toIfEEEEPmJS6_EEE10hipError_tPvRmT3_T4_T5_T6_T7_T9_mT8_P12ihipStream_tbDpT10_ENKUlT_T0_E_clISt17integral_constantIbLb1EES1A_EEDaS15_S16_EUlS15_E_NS1_11comp_targetILNS1_3genE8ELNS1_11target_archE1030ELNS1_3gpuE2ELNS1_3repE0EEENS1_30default_config_static_selectorELNS0_4arch9wavefront6targetE1EEEvT1_.num_agpr, 0
	.set _ZN7rocprim17ROCPRIM_400000_NS6detail17trampoline_kernelINS0_14default_configENS1_25partition_config_selectorILNS1_17partition_subalgoE8EfNS0_10empty_typeEbEEZZNS1_14partition_implILS5_8ELb0ES3_jN6thrust23THRUST_200600_302600_NS6detail15normal_iteratorINSA_10device_ptrIfEEEEPS6_PKS6_NS0_5tupleIJSF_S6_EEENSJ_IJSG_SG_EEENS0_18inequality_wrapperINSA_8equal_toIfEEEEPmJS6_EEE10hipError_tPvRmT3_T4_T5_T6_T7_T9_mT8_P12ihipStream_tbDpT10_ENKUlT_T0_E_clISt17integral_constantIbLb1EES1A_EEDaS15_S16_EUlS15_E_NS1_11comp_targetILNS1_3genE8ELNS1_11target_archE1030ELNS1_3gpuE2ELNS1_3repE0EEENS1_30default_config_static_selectorELNS0_4arch9wavefront6targetE1EEEvT1_.numbered_sgpr, 0
	.set _ZN7rocprim17ROCPRIM_400000_NS6detail17trampoline_kernelINS0_14default_configENS1_25partition_config_selectorILNS1_17partition_subalgoE8EfNS0_10empty_typeEbEEZZNS1_14partition_implILS5_8ELb0ES3_jN6thrust23THRUST_200600_302600_NS6detail15normal_iteratorINSA_10device_ptrIfEEEEPS6_PKS6_NS0_5tupleIJSF_S6_EEENSJ_IJSG_SG_EEENS0_18inequality_wrapperINSA_8equal_toIfEEEEPmJS6_EEE10hipError_tPvRmT3_T4_T5_T6_T7_T9_mT8_P12ihipStream_tbDpT10_ENKUlT_T0_E_clISt17integral_constantIbLb1EES1A_EEDaS15_S16_EUlS15_E_NS1_11comp_targetILNS1_3genE8ELNS1_11target_archE1030ELNS1_3gpuE2ELNS1_3repE0EEENS1_30default_config_static_selectorELNS0_4arch9wavefront6targetE1EEEvT1_.num_named_barrier, 0
	.set _ZN7rocprim17ROCPRIM_400000_NS6detail17trampoline_kernelINS0_14default_configENS1_25partition_config_selectorILNS1_17partition_subalgoE8EfNS0_10empty_typeEbEEZZNS1_14partition_implILS5_8ELb0ES3_jN6thrust23THRUST_200600_302600_NS6detail15normal_iteratorINSA_10device_ptrIfEEEEPS6_PKS6_NS0_5tupleIJSF_S6_EEENSJ_IJSG_SG_EEENS0_18inequality_wrapperINSA_8equal_toIfEEEEPmJS6_EEE10hipError_tPvRmT3_T4_T5_T6_T7_T9_mT8_P12ihipStream_tbDpT10_ENKUlT_T0_E_clISt17integral_constantIbLb1EES1A_EEDaS15_S16_EUlS15_E_NS1_11comp_targetILNS1_3genE8ELNS1_11target_archE1030ELNS1_3gpuE2ELNS1_3repE0EEENS1_30default_config_static_selectorELNS0_4arch9wavefront6targetE1EEEvT1_.private_seg_size, 0
	.set _ZN7rocprim17ROCPRIM_400000_NS6detail17trampoline_kernelINS0_14default_configENS1_25partition_config_selectorILNS1_17partition_subalgoE8EfNS0_10empty_typeEbEEZZNS1_14partition_implILS5_8ELb0ES3_jN6thrust23THRUST_200600_302600_NS6detail15normal_iteratorINSA_10device_ptrIfEEEEPS6_PKS6_NS0_5tupleIJSF_S6_EEENSJ_IJSG_SG_EEENS0_18inequality_wrapperINSA_8equal_toIfEEEEPmJS6_EEE10hipError_tPvRmT3_T4_T5_T6_T7_T9_mT8_P12ihipStream_tbDpT10_ENKUlT_T0_E_clISt17integral_constantIbLb1EES1A_EEDaS15_S16_EUlS15_E_NS1_11comp_targetILNS1_3genE8ELNS1_11target_archE1030ELNS1_3gpuE2ELNS1_3repE0EEENS1_30default_config_static_selectorELNS0_4arch9wavefront6targetE1EEEvT1_.uses_vcc, 0
	.set _ZN7rocprim17ROCPRIM_400000_NS6detail17trampoline_kernelINS0_14default_configENS1_25partition_config_selectorILNS1_17partition_subalgoE8EfNS0_10empty_typeEbEEZZNS1_14partition_implILS5_8ELb0ES3_jN6thrust23THRUST_200600_302600_NS6detail15normal_iteratorINSA_10device_ptrIfEEEEPS6_PKS6_NS0_5tupleIJSF_S6_EEENSJ_IJSG_SG_EEENS0_18inequality_wrapperINSA_8equal_toIfEEEEPmJS6_EEE10hipError_tPvRmT3_T4_T5_T6_T7_T9_mT8_P12ihipStream_tbDpT10_ENKUlT_T0_E_clISt17integral_constantIbLb1EES1A_EEDaS15_S16_EUlS15_E_NS1_11comp_targetILNS1_3genE8ELNS1_11target_archE1030ELNS1_3gpuE2ELNS1_3repE0EEENS1_30default_config_static_selectorELNS0_4arch9wavefront6targetE1EEEvT1_.uses_flat_scratch, 0
	.set _ZN7rocprim17ROCPRIM_400000_NS6detail17trampoline_kernelINS0_14default_configENS1_25partition_config_selectorILNS1_17partition_subalgoE8EfNS0_10empty_typeEbEEZZNS1_14partition_implILS5_8ELb0ES3_jN6thrust23THRUST_200600_302600_NS6detail15normal_iteratorINSA_10device_ptrIfEEEEPS6_PKS6_NS0_5tupleIJSF_S6_EEENSJ_IJSG_SG_EEENS0_18inequality_wrapperINSA_8equal_toIfEEEEPmJS6_EEE10hipError_tPvRmT3_T4_T5_T6_T7_T9_mT8_P12ihipStream_tbDpT10_ENKUlT_T0_E_clISt17integral_constantIbLb1EES1A_EEDaS15_S16_EUlS15_E_NS1_11comp_targetILNS1_3genE8ELNS1_11target_archE1030ELNS1_3gpuE2ELNS1_3repE0EEENS1_30default_config_static_selectorELNS0_4arch9wavefront6targetE1EEEvT1_.has_dyn_sized_stack, 0
	.set _ZN7rocprim17ROCPRIM_400000_NS6detail17trampoline_kernelINS0_14default_configENS1_25partition_config_selectorILNS1_17partition_subalgoE8EfNS0_10empty_typeEbEEZZNS1_14partition_implILS5_8ELb0ES3_jN6thrust23THRUST_200600_302600_NS6detail15normal_iteratorINSA_10device_ptrIfEEEEPS6_PKS6_NS0_5tupleIJSF_S6_EEENSJ_IJSG_SG_EEENS0_18inequality_wrapperINSA_8equal_toIfEEEEPmJS6_EEE10hipError_tPvRmT3_T4_T5_T6_T7_T9_mT8_P12ihipStream_tbDpT10_ENKUlT_T0_E_clISt17integral_constantIbLb1EES1A_EEDaS15_S16_EUlS15_E_NS1_11comp_targetILNS1_3genE8ELNS1_11target_archE1030ELNS1_3gpuE2ELNS1_3repE0EEENS1_30default_config_static_selectorELNS0_4arch9wavefront6targetE1EEEvT1_.has_recursion, 0
	.set _ZN7rocprim17ROCPRIM_400000_NS6detail17trampoline_kernelINS0_14default_configENS1_25partition_config_selectorILNS1_17partition_subalgoE8EfNS0_10empty_typeEbEEZZNS1_14partition_implILS5_8ELb0ES3_jN6thrust23THRUST_200600_302600_NS6detail15normal_iteratorINSA_10device_ptrIfEEEEPS6_PKS6_NS0_5tupleIJSF_S6_EEENSJ_IJSG_SG_EEENS0_18inequality_wrapperINSA_8equal_toIfEEEEPmJS6_EEE10hipError_tPvRmT3_T4_T5_T6_T7_T9_mT8_P12ihipStream_tbDpT10_ENKUlT_T0_E_clISt17integral_constantIbLb1EES1A_EEDaS15_S16_EUlS15_E_NS1_11comp_targetILNS1_3genE8ELNS1_11target_archE1030ELNS1_3gpuE2ELNS1_3repE0EEENS1_30default_config_static_selectorELNS0_4arch9wavefront6targetE1EEEvT1_.has_indirect_call, 0
	.section	.AMDGPU.csdata,"",@progbits
; Kernel info:
; codeLenInByte = 0
; TotalNumSgprs: 4
; NumVgprs: 0
; ScratchSize: 0
; MemoryBound: 0
; FloatMode: 240
; IeeeMode: 1
; LDSByteSize: 0 bytes/workgroup (compile time only)
; SGPRBlocks: 0
; VGPRBlocks: 0
; NumSGPRsForWavesPerEU: 4
; NumVGPRsForWavesPerEU: 1
; Occupancy: 10
; WaveLimiterHint : 0
; COMPUTE_PGM_RSRC2:SCRATCH_EN: 0
; COMPUTE_PGM_RSRC2:USER_SGPR: 6
; COMPUTE_PGM_RSRC2:TRAP_HANDLER: 0
; COMPUTE_PGM_RSRC2:TGID_X_EN: 1
; COMPUTE_PGM_RSRC2:TGID_Y_EN: 0
; COMPUTE_PGM_RSRC2:TGID_Z_EN: 0
; COMPUTE_PGM_RSRC2:TIDIG_COMP_CNT: 0
	.section	.text._ZN7rocprim17ROCPRIM_400000_NS6detail17trampoline_kernelINS0_14default_configENS1_25partition_config_selectorILNS1_17partition_subalgoE8EfNS0_10empty_typeEbEEZZNS1_14partition_implILS5_8ELb0ES3_jN6thrust23THRUST_200600_302600_NS6detail15normal_iteratorINSA_10device_ptrIfEEEEPS6_PKS6_NS0_5tupleIJSF_S6_EEENSJ_IJSG_SG_EEENS0_18inequality_wrapperINSA_8equal_toIfEEEEPmJS6_EEE10hipError_tPvRmT3_T4_T5_T6_T7_T9_mT8_P12ihipStream_tbDpT10_ENKUlT_T0_E_clISt17integral_constantIbLb1EES19_IbLb0EEEEDaS15_S16_EUlS15_E_NS1_11comp_targetILNS1_3genE0ELNS1_11target_archE4294967295ELNS1_3gpuE0ELNS1_3repE0EEENS1_30default_config_static_selectorELNS0_4arch9wavefront6targetE1EEEvT1_,"axG",@progbits,_ZN7rocprim17ROCPRIM_400000_NS6detail17trampoline_kernelINS0_14default_configENS1_25partition_config_selectorILNS1_17partition_subalgoE8EfNS0_10empty_typeEbEEZZNS1_14partition_implILS5_8ELb0ES3_jN6thrust23THRUST_200600_302600_NS6detail15normal_iteratorINSA_10device_ptrIfEEEEPS6_PKS6_NS0_5tupleIJSF_S6_EEENSJ_IJSG_SG_EEENS0_18inequality_wrapperINSA_8equal_toIfEEEEPmJS6_EEE10hipError_tPvRmT3_T4_T5_T6_T7_T9_mT8_P12ihipStream_tbDpT10_ENKUlT_T0_E_clISt17integral_constantIbLb1EES19_IbLb0EEEEDaS15_S16_EUlS15_E_NS1_11comp_targetILNS1_3genE0ELNS1_11target_archE4294967295ELNS1_3gpuE0ELNS1_3repE0EEENS1_30default_config_static_selectorELNS0_4arch9wavefront6targetE1EEEvT1_,comdat
	.protected	_ZN7rocprim17ROCPRIM_400000_NS6detail17trampoline_kernelINS0_14default_configENS1_25partition_config_selectorILNS1_17partition_subalgoE8EfNS0_10empty_typeEbEEZZNS1_14partition_implILS5_8ELb0ES3_jN6thrust23THRUST_200600_302600_NS6detail15normal_iteratorINSA_10device_ptrIfEEEEPS6_PKS6_NS0_5tupleIJSF_S6_EEENSJ_IJSG_SG_EEENS0_18inequality_wrapperINSA_8equal_toIfEEEEPmJS6_EEE10hipError_tPvRmT3_T4_T5_T6_T7_T9_mT8_P12ihipStream_tbDpT10_ENKUlT_T0_E_clISt17integral_constantIbLb1EES19_IbLb0EEEEDaS15_S16_EUlS15_E_NS1_11comp_targetILNS1_3genE0ELNS1_11target_archE4294967295ELNS1_3gpuE0ELNS1_3repE0EEENS1_30default_config_static_selectorELNS0_4arch9wavefront6targetE1EEEvT1_ ; -- Begin function _ZN7rocprim17ROCPRIM_400000_NS6detail17trampoline_kernelINS0_14default_configENS1_25partition_config_selectorILNS1_17partition_subalgoE8EfNS0_10empty_typeEbEEZZNS1_14partition_implILS5_8ELb0ES3_jN6thrust23THRUST_200600_302600_NS6detail15normal_iteratorINSA_10device_ptrIfEEEEPS6_PKS6_NS0_5tupleIJSF_S6_EEENSJ_IJSG_SG_EEENS0_18inequality_wrapperINSA_8equal_toIfEEEEPmJS6_EEE10hipError_tPvRmT3_T4_T5_T6_T7_T9_mT8_P12ihipStream_tbDpT10_ENKUlT_T0_E_clISt17integral_constantIbLb1EES19_IbLb0EEEEDaS15_S16_EUlS15_E_NS1_11comp_targetILNS1_3genE0ELNS1_11target_archE4294967295ELNS1_3gpuE0ELNS1_3repE0EEENS1_30default_config_static_selectorELNS0_4arch9wavefront6targetE1EEEvT1_
	.globl	_ZN7rocprim17ROCPRIM_400000_NS6detail17trampoline_kernelINS0_14default_configENS1_25partition_config_selectorILNS1_17partition_subalgoE8EfNS0_10empty_typeEbEEZZNS1_14partition_implILS5_8ELb0ES3_jN6thrust23THRUST_200600_302600_NS6detail15normal_iteratorINSA_10device_ptrIfEEEEPS6_PKS6_NS0_5tupleIJSF_S6_EEENSJ_IJSG_SG_EEENS0_18inequality_wrapperINSA_8equal_toIfEEEEPmJS6_EEE10hipError_tPvRmT3_T4_T5_T6_T7_T9_mT8_P12ihipStream_tbDpT10_ENKUlT_T0_E_clISt17integral_constantIbLb1EES19_IbLb0EEEEDaS15_S16_EUlS15_E_NS1_11comp_targetILNS1_3genE0ELNS1_11target_archE4294967295ELNS1_3gpuE0ELNS1_3repE0EEENS1_30default_config_static_selectorELNS0_4arch9wavefront6targetE1EEEvT1_
	.p2align	8
	.type	_ZN7rocprim17ROCPRIM_400000_NS6detail17trampoline_kernelINS0_14default_configENS1_25partition_config_selectorILNS1_17partition_subalgoE8EfNS0_10empty_typeEbEEZZNS1_14partition_implILS5_8ELb0ES3_jN6thrust23THRUST_200600_302600_NS6detail15normal_iteratorINSA_10device_ptrIfEEEEPS6_PKS6_NS0_5tupleIJSF_S6_EEENSJ_IJSG_SG_EEENS0_18inequality_wrapperINSA_8equal_toIfEEEEPmJS6_EEE10hipError_tPvRmT3_T4_T5_T6_T7_T9_mT8_P12ihipStream_tbDpT10_ENKUlT_T0_E_clISt17integral_constantIbLb1EES19_IbLb0EEEEDaS15_S16_EUlS15_E_NS1_11comp_targetILNS1_3genE0ELNS1_11target_archE4294967295ELNS1_3gpuE0ELNS1_3repE0EEENS1_30default_config_static_selectorELNS0_4arch9wavefront6targetE1EEEvT1_,@function
_ZN7rocprim17ROCPRIM_400000_NS6detail17trampoline_kernelINS0_14default_configENS1_25partition_config_selectorILNS1_17partition_subalgoE8EfNS0_10empty_typeEbEEZZNS1_14partition_implILS5_8ELb0ES3_jN6thrust23THRUST_200600_302600_NS6detail15normal_iteratorINSA_10device_ptrIfEEEEPS6_PKS6_NS0_5tupleIJSF_S6_EEENSJ_IJSG_SG_EEENS0_18inequality_wrapperINSA_8equal_toIfEEEEPmJS6_EEE10hipError_tPvRmT3_T4_T5_T6_T7_T9_mT8_P12ihipStream_tbDpT10_ENKUlT_T0_E_clISt17integral_constantIbLb1EES19_IbLb0EEEEDaS15_S16_EUlS15_E_NS1_11comp_targetILNS1_3genE0ELNS1_11target_archE4294967295ELNS1_3gpuE0ELNS1_3repE0EEENS1_30default_config_static_selectorELNS0_4arch9wavefront6targetE1EEEvT1_: ; @_ZN7rocprim17ROCPRIM_400000_NS6detail17trampoline_kernelINS0_14default_configENS1_25partition_config_selectorILNS1_17partition_subalgoE8EfNS0_10empty_typeEbEEZZNS1_14partition_implILS5_8ELb0ES3_jN6thrust23THRUST_200600_302600_NS6detail15normal_iteratorINSA_10device_ptrIfEEEEPS6_PKS6_NS0_5tupleIJSF_S6_EEENSJ_IJSG_SG_EEENS0_18inequality_wrapperINSA_8equal_toIfEEEEPmJS6_EEE10hipError_tPvRmT3_T4_T5_T6_T7_T9_mT8_P12ihipStream_tbDpT10_ENKUlT_T0_E_clISt17integral_constantIbLb1EES19_IbLb0EEEEDaS15_S16_EUlS15_E_NS1_11comp_targetILNS1_3genE0ELNS1_11target_archE4294967295ELNS1_3gpuE0ELNS1_3repE0EEENS1_30default_config_static_selectorELNS0_4arch9wavefront6targetE1EEEvT1_
; %bb.0:
	.section	.rodata,"a",@progbits
	.p2align	6, 0x0
	.amdhsa_kernel _ZN7rocprim17ROCPRIM_400000_NS6detail17trampoline_kernelINS0_14default_configENS1_25partition_config_selectorILNS1_17partition_subalgoE8EfNS0_10empty_typeEbEEZZNS1_14partition_implILS5_8ELb0ES3_jN6thrust23THRUST_200600_302600_NS6detail15normal_iteratorINSA_10device_ptrIfEEEEPS6_PKS6_NS0_5tupleIJSF_S6_EEENSJ_IJSG_SG_EEENS0_18inequality_wrapperINSA_8equal_toIfEEEEPmJS6_EEE10hipError_tPvRmT3_T4_T5_T6_T7_T9_mT8_P12ihipStream_tbDpT10_ENKUlT_T0_E_clISt17integral_constantIbLb1EES19_IbLb0EEEEDaS15_S16_EUlS15_E_NS1_11comp_targetILNS1_3genE0ELNS1_11target_archE4294967295ELNS1_3gpuE0ELNS1_3repE0EEENS1_30default_config_static_selectorELNS0_4arch9wavefront6targetE1EEEvT1_
		.amdhsa_group_segment_fixed_size 0
		.amdhsa_private_segment_fixed_size 0
		.amdhsa_kernarg_size 112
		.amdhsa_user_sgpr_count 6
		.amdhsa_user_sgpr_private_segment_buffer 1
		.amdhsa_user_sgpr_dispatch_ptr 0
		.amdhsa_user_sgpr_queue_ptr 0
		.amdhsa_user_sgpr_kernarg_segment_ptr 1
		.amdhsa_user_sgpr_dispatch_id 0
		.amdhsa_user_sgpr_flat_scratch_init 0
		.amdhsa_user_sgpr_private_segment_size 0
		.amdhsa_uses_dynamic_stack 0
		.amdhsa_system_sgpr_private_segment_wavefront_offset 0
		.amdhsa_system_sgpr_workgroup_id_x 1
		.amdhsa_system_sgpr_workgroup_id_y 0
		.amdhsa_system_sgpr_workgroup_id_z 0
		.amdhsa_system_sgpr_workgroup_info 0
		.amdhsa_system_vgpr_workitem_id 0
		.amdhsa_next_free_vgpr 1
		.amdhsa_next_free_sgpr 0
		.amdhsa_reserve_vcc 0
		.amdhsa_reserve_flat_scratch 0
		.amdhsa_float_round_mode_32 0
		.amdhsa_float_round_mode_16_64 0
		.amdhsa_float_denorm_mode_32 3
		.amdhsa_float_denorm_mode_16_64 3
		.amdhsa_dx10_clamp 1
		.amdhsa_ieee_mode 1
		.amdhsa_fp16_overflow 0
		.amdhsa_exception_fp_ieee_invalid_op 0
		.amdhsa_exception_fp_denorm_src 0
		.amdhsa_exception_fp_ieee_div_zero 0
		.amdhsa_exception_fp_ieee_overflow 0
		.amdhsa_exception_fp_ieee_underflow 0
		.amdhsa_exception_fp_ieee_inexact 0
		.amdhsa_exception_int_div_zero 0
	.end_amdhsa_kernel
	.section	.text._ZN7rocprim17ROCPRIM_400000_NS6detail17trampoline_kernelINS0_14default_configENS1_25partition_config_selectorILNS1_17partition_subalgoE8EfNS0_10empty_typeEbEEZZNS1_14partition_implILS5_8ELb0ES3_jN6thrust23THRUST_200600_302600_NS6detail15normal_iteratorINSA_10device_ptrIfEEEEPS6_PKS6_NS0_5tupleIJSF_S6_EEENSJ_IJSG_SG_EEENS0_18inequality_wrapperINSA_8equal_toIfEEEEPmJS6_EEE10hipError_tPvRmT3_T4_T5_T6_T7_T9_mT8_P12ihipStream_tbDpT10_ENKUlT_T0_E_clISt17integral_constantIbLb1EES19_IbLb0EEEEDaS15_S16_EUlS15_E_NS1_11comp_targetILNS1_3genE0ELNS1_11target_archE4294967295ELNS1_3gpuE0ELNS1_3repE0EEENS1_30default_config_static_selectorELNS0_4arch9wavefront6targetE1EEEvT1_,"axG",@progbits,_ZN7rocprim17ROCPRIM_400000_NS6detail17trampoline_kernelINS0_14default_configENS1_25partition_config_selectorILNS1_17partition_subalgoE8EfNS0_10empty_typeEbEEZZNS1_14partition_implILS5_8ELb0ES3_jN6thrust23THRUST_200600_302600_NS6detail15normal_iteratorINSA_10device_ptrIfEEEEPS6_PKS6_NS0_5tupleIJSF_S6_EEENSJ_IJSG_SG_EEENS0_18inequality_wrapperINSA_8equal_toIfEEEEPmJS6_EEE10hipError_tPvRmT3_T4_T5_T6_T7_T9_mT8_P12ihipStream_tbDpT10_ENKUlT_T0_E_clISt17integral_constantIbLb1EES19_IbLb0EEEEDaS15_S16_EUlS15_E_NS1_11comp_targetILNS1_3genE0ELNS1_11target_archE4294967295ELNS1_3gpuE0ELNS1_3repE0EEENS1_30default_config_static_selectorELNS0_4arch9wavefront6targetE1EEEvT1_,comdat
.Lfunc_end96:
	.size	_ZN7rocprim17ROCPRIM_400000_NS6detail17trampoline_kernelINS0_14default_configENS1_25partition_config_selectorILNS1_17partition_subalgoE8EfNS0_10empty_typeEbEEZZNS1_14partition_implILS5_8ELb0ES3_jN6thrust23THRUST_200600_302600_NS6detail15normal_iteratorINSA_10device_ptrIfEEEEPS6_PKS6_NS0_5tupleIJSF_S6_EEENSJ_IJSG_SG_EEENS0_18inequality_wrapperINSA_8equal_toIfEEEEPmJS6_EEE10hipError_tPvRmT3_T4_T5_T6_T7_T9_mT8_P12ihipStream_tbDpT10_ENKUlT_T0_E_clISt17integral_constantIbLb1EES19_IbLb0EEEEDaS15_S16_EUlS15_E_NS1_11comp_targetILNS1_3genE0ELNS1_11target_archE4294967295ELNS1_3gpuE0ELNS1_3repE0EEENS1_30default_config_static_selectorELNS0_4arch9wavefront6targetE1EEEvT1_, .Lfunc_end96-_ZN7rocprim17ROCPRIM_400000_NS6detail17trampoline_kernelINS0_14default_configENS1_25partition_config_selectorILNS1_17partition_subalgoE8EfNS0_10empty_typeEbEEZZNS1_14partition_implILS5_8ELb0ES3_jN6thrust23THRUST_200600_302600_NS6detail15normal_iteratorINSA_10device_ptrIfEEEEPS6_PKS6_NS0_5tupleIJSF_S6_EEENSJ_IJSG_SG_EEENS0_18inequality_wrapperINSA_8equal_toIfEEEEPmJS6_EEE10hipError_tPvRmT3_T4_T5_T6_T7_T9_mT8_P12ihipStream_tbDpT10_ENKUlT_T0_E_clISt17integral_constantIbLb1EES19_IbLb0EEEEDaS15_S16_EUlS15_E_NS1_11comp_targetILNS1_3genE0ELNS1_11target_archE4294967295ELNS1_3gpuE0ELNS1_3repE0EEENS1_30default_config_static_selectorELNS0_4arch9wavefront6targetE1EEEvT1_
                                        ; -- End function
	.set _ZN7rocprim17ROCPRIM_400000_NS6detail17trampoline_kernelINS0_14default_configENS1_25partition_config_selectorILNS1_17partition_subalgoE8EfNS0_10empty_typeEbEEZZNS1_14partition_implILS5_8ELb0ES3_jN6thrust23THRUST_200600_302600_NS6detail15normal_iteratorINSA_10device_ptrIfEEEEPS6_PKS6_NS0_5tupleIJSF_S6_EEENSJ_IJSG_SG_EEENS0_18inequality_wrapperINSA_8equal_toIfEEEEPmJS6_EEE10hipError_tPvRmT3_T4_T5_T6_T7_T9_mT8_P12ihipStream_tbDpT10_ENKUlT_T0_E_clISt17integral_constantIbLb1EES19_IbLb0EEEEDaS15_S16_EUlS15_E_NS1_11comp_targetILNS1_3genE0ELNS1_11target_archE4294967295ELNS1_3gpuE0ELNS1_3repE0EEENS1_30default_config_static_selectorELNS0_4arch9wavefront6targetE1EEEvT1_.num_vgpr, 0
	.set _ZN7rocprim17ROCPRIM_400000_NS6detail17trampoline_kernelINS0_14default_configENS1_25partition_config_selectorILNS1_17partition_subalgoE8EfNS0_10empty_typeEbEEZZNS1_14partition_implILS5_8ELb0ES3_jN6thrust23THRUST_200600_302600_NS6detail15normal_iteratorINSA_10device_ptrIfEEEEPS6_PKS6_NS0_5tupleIJSF_S6_EEENSJ_IJSG_SG_EEENS0_18inequality_wrapperINSA_8equal_toIfEEEEPmJS6_EEE10hipError_tPvRmT3_T4_T5_T6_T7_T9_mT8_P12ihipStream_tbDpT10_ENKUlT_T0_E_clISt17integral_constantIbLb1EES19_IbLb0EEEEDaS15_S16_EUlS15_E_NS1_11comp_targetILNS1_3genE0ELNS1_11target_archE4294967295ELNS1_3gpuE0ELNS1_3repE0EEENS1_30default_config_static_selectorELNS0_4arch9wavefront6targetE1EEEvT1_.num_agpr, 0
	.set _ZN7rocprim17ROCPRIM_400000_NS6detail17trampoline_kernelINS0_14default_configENS1_25partition_config_selectorILNS1_17partition_subalgoE8EfNS0_10empty_typeEbEEZZNS1_14partition_implILS5_8ELb0ES3_jN6thrust23THRUST_200600_302600_NS6detail15normal_iteratorINSA_10device_ptrIfEEEEPS6_PKS6_NS0_5tupleIJSF_S6_EEENSJ_IJSG_SG_EEENS0_18inequality_wrapperINSA_8equal_toIfEEEEPmJS6_EEE10hipError_tPvRmT3_T4_T5_T6_T7_T9_mT8_P12ihipStream_tbDpT10_ENKUlT_T0_E_clISt17integral_constantIbLb1EES19_IbLb0EEEEDaS15_S16_EUlS15_E_NS1_11comp_targetILNS1_3genE0ELNS1_11target_archE4294967295ELNS1_3gpuE0ELNS1_3repE0EEENS1_30default_config_static_selectorELNS0_4arch9wavefront6targetE1EEEvT1_.numbered_sgpr, 0
	.set _ZN7rocprim17ROCPRIM_400000_NS6detail17trampoline_kernelINS0_14default_configENS1_25partition_config_selectorILNS1_17partition_subalgoE8EfNS0_10empty_typeEbEEZZNS1_14partition_implILS5_8ELb0ES3_jN6thrust23THRUST_200600_302600_NS6detail15normal_iteratorINSA_10device_ptrIfEEEEPS6_PKS6_NS0_5tupleIJSF_S6_EEENSJ_IJSG_SG_EEENS0_18inequality_wrapperINSA_8equal_toIfEEEEPmJS6_EEE10hipError_tPvRmT3_T4_T5_T6_T7_T9_mT8_P12ihipStream_tbDpT10_ENKUlT_T0_E_clISt17integral_constantIbLb1EES19_IbLb0EEEEDaS15_S16_EUlS15_E_NS1_11comp_targetILNS1_3genE0ELNS1_11target_archE4294967295ELNS1_3gpuE0ELNS1_3repE0EEENS1_30default_config_static_selectorELNS0_4arch9wavefront6targetE1EEEvT1_.num_named_barrier, 0
	.set _ZN7rocprim17ROCPRIM_400000_NS6detail17trampoline_kernelINS0_14default_configENS1_25partition_config_selectorILNS1_17partition_subalgoE8EfNS0_10empty_typeEbEEZZNS1_14partition_implILS5_8ELb0ES3_jN6thrust23THRUST_200600_302600_NS6detail15normal_iteratorINSA_10device_ptrIfEEEEPS6_PKS6_NS0_5tupleIJSF_S6_EEENSJ_IJSG_SG_EEENS0_18inequality_wrapperINSA_8equal_toIfEEEEPmJS6_EEE10hipError_tPvRmT3_T4_T5_T6_T7_T9_mT8_P12ihipStream_tbDpT10_ENKUlT_T0_E_clISt17integral_constantIbLb1EES19_IbLb0EEEEDaS15_S16_EUlS15_E_NS1_11comp_targetILNS1_3genE0ELNS1_11target_archE4294967295ELNS1_3gpuE0ELNS1_3repE0EEENS1_30default_config_static_selectorELNS0_4arch9wavefront6targetE1EEEvT1_.private_seg_size, 0
	.set _ZN7rocprim17ROCPRIM_400000_NS6detail17trampoline_kernelINS0_14default_configENS1_25partition_config_selectorILNS1_17partition_subalgoE8EfNS0_10empty_typeEbEEZZNS1_14partition_implILS5_8ELb0ES3_jN6thrust23THRUST_200600_302600_NS6detail15normal_iteratorINSA_10device_ptrIfEEEEPS6_PKS6_NS0_5tupleIJSF_S6_EEENSJ_IJSG_SG_EEENS0_18inequality_wrapperINSA_8equal_toIfEEEEPmJS6_EEE10hipError_tPvRmT3_T4_T5_T6_T7_T9_mT8_P12ihipStream_tbDpT10_ENKUlT_T0_E_clISt17integral_constantIbLb1EES19_IbLb0EEEEDaS15_S16_EUlS15_E_NS1_11comp_targetILNS1_3genE0ELNS1_11target_archE4294967295ELNS1_3gpuE0ELNS1_3repE0EEENS1_30default_config_static_selectorELNS0_4arch9wavefront6targetE1EEEvT1_.uses_vcc, 0
	.set _ZN7rocprim17ROCPRIM_400000_NS6detail17trampoline_kernelINS0_14default_configENS1_25partition_config_selectorILNS1_17partition_subalgoE8EfNS0_10empty_typeEbEEZZNS1_14partition_implILS5_8ELb0ES3_jN6thrust23THRUST_200600_302600_NS6detail15normal_iteratorINSA_10device_ptrIfEEEEPS6_PKS6_NS0_5tupleIJSF_S6_EEENSJ_IJSG_SG_EEENS0_18inequality_wrapperINSA_8equal_toIfEEEEPmJS6_EEE10hipError_tPvRmT3_T4_T5_T6_T7_T9_mT8_P12ihipStream_tbDpT10_ENKUlT_T0_E_clISt17integral_constantIbLb1EES19_IbLb0EEEEDaS15_S16_EUlS15_E_NS1_11comp_targetILNS1_3genE0ELNS1_11target_archE4294967295ELNS1_3gpuE0ELNS1_3repE0EEENS1_30default_config_static_selectorELNS0_4arch9wavefront6targetE1EEEvT1_.uses_flat_scratch, 0
	.set _ZN7rocprim17ROCPRIM_400000_NS6detail17trampoline_kernelINS0_14default_configENS1_25partition_config_selectorILNS1_17partition_subalgoE8EfNS0_10empty_typeEbEEZZNS1_14partition_implILS5_8ELb0ES3_jN6thrust23THRUST_200600_302600_NS6detail15normal_iteratorINSA_10device_ptrIfEEEEPS6_PKS6_NS0_5tupleIJSF_S6_EEENSJ_IJSG_SG_EEENS0_18inequality_wrapperINSA_8equal_toIfEEEEPmJS6_EEE10hipError_tPvRmT3_T4_T5_T6_T7_T9_mT8_P12ihipStream_tbDpT10_ENKUlT_T0_E_clISt17integral_constantIbLb1EES19_IbLb0EEEEDaS15_S16_EUlS15_E_NS1_11comp_targetILNS1_3genE0ELNS1_11target_archE4294967295ELNS1_3gpuE0ELNS1_3repE0EEENS1_30default_config_static_selectorELNS0_4arch9wavefront6targetE1EEEvT1_.has_dyn_sized_stack, 0
	.set _ZN7rocprim17ROCPRIM_400000_NS6detail17trampoline_kernelINS0_14default_configENS1_25partition_config_selectorILNS1_17partition_subalgoE8EfNS0_10empty_typeEbEEZZNS1_14partition_implILS5_8ELb0ES3_jN6thrust23THRUST_200600_302600_NS6detail15normal_iteratorINSA_10device_ptrIfEEEEPS6_PKS6_NS0_5tupleIJSF_S6_EEENSJ_IJSG_SG_EEENS0_18inequality_wrapperINSA_8equal_toIfEEEEPmJS6_EEE10hipError_tPvRmT3_T4_T5_T6_T7_T9_mT8_P12ihipStream_tbDpT10_ENKUlT_T0_E_clISt17integral_constantIbLb1EES19_IbLb0EEEEDaS15_S16_EUlS15_E_NS1_11comp_targetILNS1_3genE0ELNS1_11target_archE4294967295ELNS1_3gpuE0ELNS1_3repE0EEENS1_30default_config_static_selectorELNS0_4arch9wavefront6targetE1EEEvT1_.has_recursion, 0
	.set _ZN7rocprim17ROCPRIM_400000_NS6detail17trampoline_kernelINS0_14default_configENS1_25partition_config_selectorILNS1_17partition_subalgoE8EfNS0_10empty_typeEbEEZZNS1_14partition_implILS5_8ELb0ES3_jN6thrust23THRUST_200600_302600_NS6detail15normal_iteratorINSA_10device_ptrIfEEEEPS6_PKS6_NS0_5tupleIJSF_S6_EEENSJ_IJSG_SG_EEENS0_18inequality_wrapperINSA_8equal_toIfEEEEPmJS6_EEE10hipError_tPvRmT3_T4_T5_T6_T7_T9_mT8_P12ihipStream_tbDpT10_ENKUlT_T0_E_clISt17integral_constantIbLb1EES19_IbLb0EEEEDaS15_S16_EUlS15_E_NS1_11comp_targetILNS1_3genE0ELNS1_11target_archE4294967295ELNS1_3gpuE0ELNS1_3repE0EEENS1_30default_config_static_selectorELNS0_4arch9wavefront6targetE1EEEvT1_.has_indirect_call, 0
	.section	.AMDGPU.csdata,"",@progbits
; Kernel info:
; codeLenInByte = 0
; TotalNumSgprs: 4
; NumVgprs: 0
; ScratchSize: 0
; MemoryBound: 0
; FloatMode: 240
; IeeeMode: 1
; LDSByteSize: 0 bytes/workgroup (compile time only)
; SGPRBlocks: 0
; VGPRBlocks: 0
; NumSGPRsForWavesPerEU: 4
; NumVGPRsForWavesPerEU: 1
; Occupancy: 10
; WaveLimiterHint : 0
; COMPUTE_PGM_RSRC2:SCRATCH_EN: 0
; COMPUTE_PGM_RSRC2:USER_SGPR: 6
; COMPUTE_PGM_RSRC2:TRAP_HANDLER: 0
; COMPUTE_PGM_RSRC2:TGID_X_EN: 1
; COMPUTE_PGM_RSRC2:TGID_Y_EN: 0
; COMPUTE_PGM_RSRC2:TGID_Z_EN: 0
; COMPUTE_PGM_RSRC2:TIDIG_COMP_CNT: 0
	.section	.text._ZN7rocprim17ROCPRIM_400000_NS6detail17trampoline_kernelINS0_14default_configENS1_25partition_config_selectorILNS1_17partition_subalgoE8EfNS0_10empty_typeEbEEZZNS1_14partition_implILS5_8ELb0ES3_jN6thrust23THRUST_200600_302600_NS6detail15normal_iteratorINSA_10device_ptrIfEEEEPS6_PKS6_NS0_5tupleIJSF_S6_EEENSJ_IJSG_SG_EEENS0_18inequality_wrapperINSA_8equal_toIfEEEEPmJS6_EEE10hipError_tPvRmT3_T4_T5_T6_T7_T9_mT8_P12ihipStream_tbDpT10_ENKUlT_T0_E_clISt17integral_constantIbLb1EES19_IbLb0EEEEDaS15_S16_EUlS15_E_NS1_11comp_targetILNS1_3genE5ELNS1_11target_archE942ELNS1_3gpuE9ELNS1_3repE0EEENS1_30default_config_static_selectorELNS0_4arch9wavefront6targetE1EEEvT1_,"axG",@progbits,_ZN7rocprim17ROCPRIM_400000_NS6detail17trampoline_kernelINS0_14default_configENS1_25partition_config_selectorILNS1_17partition_subalgoE8EfNS0_10empty_typeEbEEZZNS1_14partition_implILS5_8ELb0ES3_jN6thrust23THRUST_200600_302600_NS6detail15normal_iteratorINSA_10device_ptrIfEEEEPS6_PKS6_NS0_5tupleIJSF_S6_EEENSJ_IJSG_SG_EEENS0_18inequality_wrapperINSA_8equal_toIfEEEEPmJS6_EEE10hipError_tPvRmT3_T4_T5_T6_T7_T9_mT8_P12ihipStream_tbDpT10_ENKUlT_T0_E_clISt17integral_constantIbLb1EES19_IbLb0EEEEDaS15_S16_EUlS15_E_NS1_11comp_targetILNS1_3genE5ELNS1_11target_archE942ELNS1_3gpuE9ELNS1_3repE0EEENS1_30default_config_static_selectorELNS0_4arch9wavefront6targetE1EEEvT1_,comdat
	.protected	_ZN7rocprim17ROCPRIM_400000_NS6detail17trampoline_kernelINS0_14default_configENS1_25partition_config_selectorILNS1_17partition_subalgoE8EfNS0_10empty_typeEbEEZZNS1_14partition_implILS5_8ELb0ES3_jN6thrust23THRUST_200600_302600_NS6detail15normal_iteratorINSA_10device_ptrIfEEEEPS6_PKS6_NS0_5tupleIJSF_S6_EEENSJ_IJSG_SG_EEENS0_18inequality_wrapperINSA_8equal_toIfEEEEPmJS6_EEE10hipError_tPvRmT3_T4_T5_T6_T7_T9_mT8_P12ihipStream_tbDpT10_ENKUlT_T0_E_clISt17integral_constantIbLb1EES19_IbLb0EEEEDaS15_S16_EUlS15_E_NS1_11comp_targetILNS1_3genE5ELNS1_11target_archE942ELNS1_3gpuE9ELNS1_3repE0EEENS1_30default_config_static_selectorELNS0_4arch9wavefront6targetE1EEEvT1_ ; -- Begin function _ZN7rocprim17ROCPRIM_400000_NS6detail17trampoline_kernelINS0_14default_configENS1_25partition_config_selectorILNS1_17partition_subalgoE8EfNS0_10empty_typeEbEEZZNS1_14partition_implILS5_8ELb0ES3_jN6thrust23THRUST_200600_302600_NS6detail15normal_iteratorINSA_10device_ptrIfEEEEPS6_PKS6_NS0_5tupleIJSF_S6_EEENSJ_IJSG_SG_EEENS0_18inequality_wrapperINSA_8equal_toIfEEEEPmJS6_EEE10hipError_tPvRmT3_T4_T5_T6_T7_T9_mT8_P12ihipStream_tbDpT10_ENKUlT_T0_E_clISt17integral_constantIbLb1EES19_IbLb0EEEEDaS15_S16_EUlS15_E_NS1_11comp_targetILNS1_3genE5ELNS1_11target_archE942ELNS1_3gpuE9ELNS1_3repE0EEENS1_30default_config_static_selectorELNS0_4arch9wavefront6targetE1EEEvT1_
	.globl	_ZN7rocprim17ROCPRIM_400000_NS6detail17trampoline_kernelINS0_14default_configENS1_25partition_config_selectorILNS1_17partition_subalgoE8EfNS0_10empty_typeEbEEZZNS1_14partition_implILS5_8ELb0ES3_jN6thrust23THRUST_200600_302600_NS6detail15normal_iteratorINSA_10device_ptrIfEEEEPS6_PKS6_NS0_5tupleIJSF_S6_EEENSJ_IJSG_SG_EEENS0_18inequality_wrapperINSA_8equal_toIfEEEEPmJS6_EEE10hipError_tPvRmT3_T4_T5_T6_T7_T9_mT8_P12ihipStream_tbDpT10_ENKUlT_T0_E_clISt17integral_constantIbLb1EES19_IbLb0EEEEDaS15_S16_EUlS15_E_NS1_11comp_targetILNS1_3genE5ELNS1_11target_archE942ELNS1_3gpuE9ELNS1_3repE0EEENS1_30default_config_static_selectorELNS0_4arch9wavefront6targetE1EEEvT1_
	.p2align	8
	.type	_ZN7rocprim17ROCPRIM_400000_NS6detail17trampoline_kernelINS0_14default_configENS1_25partition_config_selectorILNS1_17partition_subalgoE8EfNS0_10empty_typeEbEEZZNS1_14partition_implILS5_8ELb0ES3_jN6thrust23THRUST_200600_302600_NS6detail15normal_iteratorINSA_10device_ptrIfEEEEPS6_PKS6_NS0_5tupleIJSF_S6_EEENSJ_IJSG_SG_EEENS0_18inequality_wrapperINSA_8equal_toIfEEEEPmJS6_EEE10hipError_tPvRmT3_T4_T5_T6_T7_T9_mT8_P12ihipStream_tbDpT10_ENKUlT_T0_E_clISt17integral_constantIbLb1EES19_IbLb0EEEEDaS15_S16_EUlS15_E_NS1_11comp_targetILNS1_3genE5ELNS1_11target_archE942ELNS1_3gpuE9ELNS1_3repE0EEENS1_30default_config_static_selectorELNS0_4arch9wavefront6targetE1EEEvT1_,@function
_ZN7rocprim17ROCPRIM_400000_NS6detail17trampoline_kernelINS0_14default_configENS1_25partition_config_selectorILNS1_17partition_subalgoE8EfNS0_10empty_typeEbEEZZNS1_14partition_implILS5_8ELb0ES3_jN6thrust23THRUST_200600_302600_NS6detail15normal_iteratorINSA_10device_ptrIfEEEEPS6_PKS6_NS0_5tupleIJSF_S6_EEENSJ_IJSG_SG_EEENS0_18inequality_wrapperINSA_8equal_toIfEEEEPmJS6_EEE10hipError_tPvRmT3_T4_T5_T6_T7_T9_mT8_P12ihipStream_tbDpT10_ENKUlT_T0_E_clISt17integral_constantIbLb1EES19_IbLb0EEEEDaS15_S16_EUlS15_E_NS1_11comp_targetILNS1_3genE5ELNS1_11target_archE942ELNS1_3gpuE9ELNS1_3repE0EEENS1_30default_config_static_selectorELNS0_4arch9wavefront6targetE1EEEvT1_: ; @_ZN7rocprim17ROCPRIM_400000_NS6detail17trampoline_kernelINS0_14default_configENS1_25partition_config_selectorILNS1_17partition_subalgoE8EfNS0_10empty_typeEbEEZZNS1_14partition_implILS5_8ELb0ES3_jN6thrust23THRUST_200600_302600_NS6detail15normal_iteratorINSA_10device_ptrIfEEEEPS6_PKS6_NS0_5tupleIJSF_S6_EEENSJ_IJSG_SG_EEENS0_18inequality_wrapperINSA_8equal_toIfEEEEPmJS6_EEE10hipError_tPvRmT3_T4_T5_T6_T7_T9_mT8_P12ihipStream_tbDpT10_ENKUlT_T0_E_clISt17integral_constantIbLb1EES19_IbLb0EEEEDaS15_S16_EUlS15_E_NS1_11comp_targetILNS1_3genE5ELNS1_11target_archE942ELNS1_3gpuE9ELNS1_3repE0EEENS1_30default_config_static_selectorELNS0_4arch9wavefront6targetE1EEEvT1_
; %bb.0:
	.section	.rodata,"a",@progbits
	.p2align	6, 0x0
	.amdhsa_kernel _ZN7rocprim17ROCPRIM_400000_NS6detail17trampoline_kernelINS0_14default_configENS1_25partition_config_selectorILNS1_17partition_subalgoE8EfNS0_10empty_typeEbEEZZNS1_14partition_implILS5_8ELb0ES3_jN6thrust23THRUST_200600_302600_NS6detail15normal_iteratorINSA_10device_ptrIfEEEEPS6_PKS6_NS0_5tupleIJSF_S6_EEENSJ_IJSG_SG_EEENS0_18inequality_wrapperINSA_8equal_toIfEEEEPmJS6_EEE10hipError_tPvRmT3_T4_T5_T6_T7_T9_mT8_P12ihipStream_tbDpT10_ENKUlT_T0_E_clISt17integral_constantIbLb1EES19_IbLb0EEEEDaS15_S16_EUlS15_E_NS1_11comp_targetILNS1_3genE5ELNS1_11target_archE942ELNS1_3gpuE9ELNS1_3repE0EEENS1_30default_config_static_selectorELNS0_4arch9wavefront6targetE1EEEvT1_
		.amdhsa_group_segment_fixed_size 0
		.amdhsa_private_segment_fixed_size 0
		.amdhsa_kernarg_size 112
		.amdhsa_user_sgpr_count 6
		.amdhsa_user_sgpr_private_segment_buffer 1
		.amdhsa_user_sgpr_dispatch_ptr 0
		.amdhsa_user_sgpr_queue_ptr 0
		.amdhsa_user_sgpr_kernarg_segment_ptr 1
		.amdhsa_user_sgpr_dispatch_id 0
		.amdhsa_user_sgpr_flat_scratch_init 0
		.amdhsa_user_sgpr_private_segment_size 0
		.amdhsa_uses_dynamic_stack 0
		.amdhsa_system_sgpr_private_segment_wavefront_offset 0
		.amdhsa_system_sgpr_workgroup_id_x 1
		.amdhsa_system_sgpr_workgroup_id_y 0
		.amdhsa_system_sgpr_workgroup_id_z 0
		.amdhsa_system_sgpr_workgroup_info 0
		.amdhsa_system_vgpr_workitem_id 0
		.amdhsa_next_free_vgpr 1
		.amdhsa_next_free_sgpr 0
		.amdhsa_reserve_vcc 0
		.amdhsa_reserve_flat_scratch 0
		.amdhsa_float_round_mode_32 0
		.amdhsa_float_round_mode_16_64 0
		.amdhsa_float_denorm_mode_32 3
		.amdhsa_float_denorm_mode_16_64 3
		.amdhsa_dx10_clamp 1
		.amdhsa_ieee_mode 1
		.amdhsa_fp16_overflow 0
		.amdhsa_exception_fp_ieee_invalid_op 0
		.amdhsa_exception_fp_denorm_src 0
		.amdhsa_exception_fp_ieee_div_zero 0
		.amdhsa_exception_fp_ieee_overflow 0
		.amdhsa_exception_fp_ieee_underflow 0
		.amdhsa_exception_fp_ieee_inexact 0
		.amdhsa_exception_int_div_zero 0
	.end_amdhsa_kernel
	.section	.text._ZN7rocprim17ROCPRIM_400000_NS6detail17trampoline_kernelINS0_14default_configENS1_25partition_config_selectorILNS1_17partition_subalgoE8EfNS0_10empty_typeEbEEZZNS1_14partition_implILS5_8ELb0ES3_jN6thrust23THRUST_200600_302600_NS6detail15normal_iteratorINSA_10device_ptrIfEEEEPS6_PKS6_NS0_5tupleIJSF_S6_EEENSJ_IJSG_SG_EEENS0_18inequality_wrapperINSA_8equal_toIfEEEEPmJS6_EEE10hipError_tPvRmT3_T4_T5_T6_T7_T9_mT8_P12ihipStream_tbDpT10_ENKUlT_T0_E_clISt17integral_constantIbLb1EES19_IbLb0EEEEDaS15_S16_EUlS15_E_NS1_11comp_targetILNS1_3genE5ELNS1_11target_archE942ELNS1_3gpuE9ELNS1_3repE0EEENS1_30default_config_static_selectorELNS0_4arch9wavefront6targetE1EEEvT1_,"axG",@progbits,_ZN7rocprim17ROCPRIM_400000_NS6detail17trampoline_kernelINS0_14default_configENS1_25partition_config_selectorILNS1_17partition_subalgoE8EfNS0_10empty_typeEbEEZZNS1_14partition_implILS5_8ELb0ES3_jN6thrust23THRUST_200600_302600_NS6detail15normal_iteratorINSA_10device_ptrIfEEEEPS6_PKS6_NS0_5tupleIJSF_S6_EEENSJ_IJSG_SG_EEENS0_18inequality_wrapperINSA_8equal_toIfEEEEPmJS6_EEE10hipError_tPvRmT3_T4_T5_T6_T7_T9_mT8_P12ihipStream_tbDpT10_ENKUlT_T0_E_clISt17integral_constantIbLb1EES19_IbLb0EEEEDaS15_S16_EUlS15_E_NS1_11comp_targetILNS1_3genE5ELNS1_11target_archE942ELNS1_3gpuE9ELNS1_3repE0EEENS1_30default_config_static_selectorELNS0_4arch9wavefront6targetE1EEEvT1_,comdat
.Lfunc_end97:
	.size	_ZN7rocprim17ROCPRIM_400000_NS6detail17trampoline_kernelINS0_14default_configENS1_25partition_config_selectorILNS1_17partition_subalgoE8EfNS0_10empty_typeEbEEZZNS1_14partition_implILS5_8ELb0ES3_jN6thrust23THRUST_200600_302600_NS6detail15normal_iteratorINSA_10device_ptrIfEEEEPS6_PKS6_NS0_5tupleIJSF_S6_EEENSJ_IJSG_SG_EEENS0_18inequality_wrapperINSA_8equal_toIfEEEEPmJS6_EEE10hipError_tPvRmT3_T4_T5_T6_T7_T9_mT8_P12ihipStream_tbDpT10_ENKUlT_T0_E_clISt17integral_constantIbLb1EES19_IbLb0EEEEDaS15_S16_EUlS15_E_NS1_11comp_targetILNS1_3genE5ELNS1_11target_archE942ELNS1_3gpuE9ELNS1_3repE0EEENS1_30default_config_static_selectorELNS0_4arch9wavefront6targetE1EEEvT1_, .Lfunc_end97-_ZN7rocprim17ROCPRIM_400000_NS6detail17trampoline_kernelINS0_14default_configENS1_25partition_config_selectorILNS1_17partition_subalgoE8EfNS0_10empty_typeEbEEZZNS1_14partition_implILS5_8ELb0ES3_jN6thrust23THRUST_200600_302600_NS6detail15normal_iteratorINSA_10device_ptrIfEEEEPS6_PKS6_NS0_5tupleIJSF_S6_EEENSJ_IJSG_SG_EEENS0_18inequality_wrapperINSA_8equal_toIfEEEEPmJS6_EEE10hipError_tPvRmT3_T4_T5_T6_T7_T9_mT8_P12ihipStream_tbDpT10_ENKUlT_T0_E_clISt17integral_constantIbLb1EES19_IbLb0EEEEDaS15_S16_EUlS15_E_NS1_11comp_targetILNS1_3genE5ELNS1_11target_archE942ELNS1_3gpuE9ELNS1_3repE0EEENS1_30default_config_static_selectorELNS0_4arch9wavefront6targetE1EEEvT1_
                                        ; -- End function
	.set _ZN7rocprim17ROCPRIM_400000_NS6detail17trampoline_kernelINS0_14default_configENS1_25partition_config_selectorILNS1_17partition_subalgoE8EfNS0_10empty_typeEbEEZZNS1_14partition_implILS5_8ELb0ES3_jN6thrust23THRUST_200600_302600_NS6detail15normal_iteratorINSA_10device_ptrIfEEEEPS6_PKS6_NS0_5tupleIJSF_S6_EEENSJ_IJSG_SG_EEENS0_18inequality_wrapperINSA_8equal_toIfEEEEPmJS6_EEE10hipError_tPvRmT3_T4_T5_T6_T7_T9_mT8_P12ihipStream_tbDpT10_ENKUlT_T0_E_clISt17integral_constantIbLb1EES19_IbLb0EEEEDaS15_S16_EUlS15_E_NS1_11comp_targetILNS1_3genE5ELNS1_11target_archE942ELNS1_3gpuE9ELNS1_3repE0EEENS1_30default_config_static_selectorELNS0_4arch9wavefront6targetE1EEEvT1_.num_vgpr, 0
	.set _ZN7rocprim17ROCPRIM_400000_NS6detail17trampoline_kernelINS0_14default_configENS1_25partition_config_selectorILNS1_17partition_subalgoE8EfNS0_10empty_typeEbEEZZNS1_14partition_implILS5_8ELb0ES3_jN6thrust23THRUST_200600_302600_NS6detail15normal_iteratorINSA_10device_ptrIfEEEEPS6_PKS6_NS0_5tupleIJSF_S6_EEENSJ_IJSG_SG_EEENS0_18inequality_wrapperINSA_8equal_toIfEEEEPmJS6_EEE10hipError_tPvRmT3_T4_T5_T6_T7_T9_mT8_P12ihipStream_tbDpT10_ENKUlT_T0_E_clISt17integral_constantIbLb1EES19_IbLb0EEEEDaS15_S16_EUlS15_E_NS1_11comp_targetILNS1_3genE5ELNS1_11target_archE942ELNS1_3gpuE9ELNS1_3repE0EEENS1_30default_config_static_selectorELNS0_4arch9wavefront6targetE1EEEvT1_.num_agpr, 0
	.set _ZN7rocprim17ROCPRIM_400000_NS6detail17trampoline_kernelINS0_14default_configENS1_25partition_config_selectorILNS1_17partition_subalgoE8EfNS0_10empty_typeEbEEZZNS1_14partition_implILS5_8ELb0ES3_jN6thrust23THRUST_200600_302600_NS6detail15normal_iteratorINSA_10device_ptrIfEEEEPS6_PKS6_NS0_5tupleIJSF_S6_EEENSJ_IJSG_SG_EEENS0_18inequality_wrapperINSA_8equal_toIfEEEEPmJS6_EEE10hipError_tPvRmT3_T4_T5_T6_T7_T9_mT8_P12ihipStream_tbDpT10_ENKUlT_T0_E_clISt17integral_constantIbLb1EES19_IbLb0EEEEDaS15_S16_EUlS15_E_NS1_11comp_targetILNS1_3genE5ELNS1_11target_archE942ELNS1_3gpuE9ELNS1_3repE0EEENS1_30default_config_static_selectorELNS0_4arch9wavefront6targetE1EEEvT1_.numbered_sgpr, 0
	.set _ZN7rocprim17ROCPRIM_400000_NS6detail17trampoline_kernelINS0_14default_configENS1_25partition_config_selectorILNS1_17partition_subalgoE8EfNS0_10empty_typeEbEEZZNS1_14partition_implILS5_8ELb0ES3_jN6thrust23THRUST_200600_302600_NS6detail15normal_iteratorINSA_10device_ptrIfEEEEPS6_PKS6_NS0_5tupleIJSF_S6_EEENSJ_IJSG_SG_EEENS0_18inequality_wrapperINSA_8equal_toIfEEEEPmJS6_EEE10hipError_tPvRmT3_T4_T5_T6_T7_T9_mT8_P12ihipStream_tbDpT10_ENKUlT_T0_E_clISt17integral_constantIbLb1EES19_IbLb0EEEEDaS15_S16_EUlS15_E_NS1_11comp_targetILNS1_3genE5ELNS1_11target_archE942ELNS1_3gpuE9ELNS1_3repE0EEENS1_30default_config_static_selectorELNS0_4arch9wavefront6targetE1EEEvT1_.num_named_barrier, 0
	.set _ZN7rocprim17ROCPRIM_400000_NS6detail17trampoline_kernelINS0_14default_configENS1_25partition_config_selectorILNS1_17partition_subalgoE8EfNS0_10empty_typeEbEEZZNS1_14partition_implILS5_8ELb0ES3_jN6thrust23THRUST_200600_302600_NS6detail15normal_iteratorINSA_10device_ptrIfEEEEPS6_PKS6_NS0_5tupleIJSF_S6_EEENSJ_IJSG_SG_EEENS0_18inequality_wrapperINSA_8equal_toIfEEEEPmJS6_EEE10hipError_tPvRmT3_T4_T5_T6_T7_T9_mT8_P12ihipStream_tbDpT10_ENKUlT_T0_E_clISt17integral_constantIbLb1EES19_IbLb0EEEEDaS15_S16_EUlS15_E_NS1_11comp_targetILNS1_3genE5ELNS1_11target_archE942ELNS1_3gpuE9ELNS1_3repE0EEENS1_30default_config_static_selectorELNS0_4arch9wavefront6targetE1EEEvT1_.private_seg_size, 0
	.set _ZN7rocprim17ROCPRIM_400000_NS6detail17trampoline_kernelINS0_14default_configENS1_25partition_config_selectorILNS1_17partition_subalgoE8EfNS0_10empty_typeEbEEZZNS1_14partition_implILS5_8ELb0ES3_jN6thrust23THRUST_200600_302600_NS6detail15normal_iteratorINSA_10device_ptrIfEEEEPS6_PKS6_NS0_5tupleIJSF_S6_EEENSJ_IJSG_SG_EEENS0_18inequality_wrapperINSA_8equal_toIfEEEEPmJS6_EEE10hipError_tPvRmT3_T4_T5_T6_T7_T9_mT8_P12ihipStream_tbDpT10_ENKUlT_T0_E_clISt17integral_constantIbLb1EES19_IbLb0EEEEDaS15_S16_EUlS15_E_NS1_11comp_targetILNS1_3genE5ELNS1_11target_archE942ELNS1_3gpuE9ELNS1_3repE0EEENS1_30default_config_static_selectorELNS0_4arch9wavefront6targetE1EEEvT1_.uses_vcc, 0
	.set _ZN7rocprim17ROCPRIM_400000_NS6detail17trampoline_kernelINS0_14default_configENS1_25partition_config_selectorILNS1_17partition_subalgoE8EfNS0_10empty_typeEbEEZZNS1_14partition_implILS5_8ELb0ES3_jN6thrust23THRUST_200600_302600_NS6detail15normal_iteratorINSA_10device_ptrIfEEEEPS6_PKS6_NS0_5tupleIJSF_S6_EEENSJ_IJSG_SG_EEENS0_18inequality_wrapperINSA_8equal_toIfEEEEPmJS6_EEE10hipError_tPvRmT3_T4_T5_T6_T7_T9_mT8_P12ihipStream_tbDpT10_ENKUlT_T0_E_clISt17integral_constantIbLb1EES19_IbLb0EEEEDaS15_S16_EUlS15_E_NS1_11comp_targetILNS1_3genE5ELNS1_11target_archE942ELNS1_3gpuE9ELNS1_3repE0EEENS1_30default_config_static_selectorELNS0_4arch9wavefront6targetE1EEEvT1_.uses_flat_scratch, 0
	.set _ZN7rocprim17ROCPRIM_400000_NS6detail17trampoline_kernelINS0_14default_configENS1_25partition_config_selectorILNS1_17partition_subalgoE8EfNS0_10empty_typeEbEEZZNS1_14partition_implILS5_8ELb0ES3_jN6thrust23THRUST_200600_302600_NS6detail15normal_iteratorINSA_10device_ptrIfEEEEPS6_PKS6_NS0_5tupleIJSF_S6_EEENSJ_IJSG_SG_EEENS0_18inequality_wrapperINSA_8equal_toIfEEEEPmJS6_EEE10hipError_tPvRmT3_T4_T5_T6_T7_T9_mT8_P12ihipStream_tbDpT10_ENKUlT_T0_E_clISt17integral_constantIbLb1EES19_IbLb0EEEEDaS15_S16_EUlS15_E_NS1_11comp_targetILNS1_3genE5ELNS1_11target_archE942ELNS1_3gpuE9ELNS1_3repE0EEENS1_30default_config_static_selectorELNS0_4arch9wavefront6targetE1EEEvT1_.has_dyn_sized_stack, 0
	.set _ZN7rocprim17ROCPRIM_400000_NS6detail17trampoline_kernelINS0_14default_configENS1_25partition_config_selectorILNS1_17partition_subalgoE8EfNS0_10empty_typeEbEEZZNS1_14partition_implILS5_8ELb0ES3_jN6thrust23THRUST_200600_302600_NS6detail15normal_iteratorINSA_10device_ptrIfEEEEPS6_PKS6_NS0_5tupleIJSF_S6_EEENSJ_IJSG_SG_EEENS0_18inequality_wrapperINSA_8equal_toIfEEEEPmJS6_EEE10hipError_tPvRmT3_T4_T5_T6_T7_T9_mT8_P12ihipStream_tbDpT10_ENKUlT_T0_E_clISt17integral_constantIbLb1EES19_IbLb0EEEEDaS15_S16_EUlS15_E_NS1_11comp_targetILNS1_3genE5ELNS1_11target_archE942ELNS1_3gpuE9ELNS1_3repE0EEENS1_30default_config_static_selectorELNS0_4arch9wavefront6targetE1EEEvT1_.has_recursion, 0
	.set _ZN7rocprim17ROCPRIM_400000_NS6detail17trampoline_kernelINS0_14default_configENS1_25partition_config_selectorILNS1_17partition_subalgoE8EfNS0_10empty_typeEbEEZZNS1_14partition_implILS5_8ELb0ES3_jN6thrust23THRUST_200600_302600_NS6detail15normal_iteratorINSA_10device_ptrIfEEEEPS6_PKS6_NS0_5tupleIJSF_S6_EEENSJ_IJSG_SG_EEENS0_18inequality_wrapperINSA_8equal_toIfEEEEPmJS6_EEE10hipError_tPvRmT3_T4_T5_T6_T7_T9_mT8_P12ihipStream_tbDpT10_ENKUlT_T0_E_clISt17integral_constantIbLb1EES19_IbLb0EEEEDaS15_S16_EUlS15_E_NS1_11comp_targetILNS1_3genE5ELNS1_11target_archE942ELNS1_3gpuE9ELNS1_3repE0EEENS1_30default_config_static_selectorELNS0_4arch9wavefront6targetE1EEEvT1_.has_indirect_call, 0
	.section	.AMDGPU.csdata,"",@progbits
; Kernel info:
; codeLenInByte = 0
; TotalNumSgprs: 4
; NumVgprs: 0
; ScratchSize: 0
; MemoryBound: 0
; FloatMode: 240
; IeeeMode: 1
; LDSByteSize: 0 bytes/workgroup (compile time only)
; SGPRBlocks: 0
; VGPRBlocks: 0
; NumSGPRsForWavesPerEU: 4
; NumVGPRsForWavesPerEU: 1
; Occupancy: 10
; WaveLimiterHint : 0
; COMPUTE_PGM_RSRC2:SCRATCH_EN: 0
; COMPUTE_PGM_RSRC2:USER_SGPR: 6
; COMPUTE_PGM_RSRC2:TRAP_HANDLER: 0
; COMPUTE_PGM_RSRC2:TGID_X_EN: 1
; COMPUTE_PGM_RSRC2:TGID_Y_EN: 0
; COMPUTE_PGM_RSRC2:TGID_Z_EN: 0
; COMPUTE_PGM_RSRC2:TIDIG_COMP_CNT: 0
	.section	.text._ZN7rocprim17ROCPRIM_400000_NS6detail17trampoline_kernelINS0_14default_configENS1_25partition_config_selectorILNS1_17partition_subalgoE8EfNS0_10empty_typeEbEEZZNS1_14partition_implILS5_8ELb0ES3_jN6thrust23THRUST_200600_302600_NS6detail15normal_iteratorINSA_10device_ptrIfEEEEPS6_PKS6_NS0_5tupleIJSF_S6_EEENSJ_IJSG_SG_EEENS0_18inequality_wrapperINSA_8equal_toIfEEEEPmJS6_EEE10hipError_tPvRmT3_T4_T5_T6_T7_T9_mT8_P12ihipStream_tbDpT10_ENKUlT_T0_E_clISt17integral_constantIbLb1EES19_IbLb0EEEEDaS15_S16_EUlS15_E_NS1_11comp_targetILNS1_3genE4ELNS1_11target_archE910ELNS1_3gpuE8ELNS1_3repE0EEENS1_30default_config_static_selectorELNS0_4arch9wavefront6targetE1EEEvT1_,"axG",@progbits,_ZN7rocprim17ROCPRIM_400000_NS6detail17trampoline_kernelINS0_14default_configENS1_25partition_config_selectorILNS1_17partition_subalgoE8EfNS0_10empty_typeEbEEZZNS1_14partition_implILS5_8ELb0ES3_jN6thrust23THRUST_200600_302600_NS6detail15normal_iteratorINSA_10device_ptrIfEEEEPS6_PKS6_NS0_5tupleIJSF_S6_EEENSJ_IJSG_SG_EEENS0_18inequality_wrapperINSA_8equal_toIfEEEEPmJS6_EEE10hipError_tPvRmT3_T4_T5_T6_T7_T9_mT8_P12ihipStream_tbDpT10_ENKUlT_T0_E_clISt17integral_constantIbLb1EES19_IbLb0EEEEDaS15_S16_EUlS15_E_NS1_11comp_targetILNS1_3genE4ELNS1_11target_archE910ELNS1_3gpuE8ELNS1_3repE0EEENS1_30default_config_static_selectorELNS0_4arch9wavefront6targetE1EEEvT1_,comdat
	.protected	_ZN7rocprim17ROCPRIM_400000_NS6detail17trampoline_kernelINS0_14default_configENS1_25partition_config_selectorILNS1_17partition_subalgoE8EfNS0_10empty_typeEbEEZZNS1_14partition_implILS5_8ELb0ES3_jN6thrust23THRUST_200600_302600_NS6detail15normal_iteratorINSA_10device_ptrIfEEEEPS6_PKS6_NS0_5tupleIJSF_S6_EEENSJ_IJSG_SG_EEENS0_18inequality_wrapperINSA_8equal_toIfEEEEPmJS6_EEE10hipError_tPvRmT3_T4_T5_T6_T7_T9_mT8_P12ihipStream_tbDpT10_ENKUlT_T0_E_clISt17integral_constantIbLb1EES19_IbLb0EEEEDaS15_S16_EUlS15_E_NS1_11comp_targetILNS1_3genE4ELNS1_11target_archE910ELNS1_3gpuE8ELNS1_3repE0EEENS1_30default_config_static_selectorELNS0_4arch9wavefront6targetE1EEEvT1_ ; -- Begin function _ZN7rocprim17ROCPRIM_400000_NS6detail17trampoline_kernelINS0_14default_configENS1_25partition_config_selectorILNS1_17partition_subalgoE8EfNS0_10empty_typeEbEEZZNS1_14partition_implILS5_8ELb0ES3_jN6thrust23THRUST_200600_302600_NS6detail15normal_iteratorINSA_10device_ptrIfEEEEPS6_PKS6_NS0_5tupleIJSF_S6_EEENSJ_IJSG_SG_EEENS0_18inequality_wrapperINSA_8equal_toIfEEEEPmJS6_EEE10hipError_tPvRmT3_T4_T5_T6_T7_T9_mT8_P12ihipStream_tbDpT10_ENKUlT_T0_E_clISt17integral_constantIbLb1EES19_IbLb0EEEEDaS15_S16_EUlS15_E_NS1_11comp_targetILNS1_3genE4ELNS1_11target_archE910ELNS1_3gpuE8ELNS1_3repE0EEENS1_30default_config_static_selectorELNS0_4arch9wavefront6targetE1EEEvT1_
	.globl	_ZN7rocprim17ROCPRIM_400000_NS6detail17trampoline_kernelINS0_14default_configENS1_25partition_config_selectorILNS1_17partition_subalgoE8EfNS0_10empty_typeEbEEZZNS1_14partition_implILS5_8ELb0ES3_jN6thrust23THRUST_200600_302600_NS6detail15normal_iteratorINSA_10device_ptrIfEEEEPS6_PKS6_NS0_5tupleIJSF_S6_EEENSJ_IJSG_SG_EEENS0_18inequality_wrapperINSA_8equal_toIfEEEEPmJS6_EEE10hipError_tPvRmT3_T4_T5_T6_T7_T9_mT8_P12ihipStream_tbDpT10_ENKUlT_T0_E_clISt17integral_constantIbLb1EES19_IbLb0EEEEDaS15_S16_EUlS15_E_NS1_11comp_targetILNS1_3genE4ELNS1_11target_archE910ELNS1_3gpuE8ELNS1_3repE0EEENS1_30default_config_static_selectorELNS0_4arch9wavefront6targetE1EEEvT1_
	.p2align	8
	.type	_ZN7rocprim17ROCPRIM_400000_NS6detail17trampoline_kernelINS0_14default_configENS1_25partition_config_selectorILNS1_17partition_subalgoE8EfNS0_10empty_typeEbEEZZNS1_14partition_implILS5_8ELb0ES3_jN6thrust23THRUST_200600_302600_NS6detail15normal_iteratorINSA_10device_ptrIfEEEEPS6_PKS6_NS0_5tupleIJSF_S6_EEENSJ_IJSG_SG_EEENS0_18inequality_wrapperINSA_8equal_toIfEEEEPmJS6_EEE10hipError_tPvRmT3_T4_T5_T6_T7_T9_mT8_P12ihipStream_tbDpT10_ENKUlT_T0_E_clISt17integral_constantIbLb1EES19_IbLb0EEEEDaS15_S16_EUlS15_E_NS1_11comp_targetILNS1_3genE4ELNS1_11target_archE910ELNS1_3gpuE8ELNS1_3repE0EEENS1_30default_config_static_selectorELNS0_4arch9wavefront6targetE1EEEvT1_,@function
_ZN7rocprim17ROCPRIM_400000_NS6detail17trampoline_kernelINS0_14default_configENS1_25partition_config_selectorILNS1_17partition_subalgoE8EfNS0_10empty_typeEbEEZZNS1_14partition_implILS5_8ELb0ES3_jN6thrust23THRUST_200600_302600_NS6detail15normal_iteratorINSA_10device_ptrIfEEEEPS6_PKS6_NS0_5tupleIJSF_S6_EEENSJ_IJSG_SG_EEENS0_18inequality_wrapperINSA_8equal_toIfEEEEPmJS6_EEE10hipError_tPvRmT3_T4_T5_T6_T7_T9_mT8_P12ihipStream_tbDpT10_ENKUlT_T0_E_clISt17integral_constantIbLb1EES19_IbLb0EEEEDaS15_S16_EUlS15_E_NS1_11comp_targetILNS1_3genE4ELNS1_11target_archE910ELNS1_3gpuE8ELNS1_3repE0EEENS1_30default_config_static_selectorELNS0_4arch9wavefront6targetE1EEEvT1_: ; @_ZN7rocprim17ROCPRIM_400000_NS6detail17trampoline_kernelINS0_14default_configENS1_25partition_config_selectorILNS1_17partition_subalgoE8EfNS0_10empty_typeEbEEZZNS1_14partition_implILS5_8ELb0ES3_jN6thrust23THRUST_200600_302600_NS6detail15normal_iteratorINSA_10device_ptrIfEEEEPS6_PKS6_NS0_5tupleIJSF_S6_EEENSJ_IJSG_SG_EEENS0_18inequality_wrapperINSA_8equal_toIfEEEEPmJS6_EEE10hipError_tPvRmT3_T4_T5_T6_T7_T9_mT8_P12ihipStream_tbDpT10_ENKUlT_T0_E_clISt17integral_constantIbLb1EES19_IbLb0EEEEDaS15_S16_EUlS15_E_NS1_11comp_targetILNS1_3genE4ELNS1_11target_archE910ELNS1_3gpuE8ELNS1_3repE0EEENS1_30default_config_static_selectorELNS0_4arch9wavefront6targetE1EEEvT1_
; %bb.0:
	.section	.rodata,"a",@progbits
	.p2align	6, 0x0
	.amdhsa_kernel _ZN7rocprim17ROCPRIM_400000_NS6detail17trampoline_kernelINS0_14default_configENS1_25partition_config_selectorILNS1_17partition_subalgoE8EfNS0_10empty_typeEbEEZZNS1_14partition_implILS5_8ELb0ES3_jN6thrust23THRUST_200600_302600_NS6detail15normal_iteratorINSA_10device_ptrIfEEEEPS6_PKS6_NS0_5tupleIJSF_S6_EEENSJ_IJSG_SG_EEENS0_18inequality_wrapperINSA_8equal_toIfEEEEPmJS6_EEE10hipError_tPvRmT3_T4_T5_T6_T7_T9_mT8_P12ihipStream_tbDpT10_ENKUlT_T0_E_clISt17integral_constantIbLb1EES19_IbLb0EEEEDaS15_S16_EUlS15_E_NS1_11comp_targetILNS1_3genE4ELNS1_11target_archE910ELNS1_3gpuE8ELNS1_3repE0EEENS1_30default_config_static_selectorELNS0_4arch9wavefront6targetE1EEEvT1_
		.amdhsa_group_segment_fixed_size 0
		.amdhsa_private_segment_fixed_size 0
		.amdhsa_kernarg_size 112
		.amdhsa_user_sgpr_count 6
		.amdhsa_user_sgpr_private_segment_buffer 1
		.amdhsa_user_sgpr_dispatch_ptr 0
		.amdhsa_user_sgpr_queue_ptr 0
		.amdhsa_user_sgpr_kernarg_segment_ptr 1
		.amdhsa_user_sgpr_dispatch_id 0
		.amdhsa_user_sgpr_flat_scratch_init 0
		.amdhsa_user_sgpr_private_segment_size 0
		.amdhsa_uses_dynamic_stack 0
		.amdhsa_system_sgpr_private_segment_wavefront_offset 0
		.amdhsa_system_sgpr_workgroup_id_x 1
		.amdhsa_system_sgpr_workgroup_id_y 0
		.amdhsa_system_sgpr_workgroup_id_z 0
		.amdhsa_system_sgpr_workgroup_info 0
		.amdhsa_system_vgpr_workitem_id 0
		.amdhsa_next_free_vgpr 1
		.amdhsa_next_free_sgpr 0
		.amdhsa_reserve_vcc 0
		.amdhsa_reserve_flat_scratch 0
		.amdhsa_float_round_mode_32 0
		.amdhsa_float_round_mode_16_64 0
		.amdhsa_float_denorm_mode_32 3
		.amdhsa_float_denorm_mode_16_64 3
		.amdhsa_dx10_clamp 1
		.amdhsa_ieee_mode 1
		.amdhsa_fp16_overflow 0
		.amdhsa_exception_fp_ieee_invalid_op 0
		.amdhsa_exception_fp_denorm_src 0
		.amdhsa_exception_fp_ieee_div_zero 0
		.amdhsa_exception_fp_ieee_overflow 0
		.amdhsa_exception_fp_ieee_underflow 0
		.amdhsa_exception_fp_ieee_inexact 0
		.amdhsa_exception_int_div_zero 0
	.end_amdhsa_kernel
	.section	.text._ZN7rocprim17ROCPRIM_400000_NS6detail17trampoline_kernelINS0_14default_configENS1_25partition_config_selectorILNS1_17partition_subalgoE8EfNS0_10empty_typeEbEEZZNS1_14partition_implILS5_8ELb0ES3_jN6thrust23THRUST_200600_302600_NS6detail15normal_iteratorINSA_10device_ptrIfEEEEPS6_PKS6_NS0_5tupleIJSF_S6_EEENSJ_IJSG_SG_EEENS0_18inequality_wrapperINSA_8equal_toIfEEEEPmJS6_EEE10hipError_tPvRmT3_T4_T5_T6_T7_T9_mT8_P12ihipStream_tbDpT10_ENKUlT_T0_E_clISt17integral_constantIbLb1EES19_IbLb0EEEEDaS15_S16_EUlS15_E_NS1_11comp_targetILNS1_3genE4ELNS1_11target_archE910ELNS1_3gpuE8ELNS1_3repE0EEENS1_30default_config_static_selectorELNS0_4arch9wavefront6targetE1EEEvT1_,"axG",@progbits,_ZN7rocprim17ROCPRIM_400000_NS6detail17trampoline_kernelINS0_14default_configENS1_25partition_config_selectorILNS1_17partition_subalgoE8EfNS0_10empty_typeEbEEZZNS1_14partition_implILS5_8ELb0ES3_jN6thrust23THRUST_200600_302600_NS6detail15normal_iteratorINSA_10device_ptrIfEEEEPS6_PKS6_NS0_5tupleIJSF_S6_EEENSJ_IJSG_SG_EEENS0_18inequality_wrapperINSA_8equal_toIfEEEEPmJS6_EEE10hipError_tPvRmT3_T4_T5_T6_T7_T9_mT8_P12ihipStream_tbDpT10_ENKUlT_T0_E_clISt17integral_constantIbLb1EES19_IbLb0EEEEDaS15_S16_EUlS15_E_NS1_11comp_targetILNS1_3genE4ELNS1_11target_archE910ELNS1_3gpuE8ELNS1_3repE0EEENS1_30default_config_static_selectorELNS0_4arch9wavefront6targetE1EEEvT1_,comdat
.Lfunc_end98:
	.size	_ZN7rocprim17ROCPRIM_400000_NS6detail17trampoline_kernelINS0_14default_configENS1_25partition_config_selectorILNS1_17partition_subalgoE8EfNS0_10empty_typeEbEEZZNS1_14partition_implILS5_8ELb0ES3_jN6thrust23THRUST_200600_302600_NS6detail15normal_iteratorINSA_10device_ptrIfEEEEPS6_PKS6_NS0_5tupleIJSF_S6_EEENSJ_IJSG_SG_EEENS0_18inequality_wrapperINSA_8equal_toIfEEEEPmJS6_EEE10hipError_tPvRmT3_T4_T5_T6_T7_T9_mT8_P12ihipStream_tbDpT10_ENKUlT_T0_E_clISt17integral_constantIbLb1EES19_IbLb0EEEEDaS15_S16_EUlS15_E_NS1_11comp_targetILNS1_3genE4ELNS1_11target_archE910ELNS1_3gpuE8ELNS1_3repE0EEENS1_30default_config_static_selectorELNS0_4arch9wavefront6targetE1EEEvT1_, .Lfunc_end98-_ZN7rocprim17ROCPRIM_400000_NS6detail17trampoline_kernelINS0_14default_configENS1_25partition_config_selectorILNS1_17partition_subalgoE8EfNS0_10empty_typeEbEEZZNS1_14partition_implILS5_8ELb0ES3_jN6thrust23THRUST_200600_302600_NS6detail15normal_iteratorINSA_10device_ptrIfEEEEPS6_PKS6_NS0_5tupleIJSF_S6_EEENSJ_IJSG_SG_EEENS0_18inequality_wrapperINSA_8equal_toIfEEEEPmJS6_EEE10hipError_tPvRmT3_T4_T5_T6_T7_T9_mT8_P12ihipStream_tbDpT10_ENKUlT_T0_E_clISt17integral_constantIbLb1EES19_IbLb0EEEEDaS15_S16_EUlS15_E_NS1_11comp_targetILNS1_3genE4ELNS1_11target_archE910ELNS1_3gpuE8ELNS1_3repE0EEENS1_30default_config_static_selectorELNS0_4arch9wavefront6targetE1EEEvT1_
                                        ; -- End function
	.set _ZN7rocprim17ROCPRIM_400000_NS6detail17trampoline_kernelINS0_14default_configENS1_25partition_config_selectorILNS1_17partition_subalgoE8EfNS0_10empty_typeEbEEZZNS1_14partition_implILS5_8ELb0ES3_jN6thrust23THRUST_200600_302600_NS6detail15normal_iteratorINSA_10device_ptrIfEEEEPS6_PKS6_NS0_5tupleIJSF_S6_EEENSJ_IJSG_SG_EEENS0_18inequality_wrapperINSA_8equal_toIfEEEEPmJS6_EEE10hipError_tPvRmT3_T4_T5_T6_T7_T9_mT8_P12ihipStream_tbDpT10_ENKUlT_T0_E_clISt17integral_constantIbLb1EES19_IbLb0EEEEDaS15_S16_EUlS15_E_NS1_11comp_targetILNS1_3genE4ELNS1_11target_archE910ELNS1_3gpuE8ELNS1_3repE0EEENS1_30default_config_static_selectorELNS0_4arch9wavefront6targetE1EEEvT1_.num_vgpr, 0
	.set _ZN7rocprim17ROCPRIM_400000_NS6detail17trampoline_kernelINS0_14default_configENS1_25partition_config_selectorILNS1_17partition_subalgoE8EfNS0_10empty_typeEbEEZZNS1_14partition_implILS5_8ELb0ES3_jN6thrust23THRUST_200600_302600_NS6detail15normal_iteratorINSA_10device_ptrIfEEEEPS6_PKS6_NS0_5tupleIJSF_S6_EEENSJ_IJSG_SG_EEENS0_18inequality_wrapperINSA_8equal_toIfEEEEPmJS6_EEE10hipError_tPvRmT3_T4_T5_T6_T7_T9_mT8_P12ihipStream_tbDpT10_ENKUlT_T0_E_clISt17integral_constantIbLb1EES19_IbLb0EEEEDaS15_S16_EUlS15_E_NS1_11comp_targetILNS1_3genE4ELNS1_11target_archE910ELNS1_3gpuE8ELNS1_3repE0EEENS1_30default_config_static_selectorELNS0_4arch9wavefront6targetE1EEEvT1_.num_agpr, 0
	.set _ZN7rocprim17ROCPRIM_400000_NS6detail17trampoline_kernelINS0_14default_configENS1_25partition_config_selectorILNS1_17partition_subalgoE8EfNS0_10empty_typeEbEEZZNS1_14partition_implILS5_8ELb0ES3_jN6thrust23THRUST_200600_302600_NS6detail15normal_iteratorINSA_10device_ptrIfEEEEPS6_PKS6_NS0_5tupleIJSF_S6_EEENSJ_IJSG_SG_EEENS0_18inequality_wrapperINSA_8equal_toIfEEEEPmJS6_EEE10hipError_tPvRmT3_T4_T5_T6_T7_T9_mT8_P12ihipStream_tbDpT10_ENKUlT_T0_E_clISt17integral_constantIbLb1EES19_IbLb0EEEEDaS15_S16_EUlS15_E_NS1_11comp_targetILNS1_3genE4ELNS1_11target_archE910ELNS1_3gpuE8ELNS1_3repE0EEENS1_30default_config_static_selectorELNS0_4arch9wavefront6targetE1EEEvT1_.numbered_sgpr, 0
	.set _ZN7rocprim17ROCPRIM_400000_NS6detail17trampoline_kernelINS0_14default_configENS1_25partition_config_selectorILNS1_17partition_subalgoE8EfNS0_10empty_typeEbEEZZNS1_14partition_implILS5_8ELb0ES3_jN6thrust23THRUST_200600_302600_NS6detail15normal_iteratorINSA_10device_ptrIfEEEEPS6_PKS6_NS0_5tupleIJSF_S6_EEENSJ_IJSG_SG_EEENS0_18inequality_wrapperINSA_8equal_toIfEEEEPmJS6_EEE10hipError_tPvRmT3_T4_T5_T6_T7_T9_mT8_P12ihipStream_tbDpT10_ENKUlT_T0_E_clISt17integral_constantIbLb1EES19_IbLb0EEEEDaS15_S16_EUlS15_E_NS1_11comp_targetILNS1_3genE4ELNS1_11target_archE910ELNS1_3gpuE8ELNS1_3repE0EEENS1_30default_config_static_selectorELNS0_4arch9wavefront6targetE1EEEvT1_.num_named_barrier, 0
	.set _ZN7rocprim17ROCPRIM_400000_NS6detail17trampoline_kernelINS0_14default_configENS1_25partition_config_selectorILNS1_17partition_subalgoE8EfNS0_10empty_typeEbEEZZNS1_14partition_implILS5_8ELb0ES3_jN6thrust23THRUST_200600_302600_NS6detail15normal_iteratorINSA_10device_ptrIfEEEEPS6_PKS6_NS0_5tupleIJSF_S6_EEENSJ_IJSG_SG_EEENS0_18inequality_wrapperINSA_8equal_toIfEEEEPmJS6_EEE10hipError_tPvRmT3_T4_T5_T6_T7_T9_mT8_P12ihipStream_tbDpT10_ENKUlT_T0_E_clISt17integral_constantIbLb1EES19_IbLb0EEEEDaS15_S16_EUlS15_E_NS1_11comp_targetILNS1_3genE4ELNS1_11target_archE910ELNS1_3gpuE8ELNS1_3repE0EEENS1_30default_config_static_selectorELNS0_4arch9wavefront6targetE1EEEvT1_.private_seg_size, 0
	.set _ZN7rocprim17ROCPRIM_400000_NS6detail17trampoline_kernelINS0_14default_configENS1_25partition_config_selectorILNS1_17partition_subalgoE8EfNS0_10empty_typeEbEEZZNS1_14partition_implILS5_8ELb0ES3_jN6thrust23THRUST_200600_302600_NS6detail15normal_iteratorINSA_10device_ptrIfEEEEPS6_PKS6_NS0_5tupleIJSF_S6_EEENSJ_IJSG_SG_EEENS0_18inequality_wrapperINSA_8equal_toIfEEEEPmJS6_EEE10hipError_tPvRmT3_T4_T5_T6_T7_T9_mT8_P12ihipStream_tbDpT10_ENKUlT_T0_E_clISt17integral_constantIbLb1EES19_IbLb0EEEEDaS15_S16_EUlS15_E_NS1_11comp_targetILNS1_3genE4ELNS1_11target_archE910ELNS1_3gpuE8ELNS1_3repE0EEENS1_30default_config_static_selectorELNS0_4arch9wavefront6targetE1EEEvT1_.uses_vcc, 0
	.set _ZN7rocprim17ROCPRIM_400000_NS6detail17trampoline_kernelINS0_14default_configENS1_25partition_config_selectorILNS1_17partition_subalgoE8EfNS0_10empty_typeEbEEZZNS1_14partition_implILS5_8ELb0ES3_jN6thrust23THRUST_200600_302600_NS6detail15normal_iteratorINSA_10device_ptrIfEEEEPS6_PKS6_NS0_5tupleIJSF_S6_EEENSJ_IJSG_SG_EEENS0_18inequality_wrapperINSA_8equal_toIfEEEEPmJS6_EEE10hipError_tPvRmT3_T4_T5_T6_T7_T9_mT8_P12ihipStream_tbDpT10_ENKUlT_T0_E_clISt17integral_constantIbLb1EES19_IbLb0EEEEDaS15_S16_EUlS15_E_NS1_11comp_targetILNS1_3genE4ELNS1_11target_archE910ELNS1_3gpuE8ELNS1_3repE0EEENS1_30default_config_static_selectorELNS0_4arch9wavefront6targetE1EEEvT1_.uses_flat_scratch, 0
	.set _ZN7rocprim17ROCPRIM_400000_NS6detail17trampoline_kernelINS0_14default_configENS1_25partition_config_selectorILNS1_17partition_subalgoE8EfNS0_10empty_typeEbEEZZNS1_14partition_implILS5_8ELb0ES3_jN6thrust23THRUST_200600_302600_NS6detail15normal_iteratorINSA_10device_ptrIfEEEEPS6_PKS6_NS0_5tupleIJSF_S6_EEENSJ_IJSG_SG_EEENS0_18inequality_wrapperINSA_8equal_toIfEEEEPmJS6_EEE10hipError_tPvRmT3_T4_T5_T6_T7_T9_mT8_P12ihipStream_tbDpT10_ENKUlT_T0_E_clISt17integral_constantIbLb1EES19_IbLb0EEEEDaS15_S16_EUlS15_E_NS1_11comp_targetILNS1_3genE4ELNS1_11target_archE910ELNS1_3gpuE8ELNS1_3repE0EEENS1_30default_config_static_selectorELNS0_4arch9wavefront6targetE1EEEvT1_.has_dyn_sized_stack, 0
	.set _ZN7rocprim17ROCPRIM_400000_NS6detail17trampoline_kernelINS0_14default_configENS1_25partition_config_selectorILNS1_17partition_subalgoE8EfNS0_10empty_typeEbEEZZNS1_14partition_implILS5_8ELb0ES3_jN6thrust23THRUST_200600_302600_NS6detail15normal_iteratorINSA_10device_ptrIfEEEEPS6_PKS6_NS0_5tupleIJSF_S6_EEENSJ_IJSG_SG_EEENS0_18inequality_wrapperINSA_8equal_toIfEEEEPmJS6_EEE10hipError_tPvRmT3_T4_T5_T6_T7_T9_mT8_P12ihipStream_tbDpT10_ENKUlT_T0_E_clISt17integral_constantIbLb1EES19_IbLb0EEEEDaS15_S16_EUlS15_E_NS1_11comp_targetILNS1_3genE4ELNS1_11target_archE910ELNS1_3gpuE8ELNS1_3repE0EEENS1_30default_config_static_selectorELNS0_4arch9wavefront6targetE1EEEvT1_.has_recursion, 0
	.set _ZN7rocprim17ROCPRIM_400000_NS6detail17trampoline_kernelINS0_14default_configENS1_25partition_config_selectorILNS1_17partition_subalgoE8EfNS0_10empty_typeEbEEZZNS1_14partition_implILS5_8ELb0ES3_jN6thrust23THRUST_200600_302600_NS6detail15normal_iteratorINSA_10device_ptrIfEEEEPS6_PKS6_NS0_5tupleIJSF_S6_EEENSJ_IJSG_SG_EEENS0_18inequality_wrapperINSA_8equal_toIfEEEEPmJS6_EEE10hipError_tPvRmT3_T4_T5_T6_T7_T9_mT8_P12ihipStream_tbDpT10_ENKUlT_T0_E_clISt17integral_constantIbLb1EES19_IbLb0EEEEDaS15_S16_EUlS15_E_NS1_11comp_targetILNS1_3genE4ELNS1_11target_archE910ELNS1_3gpuE8ELNS1_3repE0EEENS1_30default_config_static_selectorELNS0_4arch9wavefront6targetE1EEEvT1_.has_indirect_call, 0
	.section	.AMDGPU.csdata,"",@progbits
; Kernel info:
; codeLenInByte = 0
; TotalNumSgprs: 4
; NumVgprs: 0
; ScratchSize: 0
; MemoryBound: 0
; FloatMode: 240
; IeeeMode: 1
; LDSByteSize: 0 bytes/workgroup (compile time only)
; SGPRBlocks: 0
; VGPRBlocks: 0
; NumSGPRsForWavesPerEU: 4
; NumVGPRsForWavesPerEU: 1
; Occupancy: 10
; WaveLimiterHint : 0
; COMPUTE_PGM_RSRC2:SCRATCH_EN: 0
; COMPUTE_PGM_RSRC2:USER_SGPR: 6
; COMPUTE_PGM_RSRC2:TRAP_HANDLER: 0
; COMPUTE_PGM_RSRC2:TGID_X_EN: 1
; COMPUTE_PGM_RSRC2:TGID_Y_EN: 0
; COMPUTE_PGM_RSRC2:TGID_Z_EN: 0
; COMPUTE_PGM_RSRC2:TIDIG_COMP_CNT: 0
	.section	.text._ZN7rocprim17ROCPRIM_400000_NS6detail17trampoline_kernelINS0_14default_configENS1_25partition_config_selectorILNS1_17partition_subalgoE8EfNS0_10empty_typeEbEEZZNS1_14partition_implILS5_8ELb0ES3_jN6thrust23THRUST_200600_302600_NS6detail15normal_iteratorINSA_10device_ptrIfEEEEPS6_PKS6_NS0_5tupleIJSF_S6_EEENSJ_IJSG_SG_EEENS0_18inequality_wrapperINSA_8equal_toIfEEEEPmJS6_EEE10hipError_tPvRmT3_T4_T5_T6_T7_T9_mT8_P12ihipStream_tbDpT10_ENKUlT_T0_E_clISt17integral_constantIbLb1EES19_IbLb0EEEEDaS15_S16_EUlS15_E_NS1_11comp_targetILNS1_3genE3ELNS1_11target_archE908ELNS1_3gpuE7ELNS1_3repE0EEENS1_30default_config_static_selectorELNS0_4arch9wavefront6targetE1EEEvT1_,"axG",@progbits,_ZN7rocprim17ROCPRIM_400000_NS6detail17trampoline_kernelINS0_14default_configENS1_25partition_config_selectorILNS1_17partition_subalgoE8EfNS0_10empty_typeEbEEZZNS1_14partition_implILS5_8ELb0ES3_jN6thrust23THRUST_200600_302600_NS6detail15normal_iteratorINSA_10device_ptrIfEEEEPS6_PKS6_NS0_5tupleIJSF_S6_EEENSJ_IJSG_SG_EEENS0_18inequality_wrapperINSA_8equal_toIfEEEEPmJS6_EEE10hipError_tPvRmT3_T4_T5_T6_T7_T9_mT8_P12ihipStream_tbDpT10_ENKUlT_T0_E_clISt17integral_constantIbLb1EES19_IbLb0EEEEDaS15_S16_EUlS15_E_NS1_11comp_targetILNS1_3genE3ELNS1_11target_archE908ELNS1_3gpuE7ELNS1_3repE0EEENS1_30default_config_static_selectorELNS0_4arch9wavefront6targetE1EEEvT1_,comdat
	.protected	_ZN7rocprim17ROCPRIM_400000_NS6detail17trampoline_kernelINS0_14default_configENS1_25partition_config_selectorILNS1_17partition_subalgoE8EfNS0_10empty_typeEbEEZZNS1_14partition_implILS5_8ELb0ES3_jN6thrust23THRUST_200600_302600_NS6detail15normal_iteratorINSA_10device_ptrIfEEEEPS6_PKS6_NS0_5tupleIJSF_S6_EEENSJ_IJSG_SG_EEENS0_18inequality_wrapperINSA_8equal_toIfEEEEPmJS6_EEE10hipError_tPvRmT3_T4_T5_T6_T7_T9_mT8_P12ihipStream_tbDpT10_ENKUlT_T0_E_clISt17integral_constantIbLb1EES19_IbLb0EEEEDaS15_S16_EUlS15_E_NS1_11comp_targetILNS1_3genE3ELNS1_11target_archE908ELNS1_3gpuE7ELNS1_3repE0EEENS1_30default_config_static_selectorELNS0_4arch9wavefront6targetE1EEEvT1_ ; -- Begin function _ZN7rocprim17ROCPRIM_400000_NS6detail17trampoline_kernelINS0_14default_configENS1_25partition_config_selectorILNS1_17partition_subalgoE8EfNS0_10empty_typeEbEEZZNS1_14partition_implILS5_8ELb0ES3_jN6thrust23THRUST_200600_302600_NS6detail15normal_iteratorINSA_10device_ptrIfEEEEPS6_PKS6_NS0_5tupleIJSF_S6_EEENSJ_IJSG_SG_EEENS0_18inequality_wrapperINSA_8equal_toIfEEEEPmJS6_EEE10hipError_tPvRmT3_T4_T5_T6_T7_T9_mT8_P12ihipStream_tbDpT10_ENKUlT_T0_E_clISt17integral_constantIbLb1EES19_IbLb0EEEEDaS15_S16_EUlS15_E_NS1_11comp_targetILNS1_3genE3ELNS1_11target_archE908ELNS1_3gpuE7ELNS1_3repE0EEENS1_30default_config_static_selectorELNS0_4arch9wavefront6targetE1EEEvT1_
	.globl	_ZN7rocprim17ROCPRIM_400000_NS6detail17trampoline_kernelINS0_14default_configENS1_25partition_config_selectorILNS1_17partition_subalgoE8EfNS0_10empty_typeEbEEZZNS1_14partition_implILS5_8ELb0ES3_jN6thrust23THRUST_200600_302600_NS6detail15normal_iteratorINSA_10device_ptrIfEEEEPS6_PKS6_NS0_5tupleIJSF_S6_EEENSJ_IJSG_SG_EEENS0_18inequality_wrapperINSA_8equal_toIfEEEEPmJS6_EEE10hipError_tPvRmT3_T4_T5_T6_T7_T9_mT8_P12ihipStream_tbDpT10_ENKUlT_T0_E_clISt17integral_constantIbLb1EES19_IbLb0EEEEDaS15_S16_EUlS15_E_NS1_11comp_targetILNS1_3genE3ELNS1_11target_archE908ELNS1_3gpuE7ELNS1_3repE0EEENS1_30default_config_static_selectorELNS0_4arch9wavefront6targetE1EEEvT1_
	.p2align	8
	.type	_ZN7rocprim17ROCPRIM_400000_NS6detail17trampoline_kernelINS0_14default_configENS1_25partition_config_selectorILNS1_17partition_subalgoE8EfNS0_10empty_typeEbEEZZNS1_14partition_implILS5_8ELb0ES3_jN6thrust23THRUST_200600_302600_NS6detail15normal_iteratorINSA_10device_ptrIfEEEEPS6_PKS6_NS0_5tupleIJSF_S6_EEENSJ_IJSG_SG_EEENS0_18inequality_wrapperINSA_8equal_toIfEEEEPmJS6_EEE10hipError_tPvRmT3_T4_T5_T6_T7_T9_mT8_P12ihipStream_tbDpT10_ENKUlT_T0_E_clISt17integral_constantIbLb1EES19_IbLb0EEEEDaS15_S16_EUlS15_E_NS1_11comp_targetILNS1_3genE3ELNS1_11target_archE908ELNS1_3gpuE7ELNS1_3repE0EEENS1_30default_config_static_selectorELNS0_4arch9wavefront6targetE1EEEvT1_,@function
_ZN7rocprim17ROCPRIM_400000_NS6detail17trampoline_kernelINS0_14default_configENS1_25partition_config_selectorILNS1_17partition_subalgoE8EfNS0_10empty_typeEbEEZZNS1_14partition_implILS5_8ELb0ES3_jN6thrust23THRUST_200600_302600_NS6detail15normal_iteratorINSA_10device_ptrIfEEEEPS6_PKS6_NS0_5tupleIJSF_S6_EEENSJ_IJSG_SG_EEENS0_18inequality_wrapperINSA_8equal_toIfEEEEPmJS6_EEE10hipError_tPvRmT3_T4_T5_T6_T7_T9_mT8_P12ihipStream_tbDpT10_ENKUlT_T0_E_clISt17integral_constantIbLb1EES19_IbLb0EEEEDaS15_S16_EUlS15_E_NS1_11comp_targetILNS1_3genE3ELNS1_11target_archE908ELNS1_3gpuE7ELNS1_3repE0EEENS1_30default_config_static_selectorELNS0_4arch9wavefront6targetE1EEEvT1_: ; @_ZN7rocprim17ROCPRIM_400000_NS6detail17trampoline_kernelINS0_14default_configENS1_25partition_config_selectorILNS1_17partition_subalgoE8EfNS0_10empty_typeEbEEZZNS1_14partition_implILS5_8ELb0ES3_jN6thrust23THRUST_200600_302600_NS6detail15normal_iteratorINSA_10device_ptrIfEEEEPS6_PKS6_NS0_5tupleIJSF_S6_EEENSJ_IJSG_SG_EEENS0_18inequality_wrapperINSA_8equal_toIfEEEEPmJS6_EEE10hipError_tPvRmT3_T4_T5_T6_T7_T9_mT8_P12ihipStream_tbDpT10_ENKUlT_T0_E_clISt17integral_constantIbLb1EES19_IbLb0EEEEDaS15_S16_EUlS15_E_NS1_11comp_targetILNS1_3genE3ELNS1_11target_archE908ELNS1_3gpuE7ELNS1_3repE0EEENS1_30default_config_static_selectorELNS0_4arch9wavefront6targetE1EEEvT1_
; %bb.0:
	.section	.rodata,"a",@progbits
	.p2align	6, 0x0
	.amdhsa_kernel _ZN7rocprim17ROCPRIM_400000_NS6detail17trampoline_kernelINS0_14default_configENS1_25partition_config_selectorILNS1_17partition_subalgoE8EfNS0_10empty_typeEbEEZZNS1_14partition_implILS5_8ELb0ES3_jN6thrust23THRUST_200600_302600_NS6detail15normal_iteratorINSA_10device_ptrIfEEEEPS6_PKS6_NS0_5tupleIJSF_S6_EEENSJ_IJSG_SG_EEENS0_18inequality_wrapperINSA_8equal_toIfEEEEPmJS6_EEE10hipError_tPvRmT3_T4_T5_T6_T7_T9_mT8_P12ihipStream_tbDpT10_ENKUlT_T0_E_clISt17integral_constantIbLb1EES19_IbLb0EEEEDaS15_S16_EUlS15_E_NS1_11comp_targetILNS1_3genE3ELNS1_11target_archE908ELNS1_3gpuE7ELNS1_3repE0EEENS1_30default_config_static_selectorELNS0_4arch9wavefront6targetE1EEEvT1_
		.amdhsa_group_segment_fixed_size 0
		.amdhsa_private_segment_fixed_size 0
		.amdhsa_kernarg_size 112
		.amdhsa_user_sgpr_count 6
		.amdhsa_user_sgpr_private_segment_buffer 1
		.amdhsa_user_sgpr_dispatch_ptr 0
		.amdhsa_user_sgpr_queue_ptr 0
		.amdhsa_user_sgpr_kernarg_segment_ptr 1
		.amdhsa_user_sgpr_dispatch_id 0
		.amdhsa_user_sgpr_flat_scratch_init 0
		.amdhsa_user_sgpr_private_segment_size 0
		.amdhsa_uses_dynamic_stack 0
		.amdhsa_system_sgpr_private_segment_wavefront_offset 0
		.amdhsa_system_sgpr_workgroup_id_x 1
		.amdhsa_system_sgpr_workgroup_id_y 0
		.amdhsa_system_sgpr_workgroup_id_z 0
		.amdhsa_system_sgpr_workgroup_info 0
		.amdhsa_system_vgpr_workitem_id 0
		.amdhsa_next_free_vgpr 1
		.amdhsa_next_free_sgpr 0
		.amdhsa_reserve_vcc 0
		.amdhsa_reserve_flat_scratch 0
		.amdhsa_float_round_mode_32 0
		.amdhsa_float_round_mode_16_64 0
		.amdhsa_float_denorm_mode_32 3
		.amdhsa_float_denorm_mode_16_64 3
		.amdhsa_dx10_clamp 1
		.amdhsa_ieee_mode 1
		.amdhsa_fp16_overflow 0
		.amdhsa_exception_fp_ieee_invalid_op 0
		.amdhsa_exception_fp_denorm_src 0
		.amdhsa_exception_fp_ieee_div_zero 0
		.amdhsa_exception_fp_ieee_overflow 0
		.amdhsa_exception_fp_ieee_underflow 0
		.amdhsa_exception_fp_ieee_inexact 0
		.amdhsa_exception_int_div_zero 0
	.end_amdhsa_kernel
	.section	.text._ZN7rocprim17ROCPRIM_400000_NS6detail17trampoline_kernelINS0_14default_configENS1_25partition_config_selectorILNS1_17partition_subalgoE8EfNS0_10empty_typeEbEEZZNS1_14partition_implILS5_8ELb0ES3_jN6thrust23THRUST_200600_302600_NS6detail15normal_iteratorINSA_10device_ptrIfEEEEPS6_PKS6_NS0_5tupleIJSF_S6_EEENSJ_IJSG_SG_EEENS0_18inequality_wrapperINSA_8equal_toIfEEEEPmJS6_EEE10hipError_tPvRmT3_T4_T5_T6_T7_T9_mT8_P12ihipStream_tbDpT10_ENKUlT_T0_E_clISt17integral_constantIbLb1EES19_IbLb0EEEEDaS15_S16_EUlS15_E_NS1_11comp_targetILNS1_3genE3ELNS1_11target_archE908ELNS1_3gpuE7ELNS1_3repE0EEENS1_30default_config_static_selectorELNS0_4arch9wavefront6targetE1EEEvT1_,"axG",@progbits,_ZN7rocprim17ROCPRIM_400000_NS6detail17trampoline_kernelINS0_14default_configENS1_25partition_config_selectorILNS1_17partition_subalgoE8EfNS0_10empty_typeEbEEZZNS1_14partition_implILS5_8ELb0ES3_jN6thrust23THRUST_200600_302600_NS6detail15normal_iteratorINSA_10device_ptrIfEEEEPS6_PKS6_NS0_5tupleIJSF_S6_EEENSJ_IJSG_SG_EEENS0_18inequality_wrapperINSA_8equal_toIfEEEEPmJS6_EEE10hipError_tPvRmT3_T4_T5_T6_T7_T9_mT8_P12ihipStream_tbDpT10_ENKUlT_T0_E_clISt17integral_constantIbLb1EES19_IbLb0EEEEDaS15_S16_EUlS15_E_NS1_11comp_targetILNS1_3genE3ELNS1_11target_archE908ELNS1_3gpuE7ELNS1_3repE0EEENS1_30default_config_static_selectorELNS0_4arch9wavefront6targetE1EEEvT1_,comdat
.Lfunc_end99:
	.size	_ZN7rocprim17ROCPRIM_400000_NS6detail17trampoline_kernelINS0_14default_configENS1_25partition_config_selectorILNS1_17partition_subalgoE8EfNS0_10empty_typeEbEEZZNS1_14partition_implILS5_8ELb0ES3_jN6thrust23THRUST_200600_302600_NS6detail15normal_iteratorINSA_10device_ptrIfEEEEPS6_PKS6_NS0_5tupleIJSF_S6_EEENSJ_IJSG_SG_EEENS0_18inequality_wrapperINSA_8equal_toIfEEEEPmJS6_EEE10hipError_tPvRmT3_T4_T5_T6_T7_T9_mT8_P12ihipStream_tbDpT10_ENKUlT_T0_E_clISt17integral_constantIbLb1EES19_IbLb0EEEEDaS15_S16_EUlS15_E_NS1_11comp_targetILNS1_3genE3ELNS1_11target_archE908ELNS1_3gpuE7ELNS1_3repE0EEENS1_30default_config_static_selectorELNS0_4arch9wavefront6targetE1EEEvT1_, .Lfunc_end99-_ZN7rocprim17ROCPRIM_400000_NS6detail17trampoline_kernelINS0_14default_configENS1_25partition_config_selectorILNS1_17partition_subalgoE8EfNS0_10empty_typeEbEEZZNS1_14partition_implILS5_8ELb0ES3_jN6thrust23THRUST_200600_302600_NS6detail15normal_iteratorINSA_10device_ptrIfEEEEPS6_PKS6_NS0_5tupleIJSF_S6_EEENSJ_IJSG_SG_EEENS0_18inequality_wrapperINSA_8equal_toIfEEEEPmJS6_EEE10hipError_tPvRmT3_T4_T5_T6_T7_T9_mT8_P12ihipStream_tbDpT10_ENKUlT_T0_E_clISt17integral_constantIbLb1EES19_IbLb0EEEEDaS15_S16_EUlS15_E_NS1_11comp_targetILNS1_3genE3ELNS1_11target_archE908ELNS1_3gpuE7ELNS1_3repE0EEENS1_30default_config_static_selectorELNS0_4arch9wavefront6targetE1EEEvT1_
                                        ; -- End function
	.set _ZN7rocprim17ROCPRIM_400000_NS6detail17trampoline_kernelINS0_14default_configENS1_25partition_config_selectorILNS1_17partition_subalgoE8EfNS0_10empty_typeEbEEZZNS1_14partition_implILS5_8ELb0ES3_jN6thrust23THRUST_200600_302600_NS6detail15normal_iteratorINSA_10device_ptrIfEEEEPS6_PKS6_NS0_5tupleIJSF_S6_EEENSJ_IJSG_SG_EEENS0_18inequality_wrapperINSA_8equal_toIfEEEEPmJS6_EEE10hipError_tPvRmT3_T4_T5_T6_T7_T9_mT8_P12ihipStream_tbDpT10_ENKUlT_T0_E_clISt17integral_constantIbLb1EES19_IbLb0EEEEDaS15_S16_EUlS15_E_NS1_11comp_targetILNS1_3genE3ELNS1_11target_archE908ELNS1_3gpuE7ELNS1_3repE0EEENS1_30default_config_static_selectorELNS0_4arch9wavefront6targetE1EEEvT1_.num_vgpr, 0
	.set _ZN7rocprim17ROCPRIM_400000_NS6detail17trampoline_kernelINS0_14default_configENS1_25partition_config_selectorILNS1_17partition_subalgoE8EfNS0_10empty_typeEbEEZZNS1_14partition_implILS5_8ELb0ES3_jN6thrust23THRUST_200600_302600_NS6detail15normal_iteratorINSA_10device_ptrIfEEEEPS6_PKS6_NS0_5tupleIJSF_S6_EEENSJ_IJSG_SG_EEENS0_18inequality_wrapperINSA_8equal_toIfEEEEPmJS6_EEE10hipError_tPvRmT3_T4_T5_T6_T7_T9_mT8_P12ihipStream_tbDpT10_ENKUlT_T0_E_clISt17integral_constantIbLb1EES19_IbLb0EEEEDaS15_S16_EUlS15_E_NS1_11comp_targetILNS1_3genE3ELNS1_11target_archE908ELNS1_3gpuE7ELNS1_3repE0EEENS1_30default_config_static_selectorELNS0_4arch9wavefront6targetE1EEEvT1_.num_agpr, 0
	.set _ZN7rocprim17ROCPRIM_400000_NS6detail17trampoline_kernelINS0_14default_configENS1_25partition_config_selectorILNS1_17partition_subalgoE8EfNS0_10empty_typeEbEEZZNS1_14partition_implILS5_8ELb0ES3_jN6thrust23THRUST_200600_302600_NS6detail15normal_iteratorINSA_10device_ptrIfEEEEPS6_PKS6_NS0_5tupleIJSF_S6_EEENSJ_IJSG_SG_EEENS0_18inequality_wrapperINSA_8equal_toIfEEEEPmJS6_EEE10hipError_tPvRmT3_T4_T5_T6_T7_T9_mT8_P12ihipStream_tbDpT10_ENKUlT_T0_E_clISt17integral_constantIbLb1EES19_IbLb0EEEEDaS15_S16_EUlS15_E_NS1_11comp_targetILNS1_3genE3ELNS1_11target_archE908ELNS1_3gpuE7ELNS1_3repE0EEENS1_30default_config_static_selectorELNS0_4arch9wavefront6targetE1EEEvT1_.numbered_sgpr, 0
	.set _ZN7rocprim17ROCPRIM_400000_NS6detail17trampoline_kernelINS0_14default_configENS1_25partition_config_selectorILNS1_17partition_subalgoE8EfNS0_10empty_typeEbEEZZNS1_14partition_implILS5_8ELb0ES3_jN6thrust23THRUST_200600_302600_NS6detail15normal_iteratorINSA_10device_ptrIfEEEEPS6_PKS6_NS0_5tupleIJSF_S6_EEENSJ_IJSG_SG_EEENS0_18inequality_wrapperINSA_8equal_toIfEEEEPmJS6_EEE10hipError_tPvRmT3_T4_T5_T6_T7_T9_mT8_P12ihipStream_tbDpT10_ENKUlT_T0_E_clISt17integral_constantIbLb1EES19_IbLb0EEEEDaS15_S16_EUlS15_E_NS1_11comp_targetILNS1_3genE3ELNS1_11target_archE908ELNS1_3gpuE7ELNS1_3repE0EEENS1_30default_config_static_selectorELNS0_4arch9wavefront6targetE1EEEvT1_.num_named_barrier, 0
	.set _ZN7rocprim17ROCPRIM_400000_NS6detail17trampoline_kernelINS0_14default_configENS1_25partition_config_selectorILNS1_17partition_subalgoE8EfNS0_10empty_typeEbEEZZNS1_14partition_implILS5_8ELb0ES3_jN6thrust23THRUST_200600_302600_NS6detail15normal_iteratorINSA_10device_ptrIfEEEEPS6_PKS6_NS0_5tupleIJSF_S6_EEENSJ_IJSG_SG_EEENS0_18inequality_wrapperINSA_8equal_toIfEEEEPmJS6_EEE10hipError_tPvRmT3_T4_T5_T6_T7_T9_mT8_P12ihipStream_tbDpT10_ENKUlT_T0_E_clISt17integral_constantIbLb1EES19_IbLb0EEEEDaS15_S16_EUlS15_E_NS1_11comp_targetILNS1_3genE3ELNS1_11target_archE908ELNS1_3gpuE7ELNS1_3repE0EEENS1_30default_config_static_selectorELNS0_4arch9wavefront6targetE1EEEvT1_.private_seg_size, 0
	.set _ZN7rocprim17ROCPRIM_400000_NS6detail17trampoline_kernelINS0_14default_configENS1_25partition_config_selectorILNS1_17partition_subalgoE8EfNS0_10empty_typeEbEEZZNS1_14partition_implILS5_8ELb0ES3_jN6thrust23THRUST_200600_302600_NS6detail15normal_iteratorINSA_10device_ptrIfEEEEPS6_PKS6_NS0_5tupleIJSF_S6_EEENSJ_IJSG_SG_EEENS0_18inequality_wrapperINSA_8equal_toIfEEEEPmJS6_EEE10hipError_tPvRmT3_T4_T5_T6_T7_T9_mT8_P12ihipStream_tbDpT10_ENKUlT_T0_E_clISt17integral_constantIbLb1EES19_IbLb0EEEEDaS15_S16_EUlS15_E_NS1_11comp_targetILNS1_3genE3ELNS1_11target_archE908ELNS1_3gpuE7ELNS1_3repE0EEENS1_30default_config_static_selectorELNS0_4arch9wavefront6targetE1EEEvT1_.uses_vcc, 0
	.set _ZN7rocprim17ROCPRIM_400000_NS6detail17trampoline_kernelINS0_14default_configENS1_25partition_config_selectorILNS1_17partition_subalgoE8EfNS0_10empty_typeEbEEZZNS1_14partition_implILS5_8ELb0ES3_jN6thrust23THRUST_200600_302600_NS6detail15normal_iteratorINSA_10device_ptrIfEEEEPS6_PKS6_NS0_5tupleIJSF_S6_EEENSJ_IJSG_SG_EEENS0_18inequality_wrapperINSA_8equal_toIfEEEEPmJS6_EEE10hipError_tPvRmT3_T4_T5_T6_T7_T9_mT8_P12ihipStream_tbDpT10_ENKUlT_T0_E_clISt17integral_constantIbLb1EES19_IbLb0EEEEDaS15_S16_EUlS15_E_NS1_11comp_targetILNS1_3genE3ELNS1_11target_archE908ELNS1_3gpuE7ELNS1_3repE0EEENS1_30default_config_static_selectorELNS0_4arch9wavefront6targetE1EEEvT1_.uses_flat_scratch, 0
	.set _ZN7rocprim17ROCPRIM_400000_NS6detail17trampoline_kernelINS0_14default_configENS1_25partition_config_selectorILNS1_17partition_subalgoE8EfNS0_10empty_typeEbEEZZNS1_14partition_implILS5_8ELb0ES3_jN6thrust23THRUST_200600_302600_NS6detail15normal_iteratorINSA_10device_ptrIfEEEEPS6_PKS6_NS0_5tupleIJSF_S6_EEENSJ_IJSG_SG_EEENS0_18inequality_wrapperINSA_8equal_toIfEEEEPmJS6_EEE10hipError_tPvRmT3_T4_T5_T6_T7_T9_mT8_P12ihipStream_tbDpT10_ENKUlT_T0_E_clISt17integral_constantIbLb1EES19_IbLb0EEEEDaS15_S16_EUlS15_E_NS1_11comp_targetILNS1_3genE3ELNS1_11target_archE908ELNS1_3gpuE7ELNS1_3repE0EEENS1_30default_config_static_selectorELNS0_4arch9wavefront6targetE1EEEvT1_.has_dyn_sized_stack, 0
	.set _ZN7rocprim17ROCPRIM_400000_NS6detail17trampoline_kernelINS0_14default_configENS1_25partition_config_selectorILNS1_17partition_subalgoE8EfNS0_10empty_typeEbEEZZNS1_14partition_implILS5_8ELb0ES3_jN6thrust23THRUST_200600_302600_NS6detail15normal_iteratorINSA_10device_ptrIfEEEEPS6_PKS6_NS0_5tupleIJSF_S6_EEENSJ_IJSG_SG_EEENS0_18inequality_wrapperINSA_8equal_toIfEEEEPmJS6_EEE10hipError_tPvRmT3_T4_T5_T6_T7_T9_mT8_P12ihipStream_tbDpT10_ENKUlT_T0_E_clISt17integral_constantIbLb1EES19_IbLb0EEEEDaS15_S16_EUlS15_E_NS1_11comp_targetILNS1_3genE3ELNS1_11target_archE908ELNS1_3gpuE7ELNS1_3repE0EEENS1_30default_config_static_selectorELNS0_4arch9wavefront6targetE1EEEvT1_.has_recursion, 0
	.set _ZN7rocprim17ROCPRIM_400000_NS6detail17trampoline_kernelINS0_14default_configENS1_25partition_config_selectorILNS1_17partition_subalgoE8EfNS0_10empty_typeEbEEZZNS1_14partition_implILS5_8ELb0ES3_jN6thrust23THRUST_200600_302600_NS6detail15normal_iteratorINSA_10device_ptrIfEEEEPS6_PKS6_NS0_5tupleIJSF_S6_EEENSJ_IJSG_SG_EEENS0_18inequality_wrapperINSA_8equal_toIfEEEEPmJS6_EEE10hipError_tPvRmT3_T4_T5_T6_T7_T9_mT8_P12ihipStream_tbDpT10_ENKUlT_T0_E_clISt17integral_constantIbLb1EES19_IbLb0EEEEDaS15_S16_EUlS15_E_NS1_11comp_targetILNS1_3genE3ELNS1_11target_archE908ELNS1_3gpuE7ELNS1_3repE0EEENS1_30default_config_static_selectorELNS0_4arch9wavefront6targetE1EEEvT1_.has_indirect_call, 0
	.section	.AMDGPU.csdata,"",@progbits
; Kernel info:
; codeLenInByte = 0
; TotalNumSgprs: 4
; NumVgprs: 0
; ScratchSize: 0
; MemoryBound: 0
; FloatMode: 240
; IeeeMode: 1
; LDSByteSize: 0 bytes/workgroup (compile time only)
; SGPRBlocks: 0
; VGPRBlocks: 0
; NumSGPRsForWavesPerEU: 4
; NumVGPRsForWavesPerEU: 1
; Occupancy: 10
; WaveLimiterHint : 0
; COMPUTE_PGM_RSRC2:SCRATCH_EN: 0
; COMPUTE_PGM_RSRC2:USER_SGPR: 6
; COMPUTE_PGM_RSRC2:TRAP_HANDLER: 0
; COMPUTE_PGM_RSRC2:TGID_X_EN: 1
; COMPUTE_PGM_RSRC2:TGID_Y_EN: 0
; COMPUTE_PGM_RSRC2:TGID_Z_EN: 0
; COMPUTE_PGM_RSRC2:TIDIG_COMP_CNT: 0
	.section	.text._ZN7rocprim17ROCPRIM_400000_NS6detail17trampoline_kernelINS0_14default_configENS1_25partition_config_selectorILNS1_17partition_subalgoE8EfNS0_10empty_typeEbEEZZNS1_14partition_implILS5_8ELb0ES3_jN6thrust23THRUST_200600_302600_NS6detail15normal_iteratorINSA_10device_ptrIfEEEEPS6_PKS6_NS0_5tupleIJSF_S6_EEENSJ_IJSG_SG_EEENS0_18inequality_wrapperINSA_8equal_toIfEEEEPmJS6_EEE10hipError_tPvRmT3_T4_T5_T6_T7_T9_mT8_P12ihipStream_tbDpT10_ENKUlT_T0_E_clISt17integral_constantIbLb1EES19_IbLb0EEEEDaS15_S16_EUlS15_E_NS1_11comp_targetILNS1_3genE2ELNS1_11target_archE906ELNS1_3gpuE6ELNS1_3repE0EEENS1_30default_config_static_selectorELNS0_4arch9wavefront6targetE1EEEvT1_,"axG",@progbits,_ZN7rocprim17ROCPRIM_400000_NS6detail17trampoline_kernelINS0_14default_configENS1_25partition_config_selectorILNS1_17partition_subalgoE8EfNS0_10empty_typeEbEEZZNS1_14partition_implILS5_8ELb0ES3_jN6thrust23THRUST_200600_302600_NS6detail15normal_iteratorINSA_10device_ptrIfEEEEPS6_PKS6_NS0_5tupleIJSF_S6_EEENSJ_IJSG_SG_EEENS0_18inequality_wrapperINSA_8equal_toIfEEEEPmJS6_EEE10hipError_tPvRmT3_T4_T5_T6_T7_T9_mT8_P12ihipStream_tbDpT10_ENKUlT_T0_E_clISt17integral_constantIbLb1EES19_IbLb0EEEEDaS15_S16_EUlS15_E_NS1_11comp_targetILNS1_3genE2ELNS1_11target_archE906ELNS1_3gpuE6ELNS1_3repE0EEENS1_30default_config_static_selectorELNS0_4arch9wavefront6targetE1EEEvT1_,comdat
	.protected	_ZN7rocprim17ROCPRIM_400000_NS6detail17trampoline_kernelINS0_14default_configENS1_25partition_config_selectorILNS1_17partition_subalgoE8EfNS0_10empty_typeEbEEZZNS1_14partition_implILS5_8ELb0ES3_jN6thrust23THRUST_200600_302600_NS6detail15normal_iteratorINSA_10device_ptrIfEEEEPS6_PKS6_NS0_5tupleIJSF_S6_EEENSJ_IJSG_SG_EEENS0_18inequality_wrapperINSA_8equal_toIfEEEEPmJS6_EEE10hipError_tPvRmT3_T4_T5_T6_T7_T9_mT8_P12ihipStream_tbDpT10_ENKUlT_T0_E_clISt17integral_constantIbLb1EES19_IbLb0EEEEDaS15_S16_EUlS15_E_NS1_11comp_targetILNS1_3genE2ELNS1_11target_archE906ELNS1_3gpuE6ELNS1_3repE0EEENS1_30default_config_static_selectorELNS0_4arch9wavefront6targetE1EEEvT1_ ; -- Begin function _ZN7rocprim17ROCPRIM_400000_NS6detail17trampoline_kernelINS0_14default_configENS1_25partition_config_selectorILNS1_17partition_subalgoE8EfNS0_10empty_typeEbEEZZNS1_14partition_implILS5_8ELb0ES3_jN6thrust23THRUST_200600_302600_NS6detail15normal_iteratorINSA_10device_ptrIfEEEEPS6_PKS6_NS0_5tupleIJSF_S6_EEENSJ_IJSG_SG_EEENS0_18inequality_wrapperINSA_8equal_toIfEEEEPmJS6_EEE10hipError_tPvRmT3_T4_T5_T6_T7_T9_mT8_P12ihipStream_tbDpT10_ENKUlT_T0_E_clISt17integral_constantIbLb1EES19_IbLb0EEEEDaS15_S16_EUlS15_E_NS1_11comp_targetILNS1_3genE2ELNS1_11target_archE906ELNS1_3gpuE6ELNS1_3repE0EEENS1_30default_config_static_selectorELNS0_4arch9wavefront6targetE1EEEvT1_
	.globl	_ZN7rocprim17ROCPRIM_400000_NS6detail17trampoline_kernelINS0_14default_configENS1_25partition_config_selectorILNS1_17partition_subalgoE8EfNS0_10empty_typeEbEEZZNS1_14partition_implILS5_8ELb0ES3_jN6thrust23THRUST_200600_302600_NS6detail15normal_iteratorINSA_10device_ptrIfEEEEPS6_PKS6_NS0_5tupleIJSF_S6_EEENSJ_IJSG_SG_EEENS0_18inequality_wrapperINSA_8equal_toIfEEEEPmJS6_EEE10hipError_tPvRmT3_T4_T5_T6_T7_T9_mT8_P12ihipStream_tbDpT10_ENKUlT_T0_E_clISt17integral_constantIbLb1EES19_IbLb0EEEEDaS15_S16_EUlS15_E_NS1_11comp_targetILNS1_3genE2ELNS1_11target_archE906ELNS1_3gpuE6ELNS1_3repE0EEENS1_30default_config_static_selectorELNS0_4arch9wavefront6targetE1EEEvT1_
	.p2align	8
	.type	_ZN7rocprim17ROCPRIM_400000_NS6detail17trampoline_kernelINS0_14default_configENS1_25partition_config_selectorILNS1_17partition_subalgoE8EfNS0_10empty_typeEbEEZZNS1_14partition_implILS5_8ELb0ES3_jN6thrust23THRUST_200600_302600_NS6detail15normal_iteratorINSA_10device_ptrIfEEEEPS6_PKS6_NS0_5tupleIJSF_S6_EEENSJ_IJSG_SG_EEENS0_18inequality_wrapperINSA_8equal_toIfEEEEPmJS6_EEE10hipError_tPvRmT3_T4_T5_T6_T7_T9_mT8_P12ihipStream_tbDpT10_ENKUlT_T0_E_clISt17integral_constantIbLb1EES19_IbLb0EEEEDaS15_S16_EUlS15_E_NS1_11comp_targetILNS1_3genE2ELNS1_11target_archE906ELNS1_3gpuE6ELNS1_3repE0EEENS1_30default_config_static_selectorELNS0_4arch9wavefront6targetE1EEEvT1_,@function
_ZN7rocprim17ROCPRIM_400000_NS6detail17trampoline_kernelINS0_14default_configENS1_25partition_config_selectorILNS1_17partition_subalgoE8EfNS0_10empty_typeEbEEZZNS1_14partition_implILS5_8ELb0ES3_jN6thrust23THRUST_200600_302600_NS6detail15normal_iteratorINSA_10device_ptrIfEEEEPS6_PKS6_NS0_5tupleIJSF_S6_EEENSJ_IJSG_SG_EEENS0_18inequality_wrapperINSA_8equal_toIfEEEEPmJS6_EEE10hipError_tPvRmT3_T4_T5_T6_T7_T9_mT8_P12ihipStream_tbDpT10_ENKUlT_T0_E_clISt17integral_constantIbLb1EES19_IbLb0EEEEDaS15_S16_EUlS15_E_NS1_11comp_targetILNS1_3genE2ELNS1_11target_archE906ELNS1_3gpuE6ELNS1_3repE0EEENS1_30default_config_static_selectorELNS0_4arch9wavefront6targetE1EEEvT1_: ; @_ZN7rocprim17ROCPRIM_400000_NS6detail17trampoline_kernelINS0_14default_configENS1_25partition_config_selectorILNS1_17partition_subalgoE8EfNS0_10empty_typeEbEEZZNS1_14partition_implILS5_8ELb0ES3_jN6thrust23THRUST_200600_302600_NS6detail15normal_iteratorINSA_10device_ptrIfEEEEPS6_PKS6_NS0_5tupleIJSF_S6_EEENSJ_IJSG_SG_EEENS0_18inequality_wrapperINSA_8equal_toIfEEEEPmJS6_EEE10hipError_tPvRmT3_T4_T5_T6_T7_T9_mT8_P12ihipStream_tbDpT10_ENKUlT_T0_E_clISt17integral_constantIbLb1EES19_IbLb0EEEEDaS15_S16_EUlS15_E_NS1_11comp_targetILNS1_3genE2ELNS1_11target_archE906ELNS1_3gpuE6ELNS1_3repE0EEENS1_30default_config_static_selectorELNS0_4arch9wavefront6targetE1EEEvT1_
; %bb.0:
	s_endpgm
	.section	.rodata,"a",@progbits
	.p2align	6, 0x0
	.amdhsa_kernel _ZN7rocprim17ROCPRIM_400000_NS6detail17trampoline_kernelINS0_14default_configENS1_25partition_config_selectorILNS1_17partition_subalgoE8EfNS0_10empty_typeEbEEZZNS1_14partition_implILS5_8ELb0ES3_jN6thrust23THRUST_200600_302600_NS6detail15normal_iteratorINSA_10device_ptrIfEEEEPS6_PKS6_NS0_5tupleIJSF_S6_EEENSJ_IJSG_SG_EEENS0_18inequality_wrapperINSA_8equal_toIfEEEEPmJS6_EEE10hipError_tPvRmT3_T4_T5_T6_T7_T9_mT8_P12ihipStream_tbDpT10_ENKUlT_T0_E_clISt17integral_constantIbLb1EES19_IbLb0EEEEDaS15_S16_EUlS15_E_NS1_11comp_targetILNS1_3genE2ELNS1_11target_archE906ELNS1_3gpuE6ELNS1_3repE0EEENS1_30default_config_static_selectorELNS0_4arch9wavefront6targetE1EEEvT1_
		.amdhsa_group_segment_fixed_size 0
		.amdhsa_private_segment_fixed_size 0
		.amdhsa_kernarg_size 112
		.amdhsa_user_sgpr_count 6
		.amdhsa_user_sgpr_private_segment_buffer 1
		.amdhsa_user_sgpr_dispatch_ptr 0
		.amdhsa_user_sgpr_queue_ptr 0
		.amdhsa_user_sgpr_kernarg_segment_ptr 1
		.amdhsa_user_sgpr_dispatch_id 0
		.amdhsa_user_sgpr_flat_scratch_init 0
		.amdhsa_user_sgpr_private_segment_size 0
		.amdhsa_uses_dynamic_stack 0
		.amdhsa_system_sgpr_private_segment_wavefront_offset 0
		.amdhsa_system_sgpr_workgroup_id_x 1
		.amdhsa_system_sgpr_workgroup_id_y 0
		.amdhsa_system_sgpr_workgroup_id_z 0
		.amdhsa_system_sgpr_workgroup_info 0
		.amdhsa_system_vgpr_workitem_id 0
		.amdhsa_next_free_vgpr 1
		.amdhsa_next_free_sgpr 0
		.amdhsa_reserve_vcc 0
		.amdhsa_reserve_flat_scratch 0
		.amdhsa_float_round_mode_32 0
		.amdhsa_float_round_mode_16_64 0
		.amdhsa_float_denorm_mode_32 3
		.amdhsa_float_denorm_mode_16_64 3
		.amdhsa_dx10_clamp 1
		.amdhsa_ieee_mode 1
		.amdhsa_fp16_overflow 0
		.amdhsa_exception_fp_ieee_invalid_op 0
		.amdhsa_exception_fp_denorm_src 0
		.amdhsa_exception_fp_ieee_div_zero 0
		.amdhsa_exception_fp_ieee_overflow 0
		.amdhsa_exception_fp_ieee_underflow 0
		.amdhsa_exception_fp_ieee_inexact 0
		.amdhsa_exception_int_div_zero 0
	.end_amdhsa_kernel
	.section	.text._ZN7rocprim17ROCPRIM_400000_NS6detail17trampoline_kernelINS0_14default_configENS1_25partition_config_selectorILNS1_17partition_subalgoE8EfNS0_10empty_typeEbEEZZNS1_14partition_implILS5_8ELb0ES3_jN6thrust23THRUST_200600_302600_NS6detail15normal_iteratorINSA_10device_ptrIfEEEEPS6_PKS6_NS0_5tupleIJSF_S6_EEENSJ_IJSG_SG_EEENS0_18inequality_wrapperINSA_8equal_toIfEEEEPmJS6_EEE10hipError_tPvRmT3_T4_T5_T6_T7_T9_mT8_P12ihipStream_tbDpT10_ENKUlT_T0_E_clISt17integral_constantIbLb1EES19_IbLb0EEEEDaS15_S16_EUlS15_E_NS1_11comp_targetILNS1_3genE2ELNS1_11target_archE906ELNS1_3gpuE6ELNS1_3repE0EEENS1_30default_config_static_selectorELNS0_4arch9wavefront6targetE1EEEvT1_,"axG",@progbits,_ZN7rocprim17ROCPRIM_400000_NS6detail17trampoline_kernelINS0_14default_configENS1_25partition_config_selectorILNS1_17partition_subalgoE8EfNS0_10empty_typeEbEEZZNS1_14partition_implILS5_8ELb0ES3_jN6thrust23THRUST_200600_302600_NS6detail15normal_iteratorINSA_10device_ptrIfEEEEPS6_PKS6_NS0_5tupleIJSF_S6_EEENSJ_IJSG_SG_EEENS0_18inequality_wrapperINSA_8equal_toIfEEEEPmJS6_EEE10hipError_tPvRmT3_T4_T5_T6_T7_T9_mT8_P12ihipStream_tbDpT10_ENKUlT_T0_E_clISt17integral_constantIbLb1EES19_IbLb0EEEEDaS15_S16_EUlS15_E_NS1_11comp_targetILNS1_3genE2ELNS1_11target_archE906ELNS1_3gpuE6ELNS1_3repE0EEENS1_30default_config_static_selectorELNS0_4arch9wavefront6targetE1EEEvT1_,comdat
.Lfunc_end100:
	.size	_ZN7rocprim17ROCPRIM_400000_NS6detail17trampoline_kernelINS0_14default_configENS1_25partition_config_selectorILNS1_17partition_subalgoE8EfNS0_10empty_typeEbEEZZNS1_14partition_implILS5_8ELb0ES3_jN6thrust23THRUST_200600_302600_NS6detail15normal_iteratorINSA_10device_ptrIfEEEEPS6_PKS6_NS0_5tupleIJSF_S6_EEENSJ_IJSG_SG_EEENS0_18inequality_wrapperINSA_8equal_toIfEEEEPmJS6_EEE10hipError_tPvRmT3_T4_T5_T6_T7_T9_mT8_P12ihipStream_tbDpT10_ENKUlT_T0_E_clISt17integral_constantIbLb1EES19_IbLb0EEEEDaS15_S16_EUlS15_E_NS1_11comp_targetILNS1_3genE2ELNS1_11target_archE906ELNS1_3gpuE6ELNS1_3repE0EEENS1_30default_config_static_selectorELNS0_4arch9wavefront6targetE1EEEvT1_, .Lfunc_end100-_ZN7rocprim17ROCPRIM_400000_NS6detail17trampoline_kernelINS0_14default_configENS1_25partition_config_selectorILNS1_17partition_subalgoE8EfNS0_10empty_typeEbEEZZNS1_14partition_implILS5_8ELb0ES3_jN6thrust23THRUST_200600_302600_NS6detail15normal_iteratorINSA_10device_ptrIfEEEEPS6_PKS6_NS0_5tupleIJSF_S6_EEENSJ_IJSG_SG_EEENS0_18inequality_wrapperINSA_8equal_toIfEEEEPmJS6_EEE10hipError_tPvRmT3_T4_T5_T6_T7_T9_mT8_P12ihipStream_tbDpT10_ENKUlT_T0_E_clISt17integral_constantIbLb1EES19_IbLb0EEEEDaS15_S16_EUlS15_E_NS1_11comp_targetILNS1_3genE2ELNS1_11target_archE906ELNS1_3gpuE6ELNS1_3repE0EEENS1_30default_config_static_selectorELNS0_4arch9wavefront6targetE1EEEvT1_
                                        ; -- End function
	.set _ZN7rocprim17ROCPRIM_400000_NS6detail17trampoline_kernelINS0_14default_configENS1_25partition_config_selectorILNS1_17partition_subalgoE8EfNS0_10empty_typeEbEEZZNS1_14partition_implILS5_8ELb0ES3_jN6thrust23THRUST_200600_302600_NS6detail15normal_iteratorINSA_10device_ptrIfEEEEPS6_PKS6_NS0_5tupleIJSF_S6_EEENSJ_IJSG_SG_EEENS0_18inequality_wrapperINSA_8equal_toIfEEEEPmJS6_EEE10hipError_tPvRmT3_T4_T5_T6_T7_T9_mT8_P12ihipStream_tbDpT10_ENKUlT_T0_E_clISt17integral_constantIbLb1EES19_IbLb0EEEEDaS15_S16_EUlS15_E_NS1_11comp_targetILNS1_3genE2ELNS1_11target_archE906ELNS1_3gpuE6ELNS1_3repE0EEENS1_30default_config_static_selectorELNS0_4arch9wavefront6targetE1EEEvT1_.num_vgpr, 0
	.set _ZN7rocprim17ROCPRIM_400000_NS6detail17trampoline_kernelINS0_14default_configENS1_25partition_config_selectorILNS1_17partition_subalgoE8EfNS0_10empty_typeEbEEZZNS1_14partition_implILS5_8ELb0ES3_jN6thrust23THRUST_200600_302600_NS6detail15normal_iteratorINSA_10device_ptrIfEEEEPS6_PKS6_NS0_5tupleIJSF_S6_EEENSJ_IJSG_SG_EEENS0_18inequality_wrapperINSA_8equal_toIfEEEEPmJS6_EEE10hipError_tPvRmT3_T4_T5_T6_T7_T9_mT8_P12ihipStream_tbDpT10_ENKUlT_T0_E_clISt17integral_constantIbLb1EES19_IbLb0EEEEDaS15_S16_EUlS15_E_NS1_11comp_targetILNS1_3genE2ELNS1_11target_archE906ELNS1_3gpuE6ELNS1_3repE0EEENS1_30default_config_static_selectorELNS0_4arch9wavefront6targetE1EEEvT1_.num_agpr, 0
	.set _ZN7rocprim17ROCPRIM_400000_NS6detail17trampoline_kernelINS0_14default_configENS1_25partition_config_selectorILNS1_17partition_subalgoE8EfNS0_10empty_typeEbEEZZNS1_14partition_implILS5_8ELb0ES3_jN6thrust23THRUST_200600_302600_NS6detail15normal_iteratorINSA_10device_ptrIfEEEEPS6_PKS6_NS0_5tupleIJSF_S6_EEENSJ_IJSG_SG_EEENS0_18inequality_wrapperINSA_8equal_toIfEEEEPmJS6_EEE10hipError_tPvRmT3_T4_T5_T6_T7_T9_mT8_P12ihipStream_tbDpT10_ENKUlT_T0_E_clISt17integral_constantIbLb1EES19_IbLb0EEEEDaS15_S16_EUlS15_E_NS1_11comp_targetILNS1_3genE2ELNS1_11target_archE906ELNS1_3gpuE6ELNS1_3repE0EEENS1_30default_config_static_selectorELNS0_4arch9wavefront6targetE1EEEvT1_.numbered_sgpr, 0
	.set _ZN7rocprim17ROCPRIM_400000_NS6detail17trampoline_kernelINS0_14default_configENS1_25partition_config_selectorILNS1_17partition_subalgoE8EfNS0_10empty_typeEbEEZZNS1_14partition_implILS5_8ELb0ES3_jN6thrust23THRUST_200600_302600_NS6detail15normal_iteratorINSA_10device_ptrIfEEEEPS6_PKS6_NS0_5tupleIJSF_S6_EEENSJ_IJSG_SG_EEENS0_18inequality_wrapperINSA_8equal_toIfEEEEPmJS6_EEE10hipError_tPvRmT3_T4_T5_T6_T7_T9_mT8_P12ihipStream_tbDpT10_ENKUlT_T0_E_clISt17integral_constantIbLb1EES19_IbLb0EEEEDaS15_S16_EUlS15_E_NS1_11comp_targetILNS1_3genE2ELNS1_11target_archE906ELNS1_3gpuE6ELNS1_3repE0EEENS1_30default_config_static_selectorELNS0_4arch9wavefront6targetE1EEEvT1_.num_named_barrier, 0
	.set _ZN7rocprim17ROCPRIM_400000_NS6detail17trampoline_kernelINS0_14default_configENS1_25partition_config_selectorILNS1_17partition_subalgoE8EfNS0_10empty_typeEbEEZZNS1_14partition_implILS5_8ELb0ES3_jN6thrust23THRUST_200600_302600_NS6detail15normal_iteratorINSA_10device_ptrIfEEEEPS6_PKS6_NS0_5tupleIJSF_S6_EEENSJ_IJSG_SG_EEENS0_18inequality_wrapperINSA_8equal_toIfEEEEPmJS6_EEE10hipError_tPvRmT3_T4_T5_T6_T7_T9_mT8_P12ihipStream_tbDpT10_ENKUlT_T0_E_clISt17integral_constantIbLb1EES19_IbLb0EEEEDaS15_S16_EUlS15_E_NS1_11comp_targetILNS1_3genE2ELNS1_11target_archE906ELNS1_3gpuE6ELNS1_3repE0EEENS1_30default_config_static_selectorELNS0_4arch9wavefront6targetE1EEEvT1_.private_seg_size, 0
	.set _ZN7rocprim17ROCPRIM_400000_NS6detail17trampoline_kernelINS0_14default_configENS1_25partition_config_selectorILNS1_17partition_subalgoE8EfNS0_10empty_typeEbEEZZNS1_14partition_implILS5_8ELb0ES3_jN6thrust23THRUST_200600_302600_NS6detail15normal_iteratorINSA_10device_ptrIfEEEEPS6_PKS6_NS0_5tupleIJSF_S6_EEENSJ_IJSG_SG_EEENS0_18inequality_wrapperINSA_8equal_toIfEEEEPmJS6_EEE10hipError_tPvRmT3_T4_T5_T6_T7_T9_mT8_P12ihipStream_tbDpT10_ENKUlT_T0_E_clISt17integral_constantIbLb1EES19_IbLb0EEEEDaS15_S16_EUlS15_E_NS1_11comp_targetILNS1_3genE2ELNS1_11target_archE906ELNS1_3gpuE6ELNS1_3repE0EEENS1_30default_config_static_selectorELNS0_4arch9wavefront6targetE1EEEvT1_.uses_vcc, 0
	.set _ZN7rocprim17ROCPRIM_400000_NS6detail17trampoline_kernelINS0_14default_configENS1_25partition_config_selectorILNS1_17partition_subalgoE8EfNS0_10empty_typeEbEEZZNS1_14partition_implILS5_8ELb0ES3_jN6thrust23THRUST_200600_302600_NS6detail15normal_iteratorINSA_10device_ptrIfEEEEPS6_PKS6_NS0_5tupleIJSF_S6_EEENSJ_IJSG_SG_EEENS0_18inequality_wrapperINSA_8equal_toIfEEEEPmJS6_EEE10hipError_tPvRmT3_T4_T5_T6_T7_T9_mT8_P12ihipStream_tbDpT10_ENKUlT_T0_E_clISt17integral_constantIbLb1EES19_IbLb0EEEEDaS15_S16_EUlS15_E_NS1_11comp_targetILNS1_3genE2ELNS1_11target_archE906ELNS1_3gpuE6ELNS1_3repE0EEENS1_30default_config_static_selectorELNS0_4arch9wavefront6targetE1EEEvT1_.uses_flat_scratch, 0
	.set _ZN7rocprim17ROCPRIM_400000_NS6detail17trampoline_kernelINS0_14default_configENS1_25partition_config_selectorILNS1_17partition_subalgoE8EfNS0_10empty_typeEbEEZZNS1_14partition_implILS5_8ELb0ES3_jN6thrust23THRUST_200600_302600_NS6detail15normal_iteratorINSA_10device_ptrIfEEEEPS6_PKS6_NS0_5tupleIJSF_S6_EEENSJ_IJSG_SG_EEENS0_18inequality_wrapperINSA_8equal_toIfEEEEPmJS6_EEE10hipError_tPvRmT3_T4_T5_T6_T7_T9_mT8_P12ihipStream_tbDpT10_ENKUlT_T0_E_clISt17integral_constantIbLb1EES19_IbLb0EEEEDaS15_S16_EUlS15_E_NS1_11comp_targetILNS1_3genE2ELNS1_11target_archE906ELNS1_3gpuE6ELNS1_3repE0EEENS1_30default_config_static_selectorELNS0_4arch9wavefront6targetE1EEEvT1_.has_dyn_sized_stack, 0
	.set _ZN7rocprim17ROCPRIM_400000_NS6detail17trampoline_kernelINS0_14default_configENS1_25partition_config_selectorILNS1_17partition_subalgoE8EfNS0_10empty_typeEbEEZZNS1_14partition_implILS5_8ELb0ES3_jN6thrust23THRUST_200600_302600_NS6detail15normal_iteratorINSA_10device_ptrIfEEEEPS6_PKS6_NS0_5tupleIJSF_S6_EEENSJ_IJSG_SG_EEENS0_18inequality_wrapperINSA_8equal_toIfEEEEPmJS6_EEE10hipError_tPvRmT3_T4_T5_T6_T7_T9_mT8_P12ihipStream_tbDpT10_ENKUlT_T0_E_clISt17integral_constantIbLb1EES19_IbLb0EEEEDaS15_S16_EUlS15_E_NS1_11comp_targetILNS1_3genE2ELNS1_11target_archE906ELNS1_3gpuE6ELNS1_3repE0EEENS1_30default_config_static_selectorELNS0_4arch9wavefront6targetE1EEEvT1_.has_recursion, 0
	.set _ZN7rocprim17ROCPRIM_400000_NS6detail17trampoline_kernelINS0_14default_configENS1_25partition_config_selectorILNS1_17partition_subalgoE8EfNS0_10empty_typeEbEEZZNS1_14partition_implILS5_8ELb0ES3_jN6thrust23THRUST_200600_302600_NS6detail15normal_iteratorINSA_10device_ptrIfEEEEPS6_PKS6_NS0_5tupleIJSF_S6_EEENSJ_IJSG_SG_EEENS0_18inequality_wrapperINSA_8equal_toIfEEEEPmJS6_EEE10hipError_tPvRmT3_T4_T5_T6_T7_T9_mT8_P12ihipStream_tbDpT10_ENKUlT_T0_E_clISt17integral_constantIbLb1EES19_IbLb0EEEEDaS15_S16_EUlS15_E_NS1_11comp_targetILNS1_3genE2ELNS1_11target_archE906ELNS1_3gpuE6ELNS1_3repE0EEENS1_30default_config_static_selectorELNS0_4arch9wavefront6targetE1EEEvT1_.has_indirect_call, 0
	.section	.AMDGPU.csdata,"",@progbits
; Kernel info:
; codeLenInByte = 4
; TotalNumSgprs: 4
; NumVgprs: 0
; ScratchSize: 0
; MemoryBound: 0
; FloatMode: 240
; IeeeMode: 1
; LDSByteSize: 0 bytes/workgroup (compile time only)
; SGPRBlocks: 0
; VGPRBlocks: 0
; NumSGPRsForWavesPerEU: 4
; NumVGPRsForWavesPerEU: 1
; Occupancy: 10
; WaveLimiterHint : 0
; COMPUTE_PGM_RSRC2:SCRATCH_EN: 0
; COMPUTE_PGM_RSRC2:USER_SGPR: 6
; COMPUTE_PGM_RSRC2:TRAP_HANDLER: 0
; COMPUTE_PGM_RSRC2:TGID_X_EN: 1
; COMPUTE_PGM_RSRC2:TGID_Y_EN: 0
; COMPUTE_PGM_RSRC2:TGID_Z_EN: 0
; COMPUTE_PGM_RSRC2:TIDIG_COMP_CNT: 0
	.section	.text._ZN7rocprim17ROCPRIM_400000_NS6detail17trampoline_kernelINS0_14default_configENS1_25partition_config_selectorILNS1_17partition_subalgoE8EfNS0_10empty_typeEbEEZZNS1_14partition_implILS5_8ELb0ES3_jN6thrust23THRUST_200600_302600_NS6detail15normal_iteratorINSA_10device_ptrIfEEEEPS6_PKS6_NS0_5tupleIJSF_S6_EEENSJ_IJSG_SG_EEENS0_18inequality_wrapperINSA_8equal_toIfEEEEPmJS6_EEE10hipError_tPvRmT3_T4_T5_T6_T7_T9_mT8_P12ihipStream_tbDpT10_ENKUlT_T0_E_clISt17integral_constantIbLb1EES19_IbLb0EEEEDaS15_S16_EUlS15_E_NS1_11comp_targetILNS1_3genE10ELNS1_11target_archE1200ELNS1_3gpuE4ELNS1_3repE0EEENS1_30default_config_static_selectorELNS0_4arch9wavefront6targetE1EEEvT1_,"axG",@progbits,_ZN7rocprim17ROCPRIM_400000_NS6detail17trampoline_kernelINS0_14default_configENS1_25partition_config_selectorILNS1_17partition_subalgoE8EfNS0_10empty_typeEbEEZZNS1_14partition_implILS5_8ELb0ES3_jN6thrust23THRUST_200600_302600_NS6detail15normal_iteratorINSA_10device_ptrIfEEEEPS6_PKS6_NS0_5tupleIJSF_S6_EEENSJ_IJSG_SG_EEENS0_18inequality_wrapperINSA_8equal_toIfEEEEPmJS6_EEE10hipError_tPvRmT3_T4_T5_T6_T7_T9_mT8_P12ihipStream_tbDpT10_ENKUlT_T0_E_clISt17integral_constantIbLb1EES19_IbLb0EEEEDaS15_S16_EUlS15_E_NS1_11comp_targetILNS1_3genE10ELNS1_11target_archE1200ELNS1_3gpuE4ELNS1_3repE0EEENS1_30default_config_static_selectorELNS0_4arch9wavefront6targetE1EEEvT1_,comdat
	.protected	_ZN7rocprim17ROCPRIM_400000_NS6detail17trampoline_kernelINS0_14default_configENS1_25partition_config_selectorILNS1_17partition_subalgoE8EfNS0_10empty_typeEbEEZZNS1_14partition_implILS5_8ELb0ES3_jN6thrust23THRUST_200600_302600_NS6detail15normal_iteratorINSA_10device_ptrIfEEEEPS6_PKS6_NS0_5tupleIJSF_S6_EEENSJ_IJSG_SG_EEENS0_18inequality_wrapperINSA_8equal_toIfEEEEPmJS6_EEE10hipError_tPvRmT3_T4_T5_T6_T7_T9_mT8_P12ihipStream_tbDpT10_ENKUlT_T0_E_clISt17integral_constantIbLb1EES19_IbLb0EEEEDaS15_S16_EUlS15_E_NS1_11comp_targetILNS1_3genE10ELNS1_11target_archE1200ELNS1_3gpuE4ELNS1_3repE0EEENS1_30default_config_static_selectorELNS0_4arch9wavefront6targetE1EEEvT1_ ; -- Begin function _ZN7rocprim17ROCPRIM_400000_NS6detail17trampoline_kernelINS0_14default_configENS1_25partition_config_selectorILNS1_17partition_subalgoE8EfNS0_10empty_typeEbEEZZNS1_14partition_implILS5_8ELb0ES3_jN6thrust23THRUST_200600_302600_NS6detail15normal_iteratorINSA_10device_ptrIfEEEEPS6_PKS6_NS0_5tupleIJSF_S6_EEENSJ_IJSG_SG_EEENS0_18inequality_wrapperINSA_8equal_toIfEEEEPmJS6_EEE10hipError_tPvRmT3_T4_T5_T6_T7_T9_mT8_P12ihipStream_tbDpT10_ENKUlT_T0_E_clISt17integral_constantIbLb1EES19_IbLb0EEEEDaS15_S16_EUlS15_E_NS1_11comp_targetILNS1_3genE10ELNS1_11target_archE1200ELNS1_3gpuE4ELNS1_3repE0EEENS1_30default_config_static_selectorELNS0_4arch9wavefront6targetE1EEEvT1_
	.globl	_ZN7rocprim17ROCPRIM_400000_NS6detail17trampoline_kernelINS0_14default_configENS1_25partition_config_selectorILNS1_17partition_subalgoE8EfNS0_10empty_typeEbEEZZNS1_14partition_implILS5_8ELb0ES3_jN6thrust23THRUST_200600_302600_NS6detail15normal_iteratorINSA_10device_ptrIfEEEEPS6_PKS6_NS0_5tupleIJSF_S6_EEENSJ_IJSG_SG_EEENS0_18inequality_wrapperINSA_8equal_toIfEEEEPmJS6_EEE10hipError_tPvRmT3_T4_T5_T6_T7_T9_mT8_P12ihipStream_tbDpT10_ENKUlT_T0_E_clISt17integral_constantIbLb1EES19_IbLb0EEEEDaS15_S16_EUlS15_E_NS1_11comp_targetILNS1_3genE10ELNS1_11target_archE1200ELNS1_3gpuE4ELNS1_3repE0EEENS1_30default_config_static_selectorELNS0_4arch9wavefront6targetE1EEEvT1_
	.p2align	8
	.type	_ZN7rocprim17ROCPRIM_400000_NS6detail17trampoline_kernelINS0_14default_configENS1_25partition_config_selectorILNS1_17partition_subalgoE8EfNS0_10empty_typeEbEEZZNS1_14partition_implILS5_8ELb0ES3_jN6thrust23THRUST_200600_302600_NS6detail15normal_iteratorINSA_10device_ptrIfEEEEPS6_PKS6_NS0_5tupleIJSF_S6_EEENSJ_IJSG_SG_EEENS0_18inequality_wrapperINSA_8equal_toIfEEEEPmJS6_EEE10hipError_tPvRmT3_T4_T5_T6_T7_T9_mT8_P12ihipStream_tbDpT10_ENKUlT_T0_E_clISt17integral_constantIbLb1EES19_IbLb0EEEEDaS15_S16_EUlS15_E_NS1_11comp_targetILNS1_3genE10ELNS1_11target_archE1200ELNS1_3gpuE4ELNS1_3repE0EEENS1_30default_config_static_selectorELNS0_4arch9wavefront6targetE1EEEvT1_,@function
_ZN7rocprim17ROCPRIM_400000_NS6detail17trampoline_kernelINS0_14default_configENS1_25partition_config_selectorILNS1_17partition_subalgoE8EfNS0_10empty_typeEbEEZZNS1_14partition_implILS5_8ELb0ES3_jN6thrust23THRUST_200600_302600_NS6detail15normal_iteratorINSA_10device_ptrIfEEEEPS6_PKS6_NS0_5tupleIJSF_S6_EEENSJ_IJSG_SG_EEENS0_18inequality_wrapperINSA_8equal_toIfEEEEPmJS6_EEE10hipError_tPvRmT3_T4_T5_T6_T7_T9_mT8_P12ihipStream_tbDpT10_ENKUlT_T0_E_clISt17integral_constantIbLb1EES19_IbLb0EEEEDaS15_S16_EUlS15_E_NS1_11comp_targetILNS1_3genE10ELNS1_11target_archE1200ELNS1_3gpuE4ELNS1_3repE0EEENS1_30default_config_static_selectorELNS0_4arch9wavefront6targetE1EEEvT1_: ; @_ZN7rocprim17ROCPRIM_400000_NS6detail17trampoline_kernelINS0_14default_configENS1_25partition_config_selectorILNS1_17partition_subalgoE8EfNS0_10empty_typeEbEEZZNS1_14partition_implILS5_8ELb0ES3_jN6thrust23THRUST_200600_302600_NS6detail15normal_iteratorINSA_10device_ptrIfEEEEPS6_PKS6_NS0_5tupleIJSF_S6_EEENSJ_IJSG_SG_EEENS0_18inequality_wrapperINSA_8equal_toIfEEEEPmJS6_EEE10hipError_tPvRmT3_T4_T5_T6_T7_T9_mT8_P12ihipStream_tbDpT10_ENKUlT_T0_E_clISt17integral_constantIbLb1EES19_IbLb0EEEEDaS15_S16_EUlS15_E_NS1_11comp_targetILNS1_3genE10ELNS1_11target_archE1200ELNS1_3gpuE4ELNS1_3repE0EEENS1_30default_config_static_selectorELNS0_4arch9wavefront6targetE1EEEvT1_
; %bb.0:
	.section	.rodata,"a",@progbits
	.p2align	6, 0x0
	.amdhsa_kernel _ZN7rocprim17ROCPRIM_400000_NS6detail17trampoline_kernelINS0_14default_configENS1_25partition_config_selectorILNS1_17partition_subalgoE8EfNS0_10empty_typeEbEEZZNS1_14partition_implILS5_8ELb0ES3_jN6thrust23THRUST_200600_302600_NS6detail15normal_iteratorINSA_10device_ptrIfEEEEPS6_PKS6_NS0_5tupleIJSF_S6_EEENSJ_IJSG_SG_EEENS0_18inequality_wrapperINSA_8equal_toIfEEEEPmJS6_EEE10hipError_tPvRmT3_T4_T5_T6_T7_T9_mT8_P12ihipStream_tbDpT10_ENKUlT_T0_E_clISt17integral_constantIbLb1EES19_IbLb0EEEEDaS15_S16_EUlS15_E_NS1_11comp_targetILNS1_3genE10ELNS1_11target_archE1200ELNS1_3gpuE4ELNS1_3repE0EEENS1_30default_config_static_selectorELNS0_4arch9wavefront6targetE1EEEvT1_
		.amdhsa_group_segment_fixed_size 0
		.amdhsa_private_segment_fixed_size 0
		.amdhsa_kernarg_size 112
		.amdhsa_user_sgpr_count 6
		.amdhsa_user_sgpr_private_segment_buffer 1
		.amdhsa_user_sgpr_dispatch_ptr 0
		.amdhsa_user_sgpr_queue_ptr 0
		.amdhsa_user_sgpr_kernarg_segment_ptr 1
		.amdhsa_user_sgpr_dispatch_id 0
		.amdhsa_user_sgpr_flat_scratch_init 0
		.amdhsa_user_sgpr_private_segment_size 0
		.amdhsa_uses_dynamic_stack 0
		.amdhsa_system_sgpr_private_segment_wavefront_offset 0
		.amdhsa_system_sgpr_workgroup_id_x 1
		.amdhsa_system_sgpr_workgroup_id_y 0
		.amdhsa_system_sgpr_workgroup_id_z 0
		.amdhsa_system_sgpr_workgroup_info 0
		.amdhsa_system_vgpr_workitem_id 0
		.amdhsa_next_free_vgpr 1
		.amdhsa_next_free_sgpr 0
		.amdhsa_reserve_vcc 0
		.amdhsa_reserve_flat_scratch 0
		.amdhsa_float_round_mode_32 0
		.amdhsa_float_round_mode_16_64 0
		.amdhsa_float_denorm_mode_32 3
		.amdhsa_float_denorm_mode_16_64 3
		.amdhsa_dx10_clamp 1
		.amdhsa_ieee_mode 1
		.amdhsa_fp16_overflow 0
		.amdhsa_exception_fp_ieee_invalid_op 0
		.amdhsa_exception_fp_denorm_src 0
		.amdhsa_exception_fp_ieee_div_zero 0
		.amdhsa_exception_fp_ieee_overflow 0
		.amdhsa_exception_fp_ieee_underflow 0
		.amdhsa_exception_fp_ieee_inexact 0
		.amdhsa_exception_int_div_zero 0
	.end_amdhsa_kernel
	.section	.text._ZN7rocprim17ROCPRIM_400000_NS6detail17trampoline_kernelINS0_14default_configENS1_25partition_config_selectorILNS1_17partition_subalgoE8EfNS0_10empty_typeEbEEZZNS1_14partition_implILS5_8ELb0ES3_jN6thrust23THRUST_200600_302600_NS6detail15normal_iteratorINSA_10device_ptrIfEEEEPS6_PKS6_NS0_5tupleIJSF_S6_EEENSJ_IJSG_SG_EEENS0_18inequality_wrapperINSA_8equal_toIfEEEEPmJS6_EEE10hipError_tPvRmT3_T4_T5_T6_T7_T9_mT8_P12ihipStream_tbDpT10_ENKUlT_T0_E_clISt17integral_constantIbLb1EES19_IbLb0EEEEDaS15_S16_EUlS15_E_NS1_11comp_targetILNS1_3genE10ELNS1_11target_archE1200ELNS1_3gpuE4ELNS1_3repE0EEENS1_30default_config_static_selectorELNS0_4arch9wavefront6targetE1EEEvT1_,"axG",@progbits,_ZN7rocprim17ROCPRIM_400000_NS6detail17trampoline_kernelINS0_14default_configENS1_25partition_config_selectorILNS1_17partition_subalgoE8EfNS0_10empty_typeEbEEZZNS1_14partition_implILS5_8ELb0ES3_jN6thrust23THRUST_200600_302600_NS6detail15normal_iteratorINSA_10device_ptrIfEEEEPS6_PKS6_NS0_5tupleIJSF_S6_EEENSJ_IJSG_SG_EEENS0_18inequality_wrapperINSA_8equal_toIfEEEEPmJS6_EEE10hipError_tPvRmT3_T4_T5_T6_T7_T9_mT8_P12ihipStream_tbDpT10_ENKUlT_T0_E_clISt17integral_constantIbLb1EES19_IbLb0EEEEDaS15_S16_EUlS15_E_NS1_11comp_targetILNS1_3genE10ELNS1_11target_archE1200ELNS1_3gpuE4ELNS1_3repE0EEENS1_30default_config_static_selectorELNS0_4arch9wavefront6targetE1EEEvT1_,comdat
.Lfunc_end101:
	.size	_ZN7rocprim17ROCPRIM_400000_NS6detail17trampoline_kernelINS0_14default_configENS1_25partition_config_selectorILNS1_17partition_subalgoE8EfNS0_10empty_typeEbEEZZNS1_14partition_implILS5_8ELb0ES3_jN6thrust23THRUST_200600_302600_NS6detail15normal_iteratorINSA_10device_ptrIfEEEEPS6_PKS6_NS0_5tupleIJSF_S6_EEENSJ_IJSG_SG_EEENS0_18inequality_wrapperINSA_8equal_toIfEEEEPmJS6_EEE10hipError_tPvRmT3_T4_T5_T6_T7_T9_mT8_P12ihipStream_tbDpT10_ENKUlT_T0_E_clISt17integral_constantIbLb1EES19_IbLb0EEEEDaS15_S16_EUlS15_E_NS1_11comp_targetILNS1_3genE10ELNS1_11target_archE1200ELNS1_3gpuE4ELNS1_3repE0EEENS1_30default_config_static_selectorELNS0_4arch9wavefront6targetE1EEEvT1_, .Lfunc_end101-_ZN7rocprim17ROCPRIM_400000_NS6detail17trampoline_kernelINS0_14default_configENS1_25partition_config_selectorILNS1_17partition_subalgoE8EfNS0_10empty_typeEbEEZZNS1_14partition_implILS5_8ELb0ES3_jN6thrust23THRUST_200600_302600_NS6detail15normal_iteratorINSA_10device_ptrIfEEEEPS6_PKS6_NS0_5tupleIJSF_S6_EEENSJ_IJSG_SG_EEENS0_18inequality_wrapperINSA_8equal_toIfEEEEPmJS6_EEE10hipError_tPvRmT3_T4_T5_T6_T7_T9_mT8_P12ihipStream_tbDpT10_ENKUlT_T0_E_clISt17integral_constantIbLb1EES19_IbLb0EEEEDaS15_S16_EUlS15_E_NS1_11comp_targetILNS1_3genE10ELNS1_11target_archE1200ELNS1_3gpuE4ELNS1_3repE0EEENS1_30default_config_static_selectorELNS0_4arch9wavefront6targetE1EEEvT1_
                                        ; -- End function
	.set _ZN7rocprim17ROCPRIM_400000_NS6detail17trampoline_kernelINS0_14default_configENS1_25partition_config_selectorILNS1_17partition_subalgoE8EfNS0_10empty_typeEbEEZZNS1_14partition_implILS5_8ELb0ES3_jN6thrust23THRUST_200600_302600_NS6detail15normal_iteratorINSA_10device_ptrIfEEEEPS6_PKS6_NS0_5tupleIJSF_S6_EEENSJ_IJSG_SG_EEENS0_18inequality_wrapperINSA_8equal_toIfEEEEPmJS6_EEE10hipError_tPvRmT3_T4_T5_T6_T7_T9_mT8_P12ihipStream_tbDpT10_ENKUlT_T0_E_clISt17integral_constantIbLb1EES19_IbLb0EEEEDaS15_S16_EUlS15_E_NS1_11comp_targetILNS1_3genE10ELNS1_11target_archE1200ELNS1_3gpuE4ELNS1_3repE0EEENS1_30default_config_static_selectorELNS0_4arch9wavefront6targetE1EEEvT1_.num_vgpr, 0
	.set _ZN7rocprim17ROCPRIM_400000_NS6detail17trampoline_kernelINS0_14default_configENS1_25partition_config_selectorILNS1_17partition_subalgoE8EfNS0_10empty_typeEbEEZZNS1_14partition_implILS5_8ELb0ES3_jN6thrust23THRUST_200600_302600_NS6detail15normal_iteratorINSA_10device_ptrIfEEEEPS6_PKS6_NS0_5tupleIJSF_S6_EEENSJ_IJSG_SG_EEENS0_18inequality_wrapperINSA_8equal_toIfEEEEPmJS6_EEE10hipError_tPvRmT3_T4_T5_T6_T7_T9_mT8_P12ihipStream_tbDpT10_ENKUlT_T0_E_clISt17integral_constantIbLb1EES19_IbLb0EEEEDaS15_S16_EUlS15_E_NS1_11comp_targetILNS1_3genE10ELNS1_11target_archE1200ELNS1_3gpuE4ELNS1_3repE0EEENS1_30default_config_static_selectorELNS0_4arch9wavefront6targetE1EEEvT1_.num_agpr, 0
	.set _ZN7rocprim17ROCPRIM_400000_NS6detail17trampoline_kernelINS0_14default_configENS1_25partition_config_selectorILNS1_17partition_subalgoE8EfNS0_10empty_typeEbEEZZNS1_14partition_implILS5_8ELb0ES3_jN6thrust23THRUST_200600_302600_NS6detail15normal_iteratorINSA_10device_ptrIfEEEEPS6_PKS6_NS0_5tupleIJSF_S6_EEENSJ_IJSG_SG_EEENS0_18inequality_wrapperINSA_8equal_toIfEEEEPmJS6_EEE10hipError_tPvRmT3_T4_T5_T6_T7_T9_mT8_P12ihipStream_tbDpT10_ENKUlT_T0_E_clISt17integral_constantIbLb1EES19_IbLb0EEEEDaS15_S16_EUlS15_E_NS1_11comp_targetILNS1_3genE10ELNS1_11target_archE1200ELNS1_3gpuE4ELNS1_3repE0EEENS1_30default_config_static_selectorELNS0_4arch9wavefront6targetE1EEEvT1_.numbered_sgpr, 0
	.set _ZN7rocprim17ROCPRIM_400000_NS6detail17trampoline_kernelINS0_14default_configENS1_25partition_config_selectorILNS1_17partition_subalgoE8EfNS0_10empty_typeEbEEZZNS1_14partition_implILS5_8ELb0ES3_jN6thrust23THRUST_200600_302600_NS6detail15normal_iteratorINSA_10device_ptrIfEEEEPS6_PKS6_NS0_5tupleIJSF_S6_EEENSJ_IJSG_SG_EEENS0_18inequality_wrapperINSA_8equal_toIfEEEEPmJS6_EEE10hipError_tPvRmT3_T4_T5_T6_T7_T9_mT8_P12ihipStream_tbDpT10_ENKUlT_T0_E_clISt17integral_constantIbLb1EES19_IbLb0EEEEDaS15_S16_EUlS15_E_NS1_11comp_targetILNS1_3genE10ELNS1_11target_archE1200ELNS1_3gpuE4ELNS1_3repE0EEENS1_30default_config_static_selectorELNS0_4arch9wavefront6targetE1EEEvT1_.num_named_barrier, 0
	.set _ZN7rocprim17ROCPRIM_400000_NS6detail17trampoline_kernelINS0_14default_configENS1_25partition_config_selectorILNS1_17partition_subalgoE8EfNS0_10empty_typeEbEEZZNS1_14partition_implILS5_8ELb0ES3_jN6thrust23THRUST_200600_302600_NS6detail15normal_iteratorINSA_10device_ptrIfEEEEPS6_PKS6_NS0_5tupleIJSF_S6_EEENSJ_IJSG_SG_EEENS0_18inequality_wrapperINSA_8equal_toIfEEEEPmJS6_EEE10hipError_tPvRmT3_T4_T5_T6_T7_T9_mT8_P12ihipStream_tbDpT10_ENKUlT_T0_E_clISt17integral_constantIbLb1EES19_IbLb0EEEEDaS15_S16_EUlS15_E_NS1_11comp_targetILNS1_3genE10ELNS1_11target_archE1200ELNS1_3gpuE4ELNS1_3repE0EEENS1_30default_config_static_selectorELNS0_4arch9wavefront6targetE1EEEvT1_.private_seg_size, 0
	.set _ZN7rocprim17ROCPRIM_400000_NS6detail17trampoline_kernelINS0_14default_configENS1_25partition_config_selectorILNS1_17partition_subalgoE8EfNS0_10empty_typeEbEEZZNS1_14partition_implILS5_8ELb0ES3_jN6thrust23THRUST_200600_302600_NS6detail15normal_iteratorINSA_10device_ptrIfEEEEPS6_PKS6_NS0_5tupleIJSF_S6_EEENSJ_IJSG_SG_EEENS0_18inequality_wrapperINSA_8equal_toIfEEEEPmJS6_EEE10hipError_tPvRmT3_T4_T5_T6_T7_T9_mT8_P12ihipStream_tbDpT10_ENKUlT_T0_E_clISt17integral_constantIbLb1EES19_IbLb0EEEEDaS15_S16_EUlS15_E_NS1_11comp_targetILNS1_3genE10ELNS1_11target_archE1200ELNS1_3gpuE4ELNS1_3repE0EEENS1_30default_config_static_selectorELNS0_4arch9wavefront6targetE1EEEvT1_.uses_vcc, 0
	.set _ZN7rocprim17ROCPRIM_400000_NS6detail17trampoline_kernelINS0_14default_configENS1_25partition_config_selectorILNS1_17partition_subalgoE8EfNS0_10empty_typeEbEEZZNS1_14partition_implILS5_8ELb0ES3_jN6thrust23THRUST_200600_302600_NS6detail15normal_iteratorINSA_10device_ptrIfEEEEPS6_PKS6_NS0_5tupleIJSF_S6_EEENSJ_IJSG_SG_EEENS0_18inequality_wrapperINSA_8equal_toIfEEEEPmJS6_EEE10hipError_tPvRmT3_T4_T5_T6_T7_T9_mT8_P12ihipStream_tbDpT10_ENKUlT_T0_E_clISt17integral_constantIbLb1EES19_IbLb0EEEEDaS15_S16_EUlS15_E_NS1_11comp_targetILNS1_3genE10ELNS1_11target_archE1200ELNS1_3gpuE4ELNS1_3repE0EEENS1_30default_config_static_selectorELNS0_4arch9wavefront6targetE1EEEvT1_.uses_flat_scratch, 0
	.set _ZN7rocprim17ROCPRIM_400000_NS6detail17trampoline_kernelINS0_14default_configENS1_25partition_config_selectorILNS1_17partition_subalgoE8EfNS0_10empty_typeEbEEZZNS1_14partition_implILS5_8ELb0ES3_jN6thrust23THRUST_200600_302600_NS6detail15normal_iteratorINSA_10device_ptrIfEEEEPS6_PKS6_NS0_5tupleIJSF_S6_EEENSJ_IJSG_SG_EEENS0_18inequality_wrapperINSA_8equal_toIfEEEEPmJS6_EEE10hipError_tPvRmT3_T4_T5_T6_T7_T9_mT8_P12ihipStream_tbDpT10_ENKUlT_T0_E_clISt17integral_constantIbLb1EES19_IbLb0EEEEDaS15_S16_EUlS15_E_NS1_11comp_targetILNS1_3genE10ELNS1_11target_archE1200ELNS1_3gpuE4ELNS1_3repE0EEENS1_30default_config_static_selectorELNS0_4arch9wavefront6targetE1EEEvT1_.has_dyn_sized_stack, 0
	.set _ZN7rocprim17ROCPRIM_400000_NS6detail17trampoline_kernelINS0_14default_configENS1_25partition_config_selectorILNS1_17partition_subalgoE8EfNS0_10empty_typeEbEEZZNS1_14partition_implILS5_8ELb0ES3_jN6thrust23THRUST_200600_302600_NS6detail15normal_iteratorINSA_10device_ptrIfEEEEPS6_PKS6_NS0_5tupleIJSF_S6_EEENSJ_IJSG_SG_EEENS0_18inequality_wrapperINSA_8equal_toIfEEEEPmJS6_EEE10hipError_tPvRmT3_T4_T5_T6_T7_T9_mT8_P12ihipStream_tbDpT10_ENKUlT_T0_E_clISt17integral_constantIbLb1EES19_IbLb0EEEEDaS15_S16_EUlS15_E_NS1_11comp_targetILNS1_3genE10ELNS1_11target_archE1200ELNS1_3gpuE4ELNS1_3repE0EEENS1_30default_config_static_selectorELNS0_4arch9wavefront6targetE1EEEvT1_.has_recursion, 0
	.set _ZN7rocprim17ROCPRIM_400000_NS6detail17trampoline_kernelINS0_14default_configENS1_25partition_config_selectorILNS1_17partition_subalgoE8EfNS0_10empty_typeEbEEZZNS1_14partition_implILS5_8ELb0ES3_jN6thrust23THRUST_200600_302600_NS6detail15normal_iteratorINSA_10device_ptrIfEEEEPS6_PKS6_NS0_5tupleIJSF_S6_EEENSJ_IJSG_SG_EEENS0_18inequality_wrapperINSA_8equal_toIfEEEEPmJS6_EEE10hipError_tPvRmT3_T4_T5_T6_T7_T9_mT8_P12ihipStream_tbDpT10_ENKUlT_T0_E_clISt17integral_constantIbLb1EES19_IbLb0EEEEDaS15_S16_EUlS15_E_NS1_11comp_targetILNS1_3genE10ELNS1_11target_archE1200ELNS1_3gpuE4ELNS1_3repE0EEENS1_30default_config_static_selectorELNS0_4arch9wavefront6targetE1EEEvT1_.has_indirect_call, 0
	.section	.AMDGPU.csdata,"",@progbits
; Kernel info:
; codeLenInByte = 0
; TotalNumSgprs: 4
; NumVgprs: 0
; ScratchSize: 0
; MemoryBound: 0
; FloatMode: 240
; IeeeMode: 1
; LDSByteSize: 0 bytes/workgroup (compile time only)
; SGPRBlocks: 0
; VGPRBlocks: 0
; NumSGPRsForWavesPerEU: 4
; NumVGPRsForWavesPerEU: 1
; Occupancy: 10
; WaveLimiterHint : 0
; COMPUTE_PGM_RSRC2:SCRATCH_EN: 0
; COMPUTE_PGM_RSRC2:USER_SGPR: 6
; COMPUTE_PGM_RSRC2:TRAP_HANDLER: 0
; COMPUTE_PGM_RSRC2:TGID_X_EN: 1
; COMPUTE_PGM_RSRC2:TGID_Y_EN: 0
; COMPUTE_PGM_RSRC2:TGID_Z_EN: 0
; COMPUTE_PGM_RSRC2:TIDIG_COMP_CNT: 0
	.section	.text._ZN7rocprim17ROCPRIM_400000_NS6detail17trampoline_kernelINS0_14default_configENS1_25partition_config_selectorILNS1_17partition_subalgoE8EfNS0_10empty_typeEbEEZZNS1_14partition_implILS5_8ELb0ES3_jN6thrust23THRUST_200600_302600_NS6detail15normal_iteratorINSA_10device_ptrIfEEEEPS6_PKS6_NS0_5tupleIJSF_S6_EEENSJ_IJSG_SG_EEENS0_18inequality_wrapperINSA_8equal_toIfEEEEPmJS6_EEE10hipError_tPvRmT3_T4_T5_T6_T7_T9_mT8_P12ihipStream_tbDpT10_ENKUlT_T0_E_clISt17integral_constantIbLb1EES19_IbLb0EEEEDaS15_S16_EUlS15_E_NS1_11comp_targetILNS1_3genE9ELNS1_11target_archE1100ELNS1_3gpuE3ELNS1_3repE0EEENS1_30default_config_static_selectorELNS0_4arch9wavefront6targetE1EEEvT1_,"axG",@progbits,_ZN7rocprim17ROCPRIM_400000_NS6detail17trampoline_kernelINS0_14default_configENS1_25partition_config_selectorILNS1_17partition_subalgoE8EfNS0_10empty_typeEbEEZZNS1_14partition_implILS5_8ELb0ES3_jN6thrust23THRUST_200600_302600_NS6detail15normal_iteratorINSA_10device_ptrIfEEEEPS6_PKS6_NS0_5tupleIJSF_S6_EEENSJ_IJSG_SG_EEENS0_18inequality_wrapperINSA_8equal_toIfEEEEPmJS6_EEE10hipError_tPvRmT3_T4_T5_T6_T7_T9_mT8_P12ihipStream_tbDpT10_ENKUlT_T0_E_clISt17integral_constantIbLb1EES19_IbLb0EEEEDaS15_S16_EUlS15_E_NS1_11comp_targetILNS1_3genE9ELNS1_11target_archE1100ELNS1_3gpuE3ELNS1_3repE0EEENS1_30default_config_static_selectorELNS0_4arch9wavefront6targetE1EEEvT1_,comdat
	.protected	_ZN7rocprim17ROCPRIM_400000_NS6detail17trampoline_kernelINS0_14default_configENS1_25partition_config_selectorILNS1_17partition_subalgoE8EfNS0_10empty_typeEbEEZZNS1_14partition_implILS5_8ELb0ES3_jN6thrust23THRUST_200600_302600_NS6detail15normal_iteratorINSA_10device_ptrIfEEEEPS6_PKS6_NS0_5tupleIJSF_S6_EEENSJ_IJSG_SG_EEENS0_18inequality_wrapperINSA_8equal_toIfEEEEPmJS6_EEE10hipError_tPvRmT3_T4_T5_T6_T7_T9_mT8_P12ihipStream_tbDpT10_ENKUlT_T0_E_clISt17integral_constantIbLb1EES19_IbLb0EEEEDaS15_S16_EUlS15_E_NS1_11comp_targetILNS1_3genE9ELNS1_11target_archE1100ELNS1_3gpuE3ELNS1_3repE0EEENS1_30default_config_static_selectorELNS0_4arch9wavefront6targetE1EEEvT1_ ; -- Begin function _ZN7rocprim17ROCPRIM_400000_NS6detail17trampoline_kernelINS0_14default_configENS1_25partition_config_selectorILNS1_17partition_subalgoE8EfNS0_10empty_typeEbEEZZNS1_14partition_implILS5_8ELb0ES3_jN6thrust23THRUST_200600_302600_NS6detail15normal_iteratorINSA_10device_ptrIfEEEEPS6_PKS6_NS0_5tupleIJSF_S6_EEENSJ_IJSG_SG_EEENS0_18inequality_wrapperINSA_8equal_toIfEEEEPmJS6_EEE10hipError_tPvRmT3_T4_T5_T6_T7_T9_mT8_P12ihipStream_tbDpT10_ENKUlT_T0_E_clISt17integral_constantIbLb1EES19_IbLb0EEEEDaS15_S16_EUlS15_E_NS1_11comp_targetILNS1_3genE9ELNS1_11target_archE1100ELNS1_3gpuE3ELNS1_3repE0EEENS1_30default_config_static_selectorELNS0_4arch9wavefront6targetE1EEEvT1_
	.globl	_ZN7rocprim17ROCPRIM_400000_NS6detail17trampoline_kernelINS0_14default_configENS1_25partition_config_selectorILNS1_17partition_subalgoE8EfNS0_10empty_typeEbEEZZNS1_14partition_implILS5_8ELb0ES3_jN6thrust23THRUST_200600_302600_NS6detail15normal_iteratorINSA_10device_ptrIfEEEEPS6_PKS6_NS0_5tupleIJSF_S6_EEENSJ_IJSG_SG_EEENS0_18inequality_wrapperINSA_8equal_toIfEEEEPmJS6_EEE10hipError_tPvRmT3_T4_T5_T6_T7_T9_mT8_P12ihipStream_tbDpT10_ENKUlT_T0_E_clISt17integral_constantIbLb1EES19_IbLb0EEEEDaS15_S16_EUlS15_E_NS1_11comp_targetILNS1_3genE9ELNS1_11target_archE1100ELNS1_3gpuE3ELNS1_3repE0EEENS1_30default_config_static_selectorELNS0_4arch9wavefront6targetE1EEEvT1_
	.p2align	8
	.type	_ZN7rocprim17ROCPRIM_400000_NS6detail17trampoline_kernelINS0_14default_configENS1_25partition_config_selectorILNS1_17partition_subalgoE8EfNS0_10empty_typeEbEEZZNS1_14partition_implILS5_8ELb0ES3_jN6thrust23THRUST_200600_302600_NS6detail15normal_iteratorINSA_10device_ptrIfEEEEPS6_PKS6_NS0_5tupleIJSF_S6_EEENSJ_IJSG_SG_EEENS0_18inequality_wrapperINSA_8equal_toIfEEEEPmJS6_EEE10hipError_tPvRmT3_T4_T5_T6_T7_T9_mT8_P12ihipStream_tbDpT10_ENKUlT_T0_E_clISt17integral_constantIbLb1EES19_IbLb0EEEEDaS15_S16_EUlS15_E_NS1_11comp_targetILNS1_3genE9ELNS1_11target_archE1100ELNS1_3gpuE3ELNS1_3repE0EEENS1_30default_config_static_selectorELNS0_4arch9wavefront6targetE1EEEvT1_,@function
_ZN7rocprim17ROCPRIM_400000_NS6detail17trampoline_kernelINS0_14default_configENS1_25partition_config_selectorILNS1_17partition_subalgoE8EfNS0_10empty_typeEbEEZZNS1_14partition_implILS5_8ELb0ES3_jN6thrust23THRUST_200600_302600_NS6detail15normal_iteratorINSA_10device_ptrIfEEEEPS6_PKS6_NS0_5tupleIJSF_S6_EEENSJ_IJSG_SG_EEENS0_18inequality_wrapperINSA_8equal_toIfEEEEPmJS6_EEE10hipError_tPvRmT3_T4_T5_T6_T7_T9_mT8_P12ihipStream_tbDpT10_ENKUlT_T0_E_clISt17integral_constantIbLb1EES19_IbLb0EEEEDaS15_S16_EUlS15_E_NS1_11comp_targetILNS1_3genE9ELNS1_11target_archE1100ELNS1_3gpuE3ELNS1_3repE0EEENS1_30default_config_static_selectorELNS0_4arch9wavefront6targetE1EEEvT1_: ; @_ZN7rocprim17ROCPRIM_400000_NS6detail17trampoline_kernelINS0_14default_configENS1_25partition_config_selectorILNS1_17partition_subalgoE8EfNS0_10empty_typeEbEEZZNS1_14partition_implILS5_8ELb0ES3_jN6thrust23THRUST_200600_302600_NS6detail15normal_iteratorINSA_10device_ptrIfEEEEPS6_PKS6_NS0_5tupleIJSF_S6_EEENSJ_IJSG_SG_EEENS0_18inequality_wrapperINSA_8equal_toIfEEEEPmJS6_EEE10hipError_tPvRmT3_T4_T5_T6_T7_T9_mT8_P12ihipStream_tbDpT10_ENKUlT_T0_E_clISt17integral_constantIbLb1EES19_IbLb0EEEEDaS15_S16_EUlS15_E_NS1_11comp_targetILNS1_3genE9ELNS1_11target_archE1100ELNS1_3gpuE3ELNS1_3repE0EEENS1_30default_config_static_selectorELNS0_4arch9wavefront6targetE1EEEvT1_
; %bb.0:
	.section	.rodata,"a",@progbits
	.p2align	6, 0x0
	.amdhsa_kernel _ZN7rocprim17ROCPRIM_400000_NS6detail17trampoline_kernelINS0_14default_configENS1_25partition_config_selectorILNS1_17partition_subalgoE8EfNS0_10empty_typeEbEEZZNS1_14partition_implILS5_8ELb0ES3_jN6thrust23THRUST_200600_302600_NS6detail15normal_iteratorINSA_10device_ptrIfEEEEPS6_PKS6_NS0_5tupleIJSF_S6_EEENSJ_IJSG_SG_EEENS0_18inequality_wrapperINSA_8equal_toIfEEEEPmJS6_EEE10hipError_tPvRmT3_T4_T5_T6_T7_T9_mT8_P12ihipStream_tbDpT10_ENKUlT_T0_E_clISt17integral_constantIbLb1EES19_IbLb0EEEEDaS15_S16_EUlS15_E_NS1_11comp_targetILNS1_3genE9ELNS1_11target_archE1100ELNS1_3gpuE3ELNS1_3repE0EEENS1_30default_config_static_selectorELNS0_4arch9wavefront6targetE1EEEvT1_
		.amdhsa_group_segment_fixed_size 0
		.amdhsa_private_segment_fixed_size 0
		.amdhsa_kernarg_size 112
		.amdhsa_user_sgpr_count 6
		.amdhsa_user_sgpr_private_segment_buffer 1
		.amdhsa_user_sgpr_dispatch_ptr 0
		.amdhsa_user_sgpr_queue_ptr 0
		.amdhsa_user_sgpr_kernarg_segment_ptr 1
		.amdhsa_user_sgpr_dispatch_id 0
		.amdhsa_user_sgpr_flat_scratch_init 0
		.amdhsa_user_sgpr_private_segment_size 0
		.amdhsa_uses_dynamic_stack 0
		.amdhsa_system_sgpr_private_segment_wavefront_offset 0
		.amdhsa_system_sgpr_workgroup_id_x 1
		.amdhsa_system_sgpr_workgroup_id_y 0
		.amdhsa_system_sgpr_workgroup_id_z 0
		.amdhsa_system_sgpr_workgroup_info 0
		.amdhsa_system_vgpr_workitem_id 0
		.amdhsa_next_free_vgpr 1
		.amdhsa_next_free_sgpr 0
		.amdhsa_reserve_vcc 0
		.amdhsa_reserve_flat_scratch 0
		.amdhsa_float_round_mode_32 0
		.amdhsa_float_round_mode_16_64 0
		.amdhsa_float_denorm_mode_32 3
		.amdhsa_float_denorm_mode_16_64 3
		.amdhsa_dx10_clamp 1
		.amdhsa_ieee_mode 1
		.amdhsa_fp16_overflow 0
		.amdhsa_exception_fp_ieee_invalid_op 0
		.amdhsa_exception_fp_denorm_src 0
		.amdhsa_exception_fp_ieee_div_zero 0
		.amdhsa_exception_fp_ieee_overflow 0
		.amdhsa_exception_fp_ieee_underflow 0
		.amdhsa_exception_fp_ieee_inexact 0
		.amdhsa_exception_int_div_zero 0
	.end_amdhsa_kernel
	.section	.text._ZN7rocprim17ROCPRIM_400000_NS6detail17trampoline_kernelINS0_14default_configENS1_25partition_config_selectorILNS1_17partition_subalgoE8EfNS0_10empty_typeEbEEZZNS1_14partition_implILS5_8ELb0ES3_jN6thrust23THRUST_200600_302600_NS6detail15normal_iteratorINSA_10device_ptrIfEEEEPS6_PKS6_NS0_5tupleIJSF_S6_EEENSJ_IJSG_SG_EEENS0_18inequality_wrapperINSA_8equal_toIfEEEEPmJS6_EEE10hipError_tPvRmT3_T4_T5_T6_T7_T9_mT8_P12ihipStream_tbDpT10_ENKUlT_T0_E_clISt17integral_constantIbLb1EES19_IbLb0EEEEDaS15_S16_EUlS15_E_NS1_11comp_targetILNS1_3genE9ELNS1_11target_archE1100ELNS1_3gpuE3ELNS1_3repE0EEENS1_30default_config_static_selectorELNS0_4arch9wavefront6targetE1EEEvT1_,"axG",@progbits,_ZN7rocprim17ROCPRIM_400000_NS6detail17trampoline_kernelINS0_14default_configENS1_25partition_config_selectorILNS1_17partition_subalgoE8EfNS0_10empty_typeEbEEZZNS1_14partition_implILS5_8ELb0ES3_jN6thrust23THRUST_200600_302600_NS6detail15normal_iteratorINSA_10device_ptrIfEEEEPS6_PKS6_NS0_5tupleIJSF_S6_EEENSJ_IJSG_SG_EEENS0_18inequality_wrapperINSA_8equal_toIfEEEEPmJS6_EEE10hipError_tPvRmT3_T4_T5_T6_T7_T9_mT8_P12ihipStream_tbDpT10_ENKUlT_T0_E_clISt17integral_constantIbLb1EES19_IbLb0EEEEDaS15_S16_EUlS15_E_NS1_11comp_targetILNS1_3genE9ELNS1_11target_archE1100ELNS1_3gpuE3ELNS1_3repE0EEENS1_30default_config_static_selectorELNS0_4arch9wavefront6targetE1EEEvT1_,comdat
.Lfunc_end102:
	.size	_ZN7rocprim17ROCPRIM_400000_NS6detail17trampoline_kernelINS0_14default_configENS1_25partition_config_selectorILNS1_17partition_subalgoE8EfNS0_10empty_typeEbEEZZNS1_14partition_implILS5_8ELb0ES3_jN6thrust23THRUST_200600_302600_NS6detail15normal_iteratorINSA_10device_ptrIfEEEEPS6_PKS6_NS0_5tupleIJSF_S6_EEENSJ_IJSG_SG_EEENS0_18inequality_wrapperINSA_8equal_toIfEEEEPmJS6_EEE10hipError_tPvRmT3_T4_T5_T6_T7_T9_mT8_P12ihipStream_tbDpT10_ENKUlT_T0_E_clISt17integral_constantIbLb1EES19_IbLb0EEEEDaS15_S16_EUlS15_E_NS1_11comp_targetILNS1_3genE9ELNS1_11target_archE1100ELNS1_3gpuE3ELNS1_3repE0EEENS1_30default_config_static_selectorELNS0_4arch9wavefront6targetE1EEEvT1_, .Lfunc_end102-_ZN7rocprim17ROCPRIM_400000_NS6detail17trampoline_kernelINS0_14default_configENS1_25partition_config_selectorILNS1_17partition_subalgoE8EfNS0_10empty_typeEbEEZZNS1_14partition_implILS5_8ELb0ES3_jN6thrust23THRUST_200600_302600_NS6detail15normal_iteratorINSA_10device_ptrIfEEEEPS6_PKS6_NS0_5tupleIJSF_S6_EEENSJ_IJSG_SG_EEENS0_18inequality_wrapperINSA_8equal_toIfEEEEPmJS6_EEE10hipError_tPvRmT3_T4_T5_T6_T7_T9_mT8_P12ihipStream_tbDpT10_ENKUlT_T0_E_clISt17integral_constantIbLb1EES19_IbLb0EEEEDaS15_S16_EUlS15_E_NS1_11comp_targetILNS1_3genE9ELNS1_11target_archE1100ELNS1_3gpuE3ELNS1_3repE0EEENS1_30default_config_static_selectorELNS0_4arch9wavefront6targetE1EEEvT1_
                                        ; -- End function
	.set _ZN7rocprim17ROCPRIM_400000_NS6detail17trampoline_kernelINS0_14default_configENS1_25partition_config_selectorILNS1_17partition_subalgoE8EfNS0_10empty_typeEbEEZZNS1_14partition_implILS5_8ELb0ES3_jN6thrust23THRUST_200600_302600_NS6detail15normal_iteratorINSA_10device_ptrIfEEEEPS6_PKS6_NS0_5tupleIJSF_S6_EEENSJ_IJSG_SG_EEENS0_18inequality_wrapperINSA_8equal_toIfEEEEPmJS6_EEE10hipError_tPvRmT3_T4_T5_T6_T7_T9_mT8_P12ihipStream_tbDpT10_ENKUlT_T0_E_clISt17integral_constantIbLb1EES19_IbLb0EEEEDaS15_S16_EUlS15_E_NS1_11comp_targetILNS1_3genE9ELNS1_11target_archE1100ELNS1_3gpuE3ELNS1_3repE0EEENS1_30default_config_static_selectorELNS0_4arch9wavefront6targetE1EEEvT1_.num_vgpr, 0
	.set _ZN7rocprim17ROCPRIM_400000_NS6detail17trampoline_kernelINS0_14default_configENS1_25partition_config_selectorILNS1_17partition_subalgoE8EfNS0_10empty_typeEbEEZZNS1_14partition_implILS5_8ELb0ES3_jN6thrust23THRUST_200600_302600_NS6detail15normal_iteratorINSA_10device_ptrIfEEEEPS6_PKS6_NS0_5tupleIJSF_S6_EEENSJ_IJSG_SG_EEENS0_18inequality_wrapperINSA_8equal_toIfEEEEPmJS6_EEE10hipError_tPvRmT3_T4_T5_T6_T7_T9_mT8_P12ihipStream_tbDpT10_ENKUlT_T0_E_clISt17integral_constantIbLb1EES19_IbLb0EEEEDaS15_S16_EUlS15_E_NS1_11comp_targetILNS1_3genE9ELNS1_11target_archE1100ELNS1_3gpuE3ELNS1_3repE0EEENS1_30default_config_static_selectorELNS0_4arch9wavefront6targetE1EEEvT1_.num_agpr, 0
	.set _ZN7rocprim17ROCPRIM_400000_NS6detail17trampoline_kernelINS0_14default_configENS1_25partition_config_selectorILNS1_17partition_subalgoE8EfNS0_10empty_typeEbEEZZNS1_14partition_implILS5_8ELb0ES3_jN6thrust23THRUST_200600_302600_NS6detail15normal_iteratorINSA_10device_ptrIfEEEEPS6_PKS6_NS0_5tupleIJSF_S6_EEENSJ_IJSG_SG_EEENS0_18inequality_wrapperINSA_8equal_toIfEEEEPmJS6_EEE10hipError_tPvRmT3_T4_T5_T6_T7_T9_mT8_P12ihipStream_tbDpT10_ENKUlT_T0_E_clISt17integral_constantIbLb1EES19_IbLb0EEEEDaS15_S16_EUlS15_E_NS1_11comp_targetILNS1_3genE9ELNS1_11target_archE1100ELNS1_3gpuE3ELNS1_3repE0EEENS1_30default_config_static_selectorELNS0_4arch9wavefront6targetE1EEEvT1_.numbered_sgpr, 0
	.set _ZN7rocprim17ROCPRIM_400000_NS6detail17trampoline_kernelINS0_14default_configENS1_25partition_config_selectorILNS1_17partition_subalgoE8EfNS0_10empty_typeEbEEZZNS1_14partition_implILS5_8ELb0ES3_jN6thrust23THRUST_200600_302600_NS6detail15normal_iteratorINSA_10device_ptrIfEEEEPS6_PKS6_NS0_5tupleIJSF_S6_EEENSJ_IJSG_SG_EEENS0_18inequality_wrapperINSA_8equal_toIfEEEEPmJS6_EEE10hipError_tPvRmT3_T4_T5_T6_T7_T9_mT8_P12ihipStream_tbDpT10_ENKUlT_T0_E_clISt17integral_constantIbLb1EES19_IbLb0EEEEDaS15_S16_EUlS15_E_NS1_11comp_targetILNS1_3genE9ELNS1_11target_archE1100ELNS1_3gpuE3ELNS1_3repE0EEENS1_30default_config_static_selectorELNS0_4arch9wavefront6targetE1EEEvT1_.num_named_barrier, 0
	.set _ZN7rocprim17ROCPRIM_400000_NS6detail17trampoline_kernelINS0_14default_configENS1_25partition_config_selectorILNS1_17partition_subalgoE8EfNS0_10empty_typeEbEEZZNS1_14partition_implILS5_8ELb0ES3_jN6thrust23THRUST_200600_302600_NS6detail15normal_iteratorINSA_10device_ptrIfEEEEPS6_PKS6_NS0_5tupleIJSF_S6_EEENSJ_IJSG_SG_EEENS0_18inequality_wrapperINSA_8equal_toIfEEEEPmJS6_EEE10hipError_tPvRmT3_T4_T5_T6_T7_T9_mT8_P12ihipStream_tbDpT10_ENKUlT_T0_E_clISt17integral_constantIbLb1EES19_IbLb0EEEEDaS15_S16_EUlS15_E_NS1_11comp_targetILNS1_3genE9ELNS1_11target_archE1100ELNS1_3gpuE3ELNS1_3repE0EEENS1_30default_config_static_selectorELNS0_4arch9wavefront6targetE1EEEvT1_.private_seg_size, 0
	.set _ZN7rocprim17ROCPRIM_400000_NS6detail17trampoline_kernelINS0_14default_configENS1_25partition_config_selectorILNS1_17partition_subalgoE8EfNS0_10empty_typeEbEEZZNS1_14partition_implILS5_8ELb0ES3_jN6thrust23THRUST_200600_302600_NS6detail15normal_iteratorINSA_10device_ptrIfEEEEPS6_PKS6_NS0_5tupleIJSF_S6_EEENSJ_IJSG_SG_EEENS0_18inequality_wrapperINSA_8equal_toIfEEEEPmJS6_EEE10hipError_tPvRmT3_T4_T5_T6_T7_T9_mT8_P12ihipStream_tbDpT10_ENKUlT_T0_E_clISt17integral_constantIbLb1EES19_IbLb0EEEEDaS15_S16_EUlS15_E_NS1_11comp_targetILNS1_3genE9ELNS1_11target_archE1100ELNS1_3gpuE3ELNS1_3repE0EEENS1_30default_config_static_selectorELNS0_4arch9wavefront6targetE1EEEvT1_.uses_vcc, 0
	.set _ZN7rocprim17ROCPRIM_400000_NS6detail17trampoline_kernelINS0_14default_configENS1_25partition_config_selectorILNS1_17partition_subalgoE8EfNS0_10empty_typeEbEEZZNS1_14partition_implILS5_8ELb0ES3_jN6thrust23THRUST_200600_302600_NS6detail15normal_iteratorINSA_10device_ptrIfEEEEPS6_PKS6_NS0_5tupleIJSF_S6_EEENSJ_IJSG_SG_EEENS0_18inequality_wrapperINSA_8equal_toIfEEEEPmJS6_EEE10hipError_tPvRmT3_T4_T5_T6_T7_T9_mT8_P12ihipStream_tbDpT10_ENKUlT_T0_E_clISt17integral_constantIbLb1EES19_IbLb0EEEEDaS15_S16_EUlS15_E_NS1_11comp_targetILNS1_3genE9ELNS1_11target_archE1100ELNS1_3gpuE3ELNS1_3repE0EEENS1_30default_config_static_selectorELNS0_4arch9wavefront6targetE1EEEvT1_.uses_flat_scratch, 0
	.set _ZN7rocprim17ROCPRIM_400000_NS6detail17trampoline_kernelINS0_14default_configENS1_25partition_config_selectorILNS1_17partition_subalgoE8EfNS0_10empty_typeEbEEZZNS1_14partition_implILS5_8ELb0ES3_jN6thrust23THRUST_200600_302600_NS6detail15normal_iteratorINSA_10device_ptrIfEEEEPS6_PKS6_NS0_5tupleIJSF_S6_EEENSJ_IJSG_SG_EEENS0_18inequality_wrapperINSA_8equal_toIfEEEEPmJS6_EEE10hipError_tPvRmT3_T4_T5_T6_T7_T9_mT8_P12ihipStream_tbDpT10_ENKUlT_T0_E_clISt17integral_constantIbLb1EES19_IbLb0EEEEDaS15_S16_EUlS15_E_NS1_11comp_targetILNS1_3genE9ELNS1_11target_archE1100ELNS1_3gpuE3ELNS1_3repE0EEENS1_30default_config_static_selectorELNS0_4arch9wavefront6targetE1EEEvT1_.has_dyn_sized_stack, 0
	.set _ZN7rocprim17ROCPRIM_400000_NS6detail17trampoline_kernelINS0_14default_configENS1_25partition_config_selectorILNS1_17partition_subalgoE8EfNS0_10empty_typeEbEEZZNS1_14partition_implILS5_8ELb0ES3_jN6thrust23THRUST_200600_302600_NS6detail15normal_iteratorINSA_10device_ptrIfEEEEPS6_PKS6_NS0_5tupleIJSF_S6_EEENSJ_IJSG_SG_EEENS0_18inequality_wrapperINSA_8equal_toIfEEEEPmJS6_EEE10hipError_tPvRmT3_T4_T5_T6_T7_T9_mT8_P12ihipStream_tbDpT10_ENKUlT_T0_E_clISt17integral_constantIbLb1EES19_IbLb0EEEEDaS15_S16_EUlS15_E_NS1_11comp_targetILNS1_3genE9ELNS1_11target_archE1100ELNS1_3gpuE3ELNS1_3repE0EEENS1_30default_config_static_selectorELNS0_4arch9wavefront6targetE1EEEvT1_.has_recursion, 0
	.set _ZN7rocprim17ROCPRIM_400000_NS6detail17trampoline_kernelINS0_14default_configENS1_25partition_config_selectorILNS1_17partition_subalgoE8EfNS0_10empty_typeEbEEZZNS1_14partition_implILS5_8ELb0ES3_jN6thrust23THRUST_200600_302600_NS6detail15normal_iteratorINSA_10device_ptrIfEEEEPS6_PKS6_NS0_5tupleIJSF_S6_EEENSJ_IJSG_SG_EEENS0_18inequality_wrapperINSA_8equal_toIfEEEEPmJS6_EEE10hipError_tPvRmT3_T4_T5_T6_T7_T9_mT8_P12ihipStream_tbDpT10_ENKUlT_T0_E_clISt17integral_constantIbLb1EES19_IbLb0EEEEDaS15_S16_EUlS15_E_NS1_11comp_targetILNS1_3genE9ELNS1_11target_archE1100ELNS1_3gpuE3ELNS1_3repE0EEENS1_30default_config_static_selectorELNS0_4arch9wavefront6targetE1EEEvT1_.has_indirect_call, 0
	.section	.AMDGPU.csdata,"",@progbits
; Kernel info:
; codeLenInByte = 0
; TotalNumSgprs: 4
; NumVgprs: 0
; ScratchSize: 0
; MemoryBound: 0
; FloatMode: 240
; IeeeMode: 1
; LDSByteSize: 0 bytes/workgroup (compile time only)
; SGPRBlocks: 0
; VGPRBlocks: 0
; NumSGPRsForWavesPerEU: 4
; NumVGPRsForWavesPerEU: 1
; Occupancy: 10
; WaveLimiterHint : 0
; COMPUTE_PGM_RSRC2:SCRATCH_EN: 0
; COMPUTE_PGM_RSRC2:USER_SGPR: 6
; COMPUTE_PGM_RSRC2:TRAP_HANDLER: 0
; COMPUTE_PGM_RSRC2:TGID_X_EN: 1
; COMPUTE_PGM_RSRC2:TGID_Y_EN: 0
; COMPUTE_PGM_RSRC2:TGID_Z_EN: 0
; COMPUTE_PGM_RSRC2:TIDIG_COMP_CNT: 0
	.section	.text._ZN7rocprim17ROCPRIM_400000_NS6detail17trampoline_kernelINS0_14default_configENS1_25partition_config_selectorILNS1_17partition_subalgoE8EfNS0_10empty_typeEbEEZZNS1_14partition_implILS5_8ELb0ES3_jN6thrust23THRUST_200600_302600_NS6detail15normal_iteratorINSA_10device_ptrIfEEEEPS6_PKS6_NS0_5tupleIJSF_S6_EEENSJ_IJSG_SG_EEENS0_18inequality_wrapperINSA_8equal_toIfEEEEPmJS6_EEE10hipError_tPvRmT3_T4_T5_T6_T7_T9_mT8_P12ihipStream_tbDpT10_ENKUlT_T0_E_clISt17integral_constantIbLb1EES19_IbLb0EEEEDaS15_S16_EUlS15_E_NS1_11comp_targetILNS1_3genE8ELNS1_11target_archE1030ELNS1_3gpuE2ELNS1_3repE0EEENS1_30default_config_static_selectorELNS0_4arch9wavefront6targetE1EEEvT1_,"axG",@progbits,_ZN7rocprim17ROCPRIM_400000_NS6detail17trampoline_kernelINS0_14default_configENS1_25partition_config_selectorILNS1_17partition_subalgoE8EfNS0_10empty_typeEbEEZZNS1_14partition_implILS5_8ELb0ES3_jN6thrust23THRUST_200600_302600_NS6detail15normal_iteratorINSA_10device_ptrIfEEEEPS6_PKS6_NS0_5tupleIJSF_S6_EEENSJ_IJSG_SG_EEENS0_18inequality_wrapperINSA_8equal_toIfEEEEPmJS6_EEE10hipError_tPvRmT3_T4_T5_T6_T7_T9_mT8_P12ihipStream_tbDpT10_ENKUlT_T0_E_clISt17integral_constantIbLb1EES19_IbLb0EEEEDaS15_S16_EUlS15_E_NS1_11comp_targetILNS1_3genE8ELNS1_11target_archE1030ELNS1_3gpuE2ELNS1_3repE0EEENS1_30default_config_static_selectorELNS0_4arch9wavefront6targetE1EEEvT1_,comdat
	.protected	_ZN7rocprim17ROCPRIM_400000_NS6detail17trampoline_kernelINS0_14default_configENS1_25partition_config_selectorILNS1_17partition_subalgoE8EfNS0_10empty_typeEbEEZZNS1_14partition_implILS5_8ELb0ES3_jN6thrust23THRUST_200600_302600_NS6detail15normal_iteratorINSA_10device_ptrIfEEEEPS6_PKS6_NS0_5tupleIJSF_S6_EEENSJ_IJSG_SG_EEENS0_18inequality_wrapperINSA_8equal_toIfEEEEPmJS6_EEE10hipError_tPvRmT3_T4_T5_T6_T7_T9_mT8_P12ihipStream_tbDpT10_ENKUlT_T0_E_clISt17integral_constantIbLb1EES19_IbLb0EEEEDaS15_S16_EUlS15_E_NS1_11comp_targetILNS1_3genE8ELNS1_11target_archE1030ELNS1_3gpuE2ELNS1_3repE0EEENS1_30default_config_static_selectorELNS0_4arch9wavefront6targetE1EEEvT1_ ; -- Begin function _ZN7rocprim17ROCPRIM_400000_NS6detail17trampoline_kernelINS0_14default_configENS1_25partition_config_selectorILNS1_17partition_subalgoE8EfNS0_10empty_typeEbEEZZNS1_14partition_implILS5_8ELb0ES3_jN6thrust23THRUST_200600_302600_NS6detail15normal_iteratorINSA_10device_ptrIfEEEEPS6_PKS6_NS0_5tupleIJSF_S6_EEENSJ_IJSG_SG_EEENS0_18inequality_wrapperINSA_8equal_toIfEEEEPmJS6_EEE10hipError_tPvRmT3_T4_T5_T6_T7_T9_mT8_P12ihipStream_tbDpT10_ENKUlT_T0_E_clISt17integral_constantIbLb1EES19_IbLb0EEEEDaS15_S16_EUlS15_E_NS1_11comp_targetILNS1_3genE8ELNS1_11target_archE1030ELNS1_3gpuE2ELNS1_3repE0EEENS1_30default_config_static_selectorELNS0_4arch9wavefront6targetE1EEEvT1_
	.globl	_ZN7rocprim17ROCPRIM_400000_NS6detail17trampoline_kernelINS0_14default_configENS1_25partition_config_selectorILNS1_17partition_subalgoE8EfNS0_10empty_typeEbEEZZNS1_14partition_implILS5_8ELb0ES3_jN6thrust23THRUST_200600_302600_NS6detail15normal_iteratorINSA_10device_ptrIfEEEEPS6_PKS6_NS0_5tupleIJSF_S6_EEENSJ_IJSG_SG_EEENS0_18inequality_wrapperINSA_8equal_toIfEEEEPmJS6_EEE10hipError_tPvRmT3_T4_T5_T6_T7_T9_mT8_P12ihipStream_tbDpT10_ENKUlT_T0_E_clISt17integral_constantIbLb1EES19_IbLb0EEEEDaS15_S16_EUlS15_E_NS1_11comp_targetILNS1_3genE8ELNS1_11target_archE1030ELNS1_3gpuE2ELNS1_3repE0EEENS1_30default_config_static_selectorELNS0_4arch9wavefront6targetE1EEEvT1_
	.p2align	8
	.type	_ZN7rocprim17ROCPRIM_400000_NS6detail17trampoline_kernelINS0_14default_configENS1_25partition_config_selectorILNS1_17partition_subalgoE8EfNS0_10empty_typeEbEEZZNS1_14partition_implILS5_8ELb0ES3_jN6thrust23THRUST_200600_302600_NS6detail15normal_iteratorINSA_10device_ptrIfEEEEPS6_PKS6_NS0_5tupleIJSF_S6_EEENSJ_IJSG_SG_EEENS0_18inequality_wrapperINSA_8equal_toIfEEEEPmJS6_EEE10hipError_tPvRmT3_T4_T5_T6_T7_T9_mT8_P12ihipStream_tbDpT10_ENKUlT_T0_E_clISt17integral_constantIbLb1EES19_IbLb0EEEEDaS15_S16_EUlS15_E_NS1_11comp_targetILNS1_3genE8ELNS1_11target_archE1030ELNS1_3gpuE2ELNS1_3repE0EEENS1_30default_config_static_selectorELNS0_4arch9wavefront6targetE1EEEvT1_,@function
_ZN7rocprim17ROCPRIM_400000_NS6detail17trampoline_kernelINS0_14default_configENS1_25partition_config_selectorILNS1_17partition_subalgoE8EfNS0_10empty_typeEbEEZZNS1_14partition_implILS5_8ELb0ES3_jN6thrust23THRUST_200600_302600_NS6detail15normal_iteratorINSA_10device_ptrIfEEEEPS6_PKS6_NS0_5tupleIJSF_S6_EEENSJ_IJSG_SG_EEENS0_18inequality_wrapperINSA_8equal_toIfEEEEPmJS6_EEE10hipError_tPvRmT3_T4_T5_T6_T7_T9_mT8_P12ihipStream_tbDpT10_ENKUlT_T0_E_clISt17integral_constantIbLb1EES19_IbLb0EEEEDaS15_S16_EUlS15_E_NS1_11comp_targetILNS1_3genE8ELNS1_11target_archE1030ELNS1_3gpuE2ELNS1_3repE0EEENS1_30default_config_static_selectorELNS0_4arch9wavefront6targetE1EEEvT1_: ; @_ZN7rocprim17ROCPRIM_400000_NS6detail17trampoline_kernelINS0_14default_configENS1_25partition_config_selectorILNS1_17partition_subalgoE8EfNS0_10empty_typeEbEEZZNS1_14partition_implILS5_8ELb0ES3_jN6thrust23THRUST_200600_302600_NS6detail15normal_iteratorINSA_10device_ptrIfEEEEPS6_PKS6_NS0_5tupleIJSF_S6_EEENSJ_IJSG_SG_EEENS0_18inequality_wrapperINSA_8equal_toIfEEEEPmJS6_EEE10hipError_tPvRmT3_T4_T5_T6_T7_T9_mT8_P12ihipStream_tbDpT10_ENKUlT_T0_E_clISt17integral_constantIbLb1EES19_IbLb0EEEEDaS15_S16_EUlS15_E_NS1_11comp_targetILNS1_3genE8ELNS1_11target_archE1030ELNS1_3gpuE2ELNS1_3repE0EEENS1_30default_config_static_selectorELNS0_4arch9wavefront6targetE1EEEvT1_
; %bb.0:
	.section	.rodata,"a",@progbits
	.p2align	6, 0x0
	.amdhsa_kernel _ZN7rocprim17ROCPRIM_400000_NS6detail17trampoline_kernelINS0_14default_configENS1_25partition_config_selectorILNS1_17partition_subalgoE8EfNS0_10empty_typeEbEEZZNS1_14partition_implILS5_8ELb0ES3_jN6thrust23THRUST_200600_302600_NS6detail15normal_iteratorINSA_10device_ptrIfEEEEPS6_PKS6_NS0_5tupleIJSF_S6_EEENSJ_IJSG_SG_EEENS0_18inequality_wrapperINSA_8equal_toIfEEEEPmJS6_EEE10hipError_tPvRmT3_T4_T5_T6_T7_T9_mT8_P12ihipStream_tbDpT10_ENKUlT_T0_E_clISt17integral_constantIbLb1EES19_IbLb0EEEEDaS15_S16_EUlS15_E_NS1_11comp_targetILNS1_3genE8ELNS1_11target_archE1030ELNS1_3gpuE2ELNS1_3repE0EEENS1_30default_config_static_selectorELNS0_4arch9wavefront6targetE1EEEvT1_
		.amdhsa_group_segment_fixed_size 0
		.amdhsa_private_segment_fixed_size 0
		.amdhsa_kernarg_size 112
		.amdhsa_user_sgpr_count 6
		.amdhsa_user_sgpr_private_segment_buffer 1
		.amdhsa_user_sgpr_dispatch_ptr 0
		.amdhsa_user_sgpr_queue_ptr 0
		.amdhsa_user_sgpr_kernarg_segment_ptr 1
		.amdhsa_user_sgpr_dispatch_id 0
		.amdhsa_user_sgpr_flat_scratch_init 0
		.amdhsa_user_sgpr_private_segment_size 0
		.amdhsa_uses_dynamic_stack 0
		.amdhsa_system_sgpr_private_segment_wavefront_offset 0
		.amdhsa_system_sgpr_workgroup_id_x 1
		.amdhsa_system_sgpr_workgroup_id_y 0
		.amdhsa_system_sgpr_workgroup_id_z 0
		.amdhsa_system_sgpr_workgroup_info 0
		.amdhsa_system_vgpr_workitem_id 0
		.amdhsa_next_free_vgpr 1
		.amdhsa_next_free_sgpr 0
		.amdhsa_reserve_vcc 0
		.amdhsa_reserve_flat_scratch 0
		.amdhsa_float_round_mode_32 0
		.amdhsa_float_round_mode_16_64 0
		.amdhsa_float_denorm_mode_32 3
		.amdhsa_float_denorm_mode_16_64 3
		.amdhsa_dx10_clamp 1
		.amdhsa_ieee_mode 1
		.amdhsa_fp16_overflow 0
		.amdhsa_exception_fp_ieee_invalid_op 0
		.amdhsa_exception_fp_denorm_src 0
		.amdhsa_exception_fp_ieee_div_zero 0
		.amdhsa_exception_fp_ieee_overflow 0
		.amdhsa_exception_fp_ieee_underflow 0
		.amdhsa_exception_fp_ieee_inexact 0
		.amdhsa_exception_int_div_zero 0
	.end_amdhsa_kernel
	.section	.text._ZN7rocprim17ROCPRIM_400000_NS6detail17trampoline_kernelINS0_14default_configENS1_25partition_config_selectorILNS1_17partition_subalgoE8EfNS0_10empty_typeEbEEZZNS1_14partition_implILS5_8ELb0ES3_jN6thrust23THRUST_200600_302600_NS6detail15normal_iteratorINSA_10device_ptrIfEEEEPS6_PKS6_NS0_5tupleIJSF_S6_EEENSJ_IJSG_SG_EEENS0_18inequality_wrapperINSA_8equal_toIfEEEEPmJS6_EEE10hipError_tPvRmT3_T4_T5_T6_T7_T9_mT8_P12ihipStream_tbDpT10_ENKUlT_T0_E_clISt17integral_constantIbLb1EES19_IbLb0EEEEDaS15_S16_EUlS15_E_NS1_11comp_targetILNS1_3genE8ELNS1_11target_archE1030ELNS1_3gpuE2ELNS1_3repE0EEENS1_30default_config_static_selectorELNS0_4arch9wavefront6targetE1EEEvT1_,"axG",@progbits,_ZN7rocprim17ROCPRIM_400000_NS6detail17trampoline_kernelINS0_14default_configENS1_25partition_config_selectorILNS1_17partition_subalgoE8EfNS0_10empty_typeEbEEZZNS1_14partition_implILS5_8ELb0ES3_jN6thrust23THRUST_200600_302600_NS6detail15normal_iteratorINSA_10device_ptrIfEEEEPS6_PKS6_NS0_5tupleIJSF_S6_EEENSJ_IJSG_SG_EEENS0_18inequality_wrapperINSA_8equal_toIfEEEEPmJS6_EEE10hipError_tPvRmT3_T4_T5_T6_T7_T9_mT8_P12ihipStream_tbDpT10_ENKUlT_T0_E_clISt17integral_constantIbLb1EES19_IbLb0EEEEDaS15_S16_EUlS15_E_NS1_11comp_targetILNS1_3genE8ELNS1_11target_archE1030ELNS1_3gpuE2ELNS1_3repE0EEENS1_30default_config_static_selectorELNS0_4arch9wavefront6targetE1EEEvT1_,comdat
.Lfunc_end103:
	.size	_ZN7rocprim17ROCPRIM_400000_NS6detail17trampoline_kernelINS0_14default_configENS1_25partition_config_selectorILNS1_17partition_subalgoE8EfNS0_10empty_typeEbEEZZNS1_14partition_implILS5_8ELb0ES3_jN6thrust23THRUST_200600_302600_NS6detail15normal_iteratorINSA_10device_ptrIfEEEEPS6_PKS6_NS0_5tupleIJSF_S6_EEENSJ_IJSG_SG_EEENS0_18inequality_wrapperINSA_8equal_toIfEEEEPmJS6_EEE10hipError_tPvRmT3_T4_T5_T6_T7_T9_mT8_P12ihipStream_tbDpT10_ENKUlT_T0_E_clISt17integral_constantIbLb1EES19_IbLb0EEEEDaS15_S16_EUlS15_E_NS1_11comp_targetILNS1_3genE8ELNS1_11target_archE1030ELNS1_3gpuE2ELNS1_3repE0EEENS1_30default_config_static_selectorELNS0_4arch9wavefront6targetE1EEEvT1_, .Lfunc_end103-_ZN7rocprim17ROCPRIM_400000_NS6detail17trampoline_kernelINS0_14default_configENS1_25partition_config_selectorILNS1_17partition_subalgoE8EfNS0_10empty_typeEbEEZZNS1_14partition_implILS5_8ELb0ES3_jN6thrust23THRUST_200600_302600_NS6detail15normal_iteratorINSA_10device_ptrIfEEEEPS6_PKS6_NS0_5tupleIJSF_S6_EEENSJ_IJSG_SG_EEENS0_18inequality_wrapperINSA_8equal_toIfEEEEPmJS6_EEE10hipError_tPvRmT3_T4_T5_T6_T7_T9_mT8_P12ihipStream_tbDpT10_ENKUlT_T0_E_clISt17integral_constantIbLb1EES19_IbLb0EEEEDaS15_S16_EUlS15_E_NS1_11comp_targetILNS1_3genE8ELNS1_11target_archE1030ELNS1_3gpuE2ELNS1_3repE0EEENS1_30default_config_static_selectorELNS0_4arch9wavefront6targetE1EEEvT1_
                                        ; -- End function
	.set _ZN7rocprim17ROCPRIM_400000_NS6detail17trampoline_kernelINS0_14default_configENS1_25partition_config_selectorILNS1_17partition_subalgoE8EfNS0_10empty_typeEbEEZZNS1_14partition_implILS5_8ELb0ES3_jN6thrust23THRUST_200600_302600_NS6detail15normal_iteratorINSA_10device_ptrIfEEEEPS6_PKS6_NS0_5tupleIJSF_S6_EEENSJ_IJSG_SG_EEENS0_18inequality_wrapperINSA_8equal_toIfEEEEPmJS6_EEE10hipError_tPvRmT3_T4_T5_T6_T7_T9_mT8_P12ihipStream_tbDpT10_ENKUlT_T0_E_clISt17integral_constantIbLb1EES19_IbLb0EEEEDaS15_S16_EUlS15_E_NS1_11comp_targetILNS1_3genE8ELNS1_11target_archE1030ELNS1_3gpuE2ELNS1_3repE0EEENS1_30default_config_static_selectorELNS0_4arch9wavefront6targetE1EEEvT1_.num_vgpr, 0
	.set _ZN7rocprim17ROCPRIM_400000_NS6detail17trampoline_kernelINS0_14default_configENS1_25partition_config_selectorILNS1_17partition_subalgoE8EfNS0_10empty_typeEbEEZZNS1_14partition_implILS5_8ELb0ES3_jN6thrust23THRUST_200600_302600_NS6detail15normal_iteratorINSA_10device_ptrIfEEEEPS6_PKS6_NS0_5tupleIJSF_S6_EEENSJ_IJSG_SG_EEENS0_18inequality_wrapperINSA_8equal_toIfEEEEPmJS6_EEE10hipError_tPvRmT3_T4_T5_T6_T7_T9_mT8_P12ihipStream_tbDpT10_ENKUlT_T0_E_clISt17integral_constantIbLb1EES19_IbLb0EEEEDaS15_S16_EUlS15_E_NS1_11comp_targetILNS1_3genE8ELNS1_11target_archE1030ELNS1_3gpuE2ELNS1_3repE0EEENS1_30default_config_static_selectorELNS0_4arch9wavefront6targetE1EEEvT1_.num_agpr, 0
	.set _ZN7rocprim17ROCPRIM_400000_NS6detail17trampoline_kernelINS0_14default_configENS1_25partition_config_selectorILNS1_17partition_subalgoE8EfNS0_10empty_typeEbEEZZNS1_14partition_implILS5_8ELb0ES3_jN6thrust23THRUST_200600_302600_NS6detail15normal_iteratorINSA_10device_ptrIfEEEEPS6_PKS6_NS0_5tupleIJSF_S6_EEENSJ_IJSG_SG_EEENS0_18inequality_wrapperINSA_8equal_toIfEEEEPmJS6_EEE10hipError_tPvRmT3_T4_T5_T6_T7_T9_mT8_P12ihipStream_tbDpT10_ENKUlT_T0_E_clISt17integral_constantIbLb1EES19_IbLb0EEEEDaS15_S16_EUlS15_E_NS1_11comp_targetILNS1_3genE8ELNS1_11target_archE1030ELNS1_3gpuE2ELNS1_3repE0EEENS1_30default_config_static_selectorELNS0_4arch9wavefront6targetE1EEEvT1_.numbered_sgpr, 0
	.set _ZN7rocprim17ROCPRIM_400000_NS6detail17trampoline_kernelINS0_14default_configENS1_25partition_config_selectorILNS1_17partition_subalgoE8EfNS0_10empty_typeEbEEZZNS1_14partition_implILS5_8ELb0ES3_jN6thrust23THRUST_200600_302600_NS6detail15normal_iteratorINSA_10device_ptrIfEEEEPS6_PKS6_NS0_5tupleIJSF_S6_EEENSJ_IJSG_SG_EEENS0_18inequality_wrapperINSA_8equal_toIfEEEEPmJS6_EEE10hipError_tPvRmT3_T4_T5_T6_T7_T9_mT8_P12ihipStream_tbDpT10_ENKUlT_T0_E_clISt17integral_constantIbLb1EES19_IbLb0EEEEDaS15_S16_EUlS15_E_NS1_11comp_targetILNS1_3genE8ELNS1_11target_archE1030ELNS1_3gpuE2ELNS1_3repE0EEENS1_30default_config_static_selectorELNS0_4arch9wavefront6targetE1EEEvT1_.num_named_barrier, 0
	.set _ZN7rocprim17ROCPRIM_400000_NS6detail17trampoline_kernelINS0_14default_configENS1_25partition_config_selectorILNS1_17partition_subalgoE8EfNS0_10empty_typeEbEEZZNS1_14partition_implILS5_8ELb0ES3_jN6thrust23THRUST_200600_302600_NS6detail15normal_iteratorINSA_10device_ptrIfEEEEPS6_PKS6_NS0_5tupleIJSF_S6_EEENSJ_IJSG_SG_EEENS0_18inequality_wrapperINSA_8equal_toIfEEEEPmJS6_EEE10hipError_tPvRmT3_T4_T5_T6_T7_T9_mT8_P12ihipStream_tbDpT10_ENKUlT_T0_E_clISt17integral_constantIbLb1EES19_IbLb0EEEEDaS15_S16_EUlS15_E_NS1_11comp_targetILNS1_3genE8ELNS1_11target_archE1030ELNS1_3gpuE2ELNS1_3repE0EEENS1_30default_config_static_selectorELNS0_4arch9wavefront6targetE1EEEvT1_.private_seg_size, 0
	.set _ZN7rocprim17ROCPRIM_400000_NS6detail17trampoline_kernelINS0_14default_configENS1_25partition_config_selectorILNS1_17partition_subalgoE8EfNS0_10empty_typeEbEEZZNS1_14partition_implILS5_8ELb0ES3_jN6thrust23THRUST_200600_302600_NS6detail15normal_iteratorINSA_10device_ptrIfEEEEPS6_PKS6_NS0_5tupleIJSF_S6_EEENSJ_IJSG_SG_EEENS0_18inequality_wrapperINSA_8equal_toIfEEEEPmJS6_EEE10hipError_tPvRmT3_T4_T5_T6_T7_T9_mT8_P12ihipStream_tbDpT10_ENKUlT_T0_E_clISt17integral_constantIbLb1EES19_IbLb0EEEEDaS15_S16_EUlS15_E_NS1_11comp_targetILNS1_3genE8ELNS1_11target_archE1030ELNS1_3gpuE2ELNS1_3repE0EEENS1_30default_config_static_selectorELNS0_4arch9wavefront6targetE1EEEvT1_.uses_vcc, 0
	.set _ZN7rocprim17ROCPRIM_400000_NS6detail17trampoline_kernelINS0_14default_configENS1_25partition_config_selectorILNS1_17partition_subalgoE8EfNS0_10empty_typeEbEEZZNS1_14partition_implILS5_8ELb0ES3_jN6thrust23THRUST_200600_302600_NS6detail15normal_iteratorINSA_10device_ptrIfEEEEPS6_PKS6_NS0_5tupleIJSF_S6_EEENSJ_IJSG_SG_EEENS0_18inequality_wrapperINSA_8equal_toIfEEEEPmJS6_EEE10hipError_tPvRmT3_T4_T5_T6_T7_T9_mT8_P12ihipStream_tbDpT10_ENKUlT_T0_E_clISt17integral_constantIbLb1EES19_IbLb0EEEEDaS15_S16_EUlS15_E_NS1_11comp_targetILNS1_3genE8ELNS1_11target_archE1030ELNS1_3gpuE2ELNS1_3repE0EEENS1_30default_config_static_selectorELNS0_4arch9wavefront6targetE1EEEvT1_.uses_flat_scratch, 0
	.set _ZN7rocprim17ROCPRIM_400000_NS6detail17trampoline_kernelINS0_14default_configENS1_25partition_config_selectorILNS1_17partition_subalgoE8EfNS0_10empty_typeEbEEZZNS1_14partition_implILS5_8ELb0ES3_jN6thrust23THRUST_200600_302600_NS6detail15normal_iteratorINSA_10device_ptrIfEEEEPS6_PKS6_NS0_5tupleIJSF_S6_EEENSJ_IJSG_SG_EEENS0_18inequality_wrapperINSA_8equal_toIfEEEEPmJS6_EEE10hipError_tPvRmT3_T4_T5_T6_T7_T9_mT8_P12ihipStream_tbDpT10_ENKUlT_T0_E_clISt17integral_constantIbLb1EES19_IbLb0EEEEDaS15_S16_EUlS15_E_NS1_11comp_targetILNS1_3genE8ELNS1_11target_archE1030ELNS1_3gpuE2ELNS1_3repE0EEENS1_30default_config_static_selectorELNS0_4arch9wavefront6targetE1EEEvT1_.has_dyn_sized_stack, 0
	.set _ZN7rocprim17ROCPRIM_400000_NS6detail17trampoline_kernelINS0_14default_configENS1_25partition_config_selectorILNS1_17partition_subalgoE8EfNS0_10empty_typeEbEEZZNS1_14partition_implILS5_8ELb0ES3_jN6thrust23THRUST_200600_302600_NS6detail15normal_iteratorINSA_10device_ptrIfEEEEPS6_PKS6_NS0_5tupleIJSF_S6_EEENSJ_IJSG_SG_EEENS0_18inequality_wrapperINSA_8equal_toIfEEEEPmJS6_EEE10hipError_tPvRmT3_T4_T5_T6_T7_T9_mT8_P12ihipStream_tbDpT10_ENKUlT_T0_E_clISt17integral_constantIbLb1EES19_IbLb0EEEEDaS15_S16_EUlS15_E_NS1_11comp_targetILNS1_3genE8ELNS1_11target_archE1030ELNS1_3gpuE2ELNS1_3repE0EEENS1_30default_config_static_selectorELNS0_4arch9wavefront6targetE1EEEvT1_.has_recursion, 0
	.set _ZN7rocprim17ROCPRIM_400000_NS6detail17trampoline_kernelINS0_14default_configENS1_25partition_config_selectorILNS1_17partition_subalgoE8EfNS0_10empty_typeEbEEZZNS1_14partition_implILS5_8ELb0ES3_jN6thrust23THRUST_200600_302600_NS6detail15normal_iteratorINSA_10device_ptrIfEEEEPS6_PKS6_NS0_5tupleIJSF_S6_EEENSJ_IJSG_SG_EEENS0_18inequality_wrapperINSA_8equal_toIfEEEEPmJS6_EEE10hipError_tPvRmT3_T4_T5_T6_T7_T9_mT8_P12ihipStream_tbDpT10_ENKUlT_T0_E_clISt17integral_constantIbLb1EES19_IbLb0EEEEDaS15_S16_EUlS15_E_NS1_11comp_targetILNS1_3genE8ELNS1_11target_archE1030ELNS1_3gpuE2ELNS1_3repE0EEENS1_30default_config_static_selectorELNS0_4arch9wavefront6targetE1EEEvT1_.has_indirect_call, 0
	.section	.AMDGPU.csdata,"",@progbits
; Kernel info:
; codeLenInByte = 0
; TotalNumSgprs: 4
; NumVgprs: 0
; ScratchSize: 0
; MemoryBound: 0
; FloatMode: 240
; IeeeMode: 1
; LDSByteSize: 0 bytes/workgroup (compile time only)
; SGPRBlocks: 0
; VGPRBlocks: 0
; NumSGPRsForWavesPerEU: 4
; NumVGPRsForWavesPerEU: 1
; Occupancy: 10
; WaveLimiterHint : 0
; COMPUTE_PGM_RSRC2:SCRATCH_EN: 0
; COMPUTE_PGM_RSRC2:USER_SGPR: 6
; COMPUTE_PGM_RSRC2:TRAP_HANDLER: 0
; COMPUTE_PGM_RSRC2:TGID_X_EN: 1
; COMPUTE_PGM_RSRC2:TGID_Y_EN: 0
; COMPUTE_PGM_RSRC2:TGID_Z_EN: 0
; COMPUTE_PGM_RSRC2:TIDIG_COMP_CNT: 0
	.section	.text._ZN7rocprim17ROCPRIM_400000_NS6detail17trampoline_kernelINS0_14default_configENS1_25partition_config_selectorILNS1_17partition_subalgoE8EfNS0_10empty_typeEbEEZZNS1_14partition_implILS5_8ELb0ES3_jN6thrust23THRUST_200600_302600_NS6detail15normal_iteratorINSA_10device_ptrIfEEEEPS6_PKS6_NS0_5tupleIJSF_S6_EEENSJ_IJSG_SG_EEENS0_18inequality_wrapperINSA_8equal_toIfEEEEPmJS6_EEE10hipError_tPvRmT3_T4_T5_T6_T7_T9_mT8_P12ihipStream_tbDpT10_ENKUlT_T0_E_clISt17integral_constantIbLb0EES19_IbLb1EEEEDaS15_S16_EUlS15_E_NS1_11comp_targetILNS1_3genE0ELNS1_11target_archE4294967295ELNS1_3gpuE0ELNS1_3repE0EEENS1_30default_config_static_selectorELNS0_4arch9wavefront6targetE1EEEvT1_,"axG",@progbits,_ZN7rocprim17ROCPRIM_400000_NS6detail17trampoline_kernelINS0_14default_configENS1_25partition_config_selectorILNS1_17partition_subalgoE8EfNS0_10empty_typeEbEEZZNS1_14partition_implILS5_8ELb0ES3_jN6thrust23THRUST_200600_302600_NS6detail15normal_iteratorINSA_10device_ptrIfEEEEPS6_PKS6_NS0_5tupleIJSF_S6_EEENSJ_IJSG_SG_EEENS0_18inequality_wrapperINSA_8equal_toIfEEEEPmJS6_EEE10hipError_tPvRmT3_T4_T5_T6_T7_T9_mT8_P12ihipStream_tbDpT10_ENKUlT_T0_E_clISt17integral_constantIbLb0EES19_IbLb1EEEEDaS15_S16_EUlS15_E_NS1_11comp_targetILNS1_3genE0ELNS1_11target_archE4294967295ELNS1_3gpuE0ELNS1_3repE0EEENS1_30default_config_static_selectorELNS0_4arch9wavefront6targetE1EEEvT1_,comdat
	.protected	_ZN7rocprim17ROCPRIM_400000_NS6detail17trampoline_kernelINS0_14default_configENS1_25partition_config_selectorILNS1_17partition_subalgoE8EfNS0_10empty_typeEbEEZZNS1_14partition_implILS5_8ELb0ES3_jN6thrust23THRUST_200600_302600_NS6detail15normal_iteratorINSA_10device_ptrIfEEEEPS6_PKS6_NS0_5tupleIJSF_S6_EEENSJ_IJSG_SG_EEENS0_18inequality_wrapperINSA_8equal_toIfEEEEPmJS6_EEE10hipError_tPvRmT3_T4_T5_T6_T7_T9_mT8_P12ihipStream_tbDpT10_ENKUlT_T0_E_clISt17integral_constantIbLb0EES19_IbLb1EEEEDaS15_S16_EUlS15_E_NS1_11comp_targetILNS1_3genE0ELNS1_11target_archE4294967295ELNS1_3gpuE0ELNS1_3repE0EEENS1_30default_config_static_selectorELNS0_4arch9wavefront6targetE1EEEvT1_ ; -- Begin function _ZN7rocprim17ROCPRIM_400000_NS6detail17trampoline_kernelINS0_14default_configENS1_25partition_config_selectorILNS1_17partition_subalgoE8EfNS0_10empty_typeEbEEZZNS1_14partition_implILS5_8ELb0ES3_jN6thrust23THRUST_200600_302600_NS6detail15normal_iteratorINSA_10device_ptrIfEEEEPS6_PKS6_NS0_5tupleIJSF_S6_EEENSJ_IJSG_SG_EEENS0_18inequality_wrapperINSA_8equal_toIfEEEEPmJS6_EEE10hipError_tPvRmT3_T4_T5_T6_T7_T9_mT8_P12ihipStream_tbDpT10_ENKUlT_T0_E_clISt17integral_constantIbLb0EES19_IbLb1EEEEDaS15_S16_EUlS15_E_NS1_11comp_targetILNS1_3genE0ELNS1_11target_archE4294967295ELNS1_3gpuE0ELNS1_3repE0EEENS1_30default_config_static_selectorELNS0_4arch9wavefront6targetE1EEEvT1_
	.globl	_ZN7rocprim17ROCPRIM_400000_NS6detail17trampoline_kernelINS0_14default_configENS1_25partition_config_selectorILNS1_17partition_subalgoE8EfNS0_10empty_typeEbEEZZNS1_14partition_implILS5_8ELb0ES3_jN6thrust23THRUST_200600_302600_NS6detail15normal_iteratorINSA_10device_ptrIfEEEEPS6_PKS6_NS0_5tupleIJSF_S6_EEENSJ_IJSG_SG_EEENS0_18inequality_wrapperINSA_8equal_toIfEEEEPmJS6_EEE10hipError_tPvRmT3_T4_T5_T6_T7_T9_mT8_P12ihipStream_tbDpT10_ENKUlT_T0_E_clISt17integral_constantIbLb0EES19_IbLb1EEEEDaS15_S16_EUlS15_E_NS1_11comp_targetILNS1_3genE0ELNS1_11target_archE4294967295ELNS1_3gpuE0ELNS1_3repE0EEENS1_30default_config_static_selectorELNS0_4arch9wavefront6targetE1EEEvT1_
	.p2align	8
	.type	_ZN7rocprim17ROCPRIM_400000_NS6detail17trampoline_kernelINS0_14default_configENS1_25partition_config_selectorILNS1_17partition_subalgoE8EfNS0_10empty_typeEbEEZZNS1_14partition_implILS5_8ELb0ES3_jN6thrust23THRUST_200600_302600_NS6detail15normal_iteratorINSA_10device_ptrIfEEEEPS6_PKS6_NS0_5tupleIJSF_S6_EEENSJ_IJSG_SG_EEENS0_18inequality_wrapperINSA_8equal_toIfEEEEPmJS6_EEE10hipError_tPvRmT3_T4_T5_T6_T7_T9_mT8_P12ihipStream_tbDpT10_ENKUlT_T0_E_clISt17integral_constantIbLb0EES19_IbLb1EEEEDaS15_S16_EUlS15_E_NS1_11comp_targetILNS1_3genE0ELNS1_11target_archE4294967295ELNS1_3gpuE0ELNS1_3repE0EEENS1_30default_config_static_selectorELNS0_4arch9wavefront6targetE1EEEvT1_,@function
_ZN7rocprim17ROCPRIM_400000_NS6detail17trampoline_kernelINS0_14default_configENS1_25partition_config_selectorILNS1_17partition_subalgoE8EfNS0_10empty_typeEbEEZZNS1_14partition_implILS5_8ELb0ES3_jN6thrust23THRUST_200600_302600_NS6detail15normal_iteratorINSA_10device_ptrIfEEEEPS6_PKS6_NS0_5tupleIJSF_S6_EEENSJ_IJSG_SG_EEENS0_18inequality_wrapperINSA_8equal_toIfEEEEPmJS6_EEE10hipError_tPvRmT3_T4_T5_T6_T7_T9_mT8_P12ihipStream_tbDpT10_ENKUlT_T0_E_clISt17integral_constantIbLb0EES19_IbLb1EEEEDaS15_S16_EUlS15_E_NS1_11comp_targetILNS1_3genE0ELNS1_11target_archE4294967295ELNS1_3gpuE0ELNS1_3repE0EEENS1_30default_config_static_selectorELNS0_4arch9wavefront6targetE1EEEvT1_: ; @_ZN7rocprim17ROCPRIM_400000_NS6detail17trampoline_kernelINS0_14default_configENS1_25partition_config_selectorILNS1_17partition_subalgoE8EfNS0_10empty_typeEbEEZZNS1_14partition_implILS5_8ELb0ES3_jN6thrust23THRUST_200600_302600_NS6detail15normal_iteratorINSA_10device_ptrIfEEEEPS6_PKS6_NS0_5tupleIJSF_S6_EEENSJ_IJSG_SG_EEENS0_18inequality_wrapperINSA_8equal_toIfEEEEPmJS6_EEE10hipError_tPvRmT3_T4_T5_T6_T7_T9_mT8_P12ihipStream_tbDpT10_ENKUlT_T0_E_clISt17integral_constantIbLb0EES19_IbLb1EEEEDaS15_S16_EUlS15_E_NS1_11comp_targetILNS1_3genE0ELNS1_11target_archE4294967295ELNS1_3gpuE0ELNS1_3repE0EEENS1_30default_config_static_selectorELNS0_4arch9wavefront6targetE1EEEvT1_
; %bb.0:
	.section	.rodata,"a",@progbits
	.p2align	6, 0x0
	.amdhsa_kernel _ZN7rocprim17ROCPRIM_400000_NS6detail17trampoline_kernelINS0_14default_configENS1_25partition_config_selectorILNS1_17partition_subalgoE8EfNS0_10empty_typeEbEEZZNS1_14partition_implILS5_8ELb0ES3_jN6thrust23THRUST_200600_302600_NS6detail15normal_iteratorINSA_10device_ptrIfEEEEPS6_PKS6_NS0_5tupleIJSF_S6_EEENSJ_IJSG_SG_EEENS0_18inequality_wrapperINSA_8equal_toIfEEEEPmJS6_EEE10hipError_tPvRmT3_T4_T5_T6_T7_T9_mT8_P12ihipStream_tbDpT10_ENKUlT_T0_E_clISt17integral_constantIbLb0EES19_IbLb1EEEEDaS15_S16_EUlS15_E_NS1_11comp_targetILNS1_3genE0ELNS1_11target_archE4294967295ELNS1_3gpuE0ELNS1_3repE0EEENS1_30default_config_static_selectorELNS0_4arch9wavefront6targetE1EEEvT1_
		.amdhsa_group_segment_fixed_size 0
		.amdhsa_private_segment_fixed_size 0
		.amdhsa_kernarg_size 128
		.amdhsa_user_sgpr_count 6
		.amdhsa_user_sgpr_private_segment_buffer 1
		.amdhsa_user_sgpr_dispatch_ptr 0
		.amdhsa_user_sgpr_queue_ptr 0
		.amdhsa_user_sgpr_kernarg_segment_ptr 1
		.amdhsa_user_sgpr_dispatch_id 0
		.amdhsa_user_sgpr_flat_scratch_init 0
		.amdhsa_user_sgpr_private_segment_size 0
		.amdhsa_uses_dynamic_stack 0
		.amdhsa_system_sgpr_private_segment_wavefront_offset 0
		.amdhsa_system_sgpr_workgroup_id_x 1
		.amdhsa_system_sgpr_workgroup_id_y 0
		.amdhsa_system_sgpr_workgroup_id_z 0
		.amdhsa_system_sgpr_workgroup_info 0
		.amdhsa_system_vgpr_workitem_id 0
		.amdhsa_next_free_vgpr 1
		.amdhsa_next_free_sgpr 0
		.amdhsa_reserve_vcc 0
		.amdhsa_reserve_flat_scratch 0
		.amdhsa_float_round_mode_32 0
		.amdhsa_float_round_mode_16_64 0
		.amdhsa_float_denorm_mode_32 3
		.amdhsa_float_denorm_mode_16_64 3
		.amdhsa_dx10_clamp 1
		.amdhsa_ieee_mode 1
		.amdhsa_fp16_overflow 0
		.amdhsa_exception_fp_ieee_invalid_op 0
		.amdhsa_exception_fp_denorm_src 0
		.amdhsa_exception_fp_ieee_div_zero 0
		.amdhsa_exception_fp_ieee_overflow 0
		.amdhsa_exception_fp_ieee_underflow 0
		.amdhsa_exception_fp_ieee_inexact 0
		.amdhsa_exception_int_div_zero 0
	.end_amdhsa_kernel
	.section	.text._ZN7rocprim17ROCPRIM_400000_NS6detail17trampoline_kernelINS0_14default_configENS1_25partition_config_selectorILNS1_17partition_subalgoE8EfNS0_10empty_typeEbEEZZNS1_14partition_implILS5_8ELb0ES3_jN6thrust23THRUST_200600_302600_NS6detail15normal_iteratorINSA_10device_ptrIfEEEEPS6_PKS6_NS0_5tupleIJSF_S6_EEENSJ_IJSG_SG_EEENS0_18inequality_wrapperINSA_8equal_toIfEEEEPmJS6_EEE10hipError_tPvRmT3_T4_T5_T6_T7_T9_mT8_P12ihipStream_tbDpT10_ENKUlT_T0_E_clISt17integral_constantIbLb0EES19_IbLb1EEEEDaS15_S16_EUlS15_E_NS1_11comp_targetILNS1_3genE0ELNS1_11target_archE4294967295ELNS1_3gpuE0ELNS1_3repE0EEENS1_30default_config_static_selectorELNS0_4arch9wavefront6targetE1EEEvT1_,"axG",@progbits,_ZN7rocprim17ROCPRIM_400000_NS6detail17trampoline_kernelINS0_14default_configENS1_25partition_config_selectorILNS1_17partition_subalgoE8EfNS0_10empty_typeEbEEZZNS1_14partition_implILS5_8ELb0ES3_jN6thrust23THRUST_200600_302600_NS6detail15normal_iteratorINSA_10device_ptrIfEEEEPS6_PKS6_NS0_5tupleIJSF_S6_EEENSJ_IJSG_SG_EEENS0_18inequality_wrapperINSA_8equal_toIfEEEEPmJS6_EEE10hipError_tPvRmT3_T4_T5_T6_T7_T9_mT8_P12ihipStream_tbDpT10_ENKUlT_T0_E_clISt17integral_constantIbLb0EES19_IbLb1EEEEDaS15_S16_EUlS15_E_NS1_11comp_targetILNS1_3genE0ELNS1_11target_archE4294967295ELNS1_3gpuE0ELNS1_3repE0EEENS1_30default_config_static_selectorELNS0_4arch9wavefront6targetE1EEEvT1_,comdat
.Lfunc_end104:
	.size	_ZN7rocprim17ROCPRIM_400000_NS6detail17trampoline_kernelINS0_14default_configENS1_25partition_config_selectorILNS1_17partition_subalgoE8EfNS0_10empty_typeEbEEZZNS1_14partition_implILS5_8ELb0ES3_jN6thrust23THRUST_200600_302600_NS6detail15normal_iteratorINSA_10device_ptrIfEEEEPS6_PKS6_NS0_5tupleIJSF_S6_EEENSJ_IJSG_SG_EEENS0_18inequality_wrapperINSA_8equal_toIfEEEEPmJS6_EEE10hipError_tPvRmT3_T4_T5_T6_T7_T9_mT8_P12ihipStream_tbDpT10_ENKUlT_T0_E_clISt17integral_constantIbLb0EES19_IbLb1EEEEDaS15_S16_EUlS15_E_NS1_11comp_targetILNS1_3genE0ELNS1_11target_archE4294967295ELNS1_3gpuE0ELNS1_3repE0EEENS1_30default_config_static_selectorELNS0_4arch9wavefront6targetE1EEEvT1_, .Lfunc_end104-_ZN7rocprim17ROCPRIM_400000_NS6detail17trampoline_kernelINS0_14default_configENS1_25partition_config_selectorILNS1_17partition_subalgoE8EfNS0_10empty_typeEbEEZZNS1_14partition_implILS5_8ELb0ES3_jN6thrust23THRUST_200600_302600_NS6detail15normal_iteratorINSA_10device_ptrIfEEEEPS6_PKS6_NS0_5tupleIJSF_S6_EEENSJ_IJSG_SG_EEENS0_18inequality_wrapperINSA_8equal_toIfEEEEPmJS6_EEE10hipError_tPvRmT3_T4_T5_T6_T7_T9_mT8_P12ihipStream_tbDpT10_ENKUlT_T0_E_clISt17integral_constantIbLb0EES19_IbLb1EEEEDaS15_S16_EUlS15_E_NS1_11comp_targetILNS1_3genE0ELNS1_11target_archE4294967295ELNS1_3gpuE0ELNS1_3repE0EEENS1_30default_config_static_selectorELNS0_4arch9wavefront6targetE1EEEvT1_
                                        ; -- End function
	.set _ZN7rocprim17ROCPRIM_400000_NS6detail17trampoline_kernelINS0_14default_configENS1_25partition_config_selectorILNS1_17partition_subalgoE8EfNS0_10empty_typeEbEEZZNS1_14partition_implILS5_8ELb0ES3_jN6thrust23THRUST_200600_302600_NS6detail15normal_iteratorINSA_10device_ptrIfEEEEPS6_PKS6_NS0_5tupleIJSF_S6_EEENSJ_IJSG_SG_EEENS0_18inequality_wrapperINSA_8equal_toIfEEEEPmJS6_EEE10hipError_tPvRmT3_T4_T5_T6_T7_T9_mT8_P12ihipStream_tbDpT10_ENKUlT_T0_E_clISt17integral_constantIbLb0EES19_IbLb1EEEEDaS15_S16_EUlS15_E_NS1_11comp_targetILNS1_3genE0ELNS1_11target_archE4294967295ELNS1_3gpuE0ELNS1_3repE0EEENS1_30default_config_static_selectorELNS0_4arch9wavefront6targetE1EEEvT1_.num_vgpr, 0
	.set _ZN7rocprim17ROCPRIM_400000_NS6detail17trampoline_kernelINS0_14default_configENS1_25partition_config_selectorILNS1_17partition_subalgoE8EfNS0_10empty_typeEbEEZZNS1_14partition_implILS5_8ELb0ES3_jN6thrust23THRUST_200600_302600_NS6detail15normal_iteratorINSA_10device_ptrIfEEEEPS6_PKS6_NS0_5tupleIJSF_S6_EEENSJ_IJSG_SG_EEENS0_18inequality_wrapperINSA_8equal_toIfEEEEPmJS6_EEE10hipError_tPvRmT3_T4_T5_T6_T7_T9_mT8_P12ihipStream_tbDpT10_ENKUlT_T0_E_clISt17integral_constantIbLb0EES19_IbLb1EEEEDaS15_S16_EUlS15_E_NS1_11comp_targetILNS1_3genE0ELNS1_11target_archE4294967295ELNS1_3gpuE0ELNS1_3repE0EEENS1_30default_config_static_selectorELNS0_4arch9wavefront6targetE1EEEvT1_.num_agpr, 0
	.set _ZN7rocprim17ROCPRIM_400000_NS6detail17trampoline_kernelINS0_14default_configENS1_25partition_config_selectorILNS1_17partition_subalgoE8EfNS0_10empty_typeEbEEZZNS1_14partition_implILS5_8ELb0ES3_jN6thrust23THRUST_200600_302600_NS6detail15normal_iteratorINSA_10device_ptrIfEEEEPS6_PKS6_NS0_5tupleIJSF_S6_EEENSJ_IJSG_SG_EEENS0_18inequality_wrapperINSA_8equal_toIfEEEEPmJS6_EEE10hipError_tPvRmT3_T4_T5_T6_T7_T9_mT8_P12ihipStream_tbDpT10_ENKUlT_T0_E_clISt17integral_constantIbLb0EES19_IbLb1EEEEDaS15_S16_EUlS15_E_NS1_11comp_targetILNS1_3genE0ELNS1_11target_archE4294967295ELNS1_3gpuE0ELNS1_3repE0EEENS1_30default_config_static_selectorELNS0_4arch9wavefront6targetE1EEEvT1_.numbered_sgpr, 0
	.set _ZN7rocprim17ROCPRIM_400000_NS6detail17trampoline_kernelINS0_14default_configENS1_25partition_config_selectorILNS1_17partition_subalgoE8EfNS0_10empty_typeEbEEZZNS1_14partition_implILS5_8ELb0ES3_jN6thrust23THRUST_200600_302600_NS6detail15normal_iteratorINSA_10device_ptrIfEEEEPS6_PKS6_NS0_5tupleIJSF_S6_EEENSJ_IJSG_SG_EEENS0_18inequality_wrapperINSA_8equal_toIfEEEEPmJS6_EEE10hipError_tPvRmT3_T4_T5_T6_T7_T9_mT8_P12ihipStream_tbDpT10_ENKUlT_T0_E_clISt17integral_constantIbLb0EES19_IbLb1EEEEDaS15_S16_EUlS15_E_NS1_11comp_targetILNS1_3genE0ELNS1_11target_archE4294967295ELNS1_3gpuE0ELNS1_3repE0EEENS1_30default_config_static_selectorELNS0_4arch9wavefront6targetE1EEEvT1_.num_named_barrier, 0
	.set _ZN7rocprim17ROCPRIM_400000_NS6detail17trampoline_kernelINS0_14default_configENS1_25partition_config_selectorILNS1_17partition_subalgoE8EfNS0_10empty_typeEbEEZZNS1_14partition_implILS5_8ELb0ES3_jN6thrust23THRUST_200600_302600_NS6detail15normal_iteratorINSA_10device_ptrIfEEEEPS6_PKS6_NS0_5tupleIJSF_S6_EEENSJ_IJSG_SG_EEENS0_18inequality_wrapperINSA_8equal_toIfEEEEPmJS6_EEE10hipError_tPvRmT3_T4_T5_T6_T7_T9_mT8_P12ihipStream_tbDpT10_ENKUlT_T0_E_clISt17integral_constantIbLb0EES19_IbLb1EEEEDaS15_S16_EUlS15_E_NS1_11comp_targetILNS1_3genE0ELNS1_11target_archE4294967295ELNS1_3gpuE0ELNS1_3repE0EEENS1_30default_config_static_selectorELNS0_4arch9wavefront6targetE1EEEvT1_.private_seg_size, 0
	.set _ZN7rocprim17ROCPRIM_400000_NS6detail17trampoline_kernelINS0_14default_configENS1_25partition_config_selectorILNS1_17partition_subalgoE8EfNS0_10empty_typeEbEEZZNS1_14partition_implILS5_8ELb0ES3_jN6thrust23THRUST_200600_302600_NS6detail15normal_iteratorINSA_10device_ptrIfEEEEPS6_PKS6_NS0_5tupleIJSF_S6_EEENSJ_IJSG_SG_EEENS0_18inequality_wrapperINSA_8equal_toIfEEEEPmJS6_EEE10hipError_tPvRmT3_T4_T5_T6_T7_T9_mT8_P12ihipStream_tbDpT10_ENKUlT_T0_E_clISt17integral_constantIbLb0EES19_IbLb1EEEEDaS15_S16_EUlS15_E_NS1_11comp_targetILNS1_3genE0ELNS1_11target_archE4294967295ELNS1_3gpuE0ELNS1_3repE0EEENS1_30default_config_static_selectorELNS0_4arch9wavefront6targetE1EEEvT1_.uses_vcc, 0
	.set _ZN7rocprim17ROCPRIM_400000_NS6detail17trampoline_kernelINS0_14default_configENS1_25partition_config_selectorILNS1_17partition_subalgoE8EfNS0_10empty_typeEbEEZZNS1_14partition_implILS5_8ELb0ES3_jN6thrust23THRUST_200600_302600_NS6detail15normal_iteratorINSA_10device_ptrIfEEEEPS6_PKS6_NS0_5tupleIJSF_S6_EEENSJ_IJSG_SG_EEENS0_18inequality_wrapperINSA_8equal_toIfEEEEPmJS6_EEE10hipError_tPvRmT3_T4_T5_T6_T7_T9_mT8_P12ihipStream_tbDpT10_ENKUlT_T0_E_clISt17integral_constantIbLb0EES19_IbLb1EEEEDaS15_S16_EUlS15_E_NS1_11comp_targetILNS1_3genE0ELNS1_11target_archE4294967295ELNS1_3gpuE0ELNS1_3repE0EEENS1_30default_config_static_selectorELNS0_4arch9wavefront6targetE1EEEvT1_.uses_flat_scratch, 0
	.set _ZN7rocprim17ROCPRIM_400000_NS6detail17trampoline_kernelINS0_14default_configENS1_25partition_config_selectorILNS1_17partition_subalgoE8EfNS0_10empty_typeEbEEZZNS1_14partition_implILS5_8ELb0ES3_jN6thrust23THRUST_200600_302600_NS6detail15normal_iteratorINSA_10device_ptrIfEEEEPS6_PKS6_NS0_5tupleIJSF_S6_EEENSJ_IJSG_SG_EEENS0_18inequality_wrapperINSA_8equal_toIfEEEEPmJS6_EEE10hipError_tPvRmT3_T4_T5_T6_T7_T9_mT8_P12ihipStream_tbDpT10_ENKUlT_T0_E_clISt17integral_constantIbLb0EES19_IbLb1EEEEDaS15_S16_EUlS15_E_NS1_11comp_targetILNS1_3genE0ELNS1_11target_archE4294967295ELNS1_3gpuE0ELNS1_3repE0EEENS1_30default_config_static_selectorELNS0_4arch9wavefront6targetE1EEEvT1_.has_dyn_sized_stack, 0
	.set _ZN7rocprim17ROCPRIM_400000_NS6detail17trampoline_kernelINS0_14default_configENS1_25partition_config_selectorILNS1_17partition_subalgoE8EfNS0_10empty_typeEbEEZZNS1_14partition_implILS5_8ELb0ES3_jN6thrust23THRUST_200600_302600_NS6detail15normal_iteratorINSA_10device_ptrIfEEEEPS6_PKS6_NS0_5tupleIJSF_S6_EEENSJ_IJSG_SG_EEENS0_18inequality_wrapperINSA_8equal_toIfEEEEPmJS6_EEE10hipError_tPvRmT3_T4_T5_T6_T7_T9_mT8_P12ihipStream_tbDpT10_ENKUlT_T0_E_clISt17integral_constantIbLb0EES19_IbLb1EEEEDaS15_S16_EUlS15_E_NS1_11comp_targetILNS1_3genE0ELNS1_11target_archE4294967295ELNS1_3gpuE0ELNS1_3repE0EEENS1_30default_config_static_selectorELNS0_4arch9wavefront6targetE1EEEvT1_.has_recursion, 0
	.set _ZN7rocprim17ROCPRIM_400000_NS6detail17trampoline_kernelINS0_14default_configENS1_25partition_config_selectorILNS1_17partition_subalgoE8EfNS0_10empty_typeEbEEZZNS1_14partition_implILS5_8ELb0ES3_jN6thrust23THRUST_200600_302600_NS6detail15normal_iteratorINSA_10device_ptrIfEEEEPS6_PKS6_NS0_5tupleIJSF_S6_EEENSJ_IJSG_SG_EEENS0_18inequality_wrapperINSA_8equal_toIfEEEEPmJS6_EEE10hipError_tPvRmT3_T4_T5_T6_T7_T9_mT8_P12ihipStream_tbDpT10_ENKUlT_T0_E_clISt17integral_constantIbLb0EES19_IbLb1EEEEDaS15_S16_EUlS15_E_NS1_11comp_targetILNS1_3genE0ELNS1_11target_archE4294967295ELNS1_3gpuE0ELNS1_3repE0EEENS1_30default_config_static_selectorELNS0_4arch9wavefront6targetE1EEEvT1_.has_indirect_call, 0
	.section	.AMDGPU.csdata,"",@progbits
; Kernel info:
; codeLenInByte = 0
; TotalNumSgprs: 4
; NumVgprs: 0
; ScratchSize: 0
; MemoryBound: 0
; FloatMode: 240
; IeeeMode: 1
; LDSByteSize: 0 bytes/workgroup (compile time only)
; SGPRBlocks: 0
; VGPRBlocks: 0
; NumSGPRsForWavesPerEU: 4
; NumVGPRsForWavesPerEU: 1
; Occupancy: 10
; WaveLimiterHint : 0
; COMPUTE_PGM_RSRC2:SCRATCH_EN: 0
; COMPUTE_PGM_RSRC2:USER_SGPR: 6
; COMPUTE_PGM_RSRC2:TRAP_HANDLER: 0
; COMPUTE_PGM_RSRC2:TGID_X_EN: 1
; COMPUTE_PGM_RSRC2:TGID_Y_EN: 0
; COMPUTE_PGM_RSRC2:TGID_Z_EN: 0
; COMPUTE_PGM_RSRC2:TIDIG_COMP_CNT: 0
	.section	.text._ZN7rocprim17ROCPRIM_400000_NS6detail17trampoline_kernelINS0_14default_configENS1_25partition_config_selectorILNS1_17partition_subalgoE8EfNS0_10empty_typeEbEEZZNS1_14partition_implILS5_8ELb0ES3_jN6thrust23THRUST_200600_302600_NS6detail15normal_iteratorINSA_10device_ptrIfEEEEPS6_PKS6_NS0_5tupleIJSF_S6_EEENSJ_IJSG_SG_EEENS0_18inequality_wrapperINSA_8equal_toIfEEEEPmJS6_EEE10hipError_tPvRmT3_T4_T5_T6_T7_T9_mT8_P12ihipStream_tbDpT10_ENKUlT_T0_E_clISt17integral_constantIbLb0EES19_IbLb1EEEEDaS15_S16_EUlS15_E_NS1_11comp_targetILNS1_3genE5ELNS1_11target_archE942ELNS1_3gpuE9ELNS1_3repE0EEENS1_30default_config_static_selectorELNS0_4arch9wavefront6targetE1EEEvT1_,"axG",@progbits,_ZN7rocprim17ROCPRIM_400000_NS6detail17trampoline_kernelINS0_14default_configENS1_25partition_config_selectorILNS1_17partition_subalgoE8EfNS0_10empty_typeEbEEZZNS1_14partition_implILS5_8ELb0ES3_jN6thrust23THRUST_200600_302600_NS6detail15normal_iteratorINSA_10device_ptrIfEEEEPS6_PKS6_NS0_5tupleIJSF_S6_EEENSJ_IJSG_SG_EEENS0_18inequality_wrapperINSA_8equal_toIfEEEEPmJS6_EEE10hipError_tPvRmT3_T4_T5_T6_T7_T9_mT8_P12ihipStream_tbDpT10_ENKUlT_T0_E_clISt17integral_constantIbLb0EES19_IbLb1EEEEDaS15_S16_EUlS15_E_NS1_11comp_targetILNS1_3genE5ELNS1_11target_archE942ELNS1_3gpuE9ELNS1_3repE0EEENS1_30default_config_static_selectorELNS0_4arch9wavefront6targetE1EEEvT1_,comdat
	.protected	_ZN7rocprim17ROCPRIM_400000_NS6detail17trampoline_kernelINS0_14default_configENS1_25partition_config_selectorILNS1_17partition_subalgoE8EfNS0_10empty_typeEbEEZZNS1_14partition_implILS5_8ELb0ES3_jN6thrust23THRUST_200600_302600_NS6detail15normal_iteratorINSA_10device_ptrIfEEEEPS6_PKS6_NS0_5tupleIJSF_S6_EEENSJ_IJSG_SG_EEENS0_18inequality_wrapperINSA_8equal_toIfEEEEPmJS6_EEE10hipError_tPvRmT3_T4_T5_T6_T7_T9_mT8_P12ihipStream_tbDpT10_ENKUlT_T0_E_clISt17integral_constantIbLb0EES19_IbLb1EEEEDaS15_S16_EUlS15_E_NS1_11comp_targetILNS1_3genE5ELNS1_11target_archE942ELNS1_3gpuE9ELNS1_3repE0EEENS1_30default_config_static_selectorELNS0_4arch9wavefront6targetE1EEEvT1_ ; -- Begin function _ZN7rocprim17ROCPRIM_400000_NS6detail17trampoline_kernelINS0_14default_configENS1_25partition_config_selectorILNS1_17partition_subalgoE8EfNS0_10empty_typeEbEEZZNS1_14partition_implILS5_8ELb0ES3_jN6thrust23THRUST_200600_302600_NS6detail15normal_iteratorINSA_10device_ptrIfEEEEPS6_PKS6_NS0_5tupleIJSF_S6_EEENSJ_IJSG_SG_EEENS0_18inequality_wrapperINSA_8equal_toIfEEEEPmJS6_EEE10hipError_tPvRmT3_T4_T5_T6_T7_T9_mT8_P12ihipStream_tbDpT10_ENKUlT_T0_E_clISt17integral_constantIbLb0EES19_IbLb1EEEEDaS15_S16_EUlS15_E_NS1_11comp_targetILNS1_3genE5ELNS1_11target_archE942ELNS1_3gpuE9ELNS1_3repE0EEENS1_30default_config_static_selectorELNS0_4arch9wavefront6targetE1EEEvT1_
	.globl	_ZN7rocprim17ROCPRIM_400000_NS6detail17trampoline_kernelINS0_14default_configENS1_25partition_config_selectorILNS1_17partition_subalgoE8EfNS0_10empty_typeEbEEZZNS1_14partition_implILS5_8ELb0ES3_jN6thrust23THRUST_200600_302600_NS6detail15normal_iteratorINSA_10device_ptrIfEEEEPS6_PKS6_NS0_5tupleIJSF_S6_EEENSJ_IJSG_SG_EEENS0_18inequality_wrapperINSA_8equal_toIfEEEEPmJS6_EEE10hipError_tPvRmT3_T4_T5_T6_T7_T9_mT8_P12ihipStream_tbDpT10_ENKUlT_T0_E_clISt17integral_constantIbLb0EES19_IbLb1EEEEDaS15_S16_EUlS15_E_NS1_11comp_targetILNS1_3genE5ELNS1_11target_archE942ELNS1_3gpuE9ELNS1_3repE0EEENS1_30default_config_static_selectorELNS0_4arch9wavefront6targetE1EEEvT1_
	.p2align	8
	.type	_ZN7rocprim17ROCPRIM_400000_NS6detail17trampoline_kernelINS0_14default_configENS1_25partition_config_selectorILNS1_17partition_subalgoE8EfNS0_10empty_typeEbEEZZNS1_14partition_implILS5_8ELb0ES3_jN6thrust23THRUST_200600_302600_NS6detail15normal_iteratorINSA_10device_ptrIfEEEEPS6_PKS6_NS0_5tupleIJSF_S6_EEENSJ_IJSG_SG_EEENS0_18inequality_wrapperINSA_8equal_toIfEEEEPmJS6_EEE10hipError_tPvRmT3_T4_T5_T6_T7_T9_mT8_P12ihipStream_tbDpT10_ENKUlT_T0_E_clISt17integral_constantIbLb0EES19_IbLb1EEEEDaS15_S16_EUlS15_E_NS1_11comp_targetILNS1_3genE5ELNS1_11target_archE942ELNS1_3gpuE9ELNS1_3repE0EEENS1_30default_config_static_selectorELNS0_4arch9wavefront6targetE1EEEvT1_,@function
_ZN7rocprim17ROCPRIM_400000_NS6detail17trampoline_kernelINS0_14default_configENS1_25partition_config_selectorILNS1_17partition_subalgoE8EfNS0_10empty_typeEbEEZZNS1_14partition_implILS5_8ELb0ES3_jN6thrust23THRUST_200600_302600_NS6detail15normal_iteratorINSA_10device_ptrIfEEEEPS6_PKS6_NS0_5tupleIJSF_S6_EEENSJ_IJSG_SG_EEENS0_18inequality_wrapperINSA_8equal_toIfEEEEPmJS6_EEE10hipError_tPvRmT3_T4_T5_T6_T7_T9_mT8_P12ihipStream_tbDpT10_ENKUlT_T0_E_clISt17integral_constantIbLb0EES19_IbLb1EEEEDaS15_S16_EUlS15_E_NS1_11comp_targetILNS1_3genE5ELNS1_11target_archE942ELNS1_3gpuE9ELNS1_3repE0EEENS1_30default_config_static_selectorELNS0_4arch9wavefront6targetE1EEEvT1_: ; @_ZN7rocprim17ROCPRIM_400000_NS6detail17trampoline_kernelINS0_14default_configENS1_25partition_config_selectorILNS1_17partition_subalgoE8EfNS0_10empty_typeEbEEZZNS1_14partition_implILS5_8ELb0ES3_jN6thrust23THRUST_200600_302600_NS6detail15normal_iteratorINSA_10device_ptrIfEEEEPS6_PKS6_NS0_5tupleIJSF_S6_EEENSJ_IJSG_SG_EEENS0_18inequality_wrapperINSA_8equal_toIfEEEEPmJS6_EEE10hipError_tPvRmT3_T4_T5_T6_T7_T9_mT8_P12ihipStream_tbDpT10_ENKUlT_T0_E_clISt17integral_constantIbLb0EES19_IbLb1EEEEDaS15_S16_EUlS15_E_NS1_11comp_targetILNS1_3genE5ELNS1_11target_archE942ELNS1_3gpuE9ELNS1_3repE0EEENS1_30default_config_static_selectorELNS0_4arch9wavefront6targetE1EEEvT1_
; %bb.0:
	.section	.rodata,"a",@progbits
	.p2align	6, 0x0
	.amdhsa_kernel _ZN7rocprim17ROCPRIM_400000_NS6detail17trampoline_kernelINS0_14default_configENS1_25partition_config_selectorILNS1_17partition_subalgoE8EfNS0_10empty_typeEbEEZZNS1_14partition_implILS5_8ELb0ES3_jN6thrust23THRUST_200600_302600_NS6detail15normal_iteratorINSA_10device_ptrIfEEEEPS6_PKS6_NS0_5tupleIJSF_S6_EEENSJ_IJSG_SG_EEENS0_18inequality_wrapperINSA_8equal_toIfEEEEPmJS6_EEE10hipError_tPvRmT3_T4_T5_T6_T7_T9_mT8_P12ihipStream_tbDpT10_ENKUlT_T0_E_clISt17integral_constantIbLb0EES19_IbLb1EEEEDaS15_S16_EUlS15_E_NS1_11comp_targetILNS1_3genE5ELNS1_11target_archE942ELNS1_3gpuE9ELNS1_3repE0EEENS1_30default_config_static_selectorELNS0_4arch9wavefront6targetE1EEEvT1_
		.amdhsa_group_segment_fixed_size 0
		.amdhsa_private_segment_fixed_size 0
		.amdhsa_kernarg_size 128
		.amdhsa_user_sgpr_count 6
		.amdhsa_user_sgpr_private_segment_buffer 1
		.amdhsa_user_sgpr_dispatch_ptr 0
		.amdhsa_user_sgpr_queue_ptr 0
		.amdhsa_user_sgpr_kernarg_segment_ptr 1
		.amdhsa_user_sgpr_dispatch_id 0
		.amdhsa_user_sgpr_flat_scratch_init 0
		.amdhsa_user_sgpr_private_segment_size 0
		.amdhsa_uses_dynamic_stack 0
		.amdhsa_system_sgpr_private_segment_wavefront_offset 0
		.amdhsa_system_sgpr_workgroup_id_x 1
		.amdhsa_system_sgpr_workgroup_id_y 0
		.amdhsa_system_sgpr_workgroup_id_z 0
		.amdhsa_system_sgpr_workgroup_info 0
		.amdhsa_system_vgpr_workitem_id 0
		.amdhsa_next_free_vgpr 1
		.amdhsa_next_free_sgpr 0
		.amdhsa_reserve_vcc 0
		.amdhsa_reserve_flat_scratch 0
		.amdhsa_float_round_mode_32 0
		.amdhsa_float_round_mode_16_64 0
		.amdhsa_float_denorm_mode_32 3
		.amdhsa_float_denorm_mode_16_64 3
		.amdhsa_dx10_clamp 1
		.amdhsa_ieee_mode 1
		.amdhsa_fp16_overflow 0
		.amdhsa_exception_fp_ieee_invalid_op 0
		.amdhsa_exception_fp_denorm_src 0
		.amdhsa_exception_fp_ieee_div_zero 0
		.amdhsa_exception_fp_ieee_overflow 0
		.amdhsa_exception_fp_ieee_underflow 0
		.amdhsa_exception_fp_ieee_inexact 0
		.amdhsa_exception_int_div_zero 0
	.end_amdhsa_kernel
	.section	.text._ZN7rocprim17ROCPRIM_400000_NS6detail17trampoline_kernelINS0_14default_configENS1_25partition_config_selectorILNS1_17partition_subalgoE8EfNS0_10empty_typeEbEEZZNS1_14partition_implILS5_8ELb0ES3_jN6thrust23THRUST_200600_302600_NS6detail15normal_iteratorINSA_10device_ptrIfEEEEPS6_PKS6_NS0_5tupleIJSF_S6_EEENSJ_IJSG_SG_EEENS0_18inequality_wrapperINSA_8equal_toIfEEEEPmJS6_EEE10hipError_tPvRmT3_T4_T5_T6_T7_T9_mT8_P12ihipStream_tbDpT10_ENKUlT_T0_E_clISt17integral_constantIbLb0EES19_IbLb1EEEEDaS15_S16_EUlS15_E_NS1_11comp_targetILNS1_3genE5ELNS1_11target_archE942ELNS1_3gpuE9ELNS1_3repE0EEENS1_30default_config_static_selectorELNS0_4arch9wavefront6targetE1EEEvT1_,"axG",@progbits,_ZN7rocprim17ROCPRIM_400000_NS6detail17trampoline_kernelINS0_14default_configENS1_25partition_config_selectorILNS1_17partition_subalgoE8EfNS0_10empty_typeEbEEZZNS1_14partition_implILS5_8ELb0ES3_jN6thrust23THRUST_200600_302600_NS6detail15normal_iteratorINSA_10device_ptrIfEEEEPS6_PKS6_NS0_5tupleIJSF_S6_EEENSJ_IJSG_SG_EEENS0_18inequality_wrapperINSA_8equal_toIfEEEEPmJS6_EEE10hipError_tPvRmT3_T4_T5_T6_T7_T9_mT8_P12ihipStream_tbDpT10_ENKUlT_T0_E_clISt17integral_constantIbLb0EES19_IbLb1EEEEDaS15_S16_EUlS15_E_NS1_11comp_targetILNS1_3genE5ELNS1_11target_archE942ELNS1_3gpuE9ELNS1_3repE0EEENS1_30default_config_static_selectorELNS0_4arch9wavefront6targetE1EEEvT1_,comdat
.Lfunc_end105:
	.size	_ZN7rocprim17ROCPRIM_400000_NS6detail17trampoline_kernelINS0_14default_configENS1_25partition_config_selectorILNS1_17partition_subalgoE8EfNS0_10empty_typeEbEEZZNS1_14partition_implILS5_8ELb0ES3_jN6thrust23THRUST_200600_302600_NS6detail15normal_iteratorINSA_10device_ptrIfEEEEPS6_PKS6_NS0_5tupleIJSF_S6_EEENSJ_IJSG_SG_EEENS0_18inequality_wrapperINSA_8equal_toIfEEEEPmJS6_EEE10hipError_tPvRmT3_T4_T5_T6_T7_T9_mT8_P12ihipStream_tbDpT10_ENKUlT_T0_E_clISt17integral_constantIbLb0EES19_IbLb1EEEEDaS15_S16_EUlS15_E_NS1_11comp_targetILNS1_3genE5ELNS1_11target_archE942ELNS1_3gpuE9ELNS1_3repE0EEENS1_30default_config_static_selectorELNS0_4arch9wavefront6targetE1EEEvT1_, .Lfunc_end105-_ZN7rocprim17ROCPRIM_400000_NS6detail17trampoline_kernelINS0_14default_configENS1_25partition_config_selectorILNS1_17partition_subalgoE8EfNS0_10empty_typeEbEEZZNS1_14partition_implILS5_8ELb0ES3_jN6thrust23THRUST_200600_302600_NS6detail15normal_iteratorINSA_10device_ptrIfEEEEPS6_PKS6_NS0_5tupleIJSF_S6_EEENSJ_IJSG_SG_EEENS0_18inequality_wrapperINSA_8equal_toIfEEEEPmJS6_EEE10hipError_tPvRmT3_T4_T5_T6_T7_T9_mT8_P12ihipStream_tbDpT10_ENKUlT_T0_E_clISt17integral_constantIbLb0EES19_IbLb1EEEEDaS15_S16_EUlS15_E_NS1_11comp_targetILNS1_3genE5ELNS1_11target_archE942ELNS1_3gpuE9ELNS1_3repE0EEENS1_30default_config_static_selectorELNS0_4arch9wavefront6targetE1EEEvT1_
                                        ; -- End function
	.set _ZN7rocprim17ROCPRIM_400000_NS6detail17trampoline_kernelINS0_14default_configENS1_25partition_config_selectorILNS1_17partition_subalgoE8EfNS0_10empty_typeEbEEZZNS1_14partition_implILS5_8ELb0ES3_jN6thrust23THRUST_200600_302600_NS6detail15normal_iteratorINSA_10device_ptrIfEEEEPS6_PKS6_NS0_5tupleIJSF_S6_EEENSJ_IJSG_SG_EEENS0_18inequality_wrapperINSA_8equal_toIfEEEEPmJS6_EEE10hipError_tPvRmT3_T4_T5_T6_T7_T9_mT8_P12ihipStream_tbDpT10_ENKUlT_T0_E_clISt17integral_constantIbLb0EES19_IbLb1EEEEDaS15_S16_EUlS15_E_NS1_11comp_targetILNS1_3genE5ELNS1_11target_archE942ELNS1_3gpuE9ELNS1_3repE0EEENS1_30default_config_static_selectorELNS0_4arch9wavefront6targetE1EEEvT1_.num_vgpr, 0
	.set _ZN7rocprim17ROCPRIM_400000_NS6detail17trampoline_kernelINS0_14default_configENS1_25partition_config_selectorILNS1_17partition_subalgoE8EfNS0_10empty_typeEbEEZZNS1_14partition_implILS5_8ELb0ES3_jN6thrust23THRUST_200600_302600_NS6detail15normal_iteratorINSA_10device_ptrIfEEEEPS6_PKS6_NS0_5tupleIJSF_S6_EEENSJ_IJSG_SG_EEENS0_18inequality_wrapperINSA_8equal_toIfEEEEPmJS6_EEE10hipError_tPvRmT3_T4_T5_T6_T7_T9_mT8_P12ihipStream_tbDpT10_ENKUlT_T0_E_clISt17integral_constantIbLb0EES19_IbLb1EEEEDaS15_S16_EUlS15_E_NS1_11comp_targetILNS1_3genE5ELNS1_11target_archE942ELNS1_3gpuE9ELNS1_3repE0EEENS1_30default_config_static_selectorELNS0_4arch9wavefront6targetE1EEEvT1_.num_agpr, 0
	.set _ZN7rocprim17ROCPRIM_400000_NS6detail17trampoline_kernelINS0_14default_configENS1_25partition_config_selectorILNS1_17partition_subalgoE8EfNS0_10empty_typeEbEEZZNS1_14partition_implILS5_8ELb0ES3_jN6thrust23THRUST_200600_302600_NS6detail15normal_iteratorINSA_10device_ptrIfEEEEPS6_PKS6_NS0_5tupleIJSF_S6_EEENSJ_IJSG_SG_EEENS0_18inequality_wrapperINSA_8equal_toIfEEEEPmJS6_EEE10hipError_tPvRmT3_T4_T5_T6_T7_T9_mT8_P12ihipStream_tbDpT10_ENKUlT_T0_E_clISt17integral_constantIbLb0EES19_IbLb1EEEEDaS15_S16_EUlS15_E_NS1_11comp_targetILNS1_3genE5ELNS1_11target_archE942ELNS1_3gpuE9ELNS1_3repE0EEENS1_30default_config_static_selectorELNS0_4arch9wavefront6targetE1EEEvT1_.numbered_sgpr, 0
	.set _ZN7rocprim17ROCPRIM_400000_NS6detail17trampoline_kernelINS0_14default_configENS1_25partition_config_selectorILNS1_17partition_subalgoE8EfNS0_10empty_typeEbEEZZNS1_14partition_implILS5_8ELb0ES3_jN6thrust23THRUST_200600_302600_NS6detail15normal_iteratorINSA_10device_ptrIfEEEEPS6_PKS6_NS0_5tupleIJSF_S6_EEENSJ_IJSG_SG_EEENS0_18inequality_wrapperINSA_8equal_toIfEEEEPmJS6_EEE10hipError_tPvRmT3_T4_T5_T6_T7_T9_mT8_P12ihipStream_tbDpT10_ENKUlT_T0_E_clISt17integral_constantIbLb0EES19_IbLb1EEEEDaS15_S16_EUlS15_E_NS1_11comp_targetILNS1_3genE5ELNS1_11target_archE942ELNS1_3gpuE9ELNS1_3repE0EEENS1_30default_config_static_selectorELNS0_4arch9wavefront6targetE1EEEvT1_.num_named_barrier, 0
	.set _ZN7rocprim17ROCPRIM_400000_NS6detail17trampoline_kernelINS0_14default_configENS1_25partition_config_selectorILNS1_17partition_subalgoE8EfNS0_10empty_typeEbEEZZNS1_14partition_implILS5_8ELb0ES3_jN6thrust23THRUST_200600_302600_NS6detail15normal_iteratorINSA_10device_ptrIfEEEEPS6_PKS6_NS0_5tupleIJSF_S6_EEENSJ_IJSG_SG_EEENS0_18inequality_wrapperINSA_8equal_toIfEEEEPmJS6_EEE10hipError_tPvRmT3_T4_T5_T6_T7_T9_mT8_P12ihipStream_tbDpT10_ENKUlT_T0_E_clISt17integral_constantIbLb0EES19_IbLb1EEEEDaS15_S16_EUlS15_E_NS1_11comp_targetILNS1_3genE5ELNS1_11target_archE942ELNS1_3gpuE9ELNS1_3repE0EEENS1_30default_config_static_selectorELNS0_4arch9wavefront6targetE1EEEvT1_.private_seg_size, 0
	.set _ZN7rocprim17ROCPRIM_400000_NS6detail17trampoline_kernelINS0_14default_configENS1_25partition_config_selectorILNS1_17partition_subalgoE8EfNS0_10empty_typeEbEEZZNS1_14partition_implILS5_8ELb0ES3_jN6thrust23THRUST_200600_302600_NS6detail15normal_iteratorINSA_10device_ptrIfEEEEPS6_PKS6_NS0_5tupleIJSF_S6_EEENSJ_IJSG_SG_EEENS0_18inequality_wrapperINSA_8equal_toIfEEEEPmJS6_EEE10hipError_tPvRmT3_T4_T5_T6_T7_T9_mT8_P12ihipStream_tbDpT10_ENKUlT_T0_E_clISt17integral_constantIbLb0EES19_IbLb1EEEEDaS15_S16_EUlS15_E_NS1_11comp_targetILNS1_3genE5ELNS1_11target_archE942ELNS1_3gpuE9ELNS1_3repE0EEENS1_30default_config_static_selectorELNS0_4arch9wavefront6targetE1EEEvT1_.uses_vcc, 0
	.set _ZN7rocprim17ROCPRIM_400000_NS6detail17trampoline_kernelINS0_14default_configENS1_25partition_config_selectorILNS1_17partition_subalgoE8EfNS0_10empty_typeEbEEZZNS1_14partition_implILS5_8ELb0ES3_jN6thrust23THRUST_200600_302600_NS6detail15normal_iteratorINSA_10device_ptrIfEEEEPS6_PKS6_NS0_5tupleIJSF_S6_EEENSJ_IJSG_SG_EEENS0_18inequality_wrapperINSA_8equal_toIfEEEEPmJS6_EEE10hipError_tPvRmT3_T4_T5_T6_T7_T9_mT8_P12ihipStream_tbDpT10_ENKUlT_T0_E_clISt17integral_constantIbLb0EES19_IbLb1EEEEDaS15_S16_EUlS15_E_NS1_11comp_targetILNS1_3genE5ELNS1_11target_archE942ELNS1_3gpuE9ELNS1_3repE0EEENS1_30default_config_static_selectorELNS0_4arch9wavefront6targetE1EEEvT1_.uses_flat_scratch, 0
	.set _ZN7rocprim17ROCPRIM_400000_NS6detail17trampoline_kernelINS0_14default_configENS1_25partition_config_selectorILNS1_17partition_subalgoE8EfNS0_10empty_typeEbEEZZNS1_14partition_implILS5_8ELb0ES3_jN6thrust23THRUST_200600_302600_NS6detail15normal_iteratorINSA_10device_ptrIfEEEEPS6_PKS6_NS0_5tupleIJSF_S6_EEENSJ_IJSG_SG_EEENS0_18inequality_wrapperINSA_8equal_toIfEEEEPmJS6_EEE10hipError_tPvRmT3_T4_T5_T6_T7_T9_mT8_P12ihipStream_tbDpT10_ENKUlT_T0_E_clISt17integral_constantIbLb0EES19_IbLb1EEEEDaS15_S16_EUlS15_E_NS1_11comp_targetILNS1_3genE5ELNS1_11target_archE942ELNS1_3gpuE9ELNS1_3repE0EEENS1_30default_config_static_selectorELNS0_4arch9wavefront6targetE1EEEvT1_.has_dyn_sized_stack, 0
	.set _ZN7rocprim17ROCPRIM_400000_NS6detail17trampoline_kernelINS0_14default_configENS1_25partition_config_selectorILNS1_17partition_subalgoE8EfNS0_10empty_typeEbEEZZNS1_14partition_implILS5_8ELb0ES3_jN6thrust23THRUST_200600_302600_NS6detail15normal_iteratorINSA_10device_ptrIfEEEEPS6_PKS6_NS0_5tupleIJSF_S6_EEENSJ_IJSG_SG_EEENS0_18inequality_wrapperINSA_8equal_toIfEEEEPmJS6_EEE10hipError_tPvRmT3_T4_T5_T6_T7_T9_mT8_P12ihipStream_tbDpT10_ENKUlT_T0_E_clISt17integral_constantIbLb0EES19_IbLb1EEEEDaS15_S16_EUlS15_E_NS1_11comp_targetILNS1_3genE5ELNS1_11target_archE942ELNS1_3gpuE9ELNS1_3repE0EEENS1_30default_config_static_selectorELNS0_4arch9wavefront6targetE1EEEvT1_.has_recursion, 0
	.set _ZN7rocprim17ROCPRIM_400000_NS6detail17trampoline_kernelINS0_14default_configENS1_25partition_config_selectorILNS1_17partition_subalgoE8EfNS0_10empty_typeEbEEZZNS1_14partition_implILS5_8ELb0ES3_jN6thrust23THRUST_200600_302600_NS6detail15normal_iteratorINSA_10device_ptrIfEEEEPS6_PKS6_NS0_5tupleIJSF_S6_EEENSJ_IJSG_SG_EEENS0_18inequality_wrapperINSA_8equal_toIfEEEEPmJS6_EEE10hipError_tPvRmT3_T4_T5_T6_T7_T9_mT8_P12ihipStream_tbDpT10_ENKUlT_T0_E_clISt17integral_constantIbLb0EES19_IbLb1EEEEDaS15_S16_EUlS15_E_NS1_11comp_targetILNS1_3genE5ELNS1_11target_archE942ELNS1_3gpuE9ELNS1_3repE0EEENS1_30default_config_static_selectorELNS0_4arch9wavefront6targetE1EEEvT1_.has_indirect_call, 0
	.section	.AMDGPU.csdata,"",@progbits
; Kernel info:
; codeLenInByte = 0
; TotalNumSgprs: 4
; NumVgprs: 0
; ScratchSize: 0
; MemoryBound: 0
; FloatMode: 240
; IeeeMode: 1
; LDSByteSize: 0 bytes/workgroup (compile time only)
; SGPRBlocks: 0
; VGPRBlocks: 0
; NumSGPRsForWavesPerEU: 4
; NumVGPRsForWavesPerEU: 1
; Occupancy: 10
; WaveLimiterHint : 0
; COMPUTE_PGM_RSRC2:SCRATCH_EN: 0
; COMPUTE_PGM_RSRC2:USER_SGPR: 6
; COMPUTE_PGM_RSRC2:TRAP_HANDLER: 0
; COMPUTE_PGM_RSRC2:TGID_X_EN: 1
; COMPUTE_PGM_RSRC2:TGID_Y_EN: 0
; COMPUTE_PGM_RSRC2:TGID_Z_EN: 0
; COMPUTE_PGM_RSRC2:TIDIG_COMP_CNT: 0
	.section	.text._ZN7rocprim17ROCPRIM_400000_NS6detail17trampoline_kernelINS0_14default_configENS1_25partition_config_selectorILNS1_17partition_subalgoE8EfNS0_10empty_typeEbEEZZNS1_14partition_implILS5_8ELb0ES3_jN6thrust23THRUST_200600_302600_NS6detail15normal_iteratorINSA_10device_ptrIfEEEEPS6_PKS6_NS0_5tupleIJSF_S6_EEENSJ_IJSG_SG_EEENS0_18inequality_wrapperINSA_8equal_toIfEEEEPmJS6_EEE10hipError_tPvRmT3_T4_T5_T6_T7_T9_mT8_P12ihipStream_tbDpT10_ENKUlT_T0_E_clISt17integral_constantIbLb0EES19_IbLb1EEEEDaS15_S16_EUlS15_E_NS1_11comp_targetILNS1_3genE4ELNS1_11target_archE910ELNS1_3gpuE8ELNS1_3repE0EEENS1_30default_config_static_selectorELNS0_4arch9wavefront6targetE1EEEvT1_,"axG",@progbits,_ZN7rocprim17ROCPRIM_400000_NS6detail17trampoline_kernelINS0_14default_configENS1_25partition_config_selectorILNS1_17partition_subalgoE8EfNS0_10empty_typeEbEEZZNS1_14partition_implILS5_8ELb0ES3_jN6thrust23THRUST_200600_302600_NS6detail15normal_iteratorINSA_10device_ptrIfEEEEPS6_PKS6_NS0_5tupleIJSF_S6_EEENSJ_IJSG_SG_EEENS0_18inequality_wrapperINSA_8equal_toIfEEEEPmJS6_EEE10hipError_tPvRmT3_T4_T5_T6_T7_T9_mT8_P12ihipStream_tbDpT10_ENKUlT_T0_E_clISt17integral_constantIbLb0EES19_IbLb1EEEEDaS15_S16_EUlS15_E_NS1_11comp_targetILNS1_3genE4ELNS1_11target_archE910ELNS1_3gpuE8ELNS1_3repE0EEENS1_30default_config_static_selectorELNS0_4arch9wavefront6targetE1EEEvT1_,comdat
	.protected	_ZN7rocprim17ROCPRIM_400000_NS6detail17trampoline_kernelINS0_14default_configENS1_25partition_config_selectorILNS1_17partition_subalgoE8EfNS0_10empty_typeEbEEZZNS1_14partition_implILS5_8ELb0ES3_jN6thrust23THRUST_200600_302600_NS6detail15normal_iteratorINSA_10device_ptrIfEEEEPS6_PKS6_NS0_5tupleIJSF_S6_EEENSJ_IJSG_SG_EEENS0_18inequality_wrapperINSA_8equal_toIfEEEEPmJS6_EEE10hipError_tPvRmT3_T4_T5_T6_T7_T9_mT8_P12ihipStream_tbDpT10_ENKUlT_T0_E_clISt17integral_constantIbLb0EES19_IbLb1EEEEDaS15_S16_EUlS15_E_NS1_11comp_targetILNS1_3genE4ELNS1_11target_archE910ELNS1_3gpuE8ELNS1_3repE0EEENS1_30default_config_static_selectorELNS0_4arch9wavefront6targetE1EEEvT1_ ; -- Begin function _ZN7rocprim17ROCPRIM_400000_NS6detail17trampoline_kernelINS0_14default_configENS1_25partition_config_selectorILNS1_17partition_subalgoE8EfNS0_10empty_typeEbEEZZNS1_14partition_implILS5_8ELb0ES3_jN6thrust23THRUST_200600_302600_NS6detail15normal_iteratorINSA_10device_ptrIfEEEEPS6_PKS6_NS0_5tupleIJSF_S6_EEENSJ_IJSG_SG_EEENS0_18inequality_wrapperINSA_8equal_toIfEEEEPmJS6_EEE10hipError_tPvRmT3_T4_T5_T6_T7_T9_mT8_P12ihipStream_tbDpT10_ENKUlT_T0_E_clISt17integral_constantIbLb0EES19_IbLb1EEEEDaS15_S16_EUlS15_E_NS1_11comp_targetILNS1_3genE4ELNS1_11target_archE910ELNS1_3gpuE8ELNS1_3repE0EEENS1_30default_config_static_selectorELNS0_4arch9wavefront6targetE1EEEvT1_
	.globl	_ZN7rocprim17ROCPRIM_400000_NS6detail17trampoline_kernelINS0_14default_configENS1_25partition_config_selectorILNS1_17partition_subalgoE8EfNS0_10empty_typeEbEEZZNS1_14partition_implILS5_8ELb0ES3_jN6thrust23THRUST_200600_302600_NS6detail15normal_iteratorINSA_10device_ptrIfEEEEPS6_PKS6_NS0_5tupleIJSF_S6_EEENSJ_IJSG_SG_EEENS0_18inequality_wrapperINSA_8equal_toIfEEEEPmJS6_EEE10hipError_tPvRmT3_T4_T5_T6_T7_T9_mT8_P12ihipStream_tbDpT10_ENKUlT_T0_E_clISt17integral_constantIbLb0EES19_IbLb1EEEEDaS15_S16_EUlS15_E_NS1_11comp_targetILNS1_3genE4ELNS1_11target_archE910ELNS1_3gpuE8ELNS1_3repE0EEENS1_30default_config_static_selectorELNS0_4arch9wavefront6targetE1EEEvT1_
	.p2align	8
	.type	_ZN7rocprim17ROCPRIM_400000_NS6detail17trampoline_kernelINS0_14default_configENS1_25partition_config_selectorILNS1_17partition_subalgoE8EfNS0_10empty_typeEbEEZZNS1_14partition_implILS5_8ELb0ES3_jN6thrust23THRUST_200600_302600_NS6detail15normal_iteratorINSA_10device_ptrIfEEEEPS6_PKS6_NS0_5tupleIJSF_S6_EEENSJ_IJSG_SG_EEENS0_18inequality_wrapperINSA_8equal_toIfEEEEPmJS6_EEE10hipError_tPvRmT3_T4_T5_T6_T7_T9_mT8_P12ihipStream_tbDpT10_ENKUlT_T0_E_clISt17integral_constantIbLb0EES19_IbLb1EEEEDaS15_S16_EUlS15_E_NS1_11comp_targetILNS1_3genE4ELNS1_11target_archE910ELNS1_3gpuE8ELNS1_3repE0EEENS1_30default_config_static_selectorELNS0_4arch9wavefront6targetE1EEEvT1_,@function
_ZN7rocprim17ROCPRIM_400000_NS6detail17trampoline_kernelINS0_14default_configENS1_25partition_config_selectorILNS1_17partition_subalgoE8EfNS0_10empty_typeEbEEZZNS1_14partition_implILS5_8ELb0ES3_jN6thrust23THRUST_200600_302600_NS6detail15normal_iteratorINSA_10device_ptrIfEEEEPS6_PKS6_NS0_5tupleIJSF_S6_EEENSJ_IJSG_SG_EEENS0_18inequality_wrapperINSA_8equal_toIfEEEEPmJS6_EEE10hipError_tPvRmT3_T4_T5_T6_T7_T9_mT8_P12ihipStream_tbDpT10_ENKUlT_T0_E_clISt17integral_constantIbLb0EES19_IbLb1EEEEDaS15_S16_EUlS15_E_NS1_11comp_targetILNS1_3genE4ELNS1_11target_archE910ELNS1_3gpuE8ELNS1_3repE0EEENS1_30default_config_static_selectorELNS0_4arch9wavefront6targetE1EEEvT1_: ; @_ZN7rocprim17ROCPRIM_400000_NS6detail17trampoline_kernelINS0_14default_configENS1_25partition_config_selectorILNS1_17partition_subalgoE8EfNS0_10empty_typeEbEEZZNS1_14partition_implILS5_8ELb0ES3_jN6thrust23THRUST_200600_302600_NS6detail15normal_iteratorINSA_10device_ptrIfEEEEPS6_PKS6_NS0_5tupleIJSF_S6_EEENSJ_IJSG_SG_EEENS0_18inequality_wrapperINSA_8equal_toIfEEEEPmJS6_EEE10hipError_tPvRmT3_T4_T5_T6_T7_T9_mT8_P12ihipStream_tbDpT10_ENKUlT_T0_E_clISt17integral_constantIbLb0EES19_IbLb1EEEEDaS15_S16_EUlS15_E_NS1_11comp_targetILNS1_3genE4ELNS1_11target_archE910ELNS1_3gpuE8ELNS1_3repE0EEENS1_30default_config_static_selectorELNS0_4arch9wavefront6targetE1EEEvT1_
; %bb.0:
	.section	.rodata,"a",@progbits
	.p2align	6, 0x0
	.amdhsa_kernel _ZN7rocprim17ROCPRIM_400000_NS6detail17trampoline_kernelINS0_14default_configENS1_25partition_config_selectorILNS1_17partition_subalgoE8EfNS0_10empty_typeEbEEZZNS1_14partition_implILS5_8ELb0ES3_jN6thrust23THRUST_200600_302600_NS6detail15normal_iteratorINSA_10device_ptrIfEEEEPS6_PKS6_NS0_5tupleIJSF_S6_EEENSJ_IJSG_SG_EEENS0_18inequality_wrapperINSA_8equal_toIfEEEEPmJS6_EEE10hipError_tPvRmT3_T4_T5_T6_T7_T9_mT8_P12ihipStream_tbDpT10_ENKUlT_T0_E_clISt17integral_constantIbLb0EES19_IbLb1EEEEDaS15_S16_EUlS15_E_NS1_11comp_targetILNS1_3genE4ELNS1_11target_archE910ELNS1_3gpuE8ELNS1_3repE0EEENS1_30default_config_static_selectorELNS0_4arch9wavefront6targetE1EEEvT1_
		.amdhsa_group_segment_fixed_size 0
		.amdhsa_private_segment_fixed_size 0
		.amdhsa_kernarg_size 128
		.amdhsa_user_sgpr_count 6
		.amdhsa_user_sgpr_private_segment_buffer 1
		.amdhsa_user_sgpr_dispatch_ptr 0
		.amdhsa_user_sgpr_queue_ptr 0
		.amdhsa_user_sgpr_kernarg_segment_ptr 1
		.amdhsa_user_sgpr_dispatch_id 0
		.amdhsa_user_sgpr_flat_scratch_init 0
		.amdhsa_user_sgpr_private_segment_size 0
		.amdhsa_uses_dynamic_stack 0
		.amdhsa_system_sgpr_private_segment_wavefront_offset 0
		.amdhsa_system_sgpr_workgroup_id_x 1
		.amdhsa_system_sgpr_workgroup_id_y 0
		.amdhsa_system_sgpr_workgroup_id_z 0
		.amdhsa_system_sgpr_workgroup_info 0
		.amdhsa_system_vgpr_workitem_id 0
		.amdhsa_next_free_vgpr 1
		.amdhsa_next_free_sgpr 0
		.amdhsa_reserve_vcc 0
		.amdhsa_reserve_flat_scratch 0
		.amdhsa_float_round_mode_32 0
		.amdhsa_float_round_mode_16_64 0
		.amdhsa_float_denorm_mode_32 3
		.amdhsa_float_denorm_mode_16_64 3
		.amdhsa_dx10_clamp 1
		.amdhsa_ieee_mode 1
		.amdhsa_fp16_overflow 0
		.amdhsa_exception_fp_ieee_invalid_op 0
		.amdhsa_exception_fp_denorm_src 0
		.amdhsa_exception_fp_ieee_div_zero 0
		.amdhsa_exception_fp_ieee_overflow 0
		.amdhsa_exception_fp_ieee_underflow 0
		.amdhsa_exception_fp_ieee_inexact 0
		.amdhsa_exception_int_div_zero 0
	.end_amdhsa_kernel
	.section	.text._ZN7rocprim17ROCPRIM_400000_NS6detail17trampoline_kernelINS0_14default_configENS1_25partition_config_selectorILNS1_17partition_subalgoE8EfNS0_10empty_typeEbEEZZNS1_14partition_implILS5_8ELb0ES3_jN6thrust23THRUST_200600_302600_NS6detail15normal_iteratorINSA_10device_ptrIfEEEEPS6_PKS6_NS0_5tupleIJSF_S6_EEENSJ_IJSG_SG_EEENS0_18inequality_wrapperINSA_8equal_toIfEEEEPmJS6_EEE10hipError_tPvRmT3_T4_T5_T6_T7_T9_mT8_P12ihipStream_tbDpT10_ENKUlT_T0_E_clISt17integral_constantIbLb0EES19_IbLb1EEEEDaS15_S16_EUlS15_E_NS1_11comp_targetILNS1_3genE4ELNS1_11target_archE910ELNS1_3gpuE8ELNS1_3repE0EEENS1_30default_config_static_selectorELNS0_4arch9wavefront6targetE1EEEvT1_,"axG",@progbits,_ZN7rocprim17ROCPRIM_400000_NS6detail17trampoline_kernelINS0_14default_configENS1_25partition_config_selectorILNS1_17partition_subalgoE8EfNS0_10empty_typeEbEEZZNS1_14partition_implILS5_8ELb0ES3_jN6thrust23THRUST_200600_302600_NS6detail15normal_iteratorINSA_10device_ptrIfEEEEPS6_PKS6_NS0_5tupleIJSF_S6_EEENSJ_IJSG_SG_EEENS0_18inequality_wrapperINSA_8equal_toIfEEEEPmJS6_EEE10hipError_tPvRmT3_T4_T5_T6_T7_T9_mT8_P12ihipStream_tbDpT10_ENKUlT_T0_E_clISt17integral_constantIbLb0EES19_IbLb1EEEEDaS15_S16_EUlS15_E_NS1_11comp_targetILNS1_3genE4ELNS1_11target_archE910ELNS1_3gpuE8ELNS1_3repE0EEENS1_30default_config_static_selectorELNS0_4arch9wavefront6targetE1EEEvT1_,comdat
.Lfunc_end106:
	.size	_ZN7rocprim17ROCPRIM_400000_NS6detail17trampoline_kernelINS0_14default_configENS1_25partition_config_selectorILNS1_17partition_subalgoE8EfNS0_10empty_typeEbEEZZNS1_14partition_implILS5_8ELb0ES3_jN6thrust23THRUST_200600_302600_NS6detail15normal_iteratorINSA_10device_ptrIfEEEEPS6_PKS6_NS0_5tupleIJSF_S6_EEENSJ_IJSG_SG_EEENS0_18inequality_wrapperINSA_8equal_toIfEEEEPmJS6_EEE10hipError_tPvRmT3_T4_T5_T6_T7_T9_mT8_P12ihipStream_tbDpT10_ENKUlT_T0_E_clISt17integral_constantIbLb0EES19_IbLb1EEEEDaS15_S16_EUlS15_E_NS1_11comp_targetILNS1_3genE4ELNS1_11target_archE910ELNS1_3gpuE8ELNS1_3repE0EEENS1_30default_config_static_selectorELNS0_4arch9wavefront6targetE1EEEvT1_, .Lfunc_end106-_ZN7rocprim17ROCPRIM_400000_NS6detail17trampoline_kernelINS0_14default_configENS1_25partition_config_selectorILNS1_17partition_subalgoE8EfNS0_10empty_typeEbEEZZNS1_14partition_implILS5_8ELb0ES3_jN6thrust23THRUST_200600_302600_NS6detail15normal_iteratorINSA_10device_ptrIfEEEEPS6_PKS6_NS0_5tupleIJSF_S6_EEENSJ_IJSG_SG_EEENS0_18inequality_wrapperINSA_8equal_toIfEEEEPmJS6_EEE10hipError_tPvRmT3_T4_T5_T6_T7_T9_mT8_P12ihipStream_tbDpT10_ENKUlT_T0_E_clISt17integral_constantIbLb0EES19_IbLb1EEEEDaS15_S16_EUlS15_E_NS1_11comp_targetILNS1_3genE4ELNS1_11target_archE910ELNS1_3gpuE8ELNS1_3repE0EEENS1_30default_config_static_selectorELNS0_4arch9wavefront6targetE1EEEvT1_
                                        ; -- End function
	.set _ZN7rocprim17ROCPRIM_400000_NS6detail17trampoline_kernelINS0_14default_configENS1_25partition_config_selectorILNS1_17partition_subalgoE8EfNS0_10empty_typeEbEEZZNS1_14partition_implILS5_8ELb0ES3_jN6thrust23THRUST_200600_302600_NS6detail15normal_iteratorINSA_10device_ptrIfEEEEPS6_PKS6_NS0_5tupleIJSF_S6_EEENSJ_IJSG_SG_EEENS0_18inequality_wrapperINSA_8equal_toIfEEEEPmJS6_EEE10hipError_tPvRmT3_T4_T5_T6_T7_T9_mT8_P12ihipStream_tbDpT10_ENKUlT_T0_E_clISt17integral_constantIbLb0EES19_IbLb1EEEEDaS15_S16_EUlS15_E_NS1_11comp_targetILNS1_3genE4ELNS1_11target_archE910ELNS1_3gpuE8ELNS1_3repE0EEENS1_30default_config_static_selectorELNS0_4arch9wavefront6targetE1EEEvT1_.num_vgpr, 0
	.set _ZN7rocprim17ROCPRIM_400000_NS6detail17trampoline_kernelINS0_14default_configENS1_25partition_config_selectorILNS1_17partition_subalgoE8EfNS0_10empty_typeEbEEZZNS1_14partition_implILS5_8ELb0ES3_jN6thrust23THRUST_200600_302600_NS6detail15normal_iteratorINSA_10device_ptrIfEEEEPS6_PKS6_NS0_5tupleIJSF_S6_EEENSJ_IJSG_SG_EEENS0_18inequality_wrapperINSA_8equal_toIfEEEEPmJS6_EEE10hipError_tPvRmT3_T4_T5_T6_T7_T9_mT8_P12ihipStream_tbDpT10_ENKUlT_T0_E_clISt17integral_constantIbLb0EES19_IbLb1EEEEDaS15_S16_EUlS15_E_NS1_11comp_targetILNS1_3genE4ELNS1_11target_archE910ELNS1_3gpuE8ELNS1_3repE0EEENS1_30default_config_static_selectorELNS0_4arch9wavefront6targetE1EEEvT1_.num_agpr, 0
	.set _ZN7rocprim17ROCPRIM_400000_NS6detail17trampoline_kernelINS0_14default_configENS1_25partition_config_selectorILNS1_17partition_subalgoE8EfNS0_10empty_typeEbEEZZNS1_14partition_implILS5_8ELb0ES3_jN6thrust23THRUST_200600_302600_NS6detail15normal_iteratorINSA_10device_ptrIfEEEEPS6_PKS6_NS0_5tupleIJSF_S6_EEENSJ_IJSG_SG_EEENS0_18inequality_wrapperINSA_8equal_toIfEEEEPmJS6_EEE10hipError_tPvRmT3_T4_T5_T6_T7_T9_mT8_P12ihipStream_tbDpT10_ENKUlT_T0_E_clISt17integral_constantIbLb0EES19_IbLb1EEEEDaS15_S16_EUlS15_E_NS1_11comp_targetILNS1_3genE4ELNS1_11target_archE910ELNS1_3gpuE8ELNS1_3repE0EEENS1_30default_config_static_selectorELNS0_4arch9wavefront6targetE1EEEvT1_.numbered_sgpr, 0
	.set _ZN7rocprim17ROCPRIM_400000_NS6detail17trampoline_kernelINS0_14default_configENS1_25partition_config_selectorILNS1_17partition_subalgoE8EfNS0_10empty_typeEbEEZZNS1_14partition_implILS5_8ELb0ES3_jN6thrust23THRUST_200600_302600_NS6detail15normal_iteratorINSA_10device_ptrIfEEEEPS6_PKS6_NS0_5tupleIJSF_S6_EEENSJ_IJSG_SG_EEENS0_18inequality_wrapperINSA_8equal_toIfEEEEPmJS6_EEE10hipError_tPvRmT3_T4_T5_T6_T7_T9_mT8_P12ihipStream_tbDpT10_ENKUlT_T0_E_clISt17integral_constantIbLb0EES19_IbLb1EEEEDaS15_S16_EUlS15_E_NS1_11comp_targetILNS1_3genE4ELNS1_11target_archE910ELNS1_3gpuE8ELNS1_3repE0EEENS1_30default_config_static_selectorELNS0_4arch9wavefront6targetE1EEEvT1_.num_named_barrier, 0
	.set _ZN7rocprim17ROCPRIM_400000_NS6detail17trampoline_kernelINS0_14default_configENS1_25partition_config_selectorILNS1_17partition_subalgoE8EfNS0_10empty_typeEbEEZZNS1_14partition_implILS5_8ELb0ES3_jN6thrust23THRUST_200600_302600_NS6detail15normal_iteratorINSA_10device_ptrIfEEEEPS6_PKS6_NS0_5tupleIJSF_S6_EEENSJ_IJSG_SG_EEENS0_18inequality_wrapperINSA_8equal_toIfEEEEPmJS6_EEE10hipError_tPvRmT3_T4_T5_T6_T7_T9_mT8_P12ihipStream_tbDpT10_ENKUlT_T0_E_clISt17integral_constantIbLb0EES19_IbLb1EEEEDaS15_S16_EUlS15_E_NS1_11comp_targetILNS1_3genE4ELNS1_11target_archE910ELNS1_3gpuE8ELNS1_3repE0EEENS1_30default_config_static_selectorELNS0_4arch9wavefront6targetE1EEEvT1_.private_seg_size, 0
	.set _ZN7rocprim17ROCPRIM_400000_NS6detail17trampoline_kernelINS0_14default_configENS1_25partition_config_selectorILNS1_17partition_subalgoE8EfNS0_10empty_typeEbEEZZNS1_14partition_implILS5_8ELb0ES3_jN6thrust23THRUST_200600_302600_NS6detail15normal_iteratorINSA_10device_ptrIfEEEEPS6_PKS6_NS0_5tupleIJSF_S6_EEENSJ_IJSG_SG_EEENS0_18inequality_wrapperINSA_8equal_toIfEEEEPmJS6_EEE10hipError_tPvRmT3_T4_T5_T6_T7_T9_mT8_P12ihipStream_tbDpT10_ENKUlT_T0_E_clISt17integral_constantIbLb0EES19_IbLb1EEEEDaS15_S16_EUlS15_E_NS1_11comp_targetILNS1_3genE4ELNS1_11target_archE910ELNS1_3gpuE8ELNS1_3repE0EEENS1_30default_config_static_selectorELNS0_4arch9wavefront6targetE1EEEvT1_.uses_vcc, 0
	.set _ZN7rocprim17ROCPRIM_400000_NS6detail17trampoline_kernelINS0_14default_configENS1_25partition_config_selectorILNS1_17partition_subalgoE8EfNS0_10empty_typeEbEEZZNS1_14partition_implILS5_8ELb0ES3_jN6thrust23THRUST_200600_302600_NS6detail15normal_iteratorINSA_10device_ptrIfEEEEPS6_PKS6_NS0_5tupleIJSF_S6_EEENSJ_IJSG_SG_EEENS0_18inequality_wrapperINSA_8equal_toIfEEEEPmJS6_EEE10hipError_tPvRmT3_T4_T5_T6_T7_T9_mT8_P12ihipStream_tbDpT10_ENKUlT_T0_E_clISt17integral_constantIbLb0EES19_IbLb1EEEEDaS15_S16_EUlS15_E_NS1_11comp_targetILNS1_3genE4ELNS1_11target_archE910ELNS1_3gpuE8ELNS1_3repE0EEENS1_30default_config_static_selectorELNS0_4arch9wavefront6targetE1EEEvT1_.uses_flat_scratch, 0
	.set _ZN7rocprim17ROCPRIM_400000_NS6detail17trampoline_kernelINS0_14default_configENS1_25partition_config_selectorILNS1_17partition_subalgoE8EfNS0_10empty_typeEbEEZZNS1_14partition_implILS5_8ELb0ES3_jN6thrust23THRUST_200600_302600_NS6detail15normal_iteratorINSA_10device_ptrIfEEEEPS6_PKS6_NS0_5tupleIJSF_S6_EEENSJ_IJSG_SG_EEENS0_18inequality_wrapperINSA_8equal_toIfEEEEPmJS6_EEE10hipError_tPvRmT3_T4_T5_T6_T7_T9_mT8_P12ihipStream_tbDpT10_ENKUlT_T0_E_clISt17integral_constantIbLb0EES19_IbLb1EEEEDaS15_S16_EUlS15_E_NS1_11comp_targetILNS1_3genE4ELNS1_11target_archE910ELNS1_3gpuE8ELNS1_3repE0EEENS1_30default_config_static_selectorELNS0_4arch9wavefront6targetE1EEEvT1_.has_dyn_sized_stack, 0
	.set _ZN7rocprim17ROCPRIM_400000_NS6detail17trampoline_kernelINS0_14default_configENS1_25partition_config_selectorILNS1_17partition_subalgoE8EfNS0_10empty_typeEbEEZZNS1_14partition_implILS5_8ELb0ES3_jN6thrust23THRUST_200600_302600_NS6detail15normal_iteratorINSA_10device_ptrIfEEEEPS6_PKS6_NS0_5tupleIJSF_S6_EEENSJ_IJSG_SG_EEENS0_18inequality_wrapperINSA_8equal_toIfEEEEPmJS6_EEE10hipError_tPvRmT3_T4_T5_T6_T7_T9_mT8_P12ihipStream_tbDpT10_ENKUlT_T0_E_clISt17integral_constantIbLb0EES19_IbLb1EEEEDaS15_S16_EUlS15_E_NS1_11comp_targetILNS1_3genE4ELNS1_11target_archE910ELNS1_3gpuE8ELNS1_3repE0EEENS1_30default_config_static_selectorELNS0_4arch9wavefront6targetE1EEEvT1_.has_recursion, 0
	.set _ZN7rocprim17ROCPRIM_400000_NS6detail17trampoline_kernelINS0_14default_configENS1_25partition_config_selectorILNS1_17partition_subalgoE8EfNS0_10empty_typeEbEEZZNS1_14partition_implILS5_8ELb0ES3_jN6thrust23THRUST_200600_302600_NS6detail15normal_iteratorINSA_10device_ptrIfEEEEPS6_PKS6_NS0_5tupleIJSF_S6_EEENSJ_IJSG_SG_EEENS0_18inequality_wrapperINSA_8equal_toIfEEEEPmJS6_EEE10hipError_tPvRmT3_T4_T5_T6_T7_T9_mT8_P12ihipStream_tbDpT10_ENKUlT_T0_E_clISt17integral_constantIbLb0EES19_IbLb1EEEEDaS15_S16_EUlS15_E_NS1_11comp_targetILNS1_3genE4ELNS1_11target_archE910ELNS1_3gpuE8ELNS1_3repE0EEENS1_30default_config_static_selectorELNS0_4arch9wavefront6targetE1EEEvT1_.has_indirect_call, 0
	.section	.AMDGPU.csdata,"",@progbits
; Kernel info:
; codeLenInByte = 0
; TotalNumSgprs: 4
; NumVgprs: 0
; ScratchSize: 0
; MemoryBound: 0
; FloatMode: 240
; IeeeMode: 1
; LDSByteSize: 0 bytes/workgroup (compile time only)
; SGPRBlocks: 0
; VGPRBlocks: 0
; NumSGPRsForWavesPerEU: 4
; NumVGPRsForWavesPerEU: 1
; Occupancy: 10
; WaveLimiterHint : 0
; COMPUTE_PGM_RSRC2:SCRATCH_EN: 0
; COMPUTE_PGM_RSRC2:USER_SGPR: 6
; COMPUTE_PGM_RSRC2:TRAP_HANDLER: 0
; COMPUTE_PGM_RSRC2:TGID_X_EN: 1
; COMPUTE_PGM_RSRC2:TGID_Y_EN: 0
; COMPUTE_PGM_RSRC2:TGID_Z_EN: 0
; COMPUTE_PGM_RSRC2:TIDIG_COMP_CNT: 0
	.section	.text._ZN7rocprim17ROCPRIM_400000_NS6detail17trampoline_kernelINS0_14default_configENS1_25partition_config_selectorILNS1_17partition_subalgoE8EfNS0_10empty_typeEbEEZZNS1_14partition_implILS5_8ELb0ES3_jN6thrust23THRUST_200600_302600_NS6detail15normal_iteratorINSA_10device_ptrIfEEEEPS6_PKS6_NS0_5tupleIJSF_S6_EEENSJ_IJSG_SG_EEENS0_18inequality_wrapperINSA_8equal_toIfEEEEPmJS6_EEE10hipError_tPvRmT3_T4_T5_T6_T7_T9_mT8_P12ihipStream_tbDpT10_ENKUlT_T0_E_clISt17integral_constantIbLb0EES19_IbLb1EEEEDaS15_S16_EUlS15_E_NS1_11comp_targetILNS1_3genE3ELNS1_11target_archE908ELNS1_3gpuE7ELNS1_3repE0EEENS1_30default_config_static_selectorELNS0_4arch9wavefront6targetE1EEEvT1_,"axG",@progbits,_ZN7rocprim17ROCPRIM_400000_NS6detail17trampoline_kernelINS0_14default_configENS1_25partition_config_selectorILNS1_17partition_subalgoE8EfNS0_10empty_typeEbEEZZNS1_14partition_implILS5_8ELb0ES3_jN6thrust23THRUST_200600_302600_NS6detail15normal_iteratorINSA_10device_ptrIfEEEEPS6_PKS6_NS0_5tupleIJSF_S6_EEENSJ_IJSG_SG_EEENS0_18inequality_wrapperINSA_8equal_toIfEEEEPmJS6_EEE10hipError_tPvRmT3_T4_T5_T6_T7_T9_mT8_P12ihipStream_tbDpT10_ENKUlT_T0_E_clISt17integral_constantIbLb0EES19_IbLb1EEEEDaS15_S16_EUlS15_E_NS1_11comp_targetILNS1_3genE3ELNS1_11target_archE908ELNS1_3gpuE7ELNS1_3repE0EEENS1_30default_config_static_selectorELNS0_4arch9wavefront6targetE1EEEvT1_,comdat
	.protected	_ZN7rocprim17ROCPRIM_400000_NS6detail17trampoline_kernelINS0_14default_configENS1_25partition_config_selectorILNS1_17partition_subalgoE8EfNS0_10empty_typeEbEEZZNS1_14partition_implILS5_8ELb0ES3_jN6thrust23THRUST_200600_302600_NS6detail15normal_iteratorINSA_10device_ptrIfEEEEPS6_PKS6_NS0_5tupleIJSF_S6_EEENSJ_IJSG_SG_EEENS0_18inequality_wrapperINSA_8equal_toIfEEEEPmJS6_EEE10hipError_tPvRmT3_T4_T5_T6_T7_T9_mT8_P12ihipStream_tbDpT10_ENKUlT_T0_E_clISt17integral_constantIbLb0EES19_IbLb1EEEEDaS15_S16_EUlS15_E_NS1_11comp_targetILNS1_3genE3ELNS1_11target_archE908ELNS1_3gpuE7ELNS1_3repE0EEENS1_30default_config_static_selectorELNS0_4arch9wavefront6targetE1EEEvT1_ ; -- Begin function _ZN7rocprim17ROCPRIM_400000_NS6detail17trampoline_kernelINS0_14default_configENS1_25partition_config_selectorILNS1_17partition_subalgoE8EfNS0_10empty_typeEbEEZZNS1_14partition_implILS5_8ELb0ES3_jN6thrust23THRUST_200600_302600_NS6detail15normal_iteratorINSA_10device_ptrIfEEEEPS6_PKS6_NS0_5tupleIJSF_S6_EEENSJ_IJSG_SG_EEENS0_18inequality_wrapperINSA_8equal_toIfEEEEPmJS6_EEE10hipError_tPvRmT3_T4_T5_T6_T7_T9_mT8_P12ihipStream_tbDpT10_ENKUlT_T0_E_clISt17integral_constantIbLb0EES19_IbLb1EEEEDaS15_S16_EUlS15_E_NS1_11comp_targetILNS1_3genE3ELNS1_11target_archE908ELNS1_3gpuE7ELNS1_3repE0EEENS1_30default_config_static_selectorELNS0_4arch9wavefront6targetE1EEEvT1_
	.globl	_ZN7rocprim17ROCPRIM_400000_NS6detail17trampoline_kernelINS0_14default_configENS1_25partition_config_selectorILNS1_17partition_subalgoE8EfNS0_10empty_typeEbEEZZNS1_14partition_implILS5_8ELb0ES3_jN6thrust23THRUST_200600_302600_NS6detail15normal_iteratorINSA_10device_ptrIfEEEEPS6_PKS6_NS0_5tupleIJSF_S6_EEENSJ_IJSG_SG_EEENS0_18inequality_wrapperINSA_8equal_toIfEEEEPmJS6_EEE10hipError_tPvRmT3_T4_T5_T6_T7_T9_mT8_P12ihipStream_tbDpT10_ENKUlT_T0_E_clISt17integral_constantIbLb0EES19_IbLb1EEEEDaS15_S16_EUlS15_E_NS1_11comp_targetILNS1_3genE3ELNS1_11target_archE908ELNS1_3gpuE7ELNS1_3repE0EEENS1_30default_config_static_selectorELNS0_4arch9wavefront6targetE1EEEvT1_
	.p2align	8
	.type	_ZN7rocprim17ROCPRIM_400000_NS6detail17trampoline_kernelINS0_14default_configENS1_25partition_config_selectorILNS1_17partition_subalgoE8EfNS0_10empty_typeEbEEZZNS1_14partition_implILS5_8ELb0ES3_jN6thrust23THRUST_200600_302600_NS6detail15normal_iteratorINSA_10device_ptrIfEEEEPS6_PKS6_NS0_5tupleIJSF_S6_EEENSJ_IJSG_SG_EEENS0_18inequality_wrapperINSA_8equal_toIfEEEEPmJS6_EEE10hipError_tPvRmT3_T4_T5_T6_T7_T9_mT8_P12ihipStream_tbDpT10_ENKUlT_T0_E_clISt17integral_constantIbLb0EES19_IbLb1EEEEDaS15_S16_EUlS15_E_NS1_11comp_targetILNS1_3genE3ELNS1_11target_archE908ELNS1_3gpuE7ELNS1_3repE0EEENS1_30default_config_static_selectorELNS0_4arch9wavefront6targetE1EEEvT1_,@function
_ZN7rocprim17ROCPRIM_400000_NS6detail17trampoline_kernelINS0_14default_configENS1_25partition_config_selectorILNS1_17partition_subalgoE8EfNS0_10empty_typeEbEEZZNS1_14partition_implILS5_8ELb0ES3_jN6thrust23THRUST_200600_302600_NS6detail15normal_iteratorINSA_10device_ptrIfEEEEPS6_PKS6_NS0_5tupleIJSF_S6_EEENSJ_IJSG_SG_EEENS0_18inequality_wrapperINSA_8equal_toIfEEEEPmJS6_EEE10hipError_tPvRmT3_T4_T5_T6_T7_T9_mT8_P12ihipStream_tbDpT10_ENKUlT_T0_E_clISt17integral_constantIbLb0EES19_IbLb1EEEEDaS15_S16_EUlS15_E_NS1_11comp_targetILNS1_3genE3ELNS1_11target_archE908ELNS1_3gpuE7ELNS1_3repE0EEENS1_30default_config_static_selectorELNS0_4arch9wavefront6targetE1EEEvT1_: ; @_ZN7rocprim17ROCPRIM_400000_NS6detail17trampoline_kernelINS0_14default_configENS1_25partition_config_selectorILNS1_17partition_subalgoE8EfNS0_10empty_typeEbEEZZNS1_14partition_implILS5_8ELb0ES3_jN6thrust23THRUST_200600_302600_NS6detail15normal_iteratorINSA_10device_ptrIfEEEEPS6_PKS6_NS0_5tupleIJSF_S6_EEENSJ_IJSG_SG_EEENS0_18inequality_wrapperINSA_8equal_toIfEEEEPmJS6_EEE10hipError_tPvRmT3_T4_T5_T6_T7_T9_mT8_P12ihipStream_tbDpT10_ENKUlT_T0_E_clISt17integral_constantIbLb0EES19_IbLb1EEEEDaS15_S16_EUlS15_E_NS1_11comp_targetILNS1_3genE3ELNS1_11target_archE908ELNS1_3gpuE7ELNS1_3repE0EEENS1_30default_config_static_selectorELNS0_4arch9wavefront6targetE1EEEvT1_
; %bb.0:
	.section	.rodata,"a",@progbits
	.p2align	6, 0x0
	.amdhsa_kernel _ZN7rocprim17ROCPRIM_400000_NS6detail17trampoline_kernelINS0_14default_configENS1_25partition_config_selectorILNS1_17partition_subalgoE8EfNS0_10empty_typeEbEEZZNS1_14partition_implILS5_8ELb0ES3_jN6thrust23THRUST_200600_302600_NS6detail15normal_iteratorINSA_10device_ptrIfEEEEPS6_PKS6_NS0_5tupleIJSF_S6_EEENSJ_IJSG_SG_EEENS0_18inequality_wrapperINSA_8equal_toIfEEEEPmJS6_EEE10hipError_tPvRmT3_T4_T5_T6_T7_T9_mT8_P12ihipStream_tbDpT10_ENKUlT_T0_E_clISt17integral_constantIbLb0EES19_IbLb1EEEEDaS15_S16_EUlS15_E_NS1_11comp_targetILNS1_3genE3ELNS1_11target_archE908ELNS1_3gpuE7ELNS1_3repE0EEENS1_30default_config_static_selectorELNS0_4arch9wavefront6targetE1EEEvT1_
		.amdhsa_group_segment_fixed_size 0
		.amdhsa_private_segment_fixed_size 0
		.amdhsa_kernarg_size 128
		.amdhsa_user_sgpr_count 6
		.amdhsa_user_sgpr_private_segment_buffer 1
		.amdhsa_user_sgpr_dispatch_ptr 0
		.amdhsa_user_sgpr_queue_ptr 0
		.amdhsa_user_sgpr_kernarg_segment_ptr 1
		.amdhsa_user_sgpr_dispatch_id 0
		.amdhsa_user_sgpr_flat_scratch_init 0
		.amdhsa_user_sgpr_private_segment_size 0
		.amdhsa_uses_dynamic_stack 0
		.amdhsa_system_sgpr_private_segment_wavefront_offset 0
		.amdhsa_system_sgpr_workgroup_id_x 1
		.amdhsa_system_sgpr_workgroup_id_y 0
		.amdhsa_system_sgpr_workgroup_id_z 0
		.amdhsa_system_sgpr_workgroup_info 0
		.amdhsa_system_vgpr_workitem_id 0
		.amdhsa_next_free_vgpr 1
		.amdhsa_next_free_sgpr 0
		.amdhsa_reserve_vcc 0
		.amdhsa_reserve_flat_scratch 0
		.amdhsa_float_round_mode_32 0
		.amdhsa_float_round_mode_16_64 0
		.amdhsa_float_denorm_mode_32 3
		.amdhsa_float_denorm_mode_16_64 3
		.amdhsa_dx10_clamp 1
		.amdhsa_ieee_mode 1
		.amdhsa_fp16_overflow 0
		.amdhsa_exception_fp_ieee_invalid_op 0
		.amdhsa_exception_fp_denorm_src 0
		.amdhsa_exception_fp_ieee_div_zero 0
		.amdhsa_exception_fp_ieee_overflow 0
		.amdhsa_exception_fp_ieee_underflow 0
		.amdhsa_exception_fp_ieee_inexact 0
		.amdhsa_exception_int_div_zero 0
	.end_amdhsa_kernel
	.section	.text._ZN7rocprim17ROCPRIM_400000_NS6detail17trampoline_kernelINS0_14default_configENS1_25partition_config_selectorILNS1_17partition_subalgoE8EfNS0_10empty_typeEbEEZZNS1_14partition_implILS5_8ELb0ES3_jN6thrust23THRUST_200600_302600_NS6detail15normal_iteratorINSA_10device_ptrIfEEEEPS6_PKS6_NS0_5tupleIJSF_S6_EEENSJ_IJSG_SG_EEENS0_18inequality_wrapperINSA_8equal_toIfEEEEPmJS6_EEE10hipError_tPvRmT3_T4_T5_T6_T7_T9_mT8_P12ihipStream_tbDpT10_ENKUlT_T0_E_clISt17integral_constantIbLb0EES19_IbLb1EEEEDaS15_S16_EUlS15_E_NS1_11comp_targetILNS1_3genE3ELNS1_11target_archE908ELNS1_3gpuE7ELNS1_3repE0EEENS1_30default_config_static_selectorELNS0_4arch9wavefront6targetE1EEEvT1_,"axG",@progbits,_ZN7rocprim17ROCPRIM_400000_NS6detail17trampoline_kernelINS0_14default_configENS1_25partition_config_selectorILNS1_17partition_subalgoE8EfNS0_10empty_typeEbEEZZNS1_14partition_implILS5_8ELb0ES3_jN6thrust23THRUST_200600_302600_NS6detail15normal_iteratorINSA_10device_ptrIfEEEEPS6_PKS6_NS0_5tupleIJSF_S6_EEENSJ_IJSG_SG_EEENS0_18inequality_wrapperINSA_8equal_toIfEEEEPmJS6_EEE10hipError_tPvRmT3_T4_T5_T6_T7_T9_mT8_P12ihipStream_tbDpT10_ENKUlT_T0_E_clISt17integral_constantIbLb0EES19_IbLb1EEEEDaS15_S16_EUlS15_E_NS1_11comp_targetILNS1_3genE3ELNS1_11target_archE908ELNS1_3gpuE7ELNS1_3repE0EEENS1_30default_config_static_selectorELNS0_4arch9wavefront6targetE1EEEvT1_,comdat
.Lfunc_end107:
	.size	_ZN7rocprim17ROCPRIM_400000_NS6detail17trampoline_kernelINS0_14default_configENS1_25partition_config_selectorILNS1_17partition_subalgoE8EfNS0_10empty_typeEbEEZZNS1_14partition_implILS5_8ELb0ES3_jN6thrust23THRUST_200600_302600_NS6detail15normal_iteratorINSA_10device_ptrIfEEEEPS6_PKS6_NS0_5tupleIJSF_S6_EEENSJ_IJSG_SG_EEENS0_18inequality_wrapperINSA_8equal_toIfEEEEPmJS6_EEE10hipError_tPvRmT3_T4_T5_T6_T7_T9_mT8_P12ihipStream_tbDpT10_ENKUlT_T0_E_clISt17integral_constantIbLb0EES19_IbLb1EEEEDaS15_S16_EUlS15_E_NS1_11comp_targetILNS1_3genE3ELNS1_11target_archE908ELNS1_3gpuE7ELNS1_3repE0EEENS1_30default_config_static_selectorELNS0_4arch9wavefront6targetE1EEEvT1_, .Lfunc_end107-_ZN7rocprim17ROCPRIM_400000_NS6detail17trampoline_kernelINS0_14default_configENS1_25partition_config_selectorILNS1_17partition_subalgoE8EfNS0_10empty_typeEbEEZZNS1_14partition_implILS5_8ELb0ES3_jN6thrust23THRUST_200600_302600_NS6detail15normal_iteratorINSA_10device_ptrIfEEEEPS6_PKS6_NS0_5tupleIJSF_S6_EEENSJ_IJSG_SG_EEENS0_18inequality_wrapperINSA_8equal_toIfEEEEPmJS6_EEE10hipError_tPvRmT3_T4_T5_T6_T7_T9_mT8_P12ihipStream_tbDpT10_ENKUlT_T0_E_clISt17integral_constantIbLb0EES19_IbLb1EEEEDaS15_S16_EUlS15_E_NS1_11comp_targetILNS1_3genE3ELNS1_11target_archE908ELNS1_3gpuE7ELNS1_3repE0EEENS1_30default_config_static_selectorELNS0_4arch9wavefront6targetE1EEEvT1_
                                        ; -- End function
	.set _ZN7rocprim17ROCPRIM_400000_NS6detail17trampoline_kernelINS0_14default_configENS1_25partition_config_selectorILNS1_17partition_subalgoE8EfNS0_10empty_typeEbEEZZNS1_14partition_implILS5_8ELb0ES3_jN6thrust23THRUST_200600_302600_NS6detail15normal_iteratorINSA_10device_ptrIfEEEEPS6_PKS6_NS0_5tupleIJSF_S6_EEENSJ_IJSG_SG_EEENS0_18inequality_wrapperINSA_8equal_toIfEEEEPmJS6_EEE10hipError_tPvRmT3_T4_T5_T6_T7_T9_mT8_P12ihipStream_tbDpT10_ENKUlT_T0_E_clISt17integral_constantIbLb0EES19_IbLb1EEEEDaS15_S16_EUlS15_E_NS1_11comp_targetILNS1_3genE3ELNS1_11target_archE908ELNS1_3gpuE7ELNS1_3repE0EEENS1_30default_config_static_selectorELNS0_4arch9wavefront6targetE1EEEvT1_.num_vgpr, 0
	.set _ZN7rocprim17ROCPRIM_400000_NS6detail17trampoline_kernelINS0_14default_configENS1_25partition_config_selectorILNS1_17partition_subalgoE8EfNS0_10empty_typeEbEEZZNS1_14partition_implILS5_8ELb0ES3_jN6thrust23THRUST_200600_302600_NS6detail15normal_iteratorINSA_10device_ptrIfEEEEPS6_PKS6_NS0_5tupleIJSF_S6_EEENSJ_IJSG_SG_EEENS0_18inequality_wrapperINSA_8equal_toIfEEEEPmJS6_EEE10hipError_tPvRmT3_T4_T5_T6_T7_T9_mT8_P12ihipStream_tbDpT10_ENKUlT_T0_E_clISt17integral_constantIbLb0EES19_IbLb1EEEEDaS15_S16_EUlS15_E_NS1_11comp_targetILNS1_3genE3ELNS1_11target_archE908ELNS1_3gpuE7ELNS1_3repE0EEENS1_30default_config_static_selectorELNS0_4arch9wavefront6targetE1EEEvT1_.num_agpr, 0
	.set _ZN7rocprim17ROCPRIM_400000_NS6detail17trampoline_kernelINS0_14default_configENS1_25partition_config_selectorILNS1_17partition_subalgoE8EfNS0_10empty_typeEbEEZZNS1_14partition_implILS5_8ELb0ES3_jN6thrust23THRUST_200600_302600_NS6detail15normal_iteratorINSA_10device_ptrIfEEEEPS6_PKS6_NS0_5tupleIJSF_S6_EEENSJ_IJSG_SG_EEENS0_18inequality_wrapperINSA_8equal_toIfEEEEPmJS6_EEE10hipError_tPvRmT3_T4_T5_T6_T7_T9_mT8_P12ihipStream_tbDpT10_ENKUlT_T0_E_clISt17integral_constantIbLb0EES19_IbLb1EEEEDaS15_S16_EUlS15_E_NS1_11comp_targetILNS1_3genE3ELNS1_11target_archE908ELNS1_3gpuE7ELNS1_3repE0EEENS1_30default_config_static_selectorELNS0_4arch9wavefront6targetE1EEEvT1_.numbered_sgpr, 0
	.set _ZN7rocprim17ROCPRIM_400000_NS6detail17trampoline_kernelINS0_14default_configENS1_25partition_config_selectorILNS1_17partition_subalgoE8EfNS0_10empty_typeEbEEZZNS1_14partition_implILS5_8ELb0ES3_jN6thrust23THRUST_200600_302600_NS6detail15normal_iteratorINSA_10device_ptrIfEEEEPS6_PKS6_NS0_5tupleIJSF_S6_EEENSJ_IJSG_SG_EEENS0_18inequality_wrapperINSA_8equal_toIfEEEEPmJS6_EEE10hipError_tPvRmT3_T4_T5_T6_T7_T9_mT8_P12ihipStream_tbDpT10_ENKUlT_T0_E_clISt17integral_constantIbLb0EES19_IbLb1EEEEDaS15_S16_EUlS15_E_NS1_11comp_targetILNS1_3genE3ELNS1_11target_archE908ELNS1_3gpuE7ELNS1_3repE0EEENS1_30default_config_static_selectorELNS0_4arch9wavefront6targetE1EEEvT1_.num_named_barrier, 0
	.set _ZN7rocprim17ROCPRIM_400000_NS6detail17trampoline_kernelINS0_14default_configENS1_25partition_config_selectorILNS1_17partition_subalgoE8EfNS0_10empty_typeEbEEZZNS1_14partition_implILS5_8ELb0ES3_jN6thrust23THRUST_200600_302600_NS6detail15normal_iteratorINSA_10device_ptrIfEEEEPS6_PKS6_NS0_5tupleIJSF_S6_EEENSJ_IJSG_SG_EEENS0_18inequality_wrapperINSA_8equal_toIfEEEEPmJS6_EEE10hipError_tPvRmT3_T4_T5_T6_T7_T9_mT8_P12ihipStream_tbDpT10_ENKUlT_T0_E_clISt17integral_constantIbLb0EES19_IbLb1EEEEDaS15_S16_EUlS15_E_NS1_11comp_targetILNS1_3genE3ELNS1_11target_archE908ELNS1_3gpuE7ELNS1_3repE0EEENS1_30default_config_static_selectorELNS0_4arch9wavefront6targetE1EEEvT1_.private_seg_size, 0
	.set _ZN7rocprim17ROCPRIM_400000_NS6detail17trampoline_kernelINS0_14default_configENS1_25partition_config_selectorILNS1_17partition_subalgoE8EfNS0_10empty_typeEbEEZZNS1_14partition_implILS5_8ELb0ES3_jN6thrust23THRUST_200600_302600_NS6detail15normal_iteratorINSA_10device_ptrIfEEEEPS6_PKS6_NS0_5tupleIJSF_S6_EEENSJ_IJSG_SG_EEENS0_18inequality_wrapperINSA_8equal_toIfEEEEPmJS6_EEE10hipError_tPvRmT3_T4_T5_T6_T7_T9_mT8_P12ihipStream_tbDpT10_ENKUlT_T0_E_clISt17integral_constantIbLb0EES19_IbLb1EEEEDaS15_S16_EUlS15_E_NS1_11comp_targetILNS1_3genE3ELNS1_11target_archE908ELNS1_3gpuE7ELNS1_3repE0EEENS1_30default_config_static_selectorELNS0_4arch9wavefront6targetE1EEEvT1_.uses_vcc, 0
	.set _ZN7rocprim17ROCPRIM_400000_NS6detail17trampoline_kernelINS0_14default_configENS1_25partition_config_selectorILNS1_17partition_subalgoE8EfNS0_10empty_typeEbEEZZNS1_14partition_implILS5_8ELb0ES3_jN6thrust23THRUST_200600_302600_NS6detail15normal_iteratorINSA_10device_ptrIfEEEEPS6_PKS6_NS0_5tupleIJSF_S6_EEENSJ_IJSG_SG_EEENS0_18inequality_wrapperINSA_8equal_toIfEEEEPmJS6_EEE10hipError_tPvRmT3_T4_T5_T6_T7_T9_mT8_P12ihipStream_tbDpT10_ENKUlT_T0_E_clISt17integral_constantIbLb0EES19_IbLb1EEEEDaS15_S16_EUlS15_E_NS1_11comp_targetILNS1_3genE3ELNS1_11target_archE908ELNS1_3gpuE7ELNS1_3repE0EEENS1_30default_config_static_selectorELNS0_4arch9wavefront6targetE1EEEvT1_.uses_flat_scratch, 0
	.set _ZN7rocprim17ROCPRIM_400000_NS6detail17trampoline_kernelINS0_14default_configENS1_25partition_config_selectorILNS1_17partition_subalgoE8EfNS0_10empty_typeEbEEZZNS1_14partition_implILS5_8ELb0ES3_jN6thrust23THRUST_200600_302600_NS6detail15normal_iteratorINSA_10device_ptrIfEEEEPS6_PKS6_NS0_5tupleIJSF_S6_EEENSJ_IJSG_SG_EEENS0_18inequality_wrapperINSA_8equal_toIfEEEEPmJS6_EEE10hipError_tPvRmT3_T4_T5_T6_T7_T9_mT8_P12ihipStream_tbDpT10_ENKUlT_T0_E_clISt17integral_constantIbLb0EES19_IbLb1EEEEDaS15_S16_EUlS15_E_NS1_11comp_targetILNS1_3genE3ELNS1_11target_archE908ELNS1_3gpuE7ELNS1_3repE0EEENS1_30default_config_static_selectorELNS0_4arch9wavefront6targetE1EEEvT1_.has_dyn_sized_stack, 0
	.set _ZN7rocprim17ROCPRIM_400000_NS6detail17trampoline_kernelINS0_14default_configENS1_25partition_config_selectorILNS1_17partition_subalgoE8EfNS0_10empty_typeEbEEZZNS1_14partition_implILS5_8ELb0ES3_jN6thrust23THRUST_200600_302600_NS6detail15normal_iteratorINSA_10device_ptrIfEEEEPS6_PKS6_NS0_5tupleIJSF_S6_EEENSJ_IJSG_SG_EEENS0_18inequality_wrapperINSA_8equal_toIfEEEEPmJS6_EEE10hipError_tPvRmT3_T4_T5_T6_T7_T9_mT8_P12ihipStream_tbDpT10_ENKUlT_T0_E_clISt17integral_constantIbLb0EES19_IbLb1EEEEDaS15_S16_EUlS15_E_NS1_11comp_targetILNS1_3genE3ELNS1_11target_archE908ELNS1_3gpuE7ELNS1_3repE0EEENS1_30default_config_static_selectorELNS0_4arch9wavefront6targetE1EEEvT1_.has_recursion, 0
	.set _ZN7rocprim17ROCPRIM_400000_NS6detail17trampoline_kernelINS0_14default_configENS1_25partition_config_selectorILNS1_17partition_subalgoE8EfNS0_10empty_typeEbEEZZNS1_14partition_implILS5_8ELb0ES3_jN6thrust23THRUST_200600_302600_NS6detail15normal_iteratorINSA_10device_ptrIfEEEEPS6_PKS6_NS0_5tupleIJSF_S6_EEENSJ_IJSG_SG_EEENS0_18inequality_wrapperINSA_8equal_toIfEEEEPmJS6_EEE10hipError_tPvRmT3_T4_T5_T6_T7_T9_mT8_P12ihipStream_tbDpT10_ENKUlT_T0_E_clISt17integral_constantIbLb0EES19_IbLb1EEEEDaS15_S16_EUlS15_E_NS1_11comp_targetILNS1_3genE3ELNS1_11target_archE908ELNS1_3gpuE7ELNS1_3repE0EEENS1_30default_config_static_selectorELNS0_4arch9wavefront6targetE1EEEvT1_.has_indirect_call, 0
	.section	.AMDGPU.csdata,"",@progbits
; Kernel info:
; codeLenInByte = 0
; TotalNumSgprs: 4
; NumVgprs: 0
; ScratchSize: 0
; MemoryBound: 0
; FloatMode: 240
; IeeeMode: 1
; LDSByteSize: 0 bytes/workgroup (compile time only)
; SGPRBlocks: 0
; VGPRBlocks: 0
; NumSGPRsForWavesPerEU: 4
; NumVGPRsForWavesPerEU: 1
; Occupancy: 10
; WaveLimiterHint : 0
; COMPUTE_PGM_RSRC2:SCRATCH_EN: 0
; COMPUTE_PGM_RSRC2:USER_SGPR: 6
; COMPUTE_PGM_RSRC2:TRAP_HANDLER: 0
; COMPUTE_PGM_RSRC2:TGID_X_EN: 1
; COMPUTE_PGM_RSRC2:TGID_Y_EN: 0
; COMPUTE_PGM_RSRC2:TGID_Z_EN: 0
; COMPUTE_PGM_RSRC2:TIDIG_COMP_CNT: 0
	.section	.text._ZN7rocprim17ROCPRIM_400000_NS6detail17trampoline_kernelINS0_14default_configENS1_25partition_config_selectorILNS1_17partition_subalgoE8EfNS0_10empty_typeEbEEZZNS1_14partition_implILS5_8ELb0ES3_jN6thrust23THRUST_200600_302600_NS6detail15normal_iteratorINSA_10device_ptrIfEEEEPS6_PKS6_NS0_5tupleIJSF_S6_EEENSJ_IJSG_SG_EEENS0_18inequality_wrapperINSA_8equal_toIfEEEEPmJS6_EEE10hipError_tPvRmT3_T4_T5_T6_T7_T9_mT8_P12ihipStream_tbDpT10_ENKUlT_T0_E_clISt17integral_constantIbLb0EES19_IbLb1EEEEDaS15_S16_EUlS15_E_NS1_11comp_targetILNS1_3genE2ELNS1_11target_archE906ELNS1_3gpuE6ELNS1_3repE0EEENS1_30default_config_static_selectorELNS0_4arch9wavefront6targetE1EEEvT1_,"axG",@progbits,_ZN7rocprim17ROCPRIM_400000_NS6detail17trampoline_kernelINS0_14default_configENS1_25partition_config_selectorILNS1_17partition_subalgoE8EfNS0_10empty_typeEbEEZZNS1_14partition_implILS5_8ELb0ES3_jN6thrust23THRUST_200600_302600_NS6detail15normal_iteratorINSA_10device_ptrIfEEEEPS6_PKS6_NS0_5tupleIJSF_S6_EEENSJ_IJSG_SG_EEENS0_18inequality_wrapperINSA_8equal_toIfEEEEPmJS6_EEE10hipError_tPvRmT3_T4_T5_T6_T7_T9_mT8_P12ihipStream_tbDpT10_ENKUlT_T0_E_clISt17integral_constantIbLb0EES19_IbLb1EEEEDaS15_S16_EUlS15_E_NS1_11comp_targetILNS1_3genE2ELNS1_11target_archE906ELNS1_3gpuE6ELNS1_3repE0EEENS1_30default_config_static_selectorELNS0_4arch9wavefront6targetE1EEEvT1_,comdat
	.protected	_ZN7rocprim17ROCPRIM_400000_NS6detail17trampoline_kernelINS0_14default_configENS1_25partition_config_selectorILNS1_17partition_subalgoE8EfNS0_10empty_typeEbEEZZNS1_14partition_implILS5_8ELb0ES3_jN6thrust23THRUST_200600_302600_NS6detail15normal_iteratorINSA_10device_ptrIfEEEEPS6_PKS6_NS0_5tupleIJSF_S6_EEENSJ_IJSG_SG_EEENS0_18inequality_wrapperINSA_8equal_toIfEEEEPmJS6_EEE10hipError_tPvRmT3_T4_T5_T6_T7_T9_mT8_P12ihipStream_tbDpT10_ENKUlT_T0_E_clISt17integral_constantIbLb0EES19_IbLb1EEEEDaS15_S16_EUlS15_E_NS1_11comp_targetILNS1_3genE2ELNS1_11target_archE906ELNS1_3gpuE6ELNS1_3repE0EEENS1_30default_config_static_selectorELNS0_4arch9wavefront6targetE1EEEvT1_ ; -- Begin function _ZN7rocprim17ROCPRIM_400000_NS6detail17trampoline_kernelINS0_14default_configENS1_25partition_config_selectorILNS1_17partition_subalgoE8EfNS0_10empty_typeEbEEZZNS1_14partition_implILS5_8ELb0ES3_jN6thrust23THRUST_200600_302600_NS6detail15normal_iteratorINSA_10device_ptrIfEEEEPS6_PKS6_NS0_5tupleIJSF_S6_EEENSJ_IJSG_SG_EEENS0_18inequality_wrapperINSA_8equal_toIfEEEEPmJS6_EEE10hipError_tPvRmT3_T4_T5_T6_T7_T9_mT8_P12ihipStream_tbDpT10_ENKUlT_T0_E_clISt17integral_constantIbLb0EES19_IbLb1EEEEDaS15_S16_EUlS15_E_NS1_11comp_targetILNS1_3genE2ELNS1_11target_archE906ELNS1_3gpuE6ELNS1_3repE0EEENS1_30default_config_static_selectorELNS0_4arch9wavefront6targetE1EEEvT1_
	.globl	_ZN7rocprim17ROCPRIM_400000_NS6detail17trampoline_kernelINS0_14default_configENS1_25partition_config_selectorILNS1_17partition_subalgoE8EfNS0_10empty_typeEbEEZZNS1_14partition_implILS5_8ELb0ES3_jN6thrust23THRUST_200600_302600_NS6detail15normal_iteratorINSA_10device_ptrIfEEEEPS6_PKS6_NS0_5tupleIJSF_S6_EEENSJ_IJSG_SG_EEENS0_18inequality_wrapperINSA_8equal_toIfEEEEPmJS6_EEE10hipError_tPvRmT3_T4_T5_T6_T7_T9_mT8_P12ihipStream_tbDpT10_ENKUlT_T0_E_clISt17integral_constantIbLb0EES19_IbLb1EEEEDaS15_S16_EUlS15_E_NS1_11comp_targetILNS1_3genE2ELNS1_11target_archE906ELNS1_3gpuE6ELNS1_3repE0EEENS1_30default_config_static_selectorELNS0_4arch9wavefront6targetE1EEEvT1_
	.p2align	8
	.type	_ZN7rocprim17ROCPRIM_400000_NS6detail17trampoline_kernelINS0_14default_configENS1_25partition_config_selectorILNS1_17partition_subalgoE8EfNS0_10empty_typeEbEEZZNS1_14partition_implILS5_8ELb0ES3_jN6thrust23THRUST_200600_302600_NS6detail15normal_iteratorINSA_10device_ptrIfEEEEPS6_PKS6_NS0_5tupleIJSF_S6_EEENSJ_IJSG_SG_EEENS0_18inequality_wrapperINSA_8equal_toIfEEEEPmJS6_EEE10hipError_tPvRmT3_T4_T5_T6_T7_T9_mT8_P12ihipStream_tbDpT10_ENKUlT_T0_E_clISt17integral_constantIbLb0EES19_IbLb1EEEEDaS15_S16_EUlS15_E_NS1_11comp_targetILNS1_3genE2ELNS1_11target_archE906ELNS1_3gpuE6ELNS1_3repE0EEENS1_30default_config_static_selectorELNS0_4arch9wavefront6targetE1EEEvT1_,@function
_ZN7rocprim17ROCPRIM_400000_NS6detail17trampoline_kernelINS0_14default_configENS1_25partition_config_selectorILNS1_17partition_subalgoE8EfNS0_10empty_typeEbEEZZNS1_14partition_implILS5_8ELb0ES3_jN6thrust23THRUST_200600_302600_NS6detail15normal_iteratorINSA_10device_ptrIfEEEEPS6_PKS6_NS0_5tupleIJSF_S6_EEENSJ_IJSG_SG_EEENS0_18inequality_wrapperINSA_8equal_toIfEEEEPmJS6_EEE10hipError_tPvRmT3_T4_T5_T6_T7_T9_mT8_P12ihipStream_tbDpT10_ENKUlT_T0_E_clISt17integral_constantIbLb0EES19_IbLb1EEEEDaS15_S16_EUlS15_E_NS1_11comp_targetILNS1_3genE2ELNS1_11target_archE906ELNS1_3gpuE6ELNS1_3repE0EEENS1_30default_config_static_selectorELNS0_4arch9wavefront6targetE1EEEvT1_: ; @_ZN7rocprim17ROCPRIM_400000_NS6detail17trampoline_kernelINS0_14default_configENS1_25partition_config_selectorILNS1_17partition_subalgoE8EfNS0_10empty_typeEbEEZZNS1_14partition_implILS5_8ELb0ES3_jN6thrust23THRUST_200600_302600_NS6detail15normal_iteratorINSA_10device_ptrIfEEEEPS6_PKS6_NS0_5tupleIJSF_S6_EEENSJ_IJSG_SG_EEENS0_18inequality_wrapperINSA_8equal_toIfEEEEPmJS6_EEE10hipError_tPvRmT3_T4_T5_T6_T7_T9_mT8_P12ihipStream_tbDpT10_ENKUlT_T0_E_clISt17integral_constantIbLb0EES19_IbLb1EEEEDaS15_S16_EUlS15_E_NS1_11comp_targetILNS1_3genE2ELNS1_11target_archE906ELNS1_3gpuE6ELNS1_3repE0EEENS1_30default_config_static_selectorELNS0_4arch9wavefront6targetE1EEEvT1_
; %bb.0:
	s_load_dwordx2 s[40:41], s[4:5], 0x28
	s_load_dwordx4 s[36:39], s[4:5], 0x40
	s_load_dwordx2 s[6:7], s[4:5], 0x50
	s_load_dwordx2 s[44:45], s[4:5], 0x60
	v_cmp_ne_u32_e64 s[2:3], 0, v0
	v_cmp_eq_u32_e64 s[0:1], 0, v0
	s_and_saveexec_b64 s[8:9], s[0:1]
	s_cbranch_execz .LBB108_4
; %bb.1:
	s_mov_b64 s[12:13], exec
	v_mbcnt_lo_u32_b32 v1, s12, 0
	v_mbcnt_hi_u32_b32 v1, s13, v1
	v_cmp_eq_u32_e32 vcc, 0, v1
                                        ; implicit-def: $vgpr2
	s_and_saveexec_b64 s[10:11], vcc
	s_cbranch_execz .LBB108_3
; %bb.2:
	s_load_dwordx2 s[14:15], s[4:5], 0x70
	s_bcnt1_i32_b64 s12, s[12:13]
	v_mov_b32_e32 v2, 0
	v_mov_b32_e32 v3, s12
	s_waitcnt lgkmcnt(0)
	global_atomic_add v2, v2, v3, s[14:15] glc
.LBB108_3:
	s_or_b64 exec, exec, s[10:11]
	s_waitcnt vmcnt(0)
	v_readfirstlane_b32 s10, v2
	v_add_u32_e32 v1, s10, v1
	v_mov_b32_e32 v2, 0
	ds_write_b32 v2, v1
.LBB108_4:
	s_or_b64 exec, exec, s[8:9]
	v_mov_b32_e32 v2, 0
	s_load_dwordx4 s[8:11], s[4:5], 0x8
	s_load_dword s12, s[4:5], 0x68
	s_waitcnt lgkmcnt(0)
	s_barrier
	ds_read_b32 v1, v2
	s_waitcnt lgkmcnt(0)
	s_barrier
	global_load_dwordx2 v[18:19], v2, s[38:39]
	s_lshl_b64 s[4:5], s[10:11], 2
	s_add_u32 s13, s8, s4
	s_addc_u32 s9, s9, s5
	s_add_i32 s14, s12, -1
	s_lshl_b32 s4, s14, 12
	s_add_i32 s8, s10, s4
	s_lshl_b32 s4, s12, 12
	s_add_u32 s4, s10, s4
	s_addc_u32 s5, s11, 0
	v_mov_b32_e32 v3, s4
	v_readfirstlane_b32 s33, v1
	v_lshlrev_b32_e32 v1, 12, v1
	v_mov_b32_e32 v4, s5
	v_cmp_le_u64_e32 vcc, s[6:7], v[3:4]
	s_cmp_eq_u32 s33, s14
	v_lshlrev_b64 v[1:2], 2, v[1:2]
	s_cselect_b64 s[38:39], -1, 0
	s_and_b64 s[46:47], vcc, s[38:39]
	v_mov_b32_e32 v3, s9
	v_add_co_u32_e32 v21, vcc, s13, v1
	s_xor_b64 s[42:43], s[46:47], -1
	v_addc_co_u32_e32 v22, vcc, v3, v2, vcc
	s_mov_b64 s[4:5], -1
	s_and_b64 vcc, exec, s[42:43]
	v_lshrrev_b32_e32 v20, 3, v0
	s_cbranch_vccz .LBB108_6
; %bb.5:
	v_lshlrev_b32_e32 v5, 2, v0
	v_add_co_u32_e32 v1, vcc, v21, v5
	v_addc_co_u32_e32 v2, vcc, 0, v22, vcc
	v_add_co_u32_e32 v3, vcc, 0x1000, v1
	v_addc_co_u32_e32 v4, vcc, 0, v2, vcc
	flat_load_dword v6, v[1:2]
	flat_load_dword v7, v[1:2] offset:1024
	flat_load_dword v8, v[1:2] offset:2048
	;; [unrolled: 1-line block ×3, first 2 shown]
	flat_load_dword v10, v[3:4]
	flat_load_dword v11, v[3:4] offset:1024
	flat_load_dword v12, v[3:4] offset:2048
	;; [unrolled: 1-line block ×3, first 2 shown]
	v_add_co_u32_e32 v3, vcc, 0x2000, v1
	v_addc_co_u32_e32 v4, vcc, 0, v2, vcc
	flat_load_dword v14, v[3:4]
	flat_load_dword v15, v[3:4] offset:1024
	flat_load_dword v16, v[3:4] offset:2048
	;; [unrolled: 1-line block ×3, first 2 shown]
	v_add_co_u32_e32 v1, vcc, 0x3000, v1
	v_addc_co_u32_e32 v2, vcc, 0, v2, vcc
	flat_load_dword v3, v[1:2]
	flat_load_dword v4, v[1:2] offset:1024
	flat_load_dword v23, v[1:2] offset:2048
	;; [unrolled: 1-line block ×3, first 2 shown]
	v_or_b32_e32 v2, 0x100, v0
	v_or_b32_e32 v25, 0x200, v0
	;; [unrolled: 1-line block ×9, first 2 shown]
	v_and_b32_e32 v1, 28, v20
	v_or_b32_e32 v33, 0xa00, v0
	v_lshrrev_b32_e32 v2, 3, v2
	v_lshrrev_b32_e32 v25, 3, v25
	;; [unrolled: 1-line block ×9, first 2 shown]
	v_add_u32_e32 v1, v1, v5
	v_lshrrev_b32_e32 v33, 3, v33
	v_and_b32_e32 v2, 60, v2
	v_and_b32_e32 v25, 0x5c, v25
	;; [unrolled: 1-line block ×9, first 2 shown]
	v_add_u32_e32 v2, v2, v5
	v_add_u32_e32 v25, v25, v5
	;; [unrolled: 1-line block ×9, first 2 shown]
	s_mov_b64 s[4:5], 0
	s_waitcnt vmcnt(0) lgkmcnt(0)
	ds_write_b32 v1, v6
	ds_write_b32 v2, v7 offset:1024
	ds_write_b32 v25, v8 offset:2048
	;; [unrolled: 1-line block ×9, first 2 shown]
	v_and_b32_e32 v1, 0x15c, v33
	v_add_u32_e32 v1, v1, v5
	ds_write_b32 v1, v16 offset:10240
	v_or_b32_e32 v1, 0xb00, v0
	v_lshrrev_b32_e32 v1, 3, v1
	v_and_b32_e32 v1, 0x17c, v1
	v_add_u32_e32 v1, v1, v5
	ds_write_b32 v1, v17 offset:11264
	v_or_b32_e32 v1, 0xc00, v0
	v_lshrrev_b32_e32 v1, 3, v1
	;; [unrolled: 5-line block ×5, first 2 shown]
	v_and_b32_e32 v1, 0x1fc, v1
	v_add_u32_e32 v1, v1, v5
	ds_write_b32 v1, v24 offset:15360
	s_waitcnt lgkmcnt(0)
	s_barrier
.LBB108_6:
	s_andn2_b64 vcc, exec, s[4:5]
	s_sub_i32 s56, s6, s8
	s_cbranch_vccnz .LBB108_40
; %bb.7:
	v_mov_b32_e32 v1, 0
	v_cmp_gt_u32_e32 vcc, s56, v0
	v_mov_b32_e32 v2, v1
	v_mov_b32_e32 v3, v1
	;; [unrolled: 1-line block ×15, first 2 shown]
	s_and_saveexec_b64 s[4:5], vcc
	s_cbranch_execz .LBB108_9
; %bb.8:
	v_lshlrev_b32_e32 v2, 2, v0
	v_add_co_u32_e32 v2, vcc, v21, v2
	v_addc_co_u32_e32 v3, vcc, 0, v22, vcc
	flat_load_dword v2, v[2:3]
	v_mov_b32_e32 v3, v1
	v_mov_b32_e32 v4, v1
	;; [unrolled: 1-line block ×15, first 2 shown]
	s_waitcnt vmcnt(0) lgkmcnt(0)
	v_mov_b32_e32 v1, v2
	v_mov_b32_e32 v2, v3
	;; [unrolled: 1-line block ×16, first 2 shown]
.LBB108_9:
	s_or_b64 exec, exec, s[4:5]
	v_or_b32_e32 v17, 0x100, v0
	v_cmp_gt_u32_e32 vcc, s56, v17
	s_and_saveexec_b64 s[4:5], vcc
	s_cbranch_execz .LBB108_11
; %bb.10:
	v_lshlrev_b32_e32 v2, 2, v0
	v_add_co_u32_e32 v23, vcc, v21, v2
	v_addc_co_u32_e32 v24, vcc, 0, v22, vcc
	flat_load_dword v2, v[23:24] offset:1024
.LBB108_11:
	s_or_b64 exec, exec, s[4:5]
	v_or_b32_e32 v23, 0x200, v0
	v_cmp_gt_u32_e32 vcc, s56, v23
	s_and_saveexec_b64 s[4:5], vcc
	s_cbranch_execz .LBB108_13
; %bb.12:
	v_lshlrev_b32_e32 v3, 2, v0
	v_add_co_u32_e32 v24, vcc, v21, v3
	v_addc_co_u32_e32 v25, vcc, 0, v22, vcc
	flat_load_dword v3, v[24:25] offset:2048
.LBB108_13:
	;; [unrolled: 11-line block ×3, first 2 shown]
	s_or_b64 exec, exec, s[4:5]
	v_or_b32_e32 v25, 0x400, v0
	v_cmp_gt_u32_e32 vcc, s56, v25
	s_and_saveexec_b64 s[4:5], vcc
	s_cbranch_execz .LBB108_17
; %bb.16:
	v_lshlrev_b32_e32 v5, 2, v25
	v_add_co_u32_e32 v26, vcc, v21, v5
	v_addc_co_u32_e32 v27, vcc, 0, v22, vcc
	flat_load_dword v5, v[26:27]
.LBB108_17:
	s_or_b64 exec, exec, s[4:5]
	v_or_b32_e32 v26, 0x500, v0
	v_cmp_gt_u32_e32 vcc, s56, v26
	s_and_saveexec_b64 s[4:5], vcc
	s_cbranch_execz .LBB108_19
; %bb.18:
	v_lshlrev_b32_e32 v6, 2, v26
	v_add_co_u32_e32 v27, vcc, v21, v6
	v_addc_co_u32_e32 v28, vcc, 0, v22, vcc
	flat_load_dword v6, v[27:28]
.LBB108_19:
	;; [unrolled: 11-line block ×12, first 2 shown]
	s_or_b64 exec, exec, s[4:5]
	v_and_b32_e32 v20, 28, v20
	v_lshlrev_b32_e32 v37, 2, v0
	v_add_u32_e32 v20, v20, v37
	ds_write_b32 v20, v1
	v_lshrrev_b32_e32 v1, 3, v17
	v_and_b32_e32 v1, 60, v1
	v_add_u32_e32 v1, v1, v37
	s_waitcnt vmcnt(0) lgkmcnt(0)
	ds_write_b32 v1, v2 offset:1024
	v_lshrrev_b32_e32 v1, 3, v23
	v_and_b32_e32 v1, 0x7c, v1
	v_add_u32_e32 v1, v1, v37
	ds_write_b32 v1, v3 offset:2048
	v_lshrrev_b32_e32 v1, 3, v24
	v_and_b32_e32 v1, 0x7c, v1
	v_add_u32_e32 v1, v1, v37
	;; [unrolled: 4-line block ×14, first 2 shown]
	ds_write_b32 v1, v16 offset:15360
	s_waitcnt lgkmcnt(0)
	s_barrier
.LBB108_40:
	v_lshlrev_b32_e32 v1, 1, v0
	v_and_b32_e32 v1, 0x1fc, v1
	v_lshl_add_u32 v1, v0, 6, v1
	ds_read2_b32 v[15:16], v1 offset1:1
	ds_read2_b32 v[13:14], v1 offset0:2 offset1:3
	ds_read2_b32 v[11:12], v1 offset0:4 offset1:5
	;; [unrolled: 1-line block ×7, first 2 shown]
	s_cmp_lg_u32 s33, 0
	s_cselect_b64 s[48:49], -1, 0
	s_cmp_lg_u64 s[10:11], 0
	s_cselect_b64 s[4:5], -1, 0
	s_or_b64 s[4:5], s[4:5], s[48:49]
	v_lshlrev_b32_e32 v20, 4, v0
	s_mov_b64 s[52:53], 0
	s_and_b64 vcc, exec, s[4:5]
	s_waitcnt vmcnt(0) lgkmcnt(0)
	s_barrier
	s_cbranch_vccz .LBB108_45
; %bb.41:
	v_add_co_u32_e32 v21, vcc, -4, v21
	v_addc_co_u32_e32 v22, vcc, -1, v22, vcc
	flat_load_dword v21, v[21:22]
	v_lshlrev_b32_e32 v22, 2, v0
	s_and_b64 vcc, exec, s[42:43]
	ds_write_b32 v22, v2
	s_cbranch_vccz .LBB108_46
; %bb.42:
	s_waitcnt vmcnt(0) lgkmcnt(0)
	v_mov_b32_e32 v23, v21
	s_barrier
	s_and_saveexec_b64 s[4:5], s[2:3]
; %bb.43:
	v_add_u32_e32 v17, -4, v22
	ds_read_b32 v23, v17
; %bb.44:
	s_or_b64 exec, exec, s[4:5]
	v_cmp_neq_f32_e32 vcc, v1, v2
	v_cndmask_b32_e64 v17, 0, 1, vcc
	v_cmp_neq_f32_e32 vcc, v4, v1
	v_cndmask_b32_e64 v54, 0, 1, vcc
	;; [unrolled: 2-line block ×15, first 2 shown]
	s_waitcnt lgkmcnt(0)
	v_cmp_neq_f32_e64 s[50:51], v23, v15
	s_branch .LBB108_50
.LBB108_45:
                                        ; implicit-def: $sgpr50_sgpr51
                                        ; implicit-def: $vgpr17
                                        ; implicit-def: $vgpr54
                                        ; implicit-def: $vgpr55
                                        ; implicit-def: $vgpr56
                                        ; implicit-def: $vgpr57
                                        ; implicit-def: $vgpr58
                                        ; implicit-def: $vgpr59
                                        ; implicit-def: $vgpr60
                                        ; implicit-def: $vgpr61
                                        ; implicit-def: $vgpr67
                                        ; implicit-def: $vgpr66
                                        ; implicit-def: $vgpr65
                                        ; implicit-def: $vgpr64
                                        ; implicit-def: $vgpr63
                                        ; implicit-def: $vgpr62
	s_branch .LBB108_51
.LBB108_46:
                                        ; implicit-def: $sgpr50_sgpr51
                                        ; implicit-def: $vgpr17
                                        ; implicit-def: $vgpr54
                                        ; implicit-def: $vgpr55
                                        ; implicit-def: $vgpr56
                                        ; implicit-def: $vgpr57
                                        ; implicit-def: $vgpr58
                                        ; implicit-def: $vgpr59
                                        ; implicit-def: $vgpr60
                                        ; implicit-def: $vgpr61
                                        ; implicit-def: $vgpr67
                                        ; implicit-def: $vgpr66
                                        ; implicit-def: $vgpr65
                                        ; implicit-def: $vgpr64
                                        ; implicit-def: $vgpr63
                                        ; implicit-def: $vgpr62
	s_cbranch_execz .LBB108_50
; %bb.47:
	s_waitcnt vmcnt(0) lgkmcnt(0)
	s_barrier
	s_and_saveexec_b64 s[4:5], s[2:3]
; %bb.48:
	v_add_u32_e32 v17, -4, v22
	ds_read_b32 v21, v17
; %bb.49:
	s_or_b64 exec, exec, s[4:5]
	v_or_b32_e32 v17, 15, v20
	v_cmp_gt_u32_e32 vcc, s56, v17
	v_cmp_neq_f32_e64 s[4:5], v1, v2
	s_and_b64 s[4:5], vcc, s[4:5]
	v_or_b32_e32 v22, 14, v20
	v_cndmask_b32_e64 v17, 0, 1, s[4:5]
	v_cmp_gt_u32_e32 vcc, s56, v22
	v_cmp_neq_f32_e64 s[4:5], v4, v1
	s_and_b64 s[4:5], vcc, s[4:5]
	v_or_b32_e32 v22, 13, v20
	v_cndmask_b32_e64 v54, 0, 1, s[4:5]
	;; [unrolled: 5-line block ×14, first 2 shown]
	v_cmp_gt_u32_e32 vcc, s56, v22
	v_cmp_neq_f32_e64 s[4:5], v15, v16
	s_and_b64 s[4:5], vcc, s[4:5]
	v_cndmask_b32_e64 v67, 0, 1, s[4:5]
	v_cmp_gt_u32_e32 vcc, s56, v20
	s_waitcnt lgkmcnt(0)
	v_cmp_neq_f32_e64 s[4:5], v21, v15
	s_and_b64 s[50:51], vcc, s[4:5]
.LBB108_50:
	s_mov_b64 s[52:53], -1
	s_cbranch_execnz .LBB108_59
.LBB108_51:
	s_waitcnt vmcnt(0) lgkmcnt(0)
	v_lshlrev_b32_e32 v21, 2, v0
	s_and_b64 vcc, exec, s[42:43]
	v_cmp_neq_f32_e64 s[4:5], v1, v2
	v_cmp_neq_f32_e64 s[6:7], v4, v1
	;; [unrolled: 1-line block ×15, first 2 shown]
	ds_write_b32 v21, v2
	s_cbranch_vccz .LBB108_55
; %bb.52:
	s_waitcnt lgkmcnt(0)
	s_barrier
                                        ; implicit-def: $sgpr50_sgpr51
	s_and_saveexec_b64 s[54:55], s[2:3]
	s_xor_b64 s[54:55], exec, s[54:55]
	s_cbranch_execz .LBB108_54
; %bb.53:
	v_add_u32_e32 v17, -4, v21
	ds_read_b32 v17, v17
	s_or_b64 s[52:53], s[52:53], exec
	s_waitcnt lgkmcnt(0)
	v_cmp_neq_f32_e64 s[50:51], v17, v15
.LBB108_54:
	s_or_b64 exec, exec, s[54:55]
	v_cndmask_b32_e64 v17, 0, 1, s[4:5]
	v_cndmask_b32_e64 v54, 0, 1, s[6:7]
	;; [unrolled: 1-line block ×15, first 2 shown]
	s_branch .LBB108_59
.LBB108_55:
                                        ; implicit-def: $sgpr50_sgpr51
                                        ; implicit-def: $vgpr17
                                        ; implicit-def: $vgpr54
                                        ; implicit-def: $vgpr55
                                        ; implicit-def: $vgpr56
                                        ; implicit-def: $vgpr57
                                        ; implicit-def: $vgpr58
                                        ; implicit-def: $vgpr59
                                        ; implicit-def: $vgpr60
                                        ; implicit-def: $vgpr61
                                        ; implicit-def: $vgpr67
                                        ; implicit-def: $vgpr66
                                        ; implicit-def: $vgpr65
                                        ; implicit-def: $vgpr64
                                        ; implicit-def: $vgpr63
                                        ; implicit-def: $vgpr62
	s_cbranch_execz .LBB108_59
; %bb.56:
	v_or_b32_e32 v17, 15, v20
	v_cmp_gt_u32_e32 vcc, s56, v17
	v_cmp_neq_f32_e64 s[4:5], v1, v2
	v_or_b32_e32 v17, 14, v20
	s_and_b64 s[6:7], vcc, s[4:5]
	v_cmp_gt_u32_e32 vcc, s56, v17
	v_cmp_neq_f32_e64 s[4:5], v4, v1
	v_or_b32_e32 v17, 13, v20
	s_and_b64 s[8:9], vcc, s[4:5]
	;; [unrolled: 4-line block ×14, first 2 shown]
	v_cmp_gt_u32_e32 vcc, s56, v17
	v_cmp_neq_f32_e64 s[4:5], v15, v16
	s_and_b64 s[4:5], vcc, s[4:5]
	s_waitcnt lgkmcnt(0)
	s_barrier
                                        ; implicit-def: $sgpr50_sgpr51
	s_and_saveexec_b64 s[54:55], s[2:3]
	s_cbranch_execz .LBB108_58
; %bb.57:
	v_add_u32_e32 v17, -4, v21
	ds_read_b32 v17, v17
	v_cmp_gt_u32_e32 vcc, s56, v20
	s_or_b64 s[52:53], s[52:53], exec
	s_waitcnt lgkmcnt(0)
	v_cmp_neq_f32_e64 s[2:3], v17, v15
	s_and_b64 s[50:51], vcc, s[2:3]
.LBB108_58:
	s_or_b64 exec, exec, s[54:55]
	v_cndmask_b32_e64 v17, 0, 1, s[6:7]
	v_cndmask_b32_e64 v54, 0, 1, s[8:9]
	;; [unrolled: 1-line block ×15, first 2 shown]
.LBB108_59:
	v_mov_b32_e32 v31, 1
	s_and_saveexec_b64 s[2:3], s[52:53]
; %bb.60:
	v_cndmask_b32_e64 v31, 0, 1, s[50:51]
; %bb.61:
	s_or_b64 exec, exec, s[2:3]
	s_andn2_b64 vcc, exec, s[46:47]
	s_cbranch_vccnz .LBB108_63
; %bb.62:
	v_cmp_gt_u32_e32 vcc, s56, v20
	s_waitcnt vmcnt(0) lgkmcnt(0)
	v_or_b32_e32 v21, 1, v20
	v_cndmask_b32_e32 v31, 0, v31, vcc
	v_cmp_gt_u32_e32 vcc, s56, v21
	v_or_b32_e32 v21, 2, v20
	v_cndmask_b32_e32 v67, 0, v67, vcc
	v_cmp_gt_u32_e32 vcc, s56, v21
	;; [unrolled: 3-line block ×15, first 2 shown]
	v_cndmask_b32_e32 v17, 0, v17, vcc
.LBB108_63:
	v_and_b32_e32 v40, 0xff, v65
	v_and_b32_e32 v42, 0xff, v64
	s_waitcnt vmcnt(0) lgkmcnt(0)
	v_add_u32_sdwa v21, v63, v62 dst_sel:DWORD dst_unused:UNUSED_PAD src0_sel:BYTE_0 src1_sel:BYTE_0
	v_and_b32_e32 v36, 0xff, v67
	v_and_b32_e32 v38, 0xff, v66
	v_add3_u32 v21, v21, v42, v40
	v_and_b32_e32 v34, 0xffff, v31
	v_and_b32_e32 v30, 0xff, v61
	v_add3_u32 v21, v21, v38, v36
	;; [unrolled: 3-line block ×6, first 2 shown]
	v_add3_u32 v47, v21, v43, v20
	v_mbcnt_lo_u32_b32 v20, -1, 0
	v_mbcnt_hi_u32_b32 v44, -1, v20
	v_and_b32_e32 v20, 15, v44
	v_cmp_eq_u32_e64 s[14:15], 0, v20
	v_cmp_lt_u32_e64 s[12:13], 1, v20
	v_cmp_lt_u32_e64 s[10:11], 3, v20
	;; [unrolled: 1-line block ×3, first 2 shown]
	v_and_b32_e32 v20, 16, v44
	v_cmp_eq_u32_e64 s[6:7], 0, v20
	v_or_b32_e32 v20, 63, v0
	v_cmp_lt_u32_e64 s[2:3], 31, v44
	v_lshrrev_b32_e32 v45, 6, v0
	v_cmp_eq_u32_e64 s[4:5], v0, v20
	s_and_b64 vcc, exec, s[48:49]
	s_barrier
	s_cbranch_vccz .LBB108_85
; %bb.64:
	v_mov_b32_dpp v20, v47 row_shr:1 row_mask:0xf bank_mask:0xf
	v_cndmask_b32_e64 v20, v20, 0, s[14:15]
	v_add_u32_e32 v20, v20, v47
	s_nop 1
	v_mov_b32_dpp v21, v20 row_shr:2 row_mask:0xf bank_mask:0xf
	v_cndmask_b32_e64 v21, 0, v21, s[12:13]
	v_add_u32_e32 v20, v20, v21
	s_nop 1
	;; [unrolled: 4-line block ×4, first 2 shown]
	v_mov_b32_dpp v21, v20 row_bcast:15 row_mask:0xf bank_mask:0xf
	v_cndmask_b32_e64 v21, v21, 0, s[6:7]
	v_add_u32_e32 v20, v20, v21
	s_nop 1
	v_mov_b32_dpp v21, v20 row_bcast:31 row_mask:0xf bank_mask:0xf
	v_cndmask_b32_e64 v21, 0, v21, s[2:3]
	v_add_u32_e32 v20, v20, v21
	s_and_saveexec_b64 s[16:17], s[4:5]
; %bb.65:
	v_lshlrev_b32_e32 v21, 2, v45
	ds_write_b32 v21, v20
; %bb.66:
	s_or_b64 exec, exec, s[16:17]
	v_cmp_gt_u32_e32 vcc, 4, v0
	s_waitcnt lgkmcnt(0)
	s_barrier
	s_and_saveexec_b64 s[16:17], vcc
	s_cbranch_execz .LBB108_68
; %bb.67:
	v_lshlrev_b32_e32 v21, 2, v0
	ds_read_b32 v22, v21
	v_and_b32_e32 v23, 3, v44
	v_cmp_ne_u32_e32 vcc, 0, v23
	s_waitcnt lgkmcnt(0)
	v_mov_b32_dpp v24, v22 row_shr:1 row_mask:0xf bank_mask:0xf
	v_cndmask_b32_e32 v24, 0, v24, vcc
	v_add_u32_e32 v22, v24, v22
	v_cmp_lt_u32_e32 vcc, 1, v23
	s_nop 0
	v_mov_b32_dpp v24, v22 row_shr:2 row_mask:0xf bank_mask:0xf
	v_cndmask_b32_e32 v23, 0, v24, vcc
	v_add_u32_e32 v22, v22, v23
	ds_write_b32 v21, v22
.LBB108_68:
	s_or_b64 exec, exec, s[16:17]
	v_cmp_gt_u32_e32 vcc, 64, v0
	v_cmp_lt_u32_e64 s[16:17], 63, v0
	s_waitcnt lgkmcnt(0)
	s_barrier
                                        ; implicit-def: $vgpr46
	s_and_saveexec_b64 s[18:19], s[16:17]
	s_cbranch_execz .LBB108_70
; %bb.69:
	v_lshl_add_u32 v21, v45, 2, -4
	ds_read_b32 v46, v21
	s_waitcnt lgkmcnt(0)
	v_add_u32_e32 v20, v46, v20
.LBB108_70:
	s_or_b64 exec, exec, s[18:19]
	v_subrev_co_u32_e64 v21, s[16:17], 1, v44
	v_and_b32_e32 v22, 64, v44
	v_cmp_lt_i32_e64 s[18:19], v21, v22
	v_cndmask_b32_e64 v21, v21, v44, s[18:19]
	v_lshlrev_b32_e32 v21, 2, v21
	ds_bpermute_b32 v48, v21, v20
	s_and_saveexec_b64 s[18:19], vcc
	s_cbranch_execz .LBB108_90
; %bb.71:
	v_mov_b32_e32 v26, 0
	ds_read_b32 v20, v26 offset:12
	s_and_saveexec_b64 s[20:21], s[16:17]
	s_cbranch_execz .LBB108_73
; %bb.72:
	s_add_i32 s22, s33, 64
	s_mov_b32 s23, 0
	s_lshl_b64 s[22:23], s[22:23], 3
	s_add_u32 s22, s44, s22
	v_mov_b32_e32 v21, 1
	s_addc_u32 s23, s45, s23
	s_waitcnt lgkmcnt(0)
	global_store_dwordx2 v26, v[20:21], s[22:23]
.LBB108_73:
	s_or_b64 exec, exec, s[20:21]
	v_xad_u32 v22, v44, -1, s33
	v_add_u32_e32 v25, 64, v22
	v_lshlrev_b64 v[23:24], 3, v[25:26]
	v_mov_b32_e32 v21, s45
	v_add_co_u32_e32 v27, vcc, s44, v23
	v_addc_co_u32_e32 v28, vcc, v21, v24, vcc
	global_load_dwordx2 v[24:25], v[27:28], off glc
	s_waitcnt vmcnt(0)
	v_cmp_eq_u16_sdwa s[22:23], v25, v26 src0_sel:BYTE_0 src1_sel:DWORD
	s_and_saveexec_b64 s[20:21], s[22:23]
	s_cbranch_execz .LBB108_77
; %bb.74:
	s_mov_b64 s[22:23], 0
	v_mov_b32_e32 v21, 0
.LBB108_75:                             ; =>This Inner Loop Header: Depth=1
	global_load_dwordx2 v[24:25], v[27:28], off glc
	s_waitcnt vmcnt(0)
	v_cmp_ne_u16_sdwa s[24:25], v25, v21 src0_sel:BYTE_0 src1_sel:DWORD
	s_or_b64 s[22:23], s[24:25], s[22:23]
	s_andn2_b64 exec, exec, s[22:23]
	s_cbranch_execnz .LBB108_75
; %bb.76:
	s_or_b64 exec, exec, s[22:23]
.LBB108_77:
	s_or_b64 exec, exec, s[20:21]
	v_and_b32_e32 v50, 63, v44
	v_mov_b32_e32 v49, 2
	v_lshlrev_b64 v[26:27], v44, -1
	v_cmp_ne_u32_e32 vcc, 63, v50
	v_cmp_eq_u16_sdwa s[20:21], v25, v49 src0_sel:BYTE_0 src1_sel:DWORD
	v_addc_co_u32_e32 v28, vcc, 0, v44, vcc
	v_and_b32_e32 v21, s21, v27
	v_lshlrev_b32_e32 v51, 2, v28
	v_or_b32_e32 v21, 0x80000000, v21
	ds_bpermute_b32 v28, v51, v24
	v_and_b32_e32 v23, s20, v26
	v_ffbl_b32_e32 v21, v21
	v_add_u32_e32 v21, 32, v21
	v_ffbl_b32_e32 v23, v23
	v_min_u32_e32 v21, v23, v21
	v_cmp_lt_u32_e32 vcc, v50, v21
	s_waitcnt lgkmcnt(0)
	v_cndmask_b32_e32 v23, 0, v28, vcc
	v_cmp_gt_u32_e32 vcc, 62, v50
	v_add_u32_e32 v23, v23, v24
	v_cndmask_b32_e64 v24, 0, 2, vcc
	v_add_lshl_u32 v52, v24, v44, 2
	ds_bpermute_b32 v24, v52, v23
	v_add_u32_e32 v53, 2, v50
	v_cmp_le_u32_e32 vcc, v53, v21
	v_add_u32_e32 v69, 4, v50
	v_add_u32_e32 v71, 8, v50
	s_waitcnt lgkmcnt(0)
	v_cndmask_b32_e32 v24, 0, v24, vcc
	v_cmp_gt_u32_e32 vcc, 60, v50
	v_add_u32_e32 v23, v23, v24
	v_cndmask_b32_e64 v24, 0, 4, vcc
	v_add_lshl_u32 v68, v24, v44, 2
	ds_bpermute_b32 v24, v68, v23
	v_cmp_le_u32_e32 vcc, v69, v21
	v_add_u32_e32 v73, 16, v50
	v_add_u32_e32 v75, 32, v50
	s_waitcnt lgkmcnt(0)
	v_cndmask_b32_e32 v24, 0, v24, vcc
	v_cmp_gt_u32_e32 vcc, 56, v50
	v_add_u32_e32 v23, v23, v24
	v_cndmask_b32_e64 v24, 0, 8, vcc
	v_add_lshl_u32 v70, v24, v44, 2
	ds_bpermute_b32 v24, v70, v23
	v_cmp_le_u32_e32 vcc, v71, v21
	s_waitcnt lgkmcnt(0)
	v_cndmask_b32_e32 v24, 0, v24, vcc
	v_cmp_gt_u32_e32 vcc, 48, v50
	v_add_u32_e32 v23, v23, v24
	v_cndmask_b32_e64 v24, 0, 16, vcc
	v_add_lshl_u32 v72, v24, v44, 2
	ds_bpermute_b32 v24, v72, v23
	v_cmp_le_u32_e32 vcc, v73, v21
	s_waitcnt lgkmcnt(0)
	v_cndmask_b32_e32 v24, 0, v24, vcc
	v_add_u32_e32 v23, v23, v24
	v_mov_b32_e32 v24, 0x80
	v_lshl_or_b32 v74, v44, 2, v24
	ds_bpermute_b32 v24, v74, v23
	v_cmp_le_u32_e32 vcc, v75, v21
	s_waitcnt lgkmcnt(0)
	v_cndmask_b32_e32 v21, 0, v24, vcc
	v_add_u32_e32 v24, v23, v21
	v_mov_b32_e32 v23, 0
	s_branch .LBB108_80
.LBB108_78:                             ;   in Loop: Header=BB108_80 Depth=1
	s_or_b64 exec, exec, s[20:21]
	v_cmp_eq_u16_sdwa s[20:21], v25, v49 src0_sel:BYTE_0 src1_sel:DWORD
	v_and_b32_e32 v28, s21, v27
	v_or_b32_e32 v28, 0x80000000, v28
	ds_bpermute_b32 v76, v51, v24
	v_and_b32_e32 v29, s20, v26
	v_ffbl_b32_e32 v28, v28
	v_add_u32_e32 v28, 32, v28
	v_ffbl_b32_e32 v29, v29
	v_min_u32_e32 v28, v29, v28
	v_cmp_lt_u32_e32 vcc, v50, v28
	s_waitcnt lgkmcnt(0)
	v_cndmask_b32_e32 v29, 0, v76, vcc
	v_add_u32_e32 v24, v29, v24
	ds_bpermute_b32 v29, v52, v24
	v_cmp_le_u32_e32 vcc, v53, v28
	v_subrev_u32_e32 v22, 64, v22
	s_mov_b64 s[20:21], 0
	s_waitcnt lgkmcnt(0)
	v_cndmask_b32_e32 v29, 0, v29, vcc
	v_add_u32_e32 v24, v24, v29
	ds_bpermute_b32 v29, v68, v24
	v_cmp_le_u32_e32 vcc, v69, v28
	s_waitcnt lgkmcnt(0)
	v_cndmask_b32_e32 v29, 0, v29, vcc
	v_add_u32_e32 v24, v24, v29
	ds_bpermute_b32 v29, v70, v24
	v_cmp_le_u32_e32 vcc, v71, v28
	;; [unrolled: 5-line block ×4, first 2 shown]
	s_waitcnt lgkmcnt(0)
	v_cndmask_b32_e32 v28, 0, v29, vcc
	v_add3_u32 v24, v28, v21, v24
.LBB108_79:                             ;   in Loop: Header=BB108_80 Depth=1
	s_and_b64 vcc, exec, s[20:21]
	s_cbranch_vccnz .LBB108_86
.LBB108_80:                             ; =>This Loop Header: Depth=1
                                        ;     Child Loop BB108_83 Depth 2
	v_cmp_ne_u16_sdwa s[20:21], v25, v49 src0_sel:BYTE_0 src1_sel:DWORD
	v_mov_b32_e32 v21, v24
	s_cmp_lg_u64 s[20:21], exec
	s_mov_b64 s[20:21], -1
                                        ; implicit-def: $vgpr24
                                        ; implicit-def: $vgpr25
	s_cbranch_scc1 .LBB108_79
; %bb.81:                               ;   in Loop: Header=BB108_80 Depth=1
	v_lshlrev_b64 v[24:25], 3, v[22:23]
	v_mov_b32_e32 v29, s45
	v_add_co_u32_e32 v28, vcc, s44, v24
	v_addc_co_u32_e32 v29, vcc, v29, v25, vcc
	global_load_dwordx2 v[24:25], v[28:29], off glc
	s_waitcnt vmcnt(0)
	v_cmp_eq_u16_sdwa s[22:23], v25, v23 src0_sel:BYTE_0 src1_sel:DWORD
	s_and_saveexec_b64 s[20:21], s[22:23]
	s_cbranch_execz .LBB108_78
; %bb.82:                               ;   in Loop: Header=BB108_80 Depth=1
	s_mov_b64 s[22:23], 0
.LBB108_83:                             ;   Parent Loop BB108_80 Depth=1
                                        ; =>  This Inner Loop Header: Depth=2
	global_load_dwordx2 v[24:25], v[28:29], off glc
	s_waitcnt vmcnt(0)
	v_cmp_ne_u16_sdwa s[24:25], v25, v23 src0_sel:BYTE_0 src1_sel:DWORD
	s_or_b64 s[22:23], s[24:25], s[22:23]
	s_andn2_b64 exec, exec, s[22:23]
	s_cbranch_execnz .LBB108_83
; %bb.84:                               ;   in Loop: Header=BB108_80 Depth=1
	s_or_b64 exec, exec, s[22:23]
	s_branch .LBB108_78
.LBB108_85:
                                        ; implicit-def: $vgpr21
                                        ; implicit-def: $vgpr46
	s_cbranch_execnz .LBB108_91
	s_branch .LBB108_100
.LBB108_86:
	s_and_saveexec_b64 s[20:21], s[16:17]
	s_cbranch_execz .LBB108_88
; %bb.87:
	s_add_i32 s22, s33, 64
	s_mov_b32 s23, 0
	s_lshl_b64 s[22:23], s[22:23], 3
	s_add_u32 s22, s44, s22
	v_add_u32_e32 v22, v21, v20
	v_mov_b32_e32 v23, 2
	s_addc_u32 s23, s45, s23
	v_mov_b32_e32 v24, 0
	global_store_dwordx2 v24, v[22:23], s[22:23]
	ds_write_b64 v24, v[20:21] offset:16896
.LBB108_88:
	s_or_b64 exec, exec, s[20:21]
	s_and_b64 exec, exec, s[0:1]
; %bb.89:
	v_mov_b32_e32 v20, 0
	ds_write_b32 v20, v21 offset:12
.LBB108_90:
	s_or_b64 exec, exec, s[18:19]
	v_mov_b32_e32 v20, 0
	s_waitcnt vmcnt(0) lgkmcnt(0)
	s_barrier
	ds_read_b32 v22, v20 offset:12
	s_waitcnt lgkmcnt(0)
	s_barrier
	ds_read_b64 v[20:21], v20 offset:16896
	v_cndmask_b32_e64 v23, v48, v46, s[16:17]
	v_cndmask_b32_e64 v23, v23, 0, s[0:1]
	v_add_u32_e32 v46, v22, v23
	s_branch .LBB108_100
.LBB108_91:
	s_waitcnt lgkmcnt(0)
	v_mov_b32_dpp v20, v47 row_shr:1 row_mask:0xf bank_mask:0xf
	v_cndmask_b32_e64 v20, v20, 0, s[14:15]
	v_add_u32_e32 v20, v20, v47
	s_nop 1
	v_mov_b32_dpp v21, v20 row_shr:2 row_mask:0xf bank_mask:0xf
	v_cndmask_b32_e64 v21, 0, v21, s[12:13]
	v_add_u32_e32 v20, v20, v21
	s_nop 1
	;; [unrolled: 4-line block ×4, first 2 shown]
	v_mov_b32_dpp v21, v20 row_bcast:15 row_mask:0xf bank_mask:0xf
	v_cndmask_b32_e64 v21, v21, 0, s[6:7]
	v_add_u32_e32 v20, v20, v21
	s_nop 1
	v_mov_b32_dpp v21, v20 row_bcast:31 row_mask:0xf bank_mask:0xf
	v_cndmask_b32_e64 v21, 0, v21, s[2:3]
	v_add_u32_e32 v20, v20, v21
	s_and_saveexec_b64 s[2:3], s[4:5]
; %bb.92:
	v_lshlrev_b32_e32 v21, 2, v45
	ds_write_b32 v21, v20
; %bb.93:
	s_or_b64 exec, exec, s[2:3]
	v_cmp_gt_u32_e32 vcc, 4, v0
	s_waitcnt lgkmcnt(0)
	s_barrier
	s_and_saveexec_b64 s[2:3], vcc
	s_cbranch_execz .LBB108_95
; %bb.94:
	v_lshlrev_b32_e32 v21, 2, v0
	ds_read_b32 v22, v21
	v_and_b32_e32 v23, 3, v44
	v_cmp_ne_u32_e32 vcc, 0, v23
	s_waitcnt lgkmcnt(0)
	v_mov_b32_dpp v24, v22 row_shr:1 row_mask:0xf bank_mask:0xf
	v_cndmask_b32_e32 v24, 0, v24, vcc
	v_add_u32_e32 v22, v24, v22
	v_cmp_lt_u32_e32 vcc, 1, v23
	s_nop 0
	v_mov_b32_dpp v24, v22 row_shr:2 row_mask:0xf bank_mask:0xf
	v_cndmask_b32_e32 v23, 0, v24, vcc
	v_add_u32_e32 v22, v22, v23
	ds_write_b32 v21, v22
.LBB108_95:
	s_or_b64 exec, exec, s[2:3]
	v_cmp_lt_u32_e32 vcc, 63, v0
	v_mov_b32_e32 v21, 0
	v_mov_b32_e32 v22, 0
	s_waitcnt lgkmcnt(0)
	s_barrier
	s_and_saveexec_b64 s[2:3], vcc
; %bb.96:
	v_lshl_add_u32 v22, v45, 2, -4
	ds_read_b32 v22, v22
; %bb.97:
	s_or_b64 exec, exec, s[2:3]
	v_subrev_co_u32_e32 v23, vcc, 1, v44
	v_and_b32_e32 v24, 64, v44
	v_cmp_lt_i32_e64 s[2:3], v23, v24
	v_cndmask_b32_e64 v23, v23, v44, s[2:3]
	s_waitcnt lgkmcnt(0)
	v_add_u32_e32 v20, v22, v20
	v_lshlrev_b32_e32 v23, 2, v23
	ds_bpermute_b32 v23, v23, v20
	ds_read_b32 v20, v21 offset:12
	s_and_saveexec_b64 s[2:3], s[0:1]
	s_cbranch_execz .LBB108_99
; %bb.98:
	v_mov_b32_e32 v24, 0
	v_mov_b32_e32 v21, 2
	s_waitcnt lgkmcnt(0)
	global_store_dwordx2 v24, v[20:21], s[44:45] offset:512
.LBB108_99:
	s_or_b64 exec, exec, s[2:3]
	s_waitcnt lgkmcnt(1)
	v_cndmask_b32_e32 v21, v23, v22, vcc
	v_cndmask_b32_e64 v46, v21, 0, s[0:1]
	s_waitcnt vmcnt(0) lgkmcnt(0)
	s_barrier
	v_mov_b32_e32 v21, 0
.LBB108_100:
	v_add_u32_e32 v52, v46, v34
	v_add_u32_e32 v50, v52, v36
	;; [unrolled: 1-line block ×5, first 2 shown]
	v_add_u32_sdwa v40, v42, v63 dst_sel:DWORD dst_unused:UNUSED_PAD src0_sel:DWORD src1_sel:BYTE_0
	v_add_u32_sdwa v38, v40, v62 dst_sel:DWORD dst_unused:UNUSED_PAD src0_sel:DWORD src1_sel:BYTE_0
	v_add_u32_e32 v36, v38, v30
	v_add_u32_e32 v34, v36, v32
	;; [unrolled: 1-line block ×6, first 2 shown]
	s_movk_i32 s4, 0x101
	v_add_u32_e32 v24, v26, v41
	s_waitcnt lgkmcnt(0)
	v_cmp_gt_u32_e32 vcc, s4, v20
	v_add_u32_e32 v22, v24, v43
	s_mov_b64 s[2:3], -1
	v_and_b32_e32 v68, 1, v31
	s_cbranch_vccnz .LBB108_104
; %bb.101:
	s_and_b64 vcc, exec, s[2:3]
	s_cbranch_vccnz .LBB108_137
.LBB108_102:
	s_and_b64 s[0:1], s[0:1], s[38:39]
	s_and_saveexec_b64 s[2:3], s[0:1]
	s_cbranch_execnz .LBB108_173
.LBB108_103:
	s_endpgm
.LBB108_104:
	v_lshlrev_b64 v[69:70], 2, v[18:19]
	v_mov_b32_e32 v25, s41
	v_add_co_u32_e32 v69, vcc, s40, v69
	v_add_u32_e32 v23, v21, v20
	v_addc_co_u32_e32 v70, vcc, v25, v70, vcc
	v_cmp_lt_u32_e32 vcc, v46, v23
	s_or_b64 s[2:3], s[42:43], vcc
	v_cmp_eq_u32_e32 vcc, 1, v68
	s_and_b64 s[4:5], s[2:3], vcc
	s_and_saveexec_b64 s[2:3], s[4:5]
	s_cbranch_execz .LBB108_106
; %bb.105:
	v_mov_b32_e32 v47, 0
	v_lshlrev_b64 v[71:72], 2, v[46:47]
	v_add_co_u32_e32 v71, vcc, v69, v71
	v_addc_co_u32_e32 v72, vcc, v70, v72, vcc
	global_store_dword v[71:72], v15, off
.LBB108_106:
	s_or_b64 exec, exec, s[2:3]
	v_cmp_lt_u32_e32 vcc, v52, v23
	v_and_b32_e32 v25, 1, v67
	s_or_b64 s[2:3], s[42:43], vcc
	v_cmp_eq_u32_e32 vcc, 1, v25
	s_and_b64 s[4:5], s[2:3], vcc
	s_and_saveexec_b64 s[2:3], s[4:5]
	s_cbranch_execz .LBB108_108
; %bb.107:
	v_mov_b32_e32 v53, 0
	v_lshlrev_b64 v[71:72], 2, v[52:53]
	v_add_co_u32_e32 v71, vcc, v69, v71
	v_addc_co_u32_e32 v72, vcc, v70, v72, vcc
	global_store_dword v[71:72], v16, off
.LBB108_108:
	s_or_b64 exec, exec, s[2:3]
	v_cmp_lt_u32_e32 vcc, v50, v23
	v_and_b32_e32 v25, 1, v66
	;; [unrolled: 15-line block ×15, first 2 shown]
	s_or_b64 s[2:3], s[42:43], vcc
	v_cmp_eq_u32_e32 vcc, 1, v23
	s_and_b64 s[4:5], s[2:3], vcc
	s_and_saveexec_b64 s[2:3], s[4:5]
	s_cbranch_execz .LBB108_136
; %bb.135:
	v_mov_b32_e32 v23, 0
	v_lshlrev_b64 v[71:72], 2, v[22:23]
	v_add_co_u32_e32 v69, vcc, v69, v71
	v_addc_co_u32_e32 v70, vcc, v70, v72, vcc
	global_store_dword v[69:70], v2, off
.LBB108_136:
	s_or_b64 exec, exec, s[2:3]
	s_branch .LBB108_102
.LBB108_137:
	v_cmp_eq_u32_e32 vcc, 1, v68
	s_and_saveexec_b64 s[2:3], vcc
; %bb.138:
	v_sub_u32_e32 v23, v46, v21
	v_lshlrev_b32_e32 v23, 2, v23
	ds_write_b32 v23, v15
; %bb.139:
	s_or_b64 exec, exec, s[2:3]
	v_and_b32_e32 v15, 1, v67
	v_cmp_eq_u32_e32 vcc, 1, v15
	s_and_saveexec_b64 s[2:3], vcc
; %bb.140:
	v_sub_u32_e32 v15, v52, v21
	v_lshlrev_b32_e32 v15, 2, v15
	ds_write_b32 v15, v16
; %bb.141:
	s_or_b64 exec, exec, s[2:3]
	v_and_b32_e32 v15, 1, v66
	v_cmp_eq_u32_e32 vcc, 1, v15
	s_and_saveexec_b64 s[2:3], vcc
; %bb.142:
	v_sub_u32_e32 v15, v50, v21
	v_lshlrev_b32_e32 v15, 2, v15
	ds_write_b32 v15, v13
; %bb.143:
	s_or_b64 exec, exec, s[2:3]
	v_and_b32_e32 v13, 1, v65
	v_cmp_eq_u32_e32 vcc, 1, v13
	s_and_saveexec_b64 s[2:3], vcc
; %bb.144:
	v_sub_u32_e32 v13, v48, v21
	v_lshlrev_b32_e32 v13, 2, v13
	ds_write_b32 v13, v14
; %bb.145:
	s_or_b64 exec, exec, s[2:3]
	v_and_b32_e32 v13, 1, v64
	v_cmp_eq_u32_e32 vcc, 1, v13
	s_and_saveexec_b64 s[2:3], vcc
; %bb.146:
	v_sub_u32_e32 v13, v44, v21
	v_lshlrev_b32_e32 v13, 2, v13
	ds_write_b32 v13, v11
; %bb.147:
	s_or_b64 exec, exec, s[2:3]
	v_and_b32_e32 v11, 1, v63
	v_cmp_eq_u32_e32 vcc, 1, v11
	s_and_saveexec_b64 s[2:3], vcc
; %bb.148:
	v_sub_u32_e32 v11, v42, v21
	v_lshlrev_b32_e32 v11, 2, v11
	ds_write_b32 v11, v12
; %bb.149:
	s_or_b64 exec, exec, s[2:3]
	v_and_b32_e32 v11, 1, v62
	v_cmp_eq_u32_e32 vcc, 1, v11
	s_and_saveexec_b64 s[2:3], vcc
; %bb.150:
	v_sub_u32_e32 v11, v40, v21
	v_lshlrev_b32_e32 v11, 2, v11
	ds_write_b32 v11, v9
; %bb.151:
	s_or_b64 exec, exec, s[2:3]
	v_and_b32_e32 v9, 1, v61
	v_cmp_eq_u32_e32 vcc, 1, v9
	s_and_saveexec_b64 s[2:3], vcc
; %bb.152:
	v_sub_u32_e32 v9, v38, v21
	v_lshlrev_b32_e32 v9, 2, v9
	ds_write_b32 v9, v10
; %bb.153:
	s_or_b64 exec, exec, s[2:3]
	v_and_b32_e32 v9, 1, v60
	v_cmp_eq_u32_e32 vcc, 1, v9
	s_and_saveexec_b64 s[2:3], vcc
; %bb.154:
	v_sub_u32_e32 v9, v36, v21
	v_lshlrev_b32_e32 v9, 2, v9
	ds_write_b32 v9, v7
; %bb.155:
	s_or_b64 exec, exec, s[2:3]
	v_and_b32_e32 v7, 1, v59
	v_cmp_eq_u32_e32 vcc, 1, v7
	s_and_saveexec_b64 s[2:3], vcc
; %bb.156:
	v_sub_u32_e32 v7, v34, v21
	v_lshlrev_b32_e32 v7, 2, v7
	ds_write_b32 v7, v8
; %bb.157:
	s_or_b64 exec, exec, s[2:3]
	v_and_b32_e32 v7, 1, v58
	v_cmp_eq_u32_e32 vcc, 1, v7
	s_and_saveexec_b64 s[2:3], vcc
; %bb.158:
	v_sub_u32_e32 v7, v32, v21
	v_lshlrev_b32_e32 v7, 2, v7
	ds_write_b32 v7, v5
; %bb.159:
	s_or_b64 exec, exec, s[2:3]
	v_and_b32_e32 v5, 1, v57
	v_cmp_eq_u32_e32 vcc, 1, v5
	s_and_saveexec_b64 s[2:3], vcc
; %bb.160:
	v_sub_u32_e32 v5, v30, v21
	v_lshlrev_b32_e32 v5, 2, v5
	ds_write_b32 v5, v6
; %bb.161:
	s_or_b64 exec, exec, s[2:3]
	v_and_b32_e32 v5, 1, v56
	v_cmp_eq_u32_e32 vcc, 1, v5
	s_and_saveexec_b64 s[2:3], vcc
; %bb.162:
	v_sub_u32_e32 v5, v28, v21
	v_lshlrev_b32_e32 v5, 2, v5
	ds_write_b32 v5, v3
; %bb.163:
	s_or_b64 exec, exec, s[2:3]
	v_and_b32_e32 v3, 1, v55
	v_cmp_eq_u32_e32 vcc, 1, v3
	s_and_saveexec_b64 s[2:3], vcc
; %bb.164:
	v_sub_u32_e32 v3, v26, v21
	v_lshlrev_b32_e32 v3, 2, v3
	ds_write_b32 v3, v4
; %bb.165:
	s_or_b64 exec, exec, s[2:3]
	v_and_b32_e32 v3, 1, v54
	v_cmp_eq_u32_e32 vcc, 1, v3
	s_and_saveexec_b64 s[2:3], vcc
; %bb.166:
	v_sub_u32_e32 v3, v24, v21
	v_lshlrev_b32_e32 v3, 2, v3
	ds_write_b32 v3, v1
; %bb.167:
	s_or_b64 exec, exec, s[2:3]
	v_and_b32_e32 v1, 1, v17
	v_cmp_eq_u32_e32 vcc, 1, v1
	s_and_saveexec_b64 s[2:3], vcc
; %bb.168:
	v_sub_u32_e32 v1, v22, v21
	v_lshlrev_b32_e32 v1, 2, v1
	ds_write_b32 v1, v2
; %bb.169:
	s_or_b64 exec, exec, s[2:3]
	v_cmp_lt_u32_e32 vcc, v0, v20
	s_waitcnt vmcnt(0) lgkmcnt(0)
	s_barrier
	s_and_saveexec_b64 s[4:5], vcc
	s_cbranch_execz .LBB108_172
; %bb.170:
	v_mov_b32_e32 v1, 0
	v_lshlrev_b64 v[4:5], 2, v[18:19]
	v_mov_b32_e32 v2, v21
	v_mov_b32_e32 v3, v1
	;; [unrolled: 1-line block ×3, first 2 shown]
	v_add_co_u32_e32 v4, vcc, s40, v4
	v_lshlrev_b64 v[2:3], 2, v[2:3]
	v_addc_co_u32_e32 v5, vcc, v6, v5, vcc
	v_add_co_u32_e32 v2, vcc, v4, v2
	v_addc_co_u32_e32 v3, vcc, v5, v3, vcc
	v_lshlrev_b32_e32 v4, 2, v0
	s_mov_b64 s[6:7], 0
.LBB108_171:                            ; =>This Inner Loop Header: Depth=1
	ds_read_b32 v7, v4
	v_lshlrev_b64 v[5:6], 2, v[0:1]
	v_add_u32_e32 v0, 0x100, v0
	v_cmp_ge_u32_e32 vcc, v0, v20
	v_add_co_u32_e64 v5, s[2:3], v2, v5
	v_add_u32_e32 v4, 0x400, v4
	v_addc_co_u32_e64 v6, s[2:3], v3, v6, s[2:3]
	s_or_b64 s[6:7], vcc, s[6:7]
	s_waitcnt lgkmcnt(0)
	global_store_dword v[5:6], v7, off
	s_andn2_b64 exec, exec, s[6:7]
	s_cbranch_execnz .LBB108_171
.LBB108_172:
	s_or_b64 exec, exec, s[4:5]
	s_and_b64 s[0:1], s[0:1], s[38:39]
	s_and_saveexec_b64 s[2:3], s[0:1]
	s_cbranch_execz .LBB108_103
.LBB108_173:
	v_add_co_u32_e32 v0, vcc, v18, v20
	v_addc_co_u32_e32 v1, vcc, 0, v19, vcc
	v_add_co_u32_e32 v0, vcc, v0, v21
	v_mov_b32_e32 v2, 0
	v_addc_co_u32_e32 v1, vcc, 0, v1, vcc
	global_store_dwordx2 v2, v[0:1], s[36:37]
	s_endpgm
	.section	.rodata,"a",@progbits
	.p2align	6, 0x0
	.amdhsa_kernel _ZN7rocprim17ROCPRIM_400000_NS6detail17trampoline_kernelINS0_14default_configENS1_25partition_config_selectorILNS1_17partition_subalgoE8EfNS0_10empty_typeEbEEZZNS1_14partition_implILS5_8ELb0ES3_jN6thrust23THRUST_200600_302600_NS6detail15normal_iteratorINSA_10device_ptrIfEEEEPS6_PKS6_NS0_5tupleIJSF_S6_EEENSJ_IJSG_SG_EEENS0_18inequality_wrapperINSA_8equal_toIfEEEEPmJS6_EEE10hipError_tPvRmT3_T4_T5_T6_T7_T9_mT8_P12ihipStream_tbDpT10_ENKUlT_T0_E_clISt17integral_constantIbLb0EES19_IbLb1EEEEDaS15_S16_EUlS15_E_NS1_11comp_targetILNS1_3genE2ELNS1_11target_archE906ELNS1_3gpuE6ELNS1_3repE0EEENS1_30default_config_static_selectorELNS0_4arch9wavefront6targetE1EEEvT1_
		.amdhsa_group_segment_fixed_size 16904
		.amdhsa_private_segment_fixed_size 0
		.amdhsa_kernarg_size 128
		.amdhsa_user_sgpr_count 6
		.amdhsa_user_sgpr_private_segment_buffer 1
		.amdhsa_user_sgpr_dispatch_ptr 0
		.amdhsa_user_sgpr_queue_ptr 0
		.amdhsa_user_sgpr_kernarg_segment_ptr 1
		.amdhsa_user_sgpr_dispatch_id 0
		.amdhsa_user_sgpr_flat_scratch_init 0
		.amdhsa_user_sgpr_private_segment_size 0
		.amdhsa_uses_dynamic_stack 0
		.amdhsa_system_sgpr_private_segment_wavefront_offset 0
		.amdhsa_system_sgpr_workgroup_id_x 1
		.amdhsa_system_sgpr_workgroup_id_y 0
		.amdhsa_system_sgpr_workgroup_id_z 0
		.amdhsa_system_sgpr_workgroup_info 0
		.amdhsa_system_vgpr_workitem_id 0
		.amdhsa_next_free_vgpr 77
		.amdhsa_next_free_sgpr 98
		.amdhsa_reserve_vcc 1
		.amdhsa_reserve_flat_scratch 0
		.amdhsa_float_round_mode_32 0
		.amdhsa_float_round_mode_16_64 0
		.amdhsa_float_denorm_mode_32 3
		.amdhsa_float_denorm_mode_16_64 3
		.amdhsa_dx10_clamp 1
		.amdhsa_ieee_mode 1
		.amdhsa_fp16_overflow 0
		.amdhsa_exception_fp_ieee_invalid_op 0
		.amdhsa_exception_fp_denorm_src 0
		.amdhsa_exception_fp_ieee_div_zero 0
		.amdhsa_exception_fp_ieee_overflow 0
		.amdhsa_exception_fp_ieee_underflow 0
		.amdhsa_exception_fp_ieee_inexact 0
		.amdhsa_exception_int_div_zero 0
	.end_amdhsa_kernel
	.section	.text._ZN7rocprim17ROCPRIM_400000_NS6detail17trampoline_kernelINS0_14default_configENS1_25partition_config_selectorILNS1_17partition_subalgoE8EfNS0_10empty_typeEbEEZZNS1_14partition_implILS5_8ELb0ES3_jN6thrust23THRUST_200600_302600_NS6detail15normal_iteratorINSA_10device_ptrIfEEEEPS6_PKS6_NS0_5tupleIJSF_S6_EEENSJ_IJSG_SG_EEENS0_18inequality_wrapperINSA_8equal_toIfEEEEPmJS6_EEE10hipError_tPvRmT3_T4_T5_T6_T7_T9_mT8_P12ihipStream_tbDpT10_ENKUlT_T0_E_clISt17integral_constantIbLb0EES19_IbLb1EEEEDaS15_S16_EUlS15_E_NS1_11comp_targetILNS1_3genE2ELNS1_11target_archE906ELNS1_3gpuE6ELNS1_3repE0EEENS1_30default_config_static_selectorELNS0_4arch9wavefront6targetE1EEEvT1_,"axG",@progbits,_ZN7rocprim17ROCPRIM_400000_NS6detail17trampoline_kernelINS0_14default_configENS1_25partition_config_selectorILNS1_17partition_subalgoE8EfNS0_10empty_typeEbEEZZNS1_14partition_implILS5_8ELb0ES3_jN6thrust23THRUST_200600_302600_NS6detail15normal_iteratorINSA_10device_ptrIfEEEEPS6_PKS6_NS0_5tupleIJSF_S6_EEENSJ_IJSG_SG_EEENS0_18inequality_wrapperINSA_8equal_toIfEEEEPmJS6_EEE10hipError_tPvRmT3_T4_T5_T6_T7_T9_mT8_P12ihipStream_tbDpT10_ENKUlT_T0_E_clISt17integral_constantIbLb0EES19_IbLb1EEEEDaS15_S16_EUlS15_E_NS1_11comp_targetILNS1_3genE2ELNS1_11target_archE906ELNS1_3gpuE6ELNS1_3repE0EEENS1_30default_config_static_selectorELNS0_4arch9wavefront6targetE1EEEvT1_,comdat
.Lfunc_end108:
	.size	_ZN7rocprim17ROCPRIM_400000_NS6detail17trampoline_kernelINS0_14default_configENS1_25partition_config_selectorILNS1_17partition_subalgoE8EfNS0_10empty_typeEbEEZZNS1_14partition_implILS5_8ELb0ES3_jN6thrust23THRUST_200600_302600_NS6detail15normal_iteratorINSA_10device_ptrIfEEEEPS6_PKS6_NS0_5tupleIJSF_S6_EEENSJ_IJSG_SG_EEENS0_18inequality_wrapperINSA_8equal_toIfEEEEPmJS6_EEE10hipError_tPvRmT3_T4_T5_T6_T7_T9_mT8_P12ihipStream_tbDpT10_ENKUlT_T0_E_clISt17integral_constantIbLb0EES19_IbLb1EEEEDaS15_S16_EUlS15_E_NS1_11comp_targetILNS1_3genE2ELNS1_11target_archE906ELNS1_3gpuE6ELNS1_3repE0EEENS1_30default_config_static_selectorELNS0_4arch9wavefront6targetE1EEEvT1_, .Lfunc_end108-_ZN7rocprim17ROCPRIM_400000_NS6detail17trampoline_kernelINS0_14default_configENS1_25partition_config_selectorILNS1_17partition_subalgoE8EfNS0_10empty_typeEbEEZZNS1_14partition_implILS5_8ELb0ES3_jN6thrust23THRUST_200600_302600_NS6detail15normal_iteratorINSA_10device_ptrIfEEEEPS6_PKS6_NS0_5tupleIJSF_S6_EEENSJ_IJSG_SG_EEENS0_18inequality_wrapperINSA_8equal_toIfEEEEPmJS6_EEE10hipError_tPvRmT3_T4_T5_T6_T7_T9_mT8_P12ihipStream_tbDpT10_ENKUlT_T0_E_clISt17integral_constantIbLb0EES19_IbLb1EEEEDaS15_S16_EUlS15_E_NS1_11comp_targetILNS1_3genE2ELNS1_11target_archE906ELNS1_3gpuE6ELNS1_3repE0EEENS1_30default_config_static_selectorELNS0_4arch9wavefront6targetE1EEEvT1_
                                        ; -- End function
	.set _ZN7rocprim17ROCPRIM_400000_NS6detail17trampoline_kernelINS0_14default_configENS1_25partition_config_selectorILNS1_17partition_subalgoE8EfNS0_10empty_typeEbEEZZNS1_14partition_implILS5_8ELb0ES3_jN6thrust23THRUST_200600_302600_NS6detail15normal_iteratorINSA_10device_ptrIfEEEEPS6_PKS6_NS0_5tupleIJSF_S6_EEENSJ_IJSG_SG_EEENS0_18inequality_wrapperINSA_8equal_toIfEEEEPmJS6_EEE10hipError_tPvRmT3_T4_T5_T6_T7_T9_mT8_P12ihipStream_tbDpT10_ENKUlT_T0_E_clISt17integral_constantIbLb0EES19_IbLb1EEEEDaS15_S16_EUlS15_E_NS1_11comp_targetILNS1_3genE2ELNS1_11target_archE906ELNS1_3gpuE6ELNS1_3repE0EEENS1_30default_config_static_selectorELNS0_4arch9wavefront6targetE1EEEvT1_.num_vgpr, 77
	.set _ZN7rocprim17ROCPRIM_400000_NS6detail17trampoline_kernelINS0_14default_configENS1_25partition_config_selectorILNS1_17partition_subalgoE8EfNS0_10empty_typeEbEEZZNS1_14partition_implILS5_8ELb0ES3_jN6thrust23THRUST_200600_302600_NS6detail15normal_iteratorINSA_10device_ptrIfEEEEPS6_PKS6_NS0_5tupleIJSF_S6_EEENSJ_IJSG_SG_EEENS0_18inequality_wrapperINSA_8equal_toIfEEEEPmJS6_EEE10hipError_tPvRmT3_T4_T5_T6_T7_T9_mT8_P12ihipStream_tbDpT10_ENKUlT_T0_E_clISt17integral_constantIbLb0EES19_IbLb1EEEEDaS15_S16_EUlS15_E_NS1_11comp_targetILNS1_3genE2ELNS1_11target_archE906ELNS1_3gpuE6ELNS1_3repE0EEENS1_30default_config_static_selectorELNS0_4arch9wavefront6targetE1EEEvT1_.num_agpr, 0
	.set _ZN7rocprim17ROCPRIM_400000_NS6detail17trampoline_kernelINS0_14default_configENS1_25partition_config_selectorILNS1_17partition_subalgoE8EfNS0_10empty_typeEbEEZZNS1_14partition_implILS5_8ELb0ES3_jN6thrust23THRUST_200600_302600_NS6detail15normal_iteratorINSA_10device_ptrIfEEEEPS6_PKS6_NS0_5tupleIJSF_S6_EEENSJ_IJSG_SG_EEENS0_18inequality_wrapperINSA_8equal_toIfEEEEPmJS6_EEE10hipError_tPvRmT3_T4_T5_T6_T7_T9_mT8_P12ihipStream_tbDpT10_ENKUlT_T0_E_clISt17integral_constantIbLb0EES19_IbLb1EEEEDaS15_S16_EUlS15_E_NS1_11comp_targetILNS1_3genE2ELNS1_11target_archE906ELNS1_3gpuE6ELNS1_3repE0EEENS1_30default_config_static_selectorELNS0_4arch9wavefront6targetE1EEEvT1_.numbered_sgpr, 57
	.set _ZN7rocprim17ROCPRIM_400000_NS6detail17trampoline_kernelINS0_14default_configENS1_25partition_config_selectorILNS1_17partition_subalgoE8EfNS0_10empty_typeEbEEZZNS1_14partition_implILS5_8ELb0ES3_jN6thrust23THRUST_200600_302600_NS6detail15normal_iteratorINSA_10device_ptrIfEEEEPS6_PKS6_NS0_5tupleIJSF_S6_EEENSJ_IJSG_SG_EEENS0_18inequality_wrapperINSA_8equal_toIfEEEEPmJS6_EEE10hipError_tPvRmT3_T4_T5_T6_T7_T9_mT8_P12ihipStream_tbDpT10_ENKUlT_T0_E_clISt17integral_constantIbLb0EES19_IbLb1EEEEDaS15_S16_EUlS15_E_NS1_11comp_targetILNS1_3genE2ELNS1_11target_archE906ELNS1_3gpuE6ELNS1_3repE0EEENS1_30default_config_static_selectorELNS0_4arch9wavefront6targetE1EEEvT1_.num_named_barrier, 0
	.set _ZN7rocprim17ROCPRIM_400000_NS6detail17trampoline_kernelINS0_14default_configENS1_25partition_config_selectorILNS1_17partition_subalgoE8EfNS0_10empty_typeEbEEZZNS1_14partition_implILS5_8ELb0ES3_jN6thrust23THRUST_200600_302600_NS6detail15normal_iteratorINSA_10device_ptrIfEEEEPS6_PKS6_NS0_5tupleIJSF_S6_EEENSJ_IJSG_SG_EEENS0_18inequality_wrapperINSA_8equal_toIfEEEEPmJS6_EEE10hipError_tPvRmT3_T4_T5_T6_T7_T9_mT8_P12ihipStream_tbDpT10_ENKUlT_T0_E_clISt17integral_constantIbLb0EES19_IbLb1EEEEDaS15_S16_EUlS15_E_NS1_11comp_targetILNS1_3genE2ELNS1_11target_archE906ELNS1_3gpuE6ELNS1_3repE0EEENS1_30default_config_static_selectorELNS0_4arch9wavefront6targetE1EEEvT1_.private_seg_size, 0
	.set _ZN7rocprim17ROCPRIM_400000_NS6detail17trampoline_kernelINS0_14default_configENS1_25partition_config_selectorILNS1_17partition_subalgoE8EfNS0_10empty_typeEbEEZZNS1_14partition_implILS5_8ELb0ES3_jN6thrust23THRUST_200600_302600_NS6detail15normal_iteratorINSA_10device_ptrIfEEEEPS6_PKS6_NS0_5tupleIJSF_S6_EEENSJ_IJSG_SG_EEENS0_18inequality_wrapperINSA_8equal_toIfEEEEPmJS6_EEE10hipError_tPvRmT3_T4_T5_T6_T7_T9_mT8_P12ihipStream_tbDpT10_ENKUlT_T0_E_clISt17integral_constantIbLb0EES19_IbLb1EEEEDaS15_S16_EUlS15_E_NS1_11comp_targetILNS1_3genE2ELNS1_11target_archE906ELNS1_3gpuE6ELNS1_3repE0EEENS1_30default_config_static_selectorELNS0_4arch9wavefront6targetE1EEEvT1_.uses_vcc, 1
	.set _ZN7rocprim17ROCPRIM_400000_NS6detail17trampoline_kernelINS0_14default_configENS1_25partition_config_selectorILNS1_17partition_subalgoE8EfNS0_10empty_typeEbEEZZNS1_14partition_implILS5_8ELb0ES3_jN6thrust23THRUST_200600_302600_NS6detail15normal_iteratorINSA_10device_ptrIfEEEEPS6_PKS6_NS0_5tupleIJSF_S6_EEENSJ_IJSG_SG_EEENS0_18inequality_wrapperINSA_8equal_toIfEEEEPmJS6_EEE10hipError_tPvRmT3_T4_T5_T6_T7_T9_mT8_P12ihipStream_tbDpT10_ENKUlT_T0_E_clISt17integral_constantIbLb0EES19_IbLb1EEEEDaS15_S16_EUlS15_E_NS1_11comp_targetILNS1_3genE2ELNS1_11target_archE906ELNS1_3gpuE6ELNS1_3repE0EEENS1_30default_config_static_selectorELNS0_4arch9wavefront6targetE1EEEvT1_.uses_flat_scratch, 0
	.set _ZN7rocprim17ROCPRIM_400000_NS6detail17trampoline_kernelINS0_14default_configENS1_25partition_config_selectorILNS1_17partition_subalgoE8EfNS0_10empty_typeEbEEZZNS1_14partition_implILS5_8ELb0ES3_jN6thrust23THRUST_200600_302600_NS6detail15normal_iteratorINSA_10device_ptrIfEEEEPS6_PKS6_NS0_5tupleIJSF_S6_EEENSJ_IJSG_SG_EEENS0_18inequality_wrapperINSA_8equal_toIfEEEEPmJS6_EEE10hipError_tPvRmT3_T4_T5_T6_T7_T9_mT8_P12ihipStream_tbDpT10_ENKUlT_T0_E_clISt17integral_constantIbLb0EES19_IbLb1EEEEDaS15_S16_EUlS15_E_NS1_11comp_targetILNS1_3genE2ELNS1_11target_archE906ELNS1_3gpuE6ELNS1_3repE0EEENS1_30default_config_static_selectorELNS0_4arch9wavefront6targetE1EEEvT1_.has_dyn_sized_stack, 0
	.set _ZN7rocprim17ROCPRIM_400000_NS6detail17trampoline_kernelINS0_14default_configENS1_25partition_config_selectorILNS1_17partition_subalgoE8EfNS0_10empty_typeEbEEZZNS1_14partition_implILS5_8ELb0ES3_jN6thrust23THRUST_200600_302600_NS6detail15normal_iteratorINSA_10device_ptrIfEEEEPS6_PKS6_NS0_5tupleIJSF_S6_EEENSJ_IJSG_SG_EEENS0_18inequality_wrapperINSA_8equal_toIfEEEEPmJS6_EEE10hipError_tPvRmT3_T4_T5_T6_T7_T9_mT8_P12ihipStream_tbDpT10_ENKUlT_T0_E_clISt17integral_constantIbLb0EES19_IbLb1EEEEDaS15_S16_EUlS15_E_NS1_11comp_targetILNS1_3genE2ELNS1_11target_archE906ELNS1_3gpuE6ELNS1_3repE0EEENS1_30default_config_static_selectorELNS0_4arch9wavefront6targetE1EEEvT1_.has_recursion, 0
	.set _ZN7rocprim17ROCPRIM_400000_NS6detail17trampoline_kernelINS0_14default_configENS1_25partition_config_selectorILNS1_17partition_subalgoE8EfNS0_10empty_typeEbEEZZNS1_14partition_implILS5_8ELb0ES3_jN6thrust23THRUST_200600_302600_NS6detail15normal_iteratorINSA_10device_ptrIfEEEEPS6_PKS6_NS0_5tupleIJSF_S6_EEENSJ_IJSG_SG_EEENS0_18inequality_wrapperINSA_8equal_toIfEEEEPmJS6_EEE10hipError_tPvRmT3_T4_T5_T6_T7_T9_mT8_P12ihipStream_tbDpT10_ENKUlT_T0_E_clISt17integral_constantIbLb0EES19_IbLb1EEEEDaS15_S16_EUlS15_E_NS1_11comp_targetILNS1_3genE2ELNS1_11target_archE906ELNS1_3gpuE6ELNS1_3repE0EEENS1_30default_config_static_selectorELNS0_4arch9wavefront6targetE1EEEvT1_.has_indirect_call, 0
	.section	.AMDGPU.csdata,"",@progbits
; Kernel info:
; codeLenInByte = 8020
; TotalNumSgprs: 61
; NumVgprs: 77
; ScratchSize: 0
; MemoryBound: 0
; FloatMode: 240
; IeeeMode: 1
; LDSByteSize: 16904 bytes/workgroup (compile time only)
; SGPRBlocks: 12
; VGPRBlocks: 19
; NumSGPRsForWavesPerEU: 102
; NumVGPRsForWavesPerEU: 77
; Occupancy: 3
; WaveLimiterHint : 1
; COMPUTE_PGM_RSRC2:SCRATCH_EN: 0
; COMPUTE_PGM_RSRC2:USER_SGPR: 6
; COMPUTE_PGM_RSRC2:TRAP_HANDLER: 0
; COMPUTE_PGM_RSRC2:TGID_X_EN: 1
; COMPUTE_PGM_RSRC2:TGID_Y_EN: 0
; COMPUTE_PGM_RSRC2:TGID_Z_EN: 0
; COMPUTE_PGM_RSRC2:TIDIG_COMP_CNT: 0
	.section	.text._ZN7rocprim17ROCPRIM_400000_NS6detail17trampoline_kernelINS0_14default_configENS1_25partition_config_selectorILNS1_17partition_subalgoE8EfNS0_10empty_typeEbEEZZNS1_14partition_implILS5_8ELb0ES3_jN6thrust23THRUST_200600_302600_NS6detail15normal_iteratorINSA_10device_ptrIfEEEEPS6_PKS6_NS0_5tupleIJSF_S6_EEENSJ_IJSG_SG_EEENS0_18inequality_wrapperINSA_8equal_toIfEEEEPmJS6_EEE10hipError_tPvRmT3_T4_T5_T6_T7_T9_mT8_P12ihipStream_tbDpT10_ENKUlT_T0_E_clISt17integral_constantIbLb0EES19_IbLb1EEEEDaS15_S16_EUlS15_E_NS1_11comp_targetILNS1_3genE10ELNS1_11target_archE1200ELNS1_3gpuE4ELNS1_3repE0EEENS1_30default_config_static_selectorELNS0_4arch9wavefront6targetE1EEEvT1_,"axG",@progbits,_ZN7rocprim17ROCPRIM_400000_NS6detail17trampoline_kernelINS0_14default_configENS1_25partition_config_selectorILNS1_17partition_subalgoE8EfNS0_10empty_typeEbEEZZNS1_14partition_implILS5_8ELb0ES3_jN6thrust23THRUST_200600_302600_NS6detail15normal_iteratorINSA_10device_ptrIfEEEEPS6_PKS6_NS0_5tupleIJSF_S6_EEENSJ_IJSG_SG_EEENS0_18inequality_wrapperINSA_8equal_toIfEEEEPmJS6_EEE10hipError_tPvRmT3_T4_T5_T6_T7_T9_mT8_P12ihipStream_tbDpT10_ENKUlT_T0_E_clISt17integral_constantIbLb0EES19_IbLb1EEEEDaS15_S16_EUlS15_E_NS1_11comp_targetILNS1_3genE10ELNS1_11target_archE1200ELNS1_3gpuE4ELNS1_3repE0EEENS1_30default_config_static_selectorELNS0_4arch9wavefront6targetE1EEEvT1_,comdat
	.protected	_ZN7rocprim17ROCPRIM_400000_NS6detail17trampoline_kernelINS0_14default_configENS1_25partition_config_selectorILNS1_17partition_subalgoE8EfNS0_10empty_typeEbEEZZNS1_14partition_implILS5_8ELb0ES3_jN6thrust23THRUST_200600_302600_NS6detail15normal_iteratorINSA_10device_ptrIfEEEEPS6_PKS6_NS0_5tupleIJSF_S6_EEENSJ_IJSG_SG_EEENS0_18inequality_wrapperINSA_8equal_toIfEEEEPmJS6_EEE10hipError_tPvRmT3_T4_T5_T6_T7_T9_mT8_P12ihipStream_tbDpT10_ENKUlT_T0_E_clISt17integral_constantIbLb0EES19_IbLb1EEEEDaS15_S16_EUlS15_E_NS1_11comp_targetILNS1_3genE10ELNS1_11target_archE1200ELNS1_3gpuE4ELNS1_3repE0EEENS1_30default_config_static_selectorELNS0_4arch9wavefront6targetE1EEEvT1_ ; -- Begin function _ZN7rocprim17ROCPRIM_400000_NS6detail17trampoline_kernelINS0_14default_configENS1_25partition_config_selectorILNS1_17partition_subalgoE8EfNS0_10empty_typeEbEEZZNS1_14partition_implILS5_8ELb0ES3_jN6thrust23THRUST_200600_302600_NS6detail15normal_iteratorINSA_10device_ptrIfEEEEPS6_PKS6_NS0_5tupleIJSF_S6_EEENSJ_IJSG_SG_EEENS0_18inequality_wrapperINSA_8equal_toIfEEEEPmJS6_EEE10hipError_tPvRmT3_T4_T5_T6_T7_T9_mT8_P12ihipStream_tbDpT10_ENKUlT_T0_E_clISt17integral_constantIbLb0EES19_IbLb1EEEEDaS15_S16_EUlS15_E_NS1_11comp_targetILNS1_3genE10ELNS1_11target_archE1200ELNS1_3gpuE4ELNS1_3repE0EEENS1_30default_config_static_selectorELNS0_4arch9wavefront6targetE1EEEvT1_
	.globl	_ZN7rocprim17ROCPRIM_400000_NS6detail17trampoline_kernelINS0_14default_configENS1_25partition_config_selectorILNS1_17partition_subalgoE8EfNS0_10empty_typeEbEEZZNS1_14partition_implILS5_8ELb0ES3_jN6thrust23THRUST_200600_302600_NS6detail15normal_iteratorINSA_10device_ptrIfEEEEPS6_PKS6_NS0_5tupleIJSF_S6_EEENSJ_IJSG_SG_EEENS0_18inequality_wrapperINSA_8equal_toIfEEEEPmJS6_EEE10hipError_tPvRmT3_T4_T5_T6_T7_T9_mT8_P12ihipStream_tbDpT10_ENKUlT_T0_E_clISt17integral_constantIbLb0EES19_IbLb1EEEEDaS15_S16_EUlS15_E_NS1_11comp_targetILNS1_3genE10ELNS1_11target_archE1200ELNS1_3gpuE4ELNS1_3repE0EEENS1_30default_config_static_selectorELNS0_4arch9wavefront6targetE1EEEvT1_
	.p2align	8
	.type	_ZN7rocprim17ROCPRIM_400000_NS6detail17trampoline_kernelINS0_14default_configENS1_25partition_config_selectorILNS1_17partition_subalgoE8EfNS0_10empty_typeEbEEZZNS1_14partition_implILS5_8ELb0ES3_jN6thrust23THRUST_200600_302600_NS6detail15normal_iteratorINSA_10device_ptrIfEEEEPS6_PKS6_NS0_5tupleIJSF_S6_EEENSJ_IJSG_SG_EEENS0_18inequality_wrapperINSA_8equal_toIfEEEEPmJS6_EEE10hipError_tPvRmT3_T4_T5_T6_T7_T9_mT8_P12ihipStream_tbDpT10_ENKUlT_T0_E_clISt17integral_constantIbLb0EES19_IbLb1EEEEDaS15_S16_EUlS15_E_NS1_11comp_targetILNS1_3genE10ELNS1_11target_archE1200ELNS1_3gpuE4ELNS1_3repE0EEENS1_30default_config_static_selectorELNS0_4arch9wavefront6targetE1EEEvT1_,@function
_ZN7rocprim17ROCPRIM_400000_NS6detail17trampoline_kernelINS0_14default_configENS1_25partition_config_selectorILNS1_17partition_subalgoE8EfNS0_10empty_typeEbEEZZNS1_14partition_implILS5_8ELb0ES3_jN6thrust23THRUST_200600_302600_NS6detail15normal_iteratorINSA_10device_ptrIfEEEEPS6_PKS6_NS0_5tupleIJSF_S6_EEENSJ_IJSG_SG_EEENS0_18inequality_wrapperINSA_8equal_toIfEEEEPmJS6_EEE10hipError_tPvRmT3_T4_T5_T6_T7_T9_mT8_P12ihipStream_tbDpT10_ENKUlT_T0_E_clISt17integral_constantIbLb0EES19_IbLb1EEEEDaS15_S16_EUlS15_E_NS1_11comp_targetILNS1_3genE10ELNS1_11target_archE1200ELNS1_3gpuE4ELNS1_3repE0EEENS1_30default_config_static_selectorELNS0_4arch9wavefront6targetE1EEEvT1_: ; @_ZN7rocprim17ROCPRIM_400000_NS6detail17trampoline_kernelINS0_14default_configENS1_25partition_config_selectorILNS1_17partition_subalgoE8EfNS0_10empty_typeEbEEZZNS1_14partition_implILS5_8ELb0ES3_jN6thrust23THRUST_200600_302600_NS6detail15normal_iteratorINSA_10device_ptrIfEEEEPS6_PKS6_NS0_5tupleIJSF_S6_EEENSJ_IJSG_SG_EEENS0_18inequality_wrapperINSA_8equal_toIfEEEEPmJS6_EEE10hipError_tPvRmT3_T4_T5_T6_T7_T9_mT8_P12ihipStream_tbDpT10_ENKUlT_T0_E_clISt17integral_constantIbLb0EES19_IbLb1EEEEDaS15_S16_EUlS15_E_NS1_11comp_targetILNS1_3genE10ELNS1_11target_archE1200ELNS1_3gpuE4ELNS1_3repE0EEENS1_30default_config_static_selectorELNS0_4arch9wavefront6targetE1EEEvT1_
; %bb.0:
	.section	.rodata,"a",@progbits
	.p2align	6, 0x0
	.amdhsa_kernel _ZN7rocprim17ROCPRIM_400000_NS6detail17trampoline_kernelINS0_14default_configENS1_25partition_config_selectorILNS1_17partition_subalgoE8EfNS0_10empty_typeEbEEZZNS1_14partition_implILS5_8ELb0ES3_jN6thrust23THRUST_200600_302600_NS6detail15normal_iteratorINSA_10device_ptrIfEEEEPS6_PKS6_NS0_5tupleIJSF_S6_EEENSJ_IJSG_SG_EEENS0_18inequality_wrapperINSA_8equal_toIfEEEEPmJS6_EEE10hipError_tPvRmT3_T4_T5_T6_T7_T9_mT8_P12ihipStream_tbDpT10_ENKUlT_T0_E_clISt17integral_constantIbLb0EES19_IbLb1EEEEDaS15_S16_EUlS15_E_NS1_11comp_targetILNS1_3genE10ELNS1_11target_archE1200ELNS1_3gpuE4ELNS1_3repE0EEENS1_30default_config_static_selectorELNS0_4arch9wavefront6targetE1EEEvT1_
		.amdhsa_group_segment_fixed_size 0
		.amdhsa_private_segment_fixed_size 0
		.amdhsa_kernarg_size 128
		.amdhsa_user_sgpr_count 6
		.amdhsa_user_sgpr_private_segment_buffer 1
		.amdhsa_user_sgpr_dispatch_ptr 0
		.amdhsa_user_sgpr_queue_ptr 0
		.amdhsa_user_sgpr_kernarg_segment_ptr 1
		.amdhsa_user_sgpr_dispatch_id 0
		.amdhsa_user_sgpr_flat_scratch_init 0
		.amdhsa_user_sgpr_private_segment_size 0
		.amdhsa_uses_dynamic_stack 0
		.amdhsa_system_sgpr_private_segment_wavefront_offset 0
		.amdhsa_system_sgpr_workgroup_id_x 1
		.amdhsa_system_sgpr_workgroup_id_y 0
		.amdhsa_system_sgpr_workgroup_id_z 0
		.amdhsa_system_sgpr_workgroup_info 0
		.amdhsa_system_vgpr_workitem_id 0
		.amdhsa_next_free_vgpr 1
		.amdhsa_next_free_sgpr 0
		.amdhsa_reserve_vcc 0
		.amdhsa_reserve_flat_scratch 0
		.amdhsa_float_round_mode_32 0
		.amdhsa_float_round_mode_16_64 0
		.amdhsa_float_denorm_mode_32 3
		.amdhsa_float_denorm_mode_16_64 3
		.amdhsa_dx10_clamp 1
		.amdhsa_ieee_mode 1
		.amdhsa_fp16_overflow 0
		.amdhsa_exception_fp_ieee_invalid_op 0
		.amdhsa_exception_fp_denorm_src 0
		.amdhsa_exception_fp_ieee_div_zero 0
		.amdhsa_exception_fp_ieee_overflow 0
		.amdhsa_exception_fp_ieee_underflow 0
		.amdhsa_exception_fp_ieee_inexact 0
		.amdhsa_exception_int_div_zero 0
	.end_amdhsa_kernel
	.section	.text._ZN7rocprim17ROCPRIM_400000_NS6detail17trampoline_kernelINS0_14default_configENS1_25partition_config_selectorILNS1_17partition_subalgoE8EfNS0_10empty_typeEbEEZZNS1_14partition_implILS5_8ELb0ES3_jN6thrust23THRUST_200600_302600_NS6detail15normal_iteratorINSA_10device_ptrIfEEEEPS6_PKS6_NS0_5tupleIJSF_S6_EEENSJ_IJSG_SG_EEENS0_18inequality_wrapperINSA_8equal_toIfEEEEPmJS6_EEE10hipError_tPvRmT3_T4_T5_T6_T7_T9_mT8_P12ihipStream_tbDpT10_ENKUlT_T0_E_clISt17integral_constantIbLb0EES19_IbLb1EEEEDaS15_S16_EUlS15_E_NS1_11comp_targetILNS1_3genE10ELNS1_11target_archE1200ELNS1_3gpuE4ELNS1_3repE0EEENS1_30default_config_static_selectorELNS0_4arch9wavefront6targetE1EEEvT1_,"axG",@progbits,_ZN7rocprim17ROCPRIM_400000_NS6detail17trampoline_kernelINS0_14default_configENS1_25partition_config_selectorILNS1_17partition_subalgoE8EfNS0_10empty_typeEbEEZZNS1_14partition_implILS5_8ELb0ES3_jN6thrust23THRUST_200600_302600_NS6detail15normal_iteratorINSA_10device_ptrIfEEEEPS6_PKS6_NS0_5tupleIJSF_S6_EEENSJ_IJSG_SG_EEENS0_18inequality_wrapperINSA_8equal_toIfEEEEPmJS6_EEE10hipError_tPvRmT3_T4_T5_T6_T7_T9_mT8_P12ihipStream_tbDpT10_ENKUlT_T0_E_clISt17integral_constantIbLb0EES19_IbLb1EEEEDaS15_S16_EUlS15_E_NS1_11comp_targetILNS1_3genE10ELNS1_11target_archE1200ELNS1_3gpuE4ELNS1_3repE0EEENS1_30default_config_static_selectorELNS0_4arch9wavefront6targetE1EEEvT1_,comdat
.Lfunc_end109:
	.size	_ZN7rocprim17ROCPRIM_400000_NS6detail17trampoline_kernelINS0_14default_configENS1_25partition_config_selectorILNS1_17partition_subalgoE8EfNS0_10empty_typeEbEEZZNS1_14partition_implILS5_8ELb0ES3_jN6thrust23THRUST_200600_302600_NS6detail15normal_iteratorINSA_10device_ptrIfEEEEPS6_PKS6_NS0_5tupleIJSF_S6_EEENSJ_IJSG_SG_EEENS0_18inequality_wrapperINSA_8equal_toIfEEEEPmJS6_EEE10hipError_tPvRmT3_T4_T5_T6_T7_T9_mT8_P12ihipStream_tbDpT10_ENKUlT_T0_E_clISt17integral_constantIbLb0EES19_IbLb1EEEEDaS15_S16_EUlS15_E_NS1_11comp_targetILNS1_3genE10ELNS1_11target_archE1200ELNS1_3gpuE4ELNS1_3repE0EEENS1_30default_config_static_selectorELNS0_4arch9wavefront6targetE1EEEvT1_, .Lfunc_end109-_ZN7rocprim17ROCPRIM_400000_NS6detail17trampoline_kernelINS0_14default_configENS1_25partition_config_selectorILNS1_17partition_subalgoE8EfNS0_10empty_typeEbEEZZNS1_14partition_implILS5_8ELb0ES3_jN6thrust23THRUST_200600_302600_NS6detail15normal_iteratorINSA_10device_ptrIfEEEEPS6_PKS6_NS0_5tupleIJSF_S6_EEENSJ_IJSG_SG_EEENS0_18inequality_wrapperINSA_8equal_toIfEEEEPmJS6_EEE10hipError_tPvRmT3_T4_T5_T6_T7_T9_mT8_P12ihipStream_tbDpT10_ENKUlT_T0_E_clISt17integral_constantIbLb0EES19_IbLb1EEEEDaS15_S16_EUlS15_E_NS1_11comp_targetILNS1_3genE10ELNS1_11target_archE1200ELNS1_3gpuE4ELNS1_3repE0EEENS1_30default_config_static_selectorELNS0_4arch9wavefront6targetE1EEEvT1_
                                        ; -- End function
	.set _ZN7rocprim17ROCPRIM_400000_NS6detail17trampoline_kernelINS0_14default_configENS1_25partition_config_selectorILNS1_17partition_subalgoE8EfNS0_10empty_typeEbEEZZNS1_14partition_implILS5_8ELb0ES3_jN6thrust23THRUST_200600_302600_NS6detail15normal_iteratorINSA_10device_ptrIfEEEEPS6_PKS6_NS0_5tupleIJSF_S6_EEENSJ_IJSG_SG_EEENS0_18inequality_wrapperINSA_8equal_toIfEEEEPmJS6_EEE10hipError_tPvRmT3_T4_T5_T6_T7_T9_mT8_P12ihipStream_tbDpT10_ENKUlT_T0_E_clISt17integral_constantIbLb0EES19_IbLb1EEEEDaS15_S16_EUlS15_E_NS1_11comp_targetILNS1_3genE10ELNS1_11target_archE1200ELNS1_3gpuE4ELNS1_3repE0EEENS1_30default_config_static_selectorELNS0_4arch9wavefront6targetE1EEEvT1_.num_vgpr, 0
	.set _ZN7rocprim17ROCPRIM_400000_NS6detail17trampoline_kernelINS0_14default_configENS1_25partition_config_selectorILNS1_17partition_subalgoE8EfNS0_10empty_typeEbEEZZNS1_14partition_implILS5_8ELb0ES3_jN6thrust23THRUST_200600_302600_NS6detail15normal_iteratorINSA_10device_ptrIfEEEEPS6_PKS6_NS0_5tupleIJSF_S6_EEENSJ_IJSG_SG_EEENS0_18inequality_wrapperINSA_8equal_toIfEEEEPmJS6_EEE10hipError_tPvRmT3_T4_T5_T6_T7_T9_mT8_P12ihipStream_tbDpT10_ENKUlT_T0_E_clISt17integral_constantIbLb0EES19_IbLb1EEEEDaS15_S16_EUlS15_E_NS1_11comp_targetILNS1_3genE10ELNS1_11target_archE1200ELNS1_3gpuE4ELNS1_3repE0EEENS1_30default_config_static_selectorELNS0_4arch9wavefront6targetE1EEEvT1_.num_agpr, 0
	.set _ZN7rocprim17ROCPRIM_400000_NS6detail17trampoline_kernelINS0_14default_configENS1_25partition_config_selectorILNS1_17partition_subalgoE8EfNS0_10empty_typeEbEEZZNS1_14partition_implILS5_8ELb0ES3_jN6thrust23THRUST_200600_302600_NS6detail15normal_iteratorINSA_10device_ptrIfEEEEPS6_PKS6_NS0_5tupleIJSF_S6_EEENSJ_IJSG_SG_EEENS0_18inequality_wrapperINSA_8equal_toIfEEEEPmJS6_EEE10hipError_tPvRmT3_T4_T5_T6_T7_T9_mT8_P12ihipStream_tbDpT10_ENKUlT_T0_E_clISt17integral_constantIbLb0EES19_IbLb1EEEEDaS15_S16_EUlS15_E_NS1_11comp_targetILNS1_3genE10ELNS1_11target_archE1200ELNS1_3gpuE4ELNS1_3repE0EEENS1_30default_config_static_selectorELNS0_4arch9wavefront6targetE1EEEvT1_.numbered_sgpr, 0
	.set _ZN7rocprim17ROCPRIM_400000_NS6detail17trampoline_kernelINS0_14default_configENS1_25partition_config_selectorILNS1_17partition_subalgoE8EfNS0_10empty_typeEbEEZZNS1_14partition_implILS5_8ELb0ES3_jN6thrust23THRUST_200600_302600_NS6detail15normal_iteratorINSA_10device_ptrIfEEEEPS6_PKS6_NS0_5tupleIJSF_S6_EEENSJ_IJSG_SG_EEENS0_18inequality_wrapperINSA_8equal_toIfEEEEPmJS6_EEE10hipError_tPvRmT3_T4_T5_T6_T7_T9_mT8_P12ihipStream_tbDpT10_ENKUlT_T0_E_clISt17integral_constantIbLb0EES19_IbLb1EEEEDaS15_S16_EUlS15_E_NS1_11comp_targetILNS1_3genE10ELNS1_11target_archE1200ELNS1_3gpuE4ELNS1_3repE0EEENS1_30default_config_static_selectorELNS0_4arch9wavefront6targetE1EEEvT1_.num_named_barrier, 0
	.set _ZN7rocprim17ROCPRIM_400000_NS6detail17trampoline_kernelINS0_14default_configENS1_25partition_config_selectorILNS1_17partition_subalgoE8EfNS0_10empty_typeEbEEZZNS1_14partition_implILS5_8ELb0ES3_jN6thrust23THRUST_200600_302600_NS6detail15normal_iteratorINSA_10device_ptrIfEEEEPS6_PKS6_NS0_5tupleIJSF_S6_EEENSJ_IJSG_SG_EEENS0_18inequality_wrapperINSA_8equal_toIfEEEEPmJS6_EEE10hipError_tPvRmT3_T4_T5_T6_T7_T9_mT8_P12ihipStream_tbDpT10_ENKUlT_T0_E_clISt17integral_constantIbLb0EES19_IbLb1EEEEDaS15_S16_EUlS15_E_NS1_11comp_targetILNS1_3genE10ELNS1_11target_archE1200ELNS1_3gpuE4ELNS1_3repE0EEENS1_30default_config_static_selectorELNS0_4arch9wavefront6targetE1EEEvT1_.private_seg_size, 0
	.set _ZN7rocprim17ROCPRIM_400000_NS6detail17trampoline_kernelINS0_14default_configENS1_25partition_config_selectorILNS1_17partition_subalgoE8EfNS0_10empty_typeEbEEZZNS1_14partition_implILS5_8ELb0ES3_jN6thrust23THRUST_200600_302600_NS6detail15normal_iteratorINSA_10device_ptrIfEEEEPS6_PKS6_NS0_5tupleIJSF_S6_EEENSJ_IJSG_SG_EEENS0_18inequality_wrapperINSA_8equal_toIfEEEEPmJS6_EEE10hipError_tPvRmT3_T4_T5_T6_T7_T9_mT8_P12ihipStream_tbDpT10_ENKUlT_T0_E_clISt17integral_constantIbLb0EES19_IbLb1EEEEDaS15_S16_EUlS15_E_NS1_11comp_targetILNS1_3genE10ELNS1_11target_archE1200ELNS1_3gpuE4ELNS1_3repE0EEENS1_30default_config_static_selectorELNS0_4arch9wavefront6targetE1EEEvT1_.uses_vcc, 0
	.set _ZN7rocprim17ROCPRIM_400000_NS6detail17trampoline_kernelINS0_14default_configENS1_25partition_config_selectorILNS1_17partition_subalgoE8EfNS0_10empty_typeEbEEZZNS1_14partition_implILS5_8ELb0ES3_jN6thrust23THRUST_200600_302600_NS6detail15normal_iteratorINSA_10device_ptrIfEEEEPS6_PKS6_NS0_5tupleIJSF_S6_EEENSJ_IJSG_SG_EEENS0_18inequality_wrapperINSA_8equal_toIfEEEEPmJS6_EEE10hipError_tPvRmT3_T4_T5_T6_T7_T9_mT8_P12ihipStream_tbDpT10_ENKUlT_T0_E_clISt17integral_constantIbLb0EES19_IbLb1EEEEDaS15_S16_EUlS15_E_NS1_11comp_targetILNS1_3genE10ELNS1_11target_archE1200ELNS1_3gpuE4ELNS1_3repE0EEENS1_30default_config_static_selectorELNS0_4arch9wavefront6targetE1EEEvT1_.uses_flat_scratch, 0
	.set _ZN7rocprim17ROCPRIM_400000_NS6detail17trampoline_kernelINS0_14default_configENS1_25partition_config_selectorILNS1_17partition_subalgoE8EfNS0_10empty_typeEbEEZZNS1_14partition_implILS5_8ELb0ES3_jN6thrust23THRUST_200600_302600_NS6detail15normal_iteratorINSA_10device_ptrIfEEEEPS6_PKS6_NS0_5tupleIJSF_S6_EEENSJ_IJSG_SG_EEENS0_18inequality_wrapperINSA_8equal_toIfEEEEPmJS6_EEE10hipError_tPvRmT3_T4_T5_T6_T7_T9_mT8_P12ihipStream_tbDpT10_ENKUlT_T0_E_clISt17integral_constantIbLb0EES19_IbLb1EEEEDaS15_S16_EUlS15_E_NS1_11comp_targetILNS1_3genE10ELNS1_11target_archE1200ELNS1_3gpuE4ELNS1_3repE0EEENS1_30default_config_static_selectorELNS0_4arch9wavefront6targetE1EEEvT1_.has_dyn_sized_stack, 0
	.set _ZN7rocprim17ROCPRIM_400000_NS6detail17trampoline_kernelINS0_14default_configENS1_25partition_config_selectorILNS1_17partition_subalgoE8EfNS0_10empty_typeEbEEZZNS1_14partition_implILS5_8ELb0ES3_jN6thrust23THRUST_200600_302600_NS6detail15normal_iteratorINSA_10device_ptrIfEEEEPS6_PKS6_NS0_5tupleIJSF_S6_EEENSJ_IJSG_SG_EEENS0_18inequality_wrapperINSA_8equal_toIfEEEEPmJS6_EEE10hipError_tPvRmT3_T4_T5_T6_T7_T9_mT8_P12ihipStream_tbDpT10_ENKUlT_T0_E_clISt17integral_constantIbLb0EES19_IbLb1EEEEDaS15_S16_EUlS15_E_NS1_11comp_targetILNS1_3genE10ELNS1_11target_archE1200ELNS1_3gpuE4ELNS1_3repE0EEENS1_30default_config_static_selectorELNS0_4arch9wavefront6targetE1EEEvT1_.has_recursion, 0
	.set _ZN7rocprim17ROCPRIM_400000_NS6detail17trampoline_kernelINS0_14default_configENS1_25partition_config_selectorILNS1_17partition_subalgoE8EfNS0_10empty_typeEbEEZZNS1_14partition_implILS5_8ELb0ES3_jN6thrust23THRUST_200600_302600_NS6detail15normal_iteratorINSA_10device_ptrIfEEEEPS6_PKS6_NS0_5tupleIJSF_S6_EEENSJ_IJSG_SG_EEENS0_18inequality_wrapperINSA_8equal_toIfEEEEPmJS6_EEE10hipError_tPvRmT3_T4_T5_T6_T7_T9_mT8_P12ihipStream_tbDpT10_ENKUlT_T0_E_clISt17integral_constantIbLb0EES19_IbLb1EEEEDaS15_S16_EUlS15_E_NS1_11comp_targetILNS1_3genE10ELNS1_11target_archE1200ELNS1_3gpuE4ELNS1_3repE0EEENS1_30default_config_static_selectorELNS0_4arch9wavefront6targetE1EEEvT1_.has_indirect_call, 0
	.section	.AMDGPU.csdata,"",@progbits
; Kernel info:
; codeLenInByte = 0
; TotalNumSgprs: 4
; NumVgprs: 0
; ScratchSize: 0
; MemoryBound: 0
; FloatMode: 240
; IeeeMode: 1
; LDSByteSize: 0 bytes/workgroup (compile time only)
; SGPRBlocks: 0
; VGPRBlocks: 0
; NumSGPRsForWavesPerEU: 4
; NumVGPRsForWavesPerEU: 1
; Occupancy: 10
; WaveLimiterHint : 0
; COMPUTE_PGM_RSRC2:SCRATCH_EN: 0
; COMPUTE_PGM_RSRC2:USER_SGPR: 6
; COMPUTE_PGM_RSRC2:TRAP_HANDLER: 0
; COMPUTE_PGM_RSRC2:TGID_X_EN: 1
; COMPUTE_PGM_RSRC2:TGID_Y_EN: 0
; COMPUTE_PGM_RSRC2:TGID_Z_EN: 0
; COMPUTE_PGM_RSRC2:TIDIG_COMP_CNT: 0
	.section	.text._ZN7rocprim17ROCPRIM_400000_NS6detail17trampoline_kernelINS0_14default_configENS1_25partition_config_selectorILNS1_17partition_subalgoE8EfNS0_10empty_typeEbEEZZNS1_14partition_implILS5_8ELb0ES3_jN6thrust23THRUST_200600_302600_NS6detail15normal_iteratorINSA_10device_ptrIfEEEEPS6_PKS6_NS0_5tupleIJSF_S6_EEENSJ_IJSG_SG_EEENS0_18inequality_wrapperINSA_8equal_toIfEEEEPmJS6_EEE10hipError_tPvRmT3_T4_T5_T6_T7_T9_mT8_P12ihipStream_tbDpT10_ENKUlT_T0_E_clISt17integral_constantIbLb0EES19_IbLb1EEEEDaS15_S16_EUlS15_E_NS1_11comp_targetILNS1_3genE9ELNS1_11target_archE1100ELNS1_3gpuE3ELNS1_3repE0EEENS1_30default_config_static_selectorELNS0_4arch9wavefront6targetE1EEEvT1_,"axG",@progbits,_ZN7rocprim17ROCPRIM_400000_NS6detail17trampoline_kernelINS0_14default_configENS1_25partition_config_selectorILNS1_17partition_subalgoE8EfNS0_10empty_typeEbEEZZNS1_14partition_implILS5_8ELb0ES3_jN6thrust23THRUST_200600_302600_NS6detail15normal_iteratorINSA_10device_ptrIfEEEEPS6_PKS6_NS0_5tupleIJSF_S6_EEENSJ_IJSG_SG_EEENS0_18inequality_wrapperINSA_8equal_toIfEEEEPmJS6_EEE10hipError_tPvRmT3_T4_T5_T6_T7_T9_mT8_P12ihipStream_tbDpT10_ENKUlT_T0_E_clISt17integral_constantIbLb0EES19_IbLb1EEEEDaS15_S16_EUlS15_E_NS1_11comp_targetILNS1_3genE9ELNS1_11target_archE1100ELNS1_3gpuE3ELNS1_3repE0EEENS1_30default_config_static_selectorELNS0_4arch9wavefront6targetE1EEEvT1_,comdat
	.protected	_ZN7rocprim17ROCPRIM_400000_NS6detail17trampoline_kernelINS0_14default_configENS1_25partition_config_selectorILNS1_17partition_subalgoE8EfNS0_10empty_typeEbEEZZNS1_14partition_implILS5_8ELb0ES3_jN6thrust23THRUST_200600_302600_NS6detail15normal_iteratorINSA_10device_ptrIfEEEEPS6_PKS6_NS0_5tupleIJSF_S6_EEENSJ_IJSG_SG_EEENS0_18inequality_wrapperINSA_8equal_toIfEEEEPmJS6_EEE10hipError_tPvRmT3_T4_T5_T6_T7_T9_mT8_P12ihipStream_tbDpT10_ENKUlT_T0_E_clISt17integral_constantIbLb0EES19_IbLb1EEEEDaS15_S16_EUlS15_E_NS1_11comp_targetILNS1_3genE9ELNS1_11target_archE1100ELNS1_3gpuE3ELNS1_3repE0EEENS1_30default_config_static_selectorELNS0_4arch9wavefront6targetE1EEEvT1_ ; -- Begin function _ZN7rocprim17ROCPRIM_400000_NS6detail17trampoline_kernelINS0_14default_configENS1_25partition_config_selectorILNS1_17partition_subalgoE8EfNS0_10empty_typeEbEEZZNS1_14partition_implILS5_8ELb0ES3_jN6thrust23THRUST_200600_302600_NS6detail15normal_iteratorINSA_10device_ptrIfEEEEPS6_PKS6_NS0_5tupleIJSF_S6_EEENSJ_IJSG_SG_EEENS0_18inequality_wrapperINSA_8equal_toIfEEEEPmJS6_EEE10hipError_tPvRmT3_T4_T5_T6_T7_T9_mT8_P12ihipStream_tbDpT10_ENKUlT_T0_E_clISt17integral_constantIbLb0EES19_IbLb1EEEEDaS15_S16_EUlS15_E_NS1_11comp_targetILNS1_3genE9ELNS1_11target_archE1100ELNS1_3gpuE3ELNS1_3repE0EEENS1_30default_config_static_selectorELNS0_4arch9wavefront6targetE1EEEvT1_
	.globl	_ZN7rocprim17ROCPRIM_400000_NS6detail17trampoline_kernelINS0_14default_configENS1_25partition_config_selectorILNS1_17partition_subalgoE8EfNS0_10empty_typeEbEEZZNS1_14partition_implILS5_8ELb0ES3_jN6thrust23THRUST_200600_302600_NS6detail15normal_iteratorINSA_10device_ptrIfEEEEPS6_PKS6_NS0_5tupleIJSF_S6_EEENSJ_IJSG_SG_EEENS0_18inequality_wrapperINSA_8equal_toIfEEEEPmJS6_EEE10hipError_tPvRmT3_T4_T5_T6_T7_T9_mT8_P12ihipStream_tbDpT10_ENKUlT_T0_E_clISt17integral_constantIbLb0EES19_IbLb1EEEEDaS15_S16_EUlS15_E_NS1_11comp_targetILNS1_3genE9ELNS1_11target_archE1100ELNS1_3gpuE3ELNS1_3repE0EEENS1_30default_config_static_selectorELNS0_4arch9wavefront6targetE1EEEvT1_
	.p2align	8
	.type	_ZN7rocprim17ROCPRIM_400000_NS6detail17trampoline_kernelINS0_14default_configENS1_25partition_config_selectorILNS1_17partition_subalgoE8EfNS0_10empty_typeEbEEZZNS1_14partition_implILS5_8ELb0ES3_jN6thrust23THRUST_200600_302600_NS6detail15normal_iteratorINSA_10device_ptrIfEEEEPS6_PKS6_NS0_5tupleIJSF_S6_EEENSJ_IJSG_SG_EEENS0_18inequality_wrapperINSA_8equal_toIfEEEEPmJS6_EEE10hipError_tPvRmT3_T4_T5_T6_T7_T9_mT8_P12ihipStream_tbDpT10_ENKUlT_T0_E_clISt17integral_constantIbLb0EES19_IbLb1EEEEDaS15_S16_EUlS15_E_NS1_11comp_targetILNS1_3genE9ELNS1_11target_archE1100ELNS1_3gpuE3ELNS1_3repE0EEENS1_30default_config_static_selectorELNS0_4arch9wavefront6targetE1EEEvT1_,@function
_ZN7rocprim17ROCPRIM_400000_NS6detail17trampoline_kernelINS0_14default_configENS1_25partition_config_selectorILNS1_17partition_subalgoE8EfNS0_10empty_typeEbEEZZNS1_14partition_implILS5_8ELb0ES3_jN6thrust23THRUST_200600_302600_NS6detail15normal_iteratorINSA_10device_ptrIfEEEEPS6_PKS6_NS0_5tupleIJSF_S6_EEENSJ_IJSG_SG_EEENS0_18inequality_wrapperINSA_8equal_toIfEEEEPmJS6_EEE10hipError_tPvRmT3_T4_T5_T6_T7_T9_mT8_P12ihipStream_tbDpT10_ENKUlT_T0_E_clISt17integral_constantIbLb0EES19_IbLb1EEEEDaS15_S16_EUlS15_E_NS1_11comp_targetILNS1_3genE9ELNS1_11target_archE1100ELNS1_3gpuE3ELNS1_3repE0EEENS1_30default_config_static_selectorELNS0_4arch9wavefront6targetE1EEEvT1_: ; @_ZN7rocprim17ROCPRIM_400000_NS6detail17trampoline_kernelINS0_14default_configENS1_25partition_config_selectorILNS1_17partition_subalgoE8EfNS0_10empty_typeEbEEZZNS1_14partition_implILS5_8ELb0ES3_jN6thrust23THRUST_200600_302600_NS6detail15normal_iteratorINSA_10device_ptrIfEEEEPS6_PKS6_NS0_5tupleIJSF_S6_EEENSJ_IJSG_SG_EEENS0_18inequality_wrapperINSA_8equal_toIfEEEEPmJS6_EEE10hipError_tPvRmT3_T4_T5_T6_T7_T9_mT8_P12ihipStream_tbDpT10_ENKUlT_T0_E_clISt17integral_constantIbLb0EES19_IbLb1EEEEDaS15_S16_EUlS15_E_NS1_11comp_targetILNS1_3genE9ELNS1_11target_archE1100ELNS1_3gpuE3ELNS1_3repE0EEENS1_30default_config_static_selectorELNS0_4arch9wavefront6targetE1EEEvT1_
; %bb.0:
	.section	.rodata,"a",@progbits
	.p2align	6, 0x0
	.amdhsa_kernel _ZN7rocprim17ROCPRIM_400000_NS6detail17trampoline_kernelINS0_14default_configENS1_25partition_config_selectorILNS1_17partition_subalgoE8EfNS0_10empty_typeEbEEZZNS1_14partition_implILS5_8ELb0ES3_jN6thrust23THRUST_200600_302600_NS6detail15normal_iteratorINSA_10device_ptrIfEEEEPS6_PKS6_NS0_5tupleIJSF_S6_EEENSJ_IJSG_SG_EEENS0_18inequality_wrapperINSA_8equal_toIfEEEEPmJS6_EEE10hipError_tPvRmT3_T4_T5_T6_T7_T9_mT8_P12ihipStream_tbDpT10_ENKUlT_T0_E_clISt17integral_constantIbLb0EES19_IbLb1EEEEDaS15_S16_EUlS15_E_NS1_11comp_targetILNS1_3genE9ELNS1_11target_archE1100ELNS1_3gpuE3ELNS1_3repE0EEENS1_30default_config_static_selectorELNS0_4arch9wavefront6targetE1EEEvT1_
		.amdhsa_group_segment_fixed_size 0
		.amdhsa_private_segment_fixed_size 0
		.amdhsa_kernarg_size 128
		.amdhsa_user_sgpr_count 6
		.amdhsa_user_sgpr_private_segment_buffer 1
		.amdhsa_user_sgpr_dispatch_ptr 0
		.amdhsa_user_sgpr_queue_ptr 0
		.amdhsa_user_sgpr_kernarg_segment_ptr 1
		.amdhsa_user_sgpr_dispatch_id 0
		.amdhsa_user_sgpr_flat_scratch_init 0
		.amdhsa_user_sgpr_private_segment_size 0
		.amdhsa_uses_dynamic_stack 0
		.amdhsa_system_sgpr_private_segment_wavefront_offset 0
		.amdhsa_system_sgpr_workgroup_id_x 1
		.amdhsa_system_sgpr_workgroup_id_y 0
		.amdhsa_system_sgpr_workgroup_id_z 0
		.amdhsa_system_sgpr_workgroup_info 0
		.amdhsa_system_vgpr_workitem_id 0
		.amdhsa_next_free_vgpr 1
		.amdhsa_next_free_sgpr 0
		.amdhsa_reserve_vcc 0
		.amdhsa_reserve_flat_scratch 0
		.amdhsa_float_round_mode_32 0
		.amdhsa_float_round_mode_16_64 0
		.amdhsa_float_denorm_mode_32 3
		.amdhsa_float_denorm_mode_16_64 3
		.amdhsa_dx10_clamp 1
		.amdhsa_ieee_mode 1
		.amdhsa_fp16_overflow 0
		.amdhsa_exception_fp_ieee_invalid_op 0
		.amdhsa_exception_fp_denorm_src 0
		.amdhsa_exception_fp_ieee_div_zero 0
		.amdhsa_exception_fp_ieee_overflow 0
		.amdhsa_exception_fp_ieee_underflow 0
		.amdhsa_exception_fp_ieee_inexact 0
		.amdhsa_exception_int_div_zero 0
	.end_amdhsa_kernel
	.section	.text._ZN7rocprim17ROCPRIM_400000_NS6detail17trampoline_kernelINS0_14default_configENS1_25partition_config_selectorILNS1_17partition_subalgoE8EfNS0_10empty_typeEbEEZZNS1_14partition_implILS5_8ELb0ES3_jN6thrust23THRUST_200600_302600_NS6detail15normal_iteratorINSA_10device_ptrIfEEEEPS6_PKS6_NS0_5tupleIJSF_S6_EEENSJ_IJSG_SG_EEENS0_18inequality_wrapperINSA_8equal_toIfEEEEPmJS6_EEE10hipError_tPvRmT3_T4_T5_T6_T7_T9_mT8_P12ihipStream_tbDpT10_ENKUlT_T0_E_clISt17integral_constantIbLb0EES19_IbLb1EEEEDaS15_S16_EUlS15_E_NS1_11comp_targetILNS1_3genE9ELNS1_11target_archE1100ELNS1_3gpuE3ELNS1_3repE0EEENS1_30default_config_static_selectorELNS0_4arch9wavefront6targetE1EEEvT1_,"axG",@progbits,_ZN7rocprim17ROCPRIM_400000_NS6detail17trampoline_kernelINS0_14default_configENS1_25partition_config_selectorILNS1_17partition_subalgoE8EfNS0_10empty_typeEbEEZZNS1_14partition_implILS5_8ELb0ES3_jN6thrust23THRUST_200600_302600_NS6detail15normal_iteratorINSA_10device_ptrIfEEEEPS6_PKS6_NS0_5tupleIJSF_S6_EEENSJ_IJSG_SG_EEENS0_18inequality_wrapperINSA_8equal_toIfEEEEPmJS6_EEE10hipError_tPvRmT3_T4_T5_T6_T7_T9_mT8_P12ihipStream_tbDpT10_ENKUlT_T0_E_clISt17integral_constantIbLb0EES19_IbLb1EEEEDaS15_S16_EUlS15_E_NS1_11comp_targetILNS1_3genE9ELNS1_11target_archE1100ELNS1_3gpuE3ELNS1_3repE0EEENS1_30default_config_static_selectorELNS0_4arch9wavefront6targetE1EEEvT1_,comdat
.Lfunc_end110:
	.size	_ZN7rocprim17ROCPRIM_400000_NS6detail17trampoline_kernelINS0_14default_configENS1_25partition_config_selectorILNS1_17partition_subalgoE8EfNS0_10empty_typeEbEEZZNS1_14partition_implILS5_8ELb0ES3_jN6thrust23THRUST_200600_302600_NS6detail15normal_iteratorINSA_10device_ptrIfEEEEPS6_PKS6_NS0_5tupleIJSF_S6_EEENSJ_IJSG_SG_EEENS0_18inequality_wrapperINSA_8equal_toIfEEEEPmJS6_EEE10hipError_tPvRmT3_T4_T5_T6_T7_T9_mT8_P12ihipStream_tbDpT10_ENKUlT_T0_E_clISt17integral_constantIbLb0EES19_IbLb1EEEEDaS15_S16_EUlS15_E_NS1_11comp_targetILNS1_3genE9ELNS1_11target_archE1100ELNS1_3gpuE3ELNS1_3repE0EEENS1_30default_config_static_selectorELNS0_4arch9wavefront6targetE1EEEvT1_, .Lfunc_end110-_ZN7rocprim17ROCPRIM_400000_NS6detail17trampoline_kernelINS0_14default_configENS1_25partition_config_selectorILNS1_17partition_subalgoE8EfNS0_10empty_typeEbEEZZNS1_14partition_implILS5_8ELb0ES3_jN6thrust23THRUST_200600_302600_NS6detail15normal_iteratorINSA_10device_ptrIfEEEEPS6_PKS6_NS0_5tupleIJSF_S6_EEENSJ_IJSG_SG_EEENS0_18inequality_wrapperINSA_8equal_toIfEEEEPmJS6_EEE10hipError_tPvRmT3_T4_T5_T6_T7_T9_mT8_P12ihipStream_tbDpT10_ENKUlT_T0_E_clISt17integral_constantIbLb0EES19_IbLb1EEEEDaS15_S16_EUlS15_E_NS1_11comp_targetILNS1_3genE9ELNS1_11target_archE1100ELNS1_3gpuE3ELNS1_3repE0EEENS1_30default_config_static_selectorELNS0_4arch9wavefront6targetE1EEEvT1_
                                        ; -- End function
	.set _ZN7rocprim17ROCPRIM_400000_NS6detail17trampoline_kernelINS0_14default_configENS1_25partition_config_selectorILNS1_17partition_subalgoE8EfNS0_10empty_typeEbEEZZNS1_14partition_implILS5_8ELb0ES3_jN6thrust23THRUST_200600_302600_NS6detail15normal_iteratorINSA_10device_ptrIfEEEEPS6_PKS6_NS0_5tupleIJSF_S6_EEENSJ_IJSG_SG_EEENS0_18inequality_wrapperINSA_8equal_toIfEEEEPmJS6_EEE10hipError_tPvRmT3_T4_T5_T6_T7_T9_mT8_P12ihipStream_tbDpT10_ENKUlT_T0_E_clISt17integral_constantIbLb0EES19_IbLb1EEEEDaS15_S16_EUlS15_E_NS1_11comp_targetILNS1_3genE9ELNS1_11target_archE1100ELNS1_3gpuE3ELNS1_3repE0EEENS1_30default_config_static_selectorELNS0_4arch9wavefront6targetE1EEEvT1_.num_vgpr, 0
	.set _ZN7rocprim17ROCPRIM_400000_NS6detail17trampoline_kernelINS0_14default_configENS1_25partition_config_selectorILNS1_17partition_subalgoE8EfNS0_10empty_typeEbEEZZNS1_14partition_implILS5_8ELb0ES3_jN6thrust23THRUST_200600_302600_NS6detail15normal_iteratorINSA_10device_ptrIfEEEEPS6_PKS6_NS0_5tupleIJSF_S6_EEENSJ_IJSG_SG_EEENS0_18inequality_wrapperINSA_8equal_toIfEEEEPmJS6_EEE10hipError_tPvRmT3_T4_T5_T6_T7_T9_mT8_P12ihipStream_tbDpT10_ENKUlT_T0_E_clISt17integral_constantIbLb0EES19_IbLb1EEEEDaS15_S16_EUlS15_E_NS1_11comp_targetILNS1_3genE9ELNS1_11target_archE1100ELNS1_3gpuE3ELNS1_3repE0EEENS1_30default_config_static_selectorELNS0_4arch9wavefront6targetE1EEEvT1_.num_agpr, 0
	.set _ZN7rocprim17ROCPRIM_400000_NS6detail17trampoline_kernelINS0_14default_configENS1_25partition_config_selectorILNS1_17partition_subalgoE8EfNS0_10empty_typeEbEEZZNS1_14partition_implILS5_8ELb0ES3_jN6thrust23THRUST_200600_302600_NS6detail15normal_iteratorINSA_10device_ptrIfEEEEPS6_PKS6_NS0_5tupleIJSF_S6_EEENSJ_IJSG_SG_EEENS0_18inequality_wrapperINSA_8equal_toIfEEEEPmJS6_EEE10hipError_tPvRmT3_T4_T5_T6_T7_T9_mT8_P12ihipStream_tbDpT10_ENKUlT_T0_E_clISt17integral_constantIbLb0EES19_IbLb1EEEEDaS15_S16_EUlS15_E_NS1_11comp_targetILNS1_3genE9ELNS1_11target_archE1100ELNS1_3gpuE3ELNS1_3repE0EEENS1_30default_config_static_selectorELNS0_4arch9wavefront6targetE1EEEvT1_.numbered_sgpr, 0
	.set _ZN7rocprim17ROCPRIM_400000_NS6detail17trampoline_kernelINS0_14default_configENS1_25partition_config_selectorILNS1_17partition_subalgoE8EfNS0_10empty_typeEbEEZZNS1_14partition_implILS5_8ELb0ES3_jN6thrust23THRUST_200600_302600_NS6detail15normal_iteratorINSA_10device_ptrIfEEEEPS6_PKS6_NS0_5tupleIJSF_S6_EEENSJ_IJSG_SG_EEENS0_18inequality_wrapperINSA_8equal_toIfEEEEPmJS6_EEE10hipError_tPvRmT3_T4_T5_T6_T7_T9_mT8_P12ihipStream_tbDpT10_ENKUlT_T0_E_clISt17integral_constantIbLb0EES19_IbLb1EEEEDaS15_S16_EUlS15_E_NS1_11comp_targetILNS1_3genE9ELNS1_11target_archE1100ELNS1_3gpuE3ELNS1_3repE0EEENS1_30default_config_static_selectorELNS0_4arch9wavefront6targetE1EEEvT1_.num_named_barrier, 0
	.set _ZN7rocprim17ROCPRIM_400000_NS6detail17trampoline_kernelINS0_14default_configENS1_25partition_config_selectorILNS1_17partition_subalgoE8EfNS0_10empty_typeEbEEZZNS1_14partition_implILS5_8ELb0ES3_jN6thrust23THRUST_200600_302600_NS6detail15normal_iteratorINSA_10device_ptrIfEEEEPS6_PKS6_NS0_5tupleIJSF_S6_EEENSJ_IJSG_SG_EEENS0_18inequality_wrapperINSA_8equal_toIfEEEEPmJS6_EEE10hipError_tPvRmT3_T4_T5_T6_T7_T9_mT8_P12ihipStream_tbDpT10_ENKUlT_T0_E_clISt17integral_constantIbLb0EES19_IbLb1EEEEDaS15_S16_EUlS15_E_NS1_11comp_targetILNS1_3genE9ELNS1_11target_archE1100ELNS1_3gpuE3ELNS1_3repE0EEENS1_30default_config_static_selectorELNS0_4arch9wavefront6targetE1EEEvT1_.private_seg_size, 0
	.set _ZN7rocprim17ROCPRIM_400000_NS6detail17trampoline_kernelINS0_14default_configENS1_25partition_config_selectorILNS1_17partition_subalgoE8EfNS0_10empty_typeEbEEZZNS1_14partition_implILS5_8ELb0ES3_jN6thrust23THRUST_200600_302600_NS6detail15normal_iteratorINSA_10device_ptrIfEEEEPS6_PKS6_NS0_5tupleIJSF_S6_EEENSJ_IJSG_SG_EEENS0_18inequality_wrapperINSA_8equal_toIfEEEEPmJS6_EEE10hipError_tPvRmT3_T4_T5_T6_T7_T9_mT8_P12ihipStream_tbDpT10_ENKUlT_T0_E_clISt17integral_constantIbLb0EES19_IbLb1EEEEDaS15_S16_EUlS15_E_NS1_11comp_targetILNS1_3genE9ELNS1_11target_archE1100ELNS1_3gpuE3ELNS1_3repE0EEENS1_30default_config_static_selectorELNS0_4arch9wavefront6targetE1EEEvT1_.uses_vcc, 0
	.set _ZN7rocprim17ROCPRIM_400000_NS6detail17trampoline_kernelINS0_14default_configENS1_25partition_config_selectorILNS1_17partition_subalgoE8EfNS0_10empty_typeEbEEZZNS1_14partition_implILS5_8ELb0ES3_jN6thrust23THRUST_200600_302600_NS6detail15normal_iteratorINSA_10device_ptrIfEEEEPS6_PKS6_NS0_5tupleIJSF_S6_EEENSJ_IJSG_SG_EEENS0_18inequality_wrapperINSA_8equal_toIfEEEEPmJS6_EEE10hipError_tPvRmT3_T4_T5_T6_T7_T9_mT8_P12ihipStream_tbDpT10_ENKUlT_T0_E_clISt17integral_constantIbLb0EES19_IbLb1EEEEDaS15_S16_EUlS15_E_NS1_11comp_targetILNS1_3genE9ELNS1_11target_archE1100ELNS1_3gpuE3ELNS1_3repE0EEENS1_30default_config_static_selectorELNS0_4arch9wavefront6targetE1EEEvT1_.uses_flat_scratch, 0
	.set _ZN7rocprim17ROCPRIM_400000_NS6detail17trampoline_kernelINS0_14default_configENS1_25partition_config_selectorILNS1_17partition_subalgoE8EfNS0_10empty_typeEbEEZZNS1_14partition_implILS5_8ELb0ES3_jN6thrust23THRUST_200600_302600_NS6detail15normal_iteratorINSA_10device_ptrIfEEEEPS6_PKS6_NS0_5tupleIJSF_S6_EEENSJ_IJSG_SG_EEENS0_18inequality_wrapperINSA_8equal_toIfEEEEPmJS6_EEE10hipError_tPvRmT3_T4_T5_T6_T7_T9_mT8_P12ihipStream_tbDpT10_ENKUlT_T0_E_clISt17integral_constantIbLb0EES19_IbLb1EEEEDaS15_S16_EUlS15_E_NS1_11comp_targetILNS1_3genE9ELNS1_11target_archE1100ELNS1_3gpuE3ELNS1_3repE0EEENS1_30default_config_static_selectorELNS0_4arch9wavefront6targetE1EEEvT1_.has_dyn_sized_stack, 0
	.set _ZN7rocprim17ROCPRIM_400000_NS6detail17trampoline_kernelINS0_14default_configENS1_25partition_config_selectorILNS1_17partition_subalgoE8EfNS0_10empty_typeEbEEZZNS1_14partition_implILS5_8ELb0ES3_jN6thrust23THRUST_200600_302600_NS6detail15normal_iteratorINSA_10device_ptrIfEEEEPS6_PKS6_NS0_5tupleIJSF_S6_EEENSJ_IJSG_SG_EEENS0_18inequality_wrapperINSA_8equal_toIfEEEEPmJS6_EEE10hipError_tPvRmT3_T4_T5_T6_T7_T9_mT8_P12ihipStream_tbDpT10_ENKUlT_T0_E_clISt17integral_constantIbLb0EES19_IbLb1EEEEDaS15_S16_EUlS15_E_NS1_11comp_targetILNS1_3genE9ELNS1_11target_archE1100ELNS1_3gpuE3ELNS1_3repE0EEENS1_30default_config_static_selectorELNS0_4arch9wavefront6targetE1EEEvT1_.has_recursion, 0
	.set _ZN7rocprim17ROCPRIM_400000_NS6detail17trampoline_kernelINS0_14default_configENS1_25partition_config_selectorILNS1_17partition_subalgoE8EfNS0_10empty_typeEbEEZZNS1_14partition_implILS5_8ELb0ES3_jN6thrust23THRUST_200600_302600_NS6detail15normal_iteratorINSA_10device_ptrIfEEEEPS6_PKS6_NS0_5tupleIJSF_S6_EEENSJ_IJSG_SG_EEENS0_18inequality_wrapperINSA_8equal_toIfEEEEPmJS6_EEE10hipError_tPvRmT3_T4_T5_T6_T7_T9_mT8_P12ihipStream_tbDpT10_ENKUlT_T0_E_clISt17integral_constantIbLb0EES19_IbLb1EEEEDaS15_S16_EUlS15_E_NS1_11comp_targetILNS1_3genE9ELNS1_11target_archE1100ELNS1_3gpuE3ELNS1_3repE0EEENS1_30default_config_static_selectorELNS0_4arch9wavefront6targetE1EEEvT1_.has_indirect_call, 0
	.section	.AMDGPU.csdata,"",@progbits
; Kernel info:
; codeLenInByte = 0
; TotalNumSgprs: 4
; NumVgprs: 0
; ScratchSize: 0
; MemoryBound: 0
; FloatMode: 240
; IeeeMode: 1
; LDSByteSize: 0 bytes/workgroup (compile time only)
; SGPRBlocks: 0
; VGPRBlocks: 0
; NumSGPRsForWavesPerEU: 4
; NumVGPRsForWavesPerEU: 1
; Occupancy: 10
; WaveLimiterHint : 0
; COMPUTE_PGM_RSRC2:SCRATCH_EN: 0
; COMPUTE_PGM_RSRC2:USER_SGPR: 6
; COMPUTE_PGM_RSRC2:TRAP_HANDLER: 0
; COMPUTE_PGM_RSRC2:TGID_X_EN: 1
; COMPUTE_PGM_RSRC2:TGID_Y_EN: 0
; COMPUTE_PGM_RSRC2:TGID_Z_EN: 0
; COMPUTE_PGM_RSRC2:TIDIG_COMP_CNT: 0
	.section	.text._ZN7rocprim17ROCPRIM_400000_NS6detail17trampoline_kernelINS0_14default_configENS1_25partition_config_selectorILNS1_17partition_subalgoE8EfNS0_10empty_typeEbEEZZNS1_14partition_implILS5_8ELb0ES3_jN6thrust23THRUST_200600_302600_NS6detail15normal_iteratorINSA_10device_ptrIfEEEEPS6_PKS6_NS0_5tupleIJSF_S6_EEENSJ_IJSG_SG_EEENS0_18inequality_wrapperINSA_8equal_toIfEEEEPmJS6_EEE10hipError_tPvRmT3_T4_T5_T6_T7_T9_mT8_P12ihipStream_tbDpT10_ENKUlT_T0_E_clISt17integral_constantIbLb0EES19_IbLb1EEEEDaS15_S16_EUlS15_E_NS1_11comp_targetILNS1_3genE8ELNS1_11target_archE1030ELNS1_3gpuE2ELNS1_3repE0EEENS1_30default_config_static_selectorELNS0_4arch9wavefront6targetE1EEEvT1_,"axG",@progbits,_ZN7rocprim17ROCPRIM_400000_NS6detail17trampoline_kernelINS0_14default_configENS1_25partition_config_selectorILNS1_17partition_subalgoE8EfNS0_10empty_typeEbEEZZNS1_14partition_implILS5_8ELb0ES3_jN6thrust23THRUST_200600_302600_NS6detail15normal_iteratorINSA_10device_ptrIfEEEEPS6_PKS6_NS0_5tupleIJSF_S6_EEENSJ_IJSG_SG_EEENS0_18inequality_wrapperINSA_8equal_toIfEEEEPmJS6_EEE10hipError_tPvRmT3_T4_T5_T6_T7_T9_mT8_P12ihipStream_tbDpT10_ENKUlT_T0_E_clISt17integral_constantIbLb0EES19_IbLb1EEEEDaS15_S16_EUlS15_E_NS1_11comp_targetILNS1_3genE8ELNS1_11target_archE1030ELNS1_3gpuE2ELNS1_3repE0EEENS1_30default_config_static_selectorELNS0_4arch9wavefront6targetE1EEEvT1_,comdat
	.protected	_ZN7rocprim17ROCPRIM_400000_NS6detail17trampoline_kernelINS0_14default_configENS1_25partition_config_selectorILNS1_17partition_subalgoE8EfNS0_10empty_typeEbEEZZNS1_14partition_implILS5_8ELb0ES3_jN6thrust23THRUST_200600_302600_NS6detail15normal_iteratorINSA_10device_ptrIfEEEEPS6_PKS6_NS0_5tupleIJSF_S6_EEENSJ_IJSG_SG_EEENS0_18inequality_wrapperINSA_8equal_toIfEEEEPmJS6_EEE10hipError_tPvRmT3_T4_T5_T6_T7_T9_mT8_P12ihipStream_tbDpT10_ENKUlT_T0_E_clISt17integral_constantIbLb0EES19_IbLb1EEEEDaS15_S16_EUlS15_E_NS1_11comp_targetILNS1_3genE8ELNS1_11target_archE1030ELNS1_3gpuE2ELNS1_3repE0EEENS1_30default_config_static_selectorELNS0_4arch9wavefront6targetE1EEEvT1_ ; -- Begin function _ZN7rocprim17ROCPRIM_400000_NS6detail17trampoline_kernelINS0_14default_configENS1_25partition_config_selectorILNS1_17partition_subalgoE8EfNS0_10empty_typeEbEEZZNS1_14partition_implILS5_8ELb0ES3_jN6thrust23THRUST_200600_302600_NS6detail15normal_iteratorINSA_10device_ptrIfEEEEPS6_PKS6_NS0_5tupleIJSF_S6_EEENSJ_IJSG_SG_EEENS0_18inequality_wrapperINSA_8equal_toIfEEEEPmJS6_EEE10hipError_tPvRmT3_T4_T5_T6_T7_T9_mT8_P12ihipStream_tbDpT10_ENKUlT_T0_E_clISt17integral_constantIbLb0EES19_IbLb1EEEEDaS15_S16_EUlS15_E_NS1_11comp_targetILNS1_3genE8ELNS1_11target_archE1030ELNS1_3gpuE2ELNS1_3repE0EEENS1_30default_config_static_selectorELNS0_4arch9wavefront6targetE1EEEvT1_
	.globl	_ZN7rocprim17ROCPRIM_400000_NS6detail17trampoline_kernelINS0_14default_configENS1_25partition_config_selectorILNS1_17partition_subalgoE8EfNS0_10empty_typeEbEEZZNS1_14partition_implILS5_8ELb0ES3_jN6thrust23THRUST_200600_302600_NS6detail15normal_iteratorINSA_10device_ptrIfEEEEPS6_PKS6_NS0_5tupleIJSF_S6_EEENSJ_IJSG_SG_EEENS0_18inequality_wrapperINSA_8equal_toIfEEEEPmJS6_EEE10hipError_tPvRmT3_T4_T5_T6_T7_T9_mT8_P12ihipStream_tbDpT10_ENKUlT_T0_E_clISt17integral_constantIbLb0EES19_IbLb1EEEEDaS15_S16_EUlS15_E_NS1_11comp_targetILNS1_3genE8ELNS1_11target_archE1030ELNS1_3gpuE2ELNS1_3repE0EEENS1_30default_config_static_selectorELNS0_4arch9wavefront6targetE1EEEvT1_
	.p2align	8
	.type	_ZN7rocprim17ROCPRIM_400000_NS6detail17trampoline_kernelINS0_14default_configENS1_25partition_config_selectorILNS1_17partition_subalgoE8EfNS0_10empty_typeEbEEZZNS1_14partition_implILS5_8ELb0ES3_jN6thrust23THRUST_200600_302600_NS6detail15normal_iteratorINSA_10device_ptrIfEEEEPS6_PKS6_NS0_5tupleIJSF_S6_EEENSJ_IJSG_SG_EEENS0_18inequality_wrapperINSA_8equal_toIfEEEEPmJS6_EEE10hipError_tPvRmT3_T4_T5_T6_T7_T9_mT8_P12ihipStream_tbDpT10_ENKUlT_T0_E_clISt17integral_constantIbLb0EES19_IbLb1EEEEDaS15_S16_EUlS15_E_NS1_11comp_targetILNS1_3genE8ELNS1_11target_archE1030ELNS1_3gpuE2ELNS1_3repE0EEENS1_30default_config_static_selectorELNS0_4arch9wavefront6targetE1EEEvT1_,@function
_ZN7rocprim17ROCPRIM_400000_NS6detail17trampoline_kernelINS0_14default_configENS1_25partition_config_selectorILNS1_17partition_subalgoE8EfNS0_10empty_typeEbEEZZNS1_14partition_implILS5_8ELb0ES3_jN6thrust23THRUST_200600_302600_NS6detail15normal_iteratorINSA_10device_ptrIfEEEEPS6_PKS6_NS0_5tupleIJSF_S6_EEENSJ_IJSG_SG_EEENS0_18inequality_wrapperINSA_8equal_toIfEEEEPmJS6_EEE10hipError_tPvRmT3_T4_T5_T6_T7_T9_mT8_P12ihipStream_tbDpT10_ENKUlT_T0_E_clISt17integral_constantIbLb0EES19_IbLb1EEEEDaS15_S16_EUlS15_E_NS1_11comp_targetILNS1_3genE8ELNS1_11target_archE1030ELNS1_3gpuE2ELNS1_3repE0EEENS1_30default_config_static_selectorELNS0_4arch9wavefront6targetE1EEEvT1_: ; @_ZN7rocprim17ROCPRIM_400000_NS6detail17trampoline_kernelINS0_14default_configENS1_25partition_config_selectorILNS1_17partition_subalgoE8EfNS0_10empty_typeEbEEZZNS1_14partition_implILS5_8ELb0ES3_jN6thrust23THRUST_200600_302600_NS6detail15normal_iteratorINSA_10device_ptrIfEEEEPS6_PKS6_NS0_5tupleIJSF_S6_EEENSJ_IJSG_SG_EEENS0_18inequality_wrapperINSA_8equal_toIfEEEEPmJS6_EEE10hipError_tPvRmT3_T4_T5_T6_T7_T9_mT8_P12ihipStream_tbDpT10_ENKUlT_T0_E_clISt17integral_constantIbLb0EES19_IbLb1EEEEDaS15_S16_EUlS15_E_NS1_11comp_targetILNS1_3genE8ELNS1_11target_archE1030ELNS1_3gpuE2ELNS1_3repE0EEENS1_30default_config_static_selectorELNS0_4arch9wavefront6targetE1EEEvT1_
; %bb.0:
	.section	.rodata,"a",@progbits
	.p2align	6, 0x0
	.amdhsa_kernel _ZN7rocprim17ROCPRIM_400000_NS6detail17trampoline_kernelINS0_14default_configENS1_25partition_config_selectorILNS1_17partition_subalgoE8EfNS0_10empty_typeEbEEZZNS1_14partition_implILS5_8ELb0ES3_jN6thrust23THRUST_200600_302600_NS6detail15normal_iteratorINSA_10device_ptrIfEEEEPS6_PKS6_NS0_5tupleIJSF_S6_EEENSJ_IJSG_SG_EEENS0_18inequality_wrapperINSA_8equal_toIfEEEEPmJS6_EEE10hipError_tPvRmT3_T4_T5_T6_T7_T9_mT8_P12ihipStream_tbDpT10_ENKUlT_T0_E_clISt17integral_constantIbLb0EES19_IbLb1EEEEDaS15_S16_EUlS15_E_NS1_11comp_targetILNS1_3genE8ELNS1_11target_archE1030ELNS1_3gpuE2ELNS1_3repE0EEENS1_30default_config_static_selectorELNS0_4arch9wavefront6targetE1EEEvT1_
		.amdhsa_group_segment_fixed_size 0
		.amdhsa_private_segment_fixed_size 0
		.amdhsa_kernarg_size 128
		.amdhsa_user_sgpr_count 6
		.amdhsa_user_sgpr_private_segment_buffer 1
		.amdhsa_user_sgpr_dispatch_ptr 0
		.amdhsa_user_sgpr_queue_ptr 0
		.amdhsa_user_sgpr_kernarg_segment_ptr 1
		.amdhsa_user_sgpr_dispatch_id 0
		.amdhsa_user_sgpr_flat_scratch_init 0
		.amdhsa_user_sgpr_private_segment_size 0
		.amdhsa_uses_dynamic_stack 0
		.amdhsa_system_sgpr_private_segment_wavefront_offset 0
		.amdhsa_system_sgpr_workgroup_id_x 1
		.amdhsa_system_sgpr_workgroup_id_y 0
		.amdhsa_system_sgpr_workgroup_id_z 0
		.amdhsa_system_sgpr_workgroup_info 0
		.amdhsa_system_vgpr_workitem_id 0
		.amdhsa_next_free_vgpr 1
		.amdhsa_next_free_sgpr 0
		.amdhsa_reserve_vcc 0
		.amdhsa_reserve_flat_scratch 0
		.amdhsa_float_round_mode_32 0
		.amdhsa_float_round_mode_16_64 0
		.amdhsa_float_denorm_mode_32 3
		.amdhsa_float_denorm_mode_16_64 3
		.amdhsa_dx10_clamp 1
		.amdhsa_ieee_mode 1
		.amdhsa_fp16_overflow 0
		.amdhsa_exception_fp_ieee_invalid_op 0
		.amdhsa_exception_fp_denorm_src 0
		.amdhsa_exception_fp_ieee_div_zero 0
		.amdhsa_exception_fp_ieee_overflow 0
		.amdhsa_exception_fp_ieee_underflow 0
		.amdhsa_exception_fp_ieee_inexact 0
		.amdhsa_exception_int_div_zero 0
	.end_amdhsa_kernel
	.section	.text._ZN7rocprim17ROCPRIM_400000_NS6detail17trampoline_kernelINS0_14default_configENS1_25partition_config_selectorILNS1_17partition_subalgoE8EfNS0_10empty_typeEbEEZZNS1_14partition_implILS5_8ELb0ES3_jN6thrust23THRUST_200600_302600_NS6detail15normal_iteratorINSA_10device_ptrIfEEEEPS6_PKS6_NS0_5tupleIJSF_S6_EEENSJ_IJSG_SG_EEENS0_18inequality_wrapperINSA_8equal_toIfEEEEPmJS6_EEE10hipError_tPvRmT3_T4_T5_T6_T7_T9_mT8_P12ihipStream_tbDpT10_ENKUlT_T0_E_clISt17integral_constantIbLb0EES19_IbLb1EEEEDaS15_S16_EUlS15_E_NS1_11comp_targetILNS1_3genE8ELNS1_11target_archE1030ELNS1_3gpuE2ELNS1_3repE0EEENS1_30default_config_static_selectorELNS0_4arch9wavefront6targetE1EEEvT1_,"axG",@progbits,_ZN7rocprim17ROCPRIM_400000_NS6detail17trampoline_kernelINS0_14default_configENS1_25partition_config_selectorILNS1_17partition_subalgoE8EfNS0_10empty_typeEbEEZZNS1_14partition_implILS5_8ELb0ES3_jN6thrust23THRUST_200600_302600_NS6detail15normal_iteratorINSA_10device_ptrIfEEEEPS6_PKS6_NS0_5tupleIJSF_S6_EEENSJ_IJSG_SG_EEENS0_18inequality_wrapperINSA_8equal_toIfEEEEPmJS6_EEE10hipError_tPvRmT3_T4_T5_T6_T7_T9_mT8_P12ihipStream_tbDpT10_ENKUlT_T0_E_clISt17integral_constantIbLb0EES19_IbLb1EEEEDaS15_S16_EUlS15_E_NS1_11comp_targetILNS1_3genE8ELNS1_11target_archE1030ELNS1_3gpuE2ELNS1_3repE0EEENS1_30default_config_static_selectorELNS0_4arch9wavefront6targetE1EEEvT1_,comdat
.Lfunc_end111:
	.size	_ZN7rocprim17ROCPRIM_400000_NS6detail17trampoline_kernelINS0_14default_configENS1_25partition_config_selectorILNS1_17partition_subalgoE8EfNS0_10empty_typeEbEEZZNS1_14partition_implILS5_8ELb0ES3_jN6thrust23THRUST_200600_302600_NS6detail15normal_iteratorINSA_10device_ptrIfEEEEPS6_PKS6_NS0_5tupleIJSF_S6_EEENSJ_IJSG_SG_EEENS0_18inequality_wrapperINSA_8equal_toIfEEEEPmJS6_EEE10hipError_tPvRmT3_T4_T5_T6_T7_T9_mT8_P12ihipStream_tbDpT10_ENKUlT_T0_E_clISt17integral_constantIbLb0EES19_IbLb1EEEEDaS15_S16_EUlS15_E_NS1_11comp_targetILNS1_3genE8ELNS1_11target_archE1030ELNS1_3gpuE2ELNS1_3repE0EEENS1_30default_config_static_selectorELNS0_4arch9wavefront6targetE1EEEvT1_, .Lfunc_end111-_ZN7rocprim17ROCPRIM_400000_NS6detail17trampoline_kernelINS0_14default_configENS1_25partition_config_selectorILNS1_17partition_subalgoE8EfNS0_10empty_typeEbEEZZNS1_14partition_implILS5_8ELb0ES3_jN6thrust23THRUST_200600_302600_NS6detail15normal_iteratorINSA_10device_ptrIfEEEEPS6_PKS6_NS0_5tupleIJSF_S6_EEENSJ_IJSG_SG_EEENS0_18inequality_wrapperINSA_8equal_toIfEEEEPmJS6_EEE10hipError_tPvRmT3_T4_T5_T6_T7_T9_mT8_P12ihipStream_tbDpT10_ENKUlT_T0_E_clISt17integral_constantIbLb0EES19_IbLb1EEEEDaS15_S16_EUlS15_E_NS1_11comp_targetILNS1_3genE8ELNS1_11target_archE1030ELNS1_3gpuE2ELNS1_3repE0EEENS1_30default_config_static_selectorELNS0_4arch9wavefront6targetE1EEEvT1_
                                        ; -- End function
	.set _ZN7rocprim17ROCPRIM_400000_NS6detail17trampoline_kernelINS0_14default_configENS1_25partition_config_selectorILNS1_17partition_subalgoE8EfNS0_10empty_typeEbEEZZNS1_14partition_implILS5_8ELb0ES3_jN6thrust23THRUST_200600_302600_NS6detail15normal_iteratorINSA_10device_ptrIfEEEEPS6_PKS6_NS0_5tupleIJSF_S6_EEENSJ_IJSG_SG_EEENS0_18inequality_wrapperINSA_8equal_toIfEEEEPmJS6_EEE10hipError_tPvRmT3_T4_T5_T6_T7_T9_mT8_P12ihipStream_tbDpT10_ENKUlT_T0_E_clISt17integral_constantIbLb0EES19_IbLb1EEEEDaS15_S16_EUlS15_E_NS1_11comp_targetILNS1_3genE8ELNS1_11target_archE1030ELNS1_3gpuE2ELNS1_3repE0EEENS1_30default_config_static_selectorELNS0_4arch9wavefront6targetE1EEEvT1_.num_vgpr, 0
	.set _ZN7rocprim17ROCPRIM_400000_NS6detail17trampoline_kernelINS0_14default_configENS1_25partition_config_selectorILNS1_17partition_subalgoE8EfNS0_10empty_typeEbEEZZNS1_14partition_implILS5_8ELb0ES3_jN6thrust23THRUST_200600_302600_NS6detail15normal_iteratorINSA_10device_ptrIfEEEEPS6_PKS6_NS0_5tupleIJSF_S6_EEENSJ_IJSG_SG_EEENS0_18inequality_wrapperINSA_8equal_toIfEEEEPmJS6_EEE10hipError_tPvRmT3_T4_T5_T6_T7_T9_mT8_P12ihipStream_tbDpT10_ENKUlT_T0_E_clISt17integral_constantIbLb0EES19_IbLb1EEEEDaS15_S16_EUlS15_E_NS1_11comp_targetILNS1_3genE8ELNS1_11target_archE1030ELNS1_3gpuE2ELNS1_3repE0EEENS1_30default_config_static_selectorELNS0_4arch9wavefront6targetE1EEEvT1_.num_agpr, 0
	.set _ZN7rocprim17ROCPRIM_400000_NS6detail17trampoline_kernelINS0_14default_configENS1_25partition_config_selectorILNS1_17partition_subalgoE8EfNS0_10empty_typeEbEEZZNS1_14partition_implILS5_8ELb0ES3_jN6thrust23THRUST_200600_302600_NS6detail15normal_iteratorINSA_10device_ptrIfEEEEPS6_PKS6_NS0_5tupleIJSF_S6_EEENSJ_IJSG_SG_EEENS0_18inequality_wrapperINSA_8equal_toIfEEEEPmJS6_EEE10hipError_tPvRmT3_T4_T5_T6_T7_T9_mT8_P12ihipStream_tbDpT10_ENKUlT_T0_E_clISt17integral_constantIbLb0EES19_IbLb1EEEEDaS15_S16_EUlS15_E_NS1_11comp_targetILNS1_3genE8ELNS1_11target_archE1030ELNS1_3gpuE2ELNS1_3repE0EEENS1_30default_config_static_selectorELNS0_4arch9wavefront6targetE1EEEvT1_.numbered_sgpr, 0
	.set _ZN7rocprim17ROCPRIM_400000_NS6detail17trampoline_kernelINS0_14default_configENS1_25partition_config_selectorILNS1_17partition_subalgoE8EfNS0_10empty_typeEbEEZZNS1_14partition_implILS5_8ELb0ES3_jN6thrust23THRUST_200600_302600_NS6detail15normal_iteratorINSA_10device_ptrIfEEEEPS6_PKS6_NS0_5tupleIJSF_S6_EEENSJ_IJSG_SG_EEENS0_18inequality_wrapperINSA_8equal_toIfEEEEPmJS6_EEE10hipError_tPvRmT3_T4_T5_T6_T7_T9_mT8_P12ihipStream_tbDpT10_ENKUlT_T0_E_clISt17integral_constantIbLb0EES19_IbLb1EEEEDaS15_S16_EUlS15_E_NS1_11comp_targetILNS1_3genE8ELNS1_11target_archE1030ELNS1_3gpuE2ELNS1_3repE0EEENS1_30default_config_static_selectorELNS0_4arch9wavefront6targetE1EEEvT1_.num_named_barrier, 0
	.set _ZN7rocprim17ROCPRIM_400000_NS6detail17trampoline_kernelINS0_14default_configENS1_25partition_config_selectorILNS1_17partition_subalgoE8EfNS0_10empty_typeEbEEZZNS1_14partition_implILS5_8ELb0ES3_jN6thrust23THRUST_200600_302600_NS6detail15normal_iteratorINSA_10device_ptrIfEEEEPS6_PKS6_NS0_5tupleIJSF_S6_EEENSJ_IJSG_SG_EEENS0_18inequality_wrapperINSA_8equal_toIfEEEEPmJS6_EEE10hipError_tPvRmT3_T4_T5_T6_T7_T9_mT8_P12ihipStream_tbDpT10_ENKUlT_T0_E_clISt17integral_constantIbLb0EES19_IbLb1EEEEDaS15_S16_EUlS15_E_NS1_11comp_targetILNS1_3genE8ELNS1_11target_archE1030ELNS1_3gpuE2ELNS1_3repE0EEENS1_30default_config_static_selectorELNS0_4arch9wavefront6targetE1EEEvT1_.private_seg_size, 0
	.set _ZN7rocprim17ROCPRIM_400000_NS6detail17trampoline_kernelINS0_14default_configENS1_25partition_config_selectorILNS1_17partition_subalgoE8EfNS0_10empty_typeEbEEZZNS1_14partition_implILS5_8ELb0ES3_jN6thrust23THRUST_200600_302600_NS6detail15normal_iteratorINSA_10device_ptrIfEEEEPS6_PKS6_NS0_5tupleIJSF_S6_EEENSJ_IJSG_SG_EEENS0_18inequality_wrapperINSA_8equal_toIfEEEEPmJS6_EEE10hipError_tPvRmT3_T4_T5_T6_T7_T9_mT8_P12ihipStream_tbDpT10_ENKUlT_T0_E_clISt17integral_constantIbLb0EES19_IbLb1EEEEDaS15_S16_EUlS15_E_NS1_11comp_targetILNS1_3genE8ELNS1_11target_archE1030ELNS1_3gpuE2ELNS1_3repE0EEENS1_30default_config_static_selectorELNS0_4arch9wavefront6targetE1EEEvT1_.uses_vcc, 0
	.set _ZN7rocprim17ROCPRIM_400000_NS6detail17trampoline_kernelINS0_14default_configENS1_25partition_config_selectorILNS1_17partition_subalgoE8EfNS0_10empty_typeEbEEZZNS1_14partition_implILS5_8ELb0ES3_jN6thrust23THRUST_200600_302600_NS6detail15normal_iteratorINSA_10device_ptrIfEEEEPS6_PKS6_NS0_5tupleIJSF_S6_EEENSJ_IJSG_SG_EEENS0_18inequality_wrapperINSA_8equal_toIfEEEEPmJS6_EEE10hipError_tPvRmT3_T4_T5_T6_T7_T9_mT8_P12ihipStream_tbDpT10_ENKUlT_T0_E_clISt17integral_constantIbLb0EES19_IbLb1EEEEDaS15_S16_EUlS15_E_NS1_11comp_targetILNS1_3genE8ELNS1_11target_archE1030ELNS1_3gpuE2ELNS1_3repE0EEENS1_30default_config_static_selectorELNS0_4arch9wavefront6targetE1EEEvT1_.uses_flat_scratch, 0
	.set _ZN7rocprim17ROCPRIM_400000_NS6detail17trampoline_kernelINS0_14default_configENS1_25partition_config_selectorILNS1_17partition_subalgoE8EfNS0_10empty_typeEbEEZZNS1_14partition_implILS5_8ELb0ES3_jN6thrust23THRUST_200600_302600_NS6detail15normal_iteratorINSA_10device_ptrIfEEEEPS6_PKS6_NS0_5tupleIJSF_S6_EEENSJ_IJSG_SG_EEENS0_18inequality_wrapperINSA_8equal_toIfEEEEPmJS6_EEE10hipError_tPvRmT3_T4_T5_T6_T7_T9_mT8_P12ihipStream_tbDpT10_ENKUlT_T0_E_clISt17integral_constantIbLb0EES19_IbLb1EEEEDaS15_S16_EUlS15_E_NS1_11comp_targetILNS1_3genE8ELNS1_11target_archE1030ELNS1_3gpuE2ELNS1_3repE0EEENS1_30default_config_static_selectorELNS0_4arch9wavefront6targetE1EEEvT1_.has_dyn_sized_stack, 0
	.set _ZN7rocprim17ROCPRIM_400000_NS6detail17trampoline_kernelINS0_14default_configENS1_25partition_config_selectorILNS1_17partition_subalgoE8EfNS0_10empty_typeEbEEZZNS1_14partition_implILS5_8ELb0ES3_jN6thrust23THRUST_200600_302600_NS6detail15normal_iteratorINSA_10device_ptrIfEEEEPS6_PKS6_NS0_5tupleIJSF_S6_EEENSJ_IJSG_SG_EEENS0_18inequality_wrapperINSA_8equal_toIfEEEEPmJS6_EEE10hipError_tPvRmT3_T4_T5_T6_T7_T9_mT8_P12ihipStream_tbDpT10_ENKUlT_T0_E_clISt17integral_constantIbLb0EES19_IbLb1EEEEDaS15_S16_EUlS15_E_NS1_11comp_targetILNS1_3genE8ELNS1_11target_archE1030ELNS1_3gpuE2ELNS1_3repE0EEENS1_30default_config_static_selectorELNS0_4arch9wavefront6targetE1EEEvT1_.has_recursion, 0
	.set _ZN7rocprim17ROCPRIM_400000_NS6detail17trampoline_kernelINS0_14default_configENS1_25partition_config_selectorILNS1_17partition_subalgoE8EfNS0_10empty_typeEbEEZZNS1_14partition_implILS5_8ELb0ES3_jN6thrust23THRUST_200600_302600_NS6detail15normal_iteratorINSA_10device_ptrIfEEEEPS6_PKS6_NS0_5tupleIJSF_S6_EEENSJ_IJSG_SG_EEENS0_18inequality_wrapperINSA_8equal_toIfEEEEPmJS6_EEE10hipError_tPvRmT3_T4_T5_T6_T7_T9_mT8_P12ihipStream_tbDpT10_ENKUlT_T0_E_clISt17integral_constantIbLb0EES19_IbLb1EEEEDaS15_S16_EUlS15_E_NS1_11comp_targetILNS1_3genE8ELNS1_11target_archE1030ELNS1_3gpuE2ELNS1_3repE0EEENS1_30default_config_static_selectorELNS0_4arch9wavefront6targetE1EEEvT1_.has_indirect_call, 0
	.section	.AMDGPU.csdata,"",@progbits
; Kernel info:
; codeLenInByte = 0
; TotalNumSgprs: 4
; NumVgprs: 0
; ScratchSize: 0
; MemoryBound: 0
; FloatMode: 240
; IeeeMode: 1
; LDSByteSize: 0 bytes/workgroup (compile time only)
; SGPRBlocks: 0
; VGPRBlocks: 0
; NumSGPRsForWavesPerEU: 4
; NumVGPRsForWavesPerEU: 1
; Occupancy: 10
; WaveLimiterHint : 0
; COMPUTE_PGM_RSRC2:SCRATCH_EN: 0
; COMPUTE_PGM_RSRC2:USER_SGPR: 6
; COMPUTE_PGM_RSRC2:TRAP_HANDLER: 0
; COMPUTE_PGM_RSRC2:TGID_X_EN: 1
; COMPUTE_PGM_RSRC2:TGID_Y_EN: 0
; COMPUTE_PGM_RSRC2:TGID_Z_EN: 0
; COMPUTE_PGM_RSRC2:TIDIG_COMP_CNT: 0
	.section	.text._ZN7rocprim17ROCPRIM_400000_NS6detail17trampoline_kernelINS0_14default_configENS1_25partition_config_selectorILNS1_17partition_subalgoE8EfNS0_10empty_typeEbEEZZNS1_14partition_implILS5_8ELb0ES3_jN6thrust23THRUST_200600_302600_NS6detail15normal_iteratorINSA_10device_ptrIfEEEEPS6_PKS6_NS0_5tupleIJSF_S6_EEENSJ_IJSG_SG_EEENS0_18inequality_wrapperI22is_equal_div_10_uniqueIfEEEPmJS6_EEE10hipError_tPvRmT3_T4_T5_T6_T7_T9_mT8_P12ihipStream_tbDpT10_ENKUlT_T0_E_clISt17integral_constantIbLb0EES1A_EEDaS15_S16_EUlS15_E_NS1_11comp_targetILNS1_3genE0ELNS1_11target_archE4294967295ELNS1_3gpuE0ELNS1_3repE0EEENS1_30default_config_static_selectorELNS0_4arch9wavefront6targetE1EEEvT1_,"axG",@progbits,_ZN7rocprim17ROCPRIM_400000_NS6detail17trampoline_kernelINS0_14default_configENS1_25partition_config_selectorILNS1_17partition_subalgoE8EfNS0_10empty_typeEbEEZZNS1_14partition_implILS5_8ELb0ES3_jN6thrust23THRUST_200600_302600_NS6detail15normal_iteratorINSA_10device_ptrIfEEEEPS6_PKS6_NS0_5tupleIJSF_S6_EEENSJ_IJSG_SG_EEENS0_18inequality_wrapperI22is_equal_div_10_uniqueIfEEEPmJS6_EEE10hipError_tPvRmT3_T4_T5_T6_T7_T9_mT8_P12ihipStream_tbDpT10_ENKUlT_T0_E_clISt17integral_constantIbLb0EES1A_EEDaS15_S16_EUlS15_E_NS1_11comp_targetILNS1_3genE0ELNS1_11target_archE4294967295ELNS1_3gpuE0ELNS1_3repE0EEENS1_30default_config_static_selectorELNS0_4arch9wavefront6targetE1EEEvT1_,comdat
	.protected	_ZN7rocprim17ROCPRIM_400000_NS6detail17trampoline_kernelINS0_14default_configENS1_25partition_config_selectorILNS1_17partition_subalgoE8EfNS0_10empty_typeEbEEZZNS1_14partition_implILS5_8ELb0ES3_jN6thrust23THRUST_200600_302600_NS6detail15normal_iteratorINSA_10device_ptrIfEEEEPS6_PKS6_NS0_5tupleIJSF_S6_EEENSJ_IJSG_SG_EEENS0_18inequality_wrapperI22is_equal_div_10_uniqueIfEEEPmJS6_EEE10hipError_tPvRmT3_T4_T5_T6_T7_T9_mT8_P12ihipStream_tbDpT10_ENKUlT_T0_E_clISt17integral_constantIbLb0EES1A_EEDaS15_S16_EUlS15_E_NS1_11comp_targetILNS1_3genE0ELNS1_11target_archE4294967295ELNS1_3gpuE0ELNS1_3repE0EEENS1_30default_config_static_selectorELNS0_4arch9wavefront6targetE1EEEvT1_ ; -- Begin function _ZN7rocprim17ROCPRIM_400000_NS6detail17trampoline_kernelINS0_14default_configENS1_25partition_config_selectorILNS1_17partition_subalgoE8EfNS0_10empty_typeEbEEZZNS1_14partition_implILS5_8ELb0ES3_jN6thrust23THRUST_200600_302600_NS6detail15normal_iteratorINSA_10device_ptrIfEEEEPS6_PKS6_NS0_5tupleIJSF_S6_EEENSJ_IJSG_SG_EEENS0_18inequality_wrapperI22is_equal_div_10_uniqueIfEEEPmJS6_EEE10hipError_tPvRmT3_T4_T5_T6_T7_T9_mT8_P12ihipStream_tbDpT10_ENKUlT_T0_E_clISt17integral_constantIbLb0EES1A_EEDaS15_S16_EUlS15_E_NS1_11comp_targetILNS1_3genE0ELNS1_11target_archE4294967295ELNS1_3gpuE0ELNS1_3repE0EEENS1_30default_config_static_selectorELNS0_4arch9wavefront6targetE1EEEvT1_
	.globl	_ZN7rocprim17ROCPRIM_400000_NS6detail17trampoline_kernelINS0_14default_configENS1_25partition_config_selectorILNS1_17partition_subalgoE8EfNS0_10empty_typeEbEEZZNS1_14partition_implILS5_8ELb0ES3_jN6thrust23THRUST_200600_302600_NS6detail15normal_iteratorINSA_10device_ptrIfEEEEPS6_PKS6_NS0_5tupleIJSF_S6_EEENSJ_IJSG_SG_EEENS0_18inequality_wrapperI22is_equal_div_10_uniqueIfEEEPmJS6_EEE10hipError_tPvRmT3_T4_T5_T6_T7_T9_mT8_P12ihipStream_tbDpT10_ENKUlT_T0_E_clISt17integral_constantIbLb0EES1A_EEDaS15_S16_EUlS15_E_NS1_11comp_targetILNS1_3genE0ELNS1_11target_archE4294967295ELNS1_3gpuE0ELNS1_3repE0EEENS1_30default_config_static_selectorELNS0_4arch9wavefront6targetE1EEEvT1_
	.p2align	8
	.type	_ZN7rocprim17ROCPRIM_400000_NS6detail17trampoline_kernelINS0_14default_configENS1_25partition_config_selectorILNS1_17partition_subalgoE8EfNS0_10empty_typeEbEEZZNS1_14partition_implILS5_8ELb0ES3_jN6thrust23THRUST_200600_302600_NS6detail15normal_iteratorINSA_10device_ptrIfEEEEPS6_PKS6_NS0_5tupleIJSF_S6_EEENSJ_IJSG_SG_EEENS0_18inequality_wrapperI22is_equal_div_10_uniqueIfEEEPmJS6_EEE10hipError_tPvRmT3_T4_T5_T6_T7_T9_mT8_P12ihipStream_tbDpT10_ENKUlT_T0_E_clISt17integral_constantIbLb0EES1A_EEDaS15_S16_EUlS15_E_NS1_11comp_targetILNS1_3genE0ELNS1_11target_archE4294967295ELNS1_3gpuE0ELNS1_3repE0EEENS1_30default_config_static_selectorELNS0_4arch9wavefront6targetE1EEEvT1_,@function
_ZN7rocprim17ROCPRIM_400000_NS6detail17trampoline_kernelINS0_14default_configENS1_25partition_config_selectorILNS1_17partition_subalgoE8EfNS0_10empty_typeEbEEZZNS1_14partition_implILS5_8ELb0ES3_jN6thrust23THRUST_200600_302600_NS6detail15normal_iteratorINSA_10device_ptrIfEEEEPS6_PKS6_NS0_5tupleIJSF_S6_EEENSJ_IJSG_SG_EEENS0_18inequality_wrapperI22is_equal_div_10_uniqueIfEEEPmJS6_EEE10hipError_tPvRmT3_T4_T5_T6_T7_T9_mT8_P12ihipStream_tbDpT10_ENKUlT_T0_E_clISt17integral_constantIbLb0EES1A_EEDaS15_S16_EUlS15_E_NS1_11comp_targetILNS1_3genE0ELNS1_11target_archE4294967295ELNS1_3gpuE0ELNS1_3repE0EEENS1_30default_config_static_selectorELNS0_4arch9wavefront6targetE1EEEvT1_: ; @_ZN7rocprim17ROCPRIM_400000_NS6detail17trampoline_kernelINS0_14default_configENS1_25partition_config_selectorILNS1_17partition_subalgoE8EfNS0_10empty_typeEbEEZZNS1_14partition_implILS5_8ELb0ES3_jN6thrust23THRUST_200600_302600_NS6detail15normal_iteratorINSA_10device_ptrIfEEEEPS6_PKS6_NS0_5tupleIJSF_S6_EEENSJ_IJSG_SG_EEENS0_18inequality_wrapperI22is_equal_div_10_uniqueIfEEEPmJS6_EEE10hipError_tPvRmT3_T4_T5_T6_T7_T9_mT8_P12ihipStream_tbDpT10_ENKUlT_T0_E_clISt17integral_constantIbLb0EES1A_EEDaS15_S16_EUlS15_E_NS1_11comp_targetILNS1_3genE0ELNS1_11target_archE4294967295ELNS1_3gpuE0ELNS1_3repE0EEENS1_30default_config_static_selectorELNS0_4arch9wavefront6targetE1EEEvT1_
; %bb.0:
	.section	.rodata,"a",@progbits
	.p2align	6, 0x0
	.amdhsa_kernel _ZN7rocprim17ROCPRIM_400000_NS6detail17trampoline_kernelINS0_14default_configENS1_25partition_config_selectorILNS1_17partition_subalgoE8EfNS0_10empty_typeEbEEZZNS1_14partition_implILS5_8ELb0ES3_jN6thrust23THRUST_200600_302600_NS6detail15normal_iteratorINSA_10device_ptrIfEEEEPS6_PKS6_NS0_5tupleIJSF_S6_EEENSJ_IJSG_SG_EEENS0_18inequality_wrapperI22is_equal_div_10_uniqueIfEEEPmJS6_EEE10hipError_tPvRmT3_T4_T5_T6_T7_T9_mT8_P12ihipStream_tbDpT10_ENKUlT_T0_E_clISt17integral_constantIbLb0EES1A_EEDaS15_S16_EUlS15_E_NS1_11comp_targetILNS1_3genE0ELNS1_11target_archE4294967295ELNS1_3gpuE0ELNS1_3repE0EEENS1_30default_config_static_selectorELNS0_4arch9wavefront6targetE1EEEvT1_
		.amdhsa_group_segment_fixed_size 0
		.amdhsa_private_segment_fixed_size 0
		.amdhsa_kernarg_size 112
		.amdhsa_user_sgpr_count 6
		.amdhsa_user_sgpr_private_segment_buffer 1
		.amdhsa_user_sgpr_dispatch_ptr 0
		.amdhsa_user_sgpr_queue_ptr 0
		.amdhsa_user_sgpr_kernarg_segment_ptr 1
		.amdhsa_user_sgpr_dispatch_id 0
		.amdhsa_user_sgpr_flat_scratch_init 0
		.amdhsa_user_sgpr_private_segment_size 0
		.amdhsa_uses_dynamic_stack 0
		.amdhsa_system_sgpr_private_segment_wavefront_offset 0
		.amdhsa_system_sgpr_workgroup_id_x 1
		.amdhsa_system_sgpr_workgroup_id_y 0
		.amdhsa_system_sgpr_workgroup_id_z 0
		.amdhsa_system_sgpr_workgroup_info 0
		.amdhsa_system_vgpr_workitem_id 0
		.amdhsa_next_free_vgpr 1
		.amdhsa_next_free_sgpr 0
		.amdhsa_reserve_vcc 0
		.amdhsa_reserve_flat_scratch 0
		.amdhsa_float_round_mode_32 0
		.amdhsa_float_round_mode_16_64 0
		.amdhsa_float_denorm_mode_32 3
		.amdhsa_float_denorm_mode_16_64 3
		.amdhsa_dx10_clamp 1
		.amdhsa_ieee_mode 1
		.amdhsa_fp16_overflow 0
		.amdhsa_exception_fp_ieee_invalid_op 0
		.amdhsa_exception_fp_denorm_src 0
		.amdhsa_exception_fp_ieee_div_zero 0
		.amdhsa_exception_fp_ieee_overflow 0
		.amdhsa_exception_fp_ieee_underflow 0
		.amdhsa_exception_fp_ieee_inexact 0
		.amdhsa_exception_int_div_zero 0
	.end_amdhsa_kernel
	.section	.text._ZN7rocprim17ROCPRIM_400000_NS6detail17trampoline_kernelINS0_14default_configENS1_25partition_config_selectorILNS1_17partition_subalgoE8EfNS0_10empty_typeEbEEZZNS1_14partition_implILS5_8ELb0ES3_jN6thrust23THRUST_200600_302600_NS6detail15normal_iteratorINSA_10device_ptrIfEEEEPS6_PKS6_NS0_5tupleIJSF_S6_EEENSJ_IJSG_SG_EEENS0_18inequality_wrapperI22is_equal_div_10_uniqueIfEEEPmJS6_EEE10hipError_tPvRmT3_T4_T5_T6_T7_T9_mT8_P12ihipStream_tbDpT10_ENKUlT_T0_E_clISt17integral_constantIbLb0EES1A_EEDaS15_S16_EUlS15_E_NS1_11comp_targetILNS1_3genE0ELNS1_11target_archE4294967295ELNS1_3gpuE0ELNS1_3repE0EEENS1_30default_config_static_selectorELNS0_4arch9wavefront6targetE1EEEvT1_,"axG",@progbits,_ZN7rocprim17ROCPRIM_400000_NS6detail17trampoline_kernelINS0_14default_configENS1_25partition_config_selectorILNS1_17partition_subalgoE8EfNS0_10empty_typeEbEEZZNS1_14partition_implILS5_8ELb0ES3_jN6thrust23THRUST_200600_302600_NS6detail15normal_iteratorINSA_10device_ptrIfEEEEPS6_PKS6_NS0_5tupleIJSF_S6_EEENSJ_IJSG_SG_EEENS0_18inequality_wrapperI22is_equal_div_10_uniqueIfEEEPmJS6_EEE10hipError_tPvRmT3_T4_T5_T6_T7_T9_mT8_P12ihipStream_tbDpT10_ENKUlT_T0_E_clISt17integral_constantIbLb0EES1A_EEDaS15_S16_EUlS15_E_NS1_11comp_targetILNS1_3genE0ELNS1_11target_archE4294967295ELNS1_3gpuE0ELNS1_3repE0EEENS1_30default_config_static_selectorELNS0_4arch9wavefront6targetE1EEEvT1_,comdat
.Lfunc_end112:
	.size	_ZN7rocprim17ROCPRIM_400000_NS6detail17trampoline_kernelINS0_14default_configENS1_25partition_config_selectorILNS1_17partition_subalgoE8EfNS0_10empty_typeEbEEZZNS1_14partition_implILS5_8ELb0ES3_jN6thrust23THRUST_200600_302600_NS6detail15normal_iteratorINSA_10device_ptrIfEEEEPS6_PKS6_NS0_5tupleIJSF_S6_EEENSJ_IJSG_SG_EEENS0_18inequality_wrapperI22is_equal_div_10_uniqueIfEEEPmJS6_EEE10hipError_tPvRmT3_T4_T5_T6_T7_T9_mT8_P12ihipStream_tbDpT10_ENKUlT_T0_E_clISt17integral_constantIbLb0EES1A_EEDaS15_S16_EUlS15_E_NS1_11comp_targetILNS1_3genE0ELNS1_11target_archE4294967295ELNS1_3gpuE0ELNS1_3repE0EEENS1_30default_config_static_selectorELNS0_4arch9wavefront6targetE1EEEvT1_, .Lfunc_end112-_ZN7rocprim17ROCPRIM_400000_NS6detail17trampoline_kernelINS0_14default_configENS1_25partition_config_selectorILNS1_17partition_subalgoE8EfNS0_10empty_typeEbEEZZNS1_14partition_implILS5_8ELb0ES3_jN6thrust23THRUST_200600_302600_NS6detail15normal_iteratorINSA_10device_ptrIfEEEEPS6_PKS6_NS0_5tupleIJSF_S6_EEENSJ_IJSG_SG_EEENS0_18inequality_wrapperI22is_equal_div_10_uniqueIfEEEPmJS6_EEE10hipError_tPvRmT3_T4_T5_T6_T7_T9_mT8_P12ihipStream_tbDpT10_ENKUlT_T0_E_clISt17integral_constantIbLb0EES1A_EEDaS15_S16_EUlS15_E_NS1_11comp_targetILNS1_3genE0ELNS1_11target_archE4294967295ELNS1_3gpuE0ELNS1_3repE0EEENS1_30default_config_static_selectorELNS0_4arch9wavefront6targetE1EEEvT1_
                                        ; -- End function
	.set _ZN7rocprim17ROCPRIM_400000_NS6detail17trampoline_kernelINS0_14default_configENS1_25partition_config_selectorILNS1_17partition_subalgoE8EfNS0_10empty_typeEbEEZZNS1_14partition_implILS5_8ELb0ES3_jN6thrust23THRUST_200600_302600_NS6detail15normal_iteratorINSA_10device_ptrIfEEEEPS6_PKS6_NS0_5tupleIJSF_S6_EEENSJ_IJSG_SG_EEENS0_18inequality_wrapperI22is_equal_div_10_uniqueIfEEEPmJS6_EEE10hipError_tPvRmT3_T4_T5_T6_T7_T9_mT8_P12ihipStream_tbDpT10_ENKUlT_T0_E_clISt17integral_constantIbLb0EES1A_EEDaS15_S16_EUlS15_E_NS1_11comp_targetILNS1_3genE0ELNS1_11target_archE4294967295ELNS1_3gpuE0ELNS1_3repE0EEENS1_30default_config_static_selectorELNS0_4arch9wavefront6targetE1EEEvT1_.num_vgpr, 0
	.set _ZN7rocprim17ROCPRIM_400000_NS6detail17trampoline_kernelINS0_14default_configENS1_25partition_config_selectorILNS1_17partition_subalgoE8EfNS0_10empty_typeEbEEZZNS1_14partition_implILS5_8ELb0ES3_jN6thrust23THRUST_200600_302600_NS6detail15normal_iteratorINSA_10device_ptrIfEEEEPS6_PKS6_NS0_5tupleIJSF_S6_EEENSJ_IJSG_SG_EEENS0_18inequality_wrapperI22is_equal_div_10_uniqueIfEEEPmJS6_EEE10hipError_tPvRmT3_T4_T5_T6_T7_T9_mT8_P12ihipStream_tbDpT10_ENKUlT_T0_E_clISt17integral_constantIbLb0EES1A_EEDaS15_S16_EUlS15_E_NS1_11comp_targetILNS1_3genE0ELNS1_11target_archE4294967295ELNS1_3gpuE0ELNS1_3repE0EEENS1_30default_config_static_selectorELNS0_4arch9wavefront6targetE1EEEvT1_.num_agpr, 0
	.set _ZN7rocprim17ROCPRIM_400000_NS6detail17trampoline_kernelINS0_14default_configENS1_25partition_config_selectorILNS1_17partition_subalgoE8EfNS0_10empty_typeEbEEZZNS1_14partition_implILS5_8ELb0ES3_jN6thrust23THRUST_200600_302600_NS6detail15normal_iteratorINSA_10device_ptrIfEEEEPS6_PKS6_NS0_5tupleIJSF_S6_EEENSJ_IJSG_SG_EEENS0_18inequality_wrapperI22is_equal_div_10_uniqueIfEEEPmJS6_EEE10hipError_tPvRmT3_T4_T5_T6_T7_T9_mT8_P12ihipStream_tbDpT10_ENKUlT_T0_E_clISt17integral_constantIbLb0EES1A_EEDaS15_S16_EUlS15_E_NS1_11comp_targetILNS1_3genE0ELNS1_11target_archE4294967295ELNS1_3gpuE0ELNS1_3repE0EEENS1_30default_config_static_selectorELNS0_4arch9wavefront6targetE1EEEvT1_.numbered_sgpr, 0
	.set _ZN7rocprim17ROCPRIM_400000_NS6detail17trampoline_kernelINS0_14default_configENS1_25partition_config_selectorILNS1_17partition_subalgoE8EfNS0_10empty_typeEbEEZZNS1_14partition_implILS5_8ELb0ES3_jN6thrust23THRUST_200600_302600_NS6detail15normal_iteratorINSA_10device_ptrIfEEEEPS6_PKS6_NS0_5tupleIJSF_S6_EEENSJ_IJSG_SG_EEENS0_18inequality_wrapperI22is_equal_div_10_uniqueIfEEEPmJS6_EEE10hipError_tPvRmT3_T4_T5_T6_T7_T9_mT8_P12ihipStream_tbDpT10_ENKUlT_T0_E_clISt17integral_constantIbLb0EES1A_EEDaS15_S16_EUlS15_E_NS1_11comp_targetILNS1_3genE0ELNS1_11target_archE4294967295ELNS1_3gpuE0ELNS1_3repE0EEENS1_30default_config_static_selectorELNS0_4arch9wavefront6targetE1EEEvT1_.num_named_barrier, 0
	.set _ZN7rocprim17ROCPRIM_400000_NS6detail17trampoline_kernelINS0_14default_configENS1_25partition_config_selectorILNS1_17partition_subalgoE8EfNS0_10empty_typeEbEEZZNS1_14partition_implILS5_8ELb0ES3_jN6thrust23THRUST_200600_302600_NS6detail15normal_iteratorINSA_10device_ptrIfEEEEPS6_PKS6_NS0_5tupleIJSF_S6_EEENSJ_IJSG_SG_EEENS0_18inequality_wrapperI22is_equal_div_10_uniqueIfEEEPmJS6_EEE10hipError_tPvRmT3_T4_T5_T6_T7_T9_mT8_P12ihipStream_tbDpT10_ENKUlT_T0_E_clISt17integral_constantIbLb0EES1A_EEDaS15_S16_EUlS15_E_NS1_11comp_targetILNS1_3genE0ELNS1_11target_archE4294967295ELNS1_3gpuE0ELNS1_3repE0EEENS1_30default_config_static_selectorELNS0_4arch9wavefront6targetE1EEEvT1_.private_seg_size, 0
	.set _ZN7rocprim17ROCPRIM_400000_NS6detail17trampoline_kernelINS0_14default_configENS1_25partition_config_selectorILNS1_17partition_subalgoE8EfNS0_10empty_typeEbEEZZNS1_14partition_implILS5_8ELb0ES3_jN6thrust23THRUST_200600_302600_NS6detail15normal_iteratorINSA_10device_ptrIfEEEEPS6_PKS6_NS0_5tupleIJSF_S6_EEENSJ_IJSG_SG_EEENS0_18inequality_wrapperI22is_equal_div_10_uniqueIfEEEPmJS6_EEE10hipError_tPvRmT3_T4_T5_T6_T7_T9_mT8_P12ihipStream_tbDpT10_ENKUlT_T0_E_clISt17integral_constantIbLb0EES1A_EEDaS15_S16_EUlS15_E_NS1_11comp_targetILNS1_3genE0ELNS1_11target_archE4294967295ELNS1_3gpuE0ELNS1_3repE0EEENS1_30default_config_static_selectorELNS0_4arch9wavefront6targetE1EEEvT1_.uses_vcc, 0
	.set _ZN7rocprim17ROCPRIM_400000_NS6detail17trampoline_kernelINS0_14default_configENS1_25partition_config_selectorILNS1_17partition_subalgoE8EfNS0_10empty_typeEbEEZZNS1_14partition_implILS5_8ELb0ES3_jN6thrust23THRUST_200600_302600_NS6detail15normal_iteratorINSA_10device_ptrIfEEEEPS6_PKS6_NS0_5tupleIJSF_S6_EEENSJ_IJSG_SG_EEENS0_18inequality_wrapperI22is_equal_div_10_uniqueIfEEEPmJS6_EEE10hipError_tPvRmT3_T4_T5_T6_T7_T9_mT8_P12ihipStream_tbDpT10_ENKUlT_T0_E_clISt17integral_constantIbLb0EES1A_EEDaS15_S16_EUlS15_E_NS1_11comp_targetILNS1_3genE0ELNS1_11target_archE4294967295ELNS1_3gpuE0ELNS1_3repE0EEENS1_30default_config_static_selectorELNS0_4arch9wavefront6targetE1EEEvT1_.uses_flat_scratch, 0
	.set _ZN7rocprim17ROCPRIM_400000_NS6detail17trampoline_kernelINS0_14default_configENS1_25partition_config_selectorILNS1_17partition_subalgoE8EfNS0_10empty_typeEbEEZZNS1_14partition_implILS5_8ELb0ES3_jN6thrust23THRUST_200600_302600_NS6detail15normal_iteratorINSA_10device_ptrIfEEEEPS6_PKS6_NS0_5tupleIJSF_S6_EEENSJ_IJSG_SG_EEENS0_18inequality_wrapperI22is_equal_div_10_uniqueIfEEEPmJS6_EEE10hipError_tPvRmT3_T4_T5_T6_T7_T9_mT8_P12ihipStream_tbDpT10_ENKUlT_T0_E_clISt17integral_constantIbLb0EES1A_EEDaS15_S16_EUlS15_E_NS1_11comp_targetILNS1_3genE0ELNS1_11target_archE4294967295ELNS1_3gpuE0ELNS1_3repE0EEENS1_30default_config_static_selectorELNS0_4arch9wavefront6targetE1EEEvT1_.has_dyn_sized_stack, 0
	.set _ZN7rocprim17ROCPRIM_400000_NS6detail17trampoline_kernelINS0_14default_configENS1_25partition_config_selectorILNS1_17partition_subalgoE8EfNS0_10empty_typeEbEEZZNS1_14partition_implILS5_8ELb0ES3_jN6thrust23THRUST_200600_302600_NS6detail15normal_iteratorINSA_10device_ptrIfEEEEPS6_PKS6_NS0_5tupleIJSF_S6_EEENSJ_IJSG_SG_EEENS0_18inequality_wrapperI22is_equal_div_10_uniqueIfEEEPmJS6_EEE10hipError_tPvRmT3_T4_T5_T6_T7_T9_mT8_P12ihipStream_tbDpT10_ENKUlT_T0_E_clISt17integral_constantIbLb0EES1A_EEDaS15_S16_EUlS15_E_NS1_11comp_targetILNS1_3genE0ELNS1_11target_archE4294967295ELNS1_3gpuE0ELNS1_3repE0EEENS1_30default_config_static_selectorELNS0_4arch9wavefront6targetE1EEEvT1_.has_recursion, 0
	.set _ZN7rocprim17ROCPRIM_400000_NS6detail17trampoline_kernelINS0_14default_configENS1_25partition_config_selectorILNS1_17partition_subalgoE8EfNS0_10empty_typeEbEEZZNS1_14partition_implILS5_8ELb0ES3_jN6thrust23THRUST_200600_302600_NS6detail15normal_iteratorINSA_10device_ptrIfEEEEPS6_PKS6_NS0_5tupleIJSF_S6_EEENSJ_IJSG_SG_EEENS0_18inequality_wrapperI22is_equal_div_10_uniqueIfEEEPmJS6_EEE10hipError_tPvRmT3_T4_T5_T6_T7_T9_mT8_P12ihipStream_tbDpT10_ENKUlT_T0_E_clISt17integral_constantIbLb0EES1A_EEDaS15_S16_EUlS15_E_NS1_11comp_targetILNS1_3genE0ELNS1_11target_archE4294967295ELNS1_3gpuE0ELNS1_3repE0EEENS1_30default_config_static_selectorELNS0_4arch9wavefront6targetE1EEEvT1_.has_indirect_call, 0
	.section	.AMDGPU.csdata,"",@progbits
; Kernel info:
; codeLenInByte = 0
; TotalNumSgprs: 4
; NumVgprs: 0
; ScratchSize: 0
; MemoryBound: 0
; FloatMode: 240
; IeeeMode: 1
; LDSByteSize: 0 bytes/workgroup (compile time only)
; SGPRBlocks: 0
; VGPRBlocks: 0
; NumSGPRsForWavesPerEU: 4
; NumVGPRsForWavesPerEU: 1
; Occupancy: 10
; WaveLimiterHint : 0
; COMPUTE_PGM_RSRC2:SCRATCH_EN: 0
; COMPUTE_PGM_RSRC2:USER_SGPR: 6
; COMPUTE_PGM_RSRC2:TRAP_HANDLER: 0
; COMPUTE_PGM_RSRC2:TGID_X_EN: 1
; COMPUTE_PGM_RSRC2:TGID_Y_EN: 0
; COMPUTE_PGM_RSRC2:TGID_Z_EN: 0
; COMPUTE_PGM_RSRC2:TIDIG_COMP_CNT: 0
	.section	.text._ZN7rocprim17ROCPRIM_400000_NS6detail17trampoline_kernelINS0_14default_configENS1_25partition_config_selectorILNS1_17partition_subalgoE8EfNS0_10empty_typeEbEEZZNS1_14partition_implILS5_8ELb0ES3_jN6thrust23THRUST_200600_302600_NS6detail15normal_iteratorINSA_10device_ptrIfEEEEPS6_PKS6_NS0_5tupleIJSF_S6_EEENSJ_IJSG_SG_EEENS0_18inequality_wrapperI22is_equal_div_10_uniqueIfEEEPmJS6_EEE10hipError_tPvRmT3_T4_T5_T6_T7_T9_mT8_P12ihipStream_tbDpT10_ENKUlT_T0_E_clISt17integral_constantIbLb0EES1A_EEDaS15_S16_EUlS15_E_NS1_11comp_targetILNS1_3genE5ELNS1_11target_archE942ELNS1_3gpuE9ELNS1_3repE0EEENS1_30default_config_static_selectorELNS0_4arch9wavefront6targetE1EEEvT1_,"axG",@progbits,_ZN7rocprim17ROCPRIM_400000_NS6detail17trampoline_kernelINS0_14default_configENS1_25partition_config_selectorILNS1_17partition_subalgoE8EfNS0_10empty_typeEbEEZZNS1_14partition_implILS5_8ELb0ES3_jN6thrust23THRUST_200600_302600_NS6detail15normal_iteratorINSA_10device_ptrIfEEEEPS6_PKS6_NS0_5tupleIJSF_S6_EEENSJ_IJSG_SG_EEENS0_18inequality_wrapperI22is_equal_div_10_uniqueIfEEEPmJS6_EEE10hipError_tPvRmT3_T4_T5_T6_T7_T9_mT8_P12ihipStream_tbDpT10_ENKUlT_T0_E_clISt17integral_constantIbLb0EES1A_EEDaS15_S16_EUlS15_E_NS1_11comp_targetILNS1_3genE5ELNS1_11target_archE942ELNS1_3gpuE9ELNS1_3repE0EEENS1_30default_config_static_selectorELNS0_4arch9wavefront6targetE1EEEvT1_,comdat
	.protected	_ZN7rocprim17ROCPRIM_400000_NS6detail17trampoline_kernelINS0_14default_configENS1_25partition_config_selectorILNS1_17partition_subalgoE8EfNS0_10empty_typeEbEEZZNS1_14partition_implILS5_8ELb0ES3_jN6thrust23THRUST_200600_302600_NS6detail15normal_iteratorINSA_10device_ptrIfEEEEPS6_PKS6_NS0_5tupleIJSF_S6_EEENSJ_IJSG_SG_EEENS0_18inequality_wrapperI22is_equal_div_10_uniqueIfEEEPmJS6_EEE10hipError_tPvRmT3_T4_T5_T6_T7_T9_mT8_P12ihipStream_tbDpT10_ENKUlT_T0_E_clISt17integral_constantIbLb0EES1A_EEDaS15_S16_EUlS15_E_NS1_11comp_targetILNS1_3genE5ELNS1_11target_archE942ELNS1_3gpuE9ELNS1_3repE0EEENS1_30default_config_static_selectorELNS0_4arch9wavefront6targetE1EEEvT1_ ; -- Begin function _ZN7rocprim17ROCPRIM_400000_NS6detail17trampoline_kernelINS0_14default_configENS1_25partition_config_selectorILNS1_17partition_subalgoE8EfNS0_10empty_typeEbEEZZNS1_14partition_implILS5_8ELb0ES3_jN6thrust23THRUST_200600_302600_NS6detail15normal_iteratorINSA_10device_ptrIfEEEEPS6_PKS6_NS0_5tupleIJSF_S6_EEENSJ_IJSG_SG_EEENS0_18inequality_wrapperI22is_equal_div_10_uniqueIfEEEPmJS6_EEE10hipError_tPvRmT3_T4_T5_T6_T7_T9_mT8_P12ihipStream_tbDpT10_ENKUlT_T0_E_clISt17integral_constantIbLb0EES1A_EEDaS15_S16_EUlS15_E_NS1_11comp_targetILNS1_3genE5ELNS1_11target_archE942ELNS1_3gpuE9ELNS1_3repE0EEENS1_30default_config_static_selectorELNS0_4arch9wavefront6targetE1EEEvT1_
	.globl	_ZN7rocprim17ROCPRIM_400000_NS6detail17trampoline_kernelINS0_14default_configENS1_25partition_config_selectorILNS1_17partition_subalgoE8EfNS0_10empty_typeEbEEZZNS1_14partition_implILS5_8ELb0ES3_jN6thrust23THRUST_200600_302600_NS6detail15normal_iteratorINSA_10device_ptrIfEEEEPS6_PKS6_NS0_5tupleIJSF_S6_EEENSJ_IJSG_SG_EEENS0_18inequality_wrapperI22is_equal_div_10_uniqueIfEEEPmJS6_EEE10hipError_tPvRmT3_T4_T5_T6_T7_T9_mT8_P12ihipStream_tbDpT10_ENKUlT_T0_E_clISt17integral_constantIbLb0EES1A_EEDaS15_S16_EUlS15_E_NS1_11comp_targetILNS1_3genE5ELNS1_11target_archE942ELNS1_3gpuE9ELNS1_3repE0EEENS1_30default_config_static_selectorELNS0_4arch9wavefront6targetE1EEEvT1_
	.p2align	8
	.type	_ZN7rocprim17ROCPRIM_400000_NS6detail17trampoline_kernelINS0_14default_configENS1_25partition_config_selectorILNS1_17partition_subalgoE8EfNS0_10empty_typeEbEEZZNS1_14partition_implILS5_8ELb0ES3_jN6thrust23THRUST_200600_302600_NS6detail15normal_iteratorINSA_10device_ptrIfEEEEPS6_PKS6_NS0_5tupleIJSF_S6_EEENSJ_IJSG_SG_EEENS0_18inequality_wrapperI22is_equal_div_10_uniqueIfEEEPmJS6_EEE10hipError_tPvRmT3_T4_T5_T6_T7_T9_mT8_P12ihipStream_tbDpT10_ENKUlT_T0_E_clISt17integral_constantIbLb0EES1A_EEDaS15_S16_EUlS15_E_NS1_11comp_targetILNS1_3genE5ELNS1_11target_archE942ELNS1_3gpuE9ELNS1_3repE0EEENS1_30default_config_static_selectorELNS0_4arch9wavefront6targetE1EEEvT1_,@function
_ZN7rocprim17ROCPRIM_400000_NS6detail17trampoline_kernelINS0_14default_configENS1_25partition_config_selectorILNS1_17partition_subalgoE8EfNS0_10empty_typeEbEEZZNS1_14partition_implILS5_8ELb0ES3_jN6thrust23THRUST_200600_302600_NS6detail15normal_iteratorINSA_10device_ptrIfEEEEPS6_PKS6_NS0_5tupleIJSF_S6_EEENSJ_IJSG_SG_EEENS0_18inequality_wrapperI22is_equal_div_10_uniqueIfEEEPmJS6_EEE10hipError_tPvRmT3_T4_T5_T6_T7_T9_mT8_P12ihipStream_tbDpT10_ENKUlT_T0_E_clISt17integral_constantIbLb0EES1A_EEDaS15_S16_EUlS15_E_NS1_11comp_targetILNS1_3genE5ELNS1_11target_archE942ELNS1_3gpuE9ELNS1_3repE0EEENS1_30default_config_static_selectorELNS0_4arch9wavefront6targetE1EEEvT1_: ; @_ZN7rocprim17ROCPRIM_400000_NS6detail17trampoline_kernelINS0_14default_configENS1_25partition_config_selectorILNS1_17partition_subalgoE8EfNS0_10empty_typeEbEEZZNS1_14partition_implILS5_8ELb0ES3_jN6thrust23THRUST_200600_302600_NS6detail15normal_iteratorINSA_10device_ptrIfEEEEPS6_PKS6_NS0_5tupleIJSF_S6_EEENSJ_IJSG_SG_EEENS0_18inequality_wrapperI22is_equal_div_10_uniqueIfEEEPmJS6_EEE10hipError_tPvRmT3_T4_T5_T6_T7_T9_mT8_P12ihipStream_tbDpT10_ENKUlT_T0_E_clISt17integral_constantIbLb0EES1A_EEDaS15_S16_EUlS15_E_NS1_11comp_targetILNS1_3genE5ELNS1_11target_archE942ELNS1_3gpuE9ELNS1_3repE0EEENS1_30default_config_static_selectorELNS0_4arch9wavefront6targetE1EEEvT1_
; %bb.0:
	.section	.rodata,"a",@progbits
	.p2align	6, 0x0
	.amdhsa_kernel _ZN7rocprim17ROCPRIM_400000_NS6detail17trampoline_kernelINS0_14default_configENS1_25partition_config_selectorILNS1_17partition_subalgoE8EfNS0_10empty_typeEbEEZZNS1_14partition_implILS5_8ELb0ES3_jN6thrust23THRUST_200600_302600_NS6detail15normal_iteratorINSA_10device_ptrIfEEEEPS6_PKS6_NS0_5tupleIJSF_S6_EEENSJ_IJSG_SG_EEENS0_18inequality_wrapperI22is_equal_div_10_uniqueIfEEEPmJS6_EEE10hipError_tPvRmT3_T4_T5_T6_T7_T9_mT8_P12ihipStream_tbDpT10_ENKUlT_T0_E_clISt17integral_constantIbLb0EES1A_EEDaS15_S16_EUlS15_E_NS1_11comp_targetILNS1_3genE5ELNS1_11target_archE942ELNS1_3gpuE9ELNS1_3repE0EEENS1_30default_config_static_selectorELNS0_4arch9wavefront6targetE1EEEvT1_
		.amdhsa_group_segment_fixed_size 0
		.amdhsa_private_segment_fixed_size 0
		.amdhsa_kernarg_size 112
		.amdhsa_user_sgpr_count 6
		.amdhsa_user_sgpr_private_segment_buffer 1
		.amdhsa_user_sgpr_dispatch_ptr 0
		.amdhsa_user_sgpr_queue_ptr 0
		.amdhsa_user_sgpr_kernarg_segment_ptr 1
		.amdhsa_user_sgpr_dispatch_id 0
		.amdhsa_user_sgpr_flat_scratch_init 0
		.amdhsa_user_sgpr_private_segment_size 0
		.amdhsa_uses_dynamic_stack 0
		.amdhsa_system_sgpr_private_segment_wavefront_offset 0
		.amdhsa_system_sgpr_workgroup_id_x 1
		.amdhsa_system_sgpr_workgroup_id_y 0
		.amdhsa_system_sgpr_workgroup_id_z 0
		.amdhsa_system_sgpr_workgroup_info 0
		.amdhsa_system_vgpr_workitem_id 0
		.amdhsa_next_free_vgpr 1
		.amdhsa_next_free_sgpr 0
		.amdhsa_reserve_vcc 0
		.amdhsa_reserve_flat_scratch 0
		.amdhsa_float_round_mode_32 0
		.amdhsa_float_round_mode_16_64 0
		.amdhsa_float_denorm_mode_32 3
		.amdhsa_float_denorm_mode_16_64 3
		.amdhsa_dx10_clamp 1
		.amdhsa_ieee_mode 1
		.amdhsa_fp16_overflow 0
		.amdhsa_exception_fp_ieee_invalid_op 0
		.amdhsa_exception_fp_denorm_src 0
		.amdhsa_exception_fp_ieee_div_zero 0
		.amdhsa_exception_fp_ieee_overflow 0
		.amdhsa_exception_fp_ieee_underflow 0
		.amdhsa_exception_fp_ieee_inexact 0
		.amdhsa_exception_int_div_zero 0
	.end_amdhsa_kernel
	.section	.text._ZN7rocprim17ROCPRIM_400000_NS6detail17trampoline_kernelINS0_14default_configENS1_25partition_config_selectorILNS1_17partition_subalgoE8EfNS0_10empty_typeEbEEZZNS1_14partition_implILS5_8ELb0ES3_jN6thrust23THRUST_200600_302600_NS6detail15normal_iteratorINSA_10device_ptrIfEEEEPS6_PKS6_NS0_5tupleIJSF_S6_EEENSJ_IJSG_SG_EEENS0_18inequality_wrapperI22is_equal_div_10_uniqueIfEEEPmJS6_EEE10hipError_tPvRmT3_T4_T5_T6_T7_T9_mT8_P12ihipStream_tbDpT10_ENKUlT_T0_E_clISt17integral_constantIbLb0EES1A_EEDaS15_S16_EUlS15_E_NS1_11comp_targetILNS1_3genE5ELNS1_11target_archE942ELNS1_3gpuE9ELNS1_3repE0EEENS1_30default_config_static_selectorELNS0_4arch9wavefront6targetE1EEEvT1_,"axG",@progbits,_ZN7rocprim17ROCPRIM_400000_NS6detail17trampoline_kernelINS0_14default_configENS1_25partition_config_selectorILNS1_17partition_subalgoE8EfNS0_10empty_typeEbEEZZNS1_14partition_implILS5_8ELb0ES3_jN6thrust23THRUST_200600_302600_NS6detail15normal_iteratorINSA_10device_ptrIfEEEEPS6_PKS6_NS0_5tupleIJSF_S6_EEENSJ_IJSG_SG_EEENS0_18inequality_wrapperI22is_equal_div_10_uniqueIfEEEPmJS6_EEE10hipError_tPvRmT3_T4_T5_T6_T7_T9_mT8_P12ihipStream_tbDpT10_ENKUlT_T0_E_clISt17integral_constantIbLb0EES1A_EEDaS15_S16_EUlS15_E_NS1_11comp_targetILNS1_3genE5ELNS1_11target_archE942ELNS1_3gpuE9ELNS1_3repE0EEENS1_30default_config_static_selectorELNS0_4arch9wavefront6targetE1EEEvT1_,comdat
.Lfunc_end113:
	.size	_ZN7rocprim17ROCPRIM_400000_NS6detail17trampoline_kernelINS0_14default_configENS1_25partition_config_selectorILNS1_17partition_subalgoE8EfNS0_10empty_typeEbEEZZNS1_14partition_implILS5_8ELb0ES3_jN6thrust23THRUST_200600_302600_NS6detail15normal_iteratorINSA_10device_ptrIfEEEEPS6_PKS6_NS0_5tupleIJSF_S6_EEENSJ_IJSG_SG_EEENS0_18inequality_wrapperI22is_equal_div_10_uniqueIfEEEPmJS6_EEE10hipError_tPvRmT3_T4_T5_T6_T7_T9_mT8_P12ihipStream_tbDpT10_ENKUlT_T0_E_clISt17integral_constantIbLb0EES1A_EEDaS15_S16_EUlS15_E_NS1_11comp_targetILNS1_3genE5ELNS1_11target_archE942ELNS1_3gpuE9ELNS1_3repE0EEENS1_30default_config_static_selectorELNS0_4arch9wavefront6targetE1EEEvT1_, .Lfunc_end113-_ZN7rocprim17ROCPRIM_400000_NS6detail17trampoline_kernelINS0_14default_configENS1_25partition_config_selectorILNS1_17partition_subalgoE8EfNS0_10empty_typeEbEEZZNS1_14partition_implILS5_8ELb0ES3_jN6thrust23THRUST_200600_302600_NS6detail15normal_iteratorINSA_10device_ptrIfEEEEPS6_PKS6_NS0_5tupleIJSF_S6_EEENSJ_IJSG_SG_EEENS0_18inequality_wrapperI22is_equal_div_10_uniqueIfEEEPmJS6_EEE10hipError_tPvRmT3_T4_T5_T6_T7_T9_mT8_P12ihipStream_tbDpT10_ENKUlT_T0_E_clISt17integral_constantIbLb0EES1A_EEDaS15_S16_EUlS15_E_NS1_11comp_targetILNS1_3genE5ELNS1_11target_archE942ELNS1_3gpuE9ELNS1_3repE0EEENS1_30default_config_static_selectorELNS0_4arch9wavefront6targetE1EEEvT1_
                                        ; -- End function
	.set _ZN7rocprim17ROCPRIM_400000_NS6detail17trampoline_kernelINS0_14default_configENS1_25partition_config_selectorILNS1_17partition_subalgoE8EfNS0_10empty_typeEbEEZZNS1_14partition_implILS5_8ELb0ES3_jN6thrust23THRUST_200600_302600_NS6detail15normal_iteratorINSA_10device_ptrIfEEEEPS6_PKS6_NS0_5tupleIJSF_S6_EEENSJ_IJSG_SG_EEENS0_18inequality_wrapperI22is_equal_div_10_uniqueIfEEEPmJS6_EEE10hipError_tPvRmT3_T4_T5_T6_T7_T9_mT8_P12ihipStream_tbDpT10_ENKUlT_T0_E_clISt17integral_constantIbLb0EES1A_EEDaS15_S16_EUlS15_E_NS1_11comp_targetILNS1_3genE5ELNS1_11target_archE942ELNS1_3gpuE9ELNS1_3repE0EEENS1_30default_config_static_selectorELNS0_4arch9wavefront6targetE1EEEvT1_.num_vgpr, 0
	.set _ZN7rocprim17ROCPRIM_400000_NS6detail17trampoline_kernelINS0_14default_configENS1_25partition_config_selectorILNS1_17partition_subalgoE8EfNS0_10empty_typeEbEEZZNS1_14partition_implILS5_8ELb0ES3_jN6thrust23THRUST_200600_302600_NS6detail15normal_iteratorINSA_10device_ptrIfEEEEPS6_PKS6_NS0_5tupleIJSF_S6_EEENSJ_IJSG_SG_EEENS0_18inequality_wrapperI22is_equal_div_10_uniqueIfEEEPmJS6_EEE10hipError_tPvRmT3_T4_T5_T6_T7_T9_mT8_P12ihipStream_tbDpT10_ENKUlT_T0_E_clISt17integral_constantIbLb0EES1A_EEDaS15_S16_EUlS15_E_NS1_11comp_targetILNS1_3genE5ELNS1_11target_archE942ELNS1_3gpuE9ELNS1_3repE0EEENS1_30default_config_static_selectorELNS0_4arch9wavefront6targetE1EEEvT1_.num_agpr, 0
	.set _ZN7rocprim17ROCPRIM_400000_NS6detail17trampoline_kernelINS0_14default_configENS1_25partition_config_selectorILNS1_17partition_subalgoE8EfNS0_10empty_typeEbEEZZNS1_14partition_implILS5_8ELb0ES3_jN6thrust23THRUST_200600_302600_NS6detail15normal_iteratorINSA_10device_ptrIfEEEEPS6_PKS6_NS0_5tupleIJSF_S6_EEENSJ_IJSG_SG_EEENS0_18inequality_wrapperI22is_equal_div_10_uniqueIfEEEPmJS6_EEE10hipError_tPvRmT3_T4_T5_T6_T7_T9_mT8_P12ihipStream_tbDpT10_ENKUlT_T0_E_clISt17integral_constantIbLb0EES1A_EEDaS15_S16_EUlS15_E_NS1_11comp_targetILNS1_3genE5ELNS1_11target_archE942ELNS1_3gpuE9ELNS1_3repE0EEENS1_30default_config_static_selectorELNS0_4arch9wavefront6targetE1EEEvT1_.numbered_sgpr, 0
	.set _ZN7rocprim17ROCPRIM_400000_NS6detail17trampoline_kernelINS0_14default_configENS1_25partition_config_selectorILNS1_17partition_subalgoE8EfNS0_10empty_typeEbEEZZNS1_14partition_implILS5_8ELb0ES3_jN6thrust23THRUST_200600_302600_NS6detail15normal_iteratorINSA_10device_ptrIfEEEEPS6_PKS6_NS0_5tupleIJSF_S6_EEENSJ_IJSG_SG_EEENS0_18inequality_wrapperI22is_equal_div_10_uniqueIfEEEPmJS6_EEE10hipError_tPvRmT3_T4_T5_T6_T7_T9_mT8_P12ihipStream_tbDpT10_ENKUlT_T0_E_clISt17integral_constantIbLb0EES1A_EEDaS15_S16_EUlS15_E_NS1_11comp_targetILNS1_3genE5ELNS1_11target_archE942ELNS1_3gpuE9ELNS1_3repE0EEENS1_30default_config_static_selectorELNS0_4arch9wavefront6targetE1EEEvT1_.num_named_barrier, 0
	.set _ZN7rocprim17ROCPRIM_400000_NS6detail17trampoline_kernelINS0_14default_configENS1_25partition_config_selectorILNS1_17partition_subalgoE8EfNS0_10empty_typeEbEEZZNS1_14partition_implILS5_8ELb0ES3_jN6thrust23THRUST_200600_302600_NS6detail15normal_iteratorINSA_10device_ptrIfEEEEPS6_PKS6_NS0_5tupleIJSF_S6_EEENSJ_IJSG_SG_EEENS0_18inequality_wrapperI22is_equal_div_10_uniqueIfEEEPmJS6_EEE10hipError_tPvRmT3_T4_T5_T6_T7_T9_mT8_P12ihipStream_tbDpT10_ENKUlT_T0_E_clISt17integral_constantIbLb0EES1A_EEDaS15_S16_EUlS15_E_NS1_11comp_targetILNS1_3genE5ELNS1_11target_archE942ELNS1_3gpuE9ELNS1_3repE0EEENS1_30default_config_static_selectorELNS0_4arch9wavefront6targetE1EEEvT1_.private_seg_size, 0
	.set _ZN7rocprim17ROCPRIM_400000_NS6detail17trampoline_kernelINS0_14default_configENS1_25partition_config_selectorILNS1_17partition_subalgoE8EfNS0_10empty_typeEbEEZZNS1_14partition_implILS5_8ELb0ES3_jN6thrust23THRUST_200600_302600_NS6detail15normal_iteratorINSA_10device_ptrIfEEEEPS6_PKS6_NS0_5tupleIJSF_S6_EEENSJ_IJSG_SG_EEENS0_18inequality_wrapperI22is_equal_div_10_uniqueIfEEEPmJS6_EEE10hipError_tPvRmT3_T4_T5_T6_T7_T9_mT8_P12ihipStream_tbDpT10_ENKUlT_T0_E_clISt17integral_constantIbLb0EES1A_EEDaS15_S16_EUlS15_E_NS1_11comp_targetILNS1_3genE5ELNS1_11target_archE942ELNS1_3gpuE9ELNS1_3repE0EEENS1_30default_config_static_selectorELNS0_4arch9wavefront6targetE1EEEvT1_.uses_vcc, 0
	.set _ZN7rocprim17ROCPRIM_400000_NS6detail17trampoline_kernelINS0_14default_configENS1_25partition_config_selectorILNS1_17partition_subalgoE8EfNS0_10empty_typeEbEEZZNS1_14partition_implILS5_8ELb0ES3_jN6thrust23THRUST_200600_302600_NS6detail15normal_iteratorINSA_10device_ptrIfEEEEPS6_PKS6_NS0_5tupleIJSF_S6_EEENSJ_IJSG_SG_EEENS0_18inequality_wrapperI22is_equal_div_10_uniqueIfEEEPmJS6_EEE10hipError_tPvRmT3_T4_T5_T6_T7_T9_mT8_P12ihipStream_tbDpT10_ENKUlT_T0_E_clISt17integral_constantIbLb0EES1A_EEDaS15_S16_EUlS15_E_NS1_11comp_targetILNS1_3genE5ELNS1_11target_archE942ELNS1_3gpuE9ELNS1_3repE0EEENS1_30default_config_static_selectorELNS0_4arch9wavefront6targetE1EEEvT1_.uses_flat_scratch, 0
	.set _ZN7rocprim17ROCPRIM_400000_NS6detail17trampoline_kernelINS0_14default_configENS1_25partition_config_selectorILNS1_17partition_subalgoE8EfNS0_10empty_typeEbEEZZNS1_14partition_implILS5_8ELb0ES3_jN6thrust23THRUST_200600_302600_NS6detail15normal_iteratorINSA_10device_ptrIfEEEEPS6_PKS6_NS0_5tupleIJSF_S6_EEENSJ_IJSG_SG_EEENS0_18inequality_wrapperI22is_equal_div_10_uniqueIfEEEPmJS6_EEE10hipError_tPvRmT3_T4_T5_T6_T7_T9_mT8_P12ihipStream_tbDpT10_ENKUlT_T0_E_clISt17integral_constantIbLb0EES1A_EEDaS15_S16_EUlS15_E_NS1_11comp_targetILNS1_3genE5ELNS1_11target_archE942ELNS1_3gpuE9ELNS1_3repE0EEENS1_30default_config_static_selectorELNS0_4arch9wavefront6targetE1EEEvT1_.has_dyn_sized_stack, 0
	.set _ZN7rocprim17ROCPRIM_400000_NS6detail17trampoline_kernelINS0_14default_configENS1_25partition_config_selectorILNS1_17partition_subalgoE8EfNS0_10empty_typeEbEEZZNS1_14partition_implILS5_8ELb0ES3_jN6thrust23THRUST_200600_302600_NS6detail15normal_iteratorINSA_10device_ptrIfEEEEPS6_PKS6_NS0_5tupleIJSF_S6_EEENSJ_IJSG_SG_EEENS0_18inequality_wrapperI22is_equal_div_10_uniqueIfEEEPmJS6_EEE10hipError_tPvRmT3_T4_T5_T6_T7_T9_mT8_P12ihipStream_tbDpT10_ENKUlT_T0_E_clISt17integral_constantIbLb0EES1A_EEDaS15_S16_EUlS15_E_NS1_11comp_targetILNS1_3genE5ELNS1_11target_archE942ELNS1_3gpuE9ELNS1_3repE0EEENS1_30default_config_static_selectorELNS0_4arch9wavefront6targetE1EEEvT1_.has_recursion, 0
	.set _ZN7rocprim17ROCPRIM_400000_NS6detail17trampoline_kernelINS0_14default_configENS1_25partition_config_selectorILNS1_17partition_subalgoE8EfNS0_10empty_typeEbEEZZNS1_14partition_implILS5_8ELb0ES3_jN6thrust23THRUST_200600_302600_NS6detail15normal_iteratorINSA_10device_ptrIfEEEEPS6_PKS6_NS0_5tupleIJSF_S6_EEENSJ_IJSG_SG_EEENS0_18inequality_wrapperI22is_equal_div_10_uniqueIfEEEPmJS6_EEE10hipError_tPvRmT3_T4_T5_T6_T7_T9_mT8_P12ihipStream_tbDpT10_ENKUlT_T0_E_clISt17integral_constantIbLb0EES1A_EEDaS15_S16_EUlS15_E_NS1_11comp_targetILNS1_3genE5ELNS1_11target_archE942ELNS1_3gpuE9ELNS1_3repE0EEENS1_30default_config_static_selectorELNS0_4arch9wavefront6targetE1EEEvT1_.has_indirect_call, 0
	.section	.AMDGPU.csdata,"",@progbits
; Kernel info:
; codeLenInByte = 0
; TotalNumSgprs: 4
; NumVgprs: 0
; ScratchSize: 0
; MemoryBound: 0
; FloatMode: 240
; IeeeMode: 1
; LDSByteSize: 0 bytes/workgroup (compile time only)
; SGPRBlocks: 0
; VGPRBlocks: 0
; NumSGPRsForWavesPerEU: 4
; NumVGPRsForWavesPerEU: 1
; Occupancy: 10
; WaveLimiterHint : 0
; COMPUTE_PGM_RSRC2:SCRATCH_EN: 0
; COMPUTE_PGM_RSRC2:USER_SGPR: 6
; COMPUTE_PGM_RSRC2:TRAP_HANDLER: 0
; COMPUTE_PGM_RSRC2:TGID_X_EN: 1
; COMPUTE_PGM_RSRC2:TGID_Y_EN: 0
; COMPUTE_PGM_RSRC2:TGID_Z_EN: 0
; COMPUTE_PGM_RSRC2:TIDIG_COMP_CNT: 0
	.section	.text._ZN7rocprim17ROCPRIM_400000_NS6detail17trampoline_kernelINS0_14default_configENS1_25partition_config_selectorILNS1_17partition_subalgoE8EfNS0_10empty_typeEbEEZZNS1_14partition_implILS5_8ELb0ES3_jN6thrust23THRUST_200600_302600_NS6detail15normal_iteratorINSA_10device_ptrIfEEEEPS6_PKS6_NS0_5tupleIJSF_S6_EEENSJ_IJSG_SG_EEENS0_18inequality_wrapperI22is_equal_div_10_uniqueIfEEEPmJS6_EEE10hipError_tPvRmT3_T4_T5_T6_T7_T9_mT8_P12ihipStream_tbDpT10_ENKUlT_T0_E_clISt17integral_constantIbLb0EES1A_EEDaS15_S16_EUlS15_E_NS1_11comp_targetILNS1_3genE4ELNS1_11target_archE910ELNS1_3gpuE8ELNS1_3repE0EEENS1_30default_config_static_selectorELNS0_4arch9wavefront6targetE1EEEvT1_,"axG",@progbits,_ZN7rocprim17ROCPRIM_400000_NS6detail17trampoline_kernelINS0_14default_configENS1_25partition_config_selectorILNS1_17partition_subalgoE8EfNS0_10empty_typeEbEEZZNS1_14partition_implILS5_8ELb0ES3_jN6thrust23THRUST_200600_302600_NS6detail15normal_iteratorINSA_10device_ptrIfEEEEPS6_PKS6_NS0_5tupleIJSF_S6_EEENSJ_IJSG_SG_EEENS0_18inequality_wrapperI22is_equal_div_10_uniqueIfEEEPmJS6_EEE10hipError_tPvRmT3_T4_T5_T6_T7_T9_mT8_P12ihipStream_tbDpT10_ENKUlT_T0_E_clISt17integral_constantIbLb0EES1A_EEDaS15_S16_EUlS15_E_NS1_11comp_targetILNS1_3genE4ELNS1_11target_archE910ELNS1_3gpuE8ELNS1_3repE0EEENS1_30default_config_static_selectorELNS0_4arch9wavefront6targetE1EEEvT1_,comdat
	.protected	_ZN7rocprim17ROCPRIM_400000_NS6detail17trampoline_kernelINS0_14default_configENS1_25partition_config_selectorILNS1_17partition_subalgoE8EfNS0_10empty_typeEbEEZZNS1_14partition_implILS5_8ELb0ES3_jN6thrust23THRUST_200600_302600_NS6detail15normal_iteratorINSA_10device_ptrIfEEEEPS6_PKS6_NS0_5tupleIJSF_S6_EEENSJ_IJSG_SG_EEENS0_18inequality_wrapperI22is_equal_div_10_uniqueIfEEEPmJS6_EEE10hipError_tPvRmT3_T4_T5_T6_T7_T9_mT8_P12ihipStream_tbDpT10_ENKUlT_T0_E_clISt17integral_constantIbLb0EES1A_EEDaS15_S16_EUlS15_E_NS1_11comp_targetILNS1_3genE4ELNS1_11target_archE910ELNS1_3gpuE8ELNS1_3repE0EEENS1_30default_config_static_selectorELNS0_4arch9wavefront6targetE1EEEvT1_ ; -- Begin function _ZN7rocprim17ROCPRIM_400000_NS6detail17trampoline_kernelINS0_14default_configENS1_25partition_config_selectorILNS1_17partition_subalgoE8EfNS0_10empty_typeEbEEZZNS1_14partition_implILS5_8ELb0ES3_jN6thrust23THRUST_200600_302600_NS6detail15normal_iteratorINSA_10device_ptrIfEEEEPS6_PKS6_NS0_5tupleIJSF_S6_EEENSJ_IJSG_SG_EEENS0_18inequality_wrapperI22is_equal_div_10_uniqueIfEEEPmJS6_EEE10hipError_tPvRmT3_T4_T5_T6_T7_T9_mT8_P12ihipStream_tbDpT10_ENKUlT_T0_E_clISt17integral_constantIbLb0EES1A_EEDaS15_S16_EUlS15_E_NS1_11comp_targetILNS1_3genE4ELNS1_11target_archE910ELNS1_3gpuE8ELNS1_3repE0EEENS1_30default_config_static_selectorELNS0_4arch9wavefront6targetE1EEEvT1_
	.globl	_ZN7rocprim17ROCPRIM_400000_NS6detail17trampoline_kernelINS0_14default_configENS1_25partition_config_selectorILNS1_17partition_subalgoE8EfNS0_10empty_typeEbEEZZNS1_14partition_implILS5_8ELb0ES3_jN6thrust23THRUST_200600_302600_NS6detail15normal_iteratorINSA_10device_ptrIfEEEEPS6_PKS6_NS0_5tupleIJSF_S6_EEENSJ_IJSG_SG_EEENS0_18inequality_wrapperI22is_equal_div_10_uniqueIfEEEPmJS6_EEE10hipError_tPvRmT3_T4_T5_T6_T7_T9_mT8_P12ihipStream_tbDpT10_ENKUlT_T0_E_clISt17integral_constantIbLb0EES1A_EEDaS15_S16_EUlS15_E_NS1_11comp_targetILNS1_3genE4ELNS1_11target_archE910ELNS1_3gpuE8ELNS1_3repE0EEENS1_30default_config_static_selectorELNS0_4arch9wavefront6targetE1EEEvT1_
	.p2align	8
	.type	_ZN7rocprim17ROCPRIM_400000_NS6detail17trampoline_kernelINS0_14default_configENS1_25partition_config_selectorILNS1_17partition_subalgoE8EfNS0_10empty_typeEbEEZZNS1_14partition_implILS5_8ELb0ES3_jN6thrust23THRUST_200600_302600_NS6detail15normal_iteratorINSA_10device_ptrIfEEEEPS6_PKS6_NS0_5tupleIJSF_S6_EEENSJ_IJSG_SG_EEENS0_18inequality_wrapperI22is_equal_div_10_uniqueIfEEEPmJS6_EEE10hipError_tPvRmT3_T4_T5_T6_T7_T9_mT8_P12ihipStream_tbDpT10_ENKUlT_T0_E_clISt17integral_constantIbLb0EES1A_EEDaS15_S16_EUlS15_E_NS1_11comp_targetILNS1_3genE4ELNS1_11target_archE910ELNS1_3gpuE8ELNS1_3repE0EEENS1_30default_config_static_selectorELNS0_4arch9wavefront6targetE1EEEvT1_,@function
_ZN7rocprim17ROCPRIM_400000_NS6detail17trampoline_kernelINS0_14default_configENS1_25partition_config_selectorILNS1_17partition_subalgoE8EfNS0_10empty_typeEbEEZZNS1_14partition_implILS5_8ELb0ES3_jN6thrust23THRUST_200600_302600_NS6detail15normal_iteratorINSA_10device_ptrIfEEEEPS6_PKS6_NS0_5tupleIJSF_S6_EEENSJ_IJSG_SG_EEENS0_18inequality_wrapperI22is_equal_div_10_uniqueIfEEEPmJS6_EEE10hipError_tPvRmT3_T4_T5_T6_T7_T9_mT8_P12ihipStream_tbDpT10_ENKUlT_T0_E_clISt17integral_constantIbLb0EES1A_EEDaS15_S16_EUlS15_E_NS1_11comp_targetILNS1_3genE4ELNS1_11target_archE910ELNS1_3gpuE8ELNS1_3repE0EEENS1_30default_config_static_selectorELNS0_4arch9wavefront6targetE1EEEvT1_: ; @_ZN7rocprim17ROCPRIM_400000_NS6detail17trampoline_kernelINS0_14default_configENS1_25partition_config_selectorILNS1_17partition_subalgoE8EfNS0_10empty_typeEbEEZZNS1_14partition_implILS5_8ELb0ES3_jN6thrust23THRUST_200600_302600_NS6detail15normal_iteratorINSA_10device_ptrIfEEEEPS6_PKS6_NS0_5tupleIJSF_S6_EEENSJ_IJSG_SG_EEENS0_18inequality_wrapperI22is_equal_div_10_uniqueIfEEEPmJS6_EEE10hipError_tPvRmT3_T4_T5_T6_T7_T9_mT8_P12ihipStream_tbDpT10_ENKUlT_T0_E_clISt17integral_constantIbLb0EES1A_EEDaS15_S16_EUlS15_E_NS1_11comp_targetILNS1_3genE4ELNS1_11target_archE910ELNS1_3gpuE8ELNS1_3repE0EEENS1_30default_config_static_selectorELNS0_4arch9wavefront6targetE1EEEvT1_
; %bb.0:
	.section	.rodata,"a",@progbits
	.p2align	6, 0x0
	.amdhsa_kernel _ZN7rocprim17ROCPRIM_400000_NS6detail17trampoline_kernelINS0_14default_configENS1_25partition_config_selectorILNS1_17partition_subalgoE8EfNS0_10empty_typeEbEEZZNS1_14partition_implILS5_8ELb0ES3_jN6thrust23THRUST_200600_302600_NS6detail15normal_iteratorINSA_10device_ptrIfEEEEPS6_PKS6_NS0_5tupleIJSF_S6_EEENSJ_IJSG_SG_EEENS0_18inequality_wrapperI22is_equal_div_10_uniqueIfEEEPmJS6_EEE10hipError_tPvRmT3_T4_T5_T6_T7_T9_mT8_P12ihipStream_tbDpT10_ENKUlT_T0_E_clISt17integral_constantIbLb0EES1A_EEDaS15_S16_EUlS15_E_NS1_11comp_targetILNS1_3genE4ELNS1_11target_archE910ELNS1_3gpuE8ELNS1_3repE0EEENS1_30default_config_static_selectorELNS0_4arch9wavefront6targetE1EEEvT1_
		.amdhsa_group_segment_fixed_size 0
		.amdhsa_private_segment_fixed_size 0
		.amdhsa_kernarg_size 112
		.amdhsa_user_sgpr_count 6
		.amdhsa_user_sgpr_private_segment_buffer 1
		.amdhsa_user_sgpr_dispatch_ptr 0
		.amdhsa_user_sgpr_queue_ptr 0
		.amdhsa_user_sgpr_kernarg_segment_ptr 1
		.amdhsa_user_sgpr_dispatch_id 0
		.amdhsa_user_sgpr_flat_scratch_init 0
		.amdhsa_user_sgpr_private_segment_size 0
		.amdhsa_uses_dynamic_stack 0
		.amdhsa_system_sgpr_private_segment_wavefront_offset 0
		.amdhsa_system_sgpr_workgroup_id_x 1
		.amdhsa_system_sgpr_workgroup_id_y 0
		.amdhsa_system_sgpr_workgroup_id_z 0
		.amdhsa_system_sgpr_workgroup_info 0
		.amdhsa_system_vgpr_workitem_id 0
		.amdhsa_next_free_vgpr 1
		.amdhsa_next_free_sgpr 0
		.amdhsa_reserve_vcc 0
		.amdhsa_reserve_flat_scratch 0
		.amdhsa_float_round_mode_32 0
		.amdhsa_float_round_mode_16_64 0
		.amdhsa_float_denorm_mode_32 3
		.amdhsa_float_denorm_mode_16_64 3
		.amdhsa_dx10_clamp 1
		.amdhsa_ieee_mode 1
		.amdhsa_fp16_overflow 0
		.amdhsa_exception_fp_ieee_invalid_op 0
		.amdhsa_exception_fp_denorm_src 0
		.amdhsa_exception_fp_ieee_div_zero 0
		.amdhsa_exception_fp_ieee_overflow 0
		.amdhsa_exception_fp_ieee_underflow 0
		.amdhsa_exception_fp_ieee_inexact 0
		.amdhsa_exception_int_div_zero 0
	.end_amdhsa_kernel
	.section	.text._ZN7rocprim17ROCPRIM_400000_NS6detail17trampoline_kernelINS0_14default_configENS1_25partition_config_selectorILNS1_17partition_subalgoE8EfNS0_10empty_typeEbEEZZNS1_14partition_implILS5_8ELb0ES3_jN6thrust23THRUST_200600_302600_NS6detail15normal_iteratorINSA_10device_ptrIfEEEEPS6_PKS6_NS0_5tupleIJSF_S6_EEENSJ_IJSG_SG_EEENS0_18inequality_wrapperI22is_equal_div_10_uniqueIfEEEPmJS6_EEE10hipError_tPvRmT3_T4_T5_T6_T7_T9_mT8_P12ihipStream_tbDpT10_ENKUlT_T0_E_clISt17integral_constantIbLb0EES1A_EEDaS15_S16_EUlS15_E_NS1_11comp_targetILNS1_3genE4ELNS1_11target_archE910ELNS1_3gpuE8ELNS1_3repE0EEENS1_30default_config_static_selectorELNS0_4arch9wavefront6targetE1EEEvT1_,"axG",@progbits,_ZN7rocprim17ROCPRIM_400000_NS6detail17trampoline_kernelINS0_14default_configENS1_25partition_config_selectorILNS1_17partition_subalgoE8EfNS0_10empty_typeEbEEZZNS1_14partition_implILS5_8ELb0ES3_jN6thrust23THRUST_200600_302600_NS6detail15normal_iteratorINSA_10device_ptrIfEEEEPS6_PKS6_NS0_5tupleIJSF_S6_EEENSJ_IJSG_SG_EEENS0_18inequality_wrapperI22is_equal_div_10_uniqueIfEEEPmJS6_EEE10hipError_tPvRmT3_T4_T5_T6_T7_T9_mT8_P12ihipStream_tbDpT10_ENKUlT_T0_E_clISt17integral_constantIbLb0EES1A_EEDaS15_S16_EUlS15_E_NS1_11comp_targetILNS1_3genE4ELNS1_11target_archE910ELNS1_3gpuE8ELNS1_3repE0EEENS1_30default_config_static_selectorELNS0_4arch9wavefront6targetE1EEEvT1_,comdat
.Lfunc_end114:
	.size	_ZN7rocprim17ROCPRIM_400000_NS6detail17trampoline_kernelINS0_14default_configENS1_25partition_config_selectorILNS1_17partition_subalgoE8EfNS0_10empty_typeEbEEZZNS1_14partition_implILS5_8ELb0ES3_jN6thrust23THRUST_200600_302600_NS6detail15normal_iteratorINSA_10device_ptrIfEEEEPS6_PKS6_NS0_5tupleIJSF_S6_EEENSJ_IJSG_SG_EEENS0_18inequality_wrapperI22is_equal_div_10_uniqueIfEEEPmJS6_EEE10hipError_tPvRmT3_T4_T5_T6_T7_T9_mT8_P12ihipStream_tbDpT10_ENKUlT_T0_E_clISt17integral_constantIbLb0EES1A_EEDaS15_S16_EUlS15_E_NS1_11comp_targetILNS1_3genE4ELNS1_11target_archE910ELNS1_3gpuE8ELNS1_3repE0EEENS1_30default_config_static_selectorELNS0_4arch9wavefront6targetE1EEEvT1_, .Lfunc_end114-_ZN7rocprim17ROCPRIM_400000_NS6detail17trampoline_kernelINS0_14default_configENS1_25partition_config_selectorILNS1_17partition_subalgoE8EfNS0_10empty_typeEbEEZZNS1_14partition_implILS5_8ELb0ES3_jN6thrust23THRUST_200600_302600_NS6detail15normal_iteratorINSA_10device_ptrIfEEEEPS6_PKS6_NS0_5tupleIJSF_S6_EEENSJ_IJSG_SG_EEENS0_18inequality_wrapperI22is_equal_div_10_uniqueIfEEEPmJS6_EEE10hipError_tPvRmT3_T4_T5_T6_T7_T9_mT8_P12ihipStream_tbDpT10_ENKUlT_T0_E_clISt17integral_constantIbLb0EES1A_EEDaS15_S16_EUlS15_E_NS1_11comp_targetILNS1_3genE4ELNS1_11target_archE910ELNS1_3gpuE8ELNS1_3repE0EEENS1_30default_config_static_selectorELNS0_4arch9wavefront6targetE1EEEvT1_
                                        ; -- End function
	.set _ZN7rocprim17ROCPRIM_400000_NS6detail17trampoline_kernelINS0_14default_configENS1_25partition_config_selectorILNS1_17partition_subalgoE8EfNS0_10empty_typeEbEEZZNS1_14partition_implILS5_8ELb0ES3_jN6thrust23THRUST_200600_302600_NS6detail15normal_iteratorINSA_10device_ptrIfEEEEPS6_PKS6_NS0_5tupleIJSF_S6_EEENSJ_IJSG_SG_EEENS0_18inequality_wrapperI22is_equal_div_10_uniqueIfEEEPmJS6_EEE10hipError_tPvRmT3_T4_T5_T6_T7_T9_mT8_P12ihipStream_tbDpT10_ENKUlT_T0_E_clISt17integral_constantIbLb0EES1A_EEDaS15_S16_EUlS15_E_NS1_11comp_targetILNS1_3genE4ELNS1_11target_archE910ELNS1_3gpuE8ELNS1_3repE0EEENS1_30default_config_static_selectorELNS0_4arch9wavefront6targetE1EEEvT1_.num_vgpr, 0
	.set _ZN7rocprim17ROCPRIM_400000_NS6detail17trampoline_kernelINS0_14default_configENS1_25partition_config_selectorILNS1_17partition_subalgoE8EfNS0_10empty_typeEbEEZZNS1_14partition_implILS5_8ELb0ES3_jN6thrust23THRUST_200600_302600_NS6detail15normal_iteratorINSA_10device_ptrIfEEEEPS6_PKS6_NS0_5tupleIJSF_S6_EEENSJ_IJSG_SG_EEENS0_18inequality_wrapperI22is_equal_div_10_uniqueIfEEEPmJS6_EEE10hipError_tPvRmT3_T4_T5_T6_T7_T9_mT8_P12ihipStream_tbDpT10_ENKUlT_T0_E_clISt17integral_constantIbLb0EES1A_EEDaS15_S16_EUlS15_E_NS1_11comp_targetILNS1_3genE4ELNS1_11target_archE910ELNS1_3gpuE8ELNS1_3repE0EEENS1_30default_config_static_selectorELNS0_4arch9wavefront6targetE1EEEvT1_.num_agpr, 0
	.set _ZN7rocprim17ROCPRIM_400000_NS6detail17trampoline_kernelINS0_14default_configENS1_25partition_config_selectorILNS1_17partition_subalgoE8EfNS0_10empty_typeEbEEZZNS1_14partition_implILS5_8ELb0ES3_jN6thrust23THRUST_200600_302600_NS6detail15normal_iteratorINSA_10device_ptrIfEEEEPS6_PKS6_NS0_5tupleIJSF_S6_EEENSJ_IJSG_SG_EEENS0_18inequality_wrapperI22is_equal_div_10_uniqueIfEEEPmJS6_EEE10hipError_tPvRmT3_T4_T5_T6_T7_T9_mT8_P12ihipStream_tbDpT10_ENKUlT_T0_E_clISt17integral_constantIbLb0EES1A_EEDaS15_S16_EUlS15_E_NS1_11comp_targetILNS1_3genE4ELNS1_11target_archE910ELNS1_3gpuE8ELNS1_3repE0EEENS1_30default_config_static_selectorELNS0_4arch9wavefront6targetE1EEEvT1_.numbered_sgpr, 0
	.set _ZN7rocprim17ROCPRIM_400000_NS6detail17trampoline_kernelINS0_14default_configENS1_25partition_config_selectorILNS1_17partition_subalgoE8EfNS0_10empty_typeEbEEZZNS1_14partition_implILS5_8ELb0ES3_jN6thrust23THRUST_200600_302600_NS6detail15normal_iteratorINSA_10device_ptrIfEEEEPS6_PKS6_NS0_5tupleIJSF_S6_EEENSJ_IJSG_SG_EEENS0_18inequality_wrapperI22is_equal_div_10_uniqueIfEEEPmJS6_EEE10hipError_tPvRmT3_T4_T5_T6_T7_T9_mT8_P12ihipStream_tbDpT10_ENKUlT_T0_E_clISt17integral_constantIbLb0EES1A_EEDaS15_S16_EUlS15_E_NS1_11comp_targetILNS1_3genE4ELNS1_11target_archE910ELNS1_3gpuE8ELNS1_3repE0EEENS1_30default_config_static_selectorELNS0_4arch9wavefront6targetE1EEEvT1_.num_named_barrier, 0
	.set _ZN7rocprim17ROCPRIM_400000_NS6detail17trampoline_kernelINS0_14default_configENS1_25partition_config_selectorILNS1_17partition_subalgoE8EfNS0_10empty_typeEbEEZZNS1_14partition_implILS5_8ELb0ES3_jN6thrust23THRUST_200600_302600_NS6detail15normal_iteratorINSA_10device_ptrIfEEEEPS6_PKS6_NS0_5tupleIJSF_S6_EEENSJ_IJSG_SG_EEENS0_18inequality_wrapperI22is_equal_div_10_uniqueIfEEEPmJS6_EEE10hipError_tPvRmT3_T4_T5_T6_T7_T9_mT8_P12ihipStream_tbDpT10_ENKUlT_T0_E_clISt17integral_constantIbLb0EES1A_EEDaS15_S16_EUlS15_E_NS1_11comp_targetILNS1_3genE4ELNS1_11target_archE910ELNS1_3gpuE8ELNS1_3repE0EEENS1_30default_config_static_selectorELNS0_4arch9wavefront6targetE1EEEvT1_.private_seg_size, 0
	.set _ZN7rocprim17ROCPRIM_400000_NS6detail17trampoline_kernelINS0_14default_configENS1_25partition_config_selectorILNS1_17partition_subalgoE8EfNS0_10empty_typeEbEEZZNS1_14partition_implILS5_8ELb0ES3_jN6thrust23THRUST_200600_302600_NS6detail15normal_iteratorINSA_10device_ptrIfEEEEPS6_PKS6_NS0_5tupleIJSF_S6_EEENSJ_IJSG_SG_EEENS0_18inequality_wrapperI22is_equal_div_10_uniqueIfEEEPmJS6_EEE10hipError_tPvRmT3_T4_T5_T6_T7_T9_mT8_P12ihipStream_tbDpT10_ENKUlT_T0_E_clISt17integral_constantIbLb0EES1A_EEDaS15_S16_EUlS15_E_NS1_11comp_targetILNS1_3genE4ELNS1_11target_archE910ELNS1_3gpuE8ELNS1_3repE0EEENS1_30default_config_static_selectorELNS0_4arch9wavefront6targetE1EEEvT1_.uses_vcc, 0
	.set _ZN7rocprim17ROCPRIM_400000_NS6detail17trampoline_kernelINS0_14default_configENS1_25partition_config_selectorILNS1_17partition_subalgoE8EfNS0_10empty_typeEbEEZZNS1_14partition_implILS5_8ELb0ES3_jN6thrust23THRUST_200600_302600_NS6detail15normal_iteratorINSA_10device_ptrIfEEEEPS6_PKS6_NS0_5tupleIJSF_S6_EEENSJ_IJSG_SG_EEENS0_18inequality_wrapperI22is_equal_div_10_uniqueIfEEEPmJS6_EEE10hipError_tPvRmT3_T4_T5_T6_T7_T9_mT8_P12ihipStream_tbDpT10_ENKUlT_T0_E_clISt17integral_constantIbLb0EES1A_EEDaS15_S16_EUlS15_E_NS1_11comp_targetILNS1_3genE4ELNS1_11target_archE910ELNS1_3gpuE8ELNS1_3repE0EEENS1_30default_config_static_selectorELNS0_4arch9wavefront6targetE1EEEvT1_.uses_flat_scratch, 0
	.set _ZN7rocprim17ROCPRIM_400000_NS6detail17trampoline_kernelINS0_14default_configENS1_25partition_config_selectorILNS1_17partition_subalgoE8EfNS0_10empty_typeEbEEZZNS1_14partition_implILS5_8ELb0ES3_jN6thrust23THRUST_200600_302600_NS6detail15normal_iteratorINSA_10device_ptrIfEEEEPS6_PKS6_NS0_5tupleIJSF_S6_EEENSJ_IJSG_SG_EEENS0_18inequality_wrapperI22is_equal_div_10_uniqueIfEEEPmJS6_EEE10hipError_tPvRmT3_T4_T5_T6_T7_T9_mT8_P12ihipStream_tbDpT10_ENKUlT_T0_E_clISt17integral_constantIbLb0EES1A_EEDaS15_S16_EUlS15_E_NS1_11comp_targetILNS1_3genE4ELNS1_11target_archE910ELNS1_3gpuE8ELNS1_3repE0EEENS1_30default_config_static_selectorELNS0_4arch9wavefront6targetE1EEEvT1_.has_dyn_sized_stack, 0
	.set _ZN7rocprim17ROCPRIM_400000_NS6detail17trampoline_kernelINS0_14default_configENS1_25partition_config_selectorILNS1_17partition_subalgoE8EfNS0_10empty_typeEbEEZZNS1_14partition_implILS5_8ELb0ES3_jN6thrust23THRUST_200600_302600_NS6detail15normal_iteratorINSA_10device_ptrIfEEEEPS6_PKS6_NS0_5tupleIJSF_S6_EEENSJ_IJSG_SG_EEENS0_18inequality_wrapperI22is_equal_div_10_uniqueIfEEEPmJS6_EEE10hipError_tPvRmT3_T4_T5_T6_T7_T9_mT8_P12ihipStream_tbDpT10_ENKUlT_T0_E_clISt17integral_constantIbLb0EES1A_EEDaS15_S16_EUlS15_E_NS1_11comp_targetILNS1_3genE4ELNS1_11target_archE910ELNS1_3gpuE8ELNS1_3repE0EEENS1_30default_config_static_selectorELNS0_4arch9wavefront6targetE1EEEvT1_.has_recursion, 0
	.set _ZN7rocprim17ROCPRIM_400000_NS6detail17trampoline_kernelINS0_14default_configENS1_25partition_config_selectorILNS1_17partition_subalgoE8EfNS0_10empty_typeEbEEZZNS1_14partition_implILS5_8ELb0ES3_jN6thrust23THRUST_200600_302600_NS6detail15normal_iteratorINSA_10device_ptrIfEEEEPS6_PKS6_NS0_5tupleIJSF_S6_EEENSJ_IJSG_SG_EEENS0_18inequality_wrapperI22is_equal_div_10_uniqueIfEEEPmJS6_EEE10hipError_tPvRmT3_T4_T5_T6_T7_T9_mT8_P12ihipStream_tbDpT10_ENKUlT_T0_E_clISt17integral_constantIbLb0EES1A_EEDaS15_S16_EUlS15_E_NS1_11comp_targetILNS1_3genE4ELNS1_11target_archE910ELNS1_3gpuE8ELNS1_3repE0EEENS1_30default_config_static_selectorELNS0_4arch9wavefront6targetE1EEEvT1_.has_indirect_call, 0
	.section	.AMDGPU.csdata,"",@progbits
; Kernel info:
; codeLenInByte = 0
; TotalNumSgprs: 4
; NumVgprs: 0
; ScratchSize: 0
; MemoryBound: 0
; FloatMode: 240
; IeeeMode: 1
; LDSByteSize: 0 bytes/workgroup (compile time only)
; SGPRBlocks: 0
; VGPRBlocks: 0
; NumSGPRsForWavesPerEU: 4
; NumVGPRsForWavesPerEU: 1
; Occupancy: 10
; WaveLimiterHint : 0
; COMPUTE_PGM_RSRC2:SCRATCH_EN: 0
; COMPUTE_PGM_RSRC2:USER_SGPR: 6
; COMPUTE_PGM_RSRC2:TRAP_HANDLER: 0
; COMPUTE_PGM_RSRC2:TGID_X_EN: 1
; COMPUTE_PGM_RSRC2:TGID_Y_EN: 0
; COMPUTE_PGM_RSRC2:TGID_Z_EN: 0
; COMPUTE_PGM_RSRC2:TIDIG_COMP_CNT: 0
	.section	.text._ZN7rocprim17ROCPRIM_400000_NS6detail17trampoline_kernelINS0_14default_configENS1_25partition_config_selectorILNS1_17partition_subalgoE8EfNS0_10empty_typeEbEEZZNS1_14partition_implILS5_8ELb0ES3_jN6thrust23THRUST_200600_302600_NS6detail15normal_iteratorINSA_10device_ptrIfEEEEPS6_PKS6_NS0_5tupleIJSF_S6_EEENSJ_IJSG_SG_EEENS0_18inequality_wrapperI22is_equal_div_10_uniqueIfEEEPmJS6_EEE10hipError_tPvRmT3_T4_T5_T6_T7_T9_mT8_P12ihipStream_tbDpT10_ENKUlT_T0_E_clISt17integral_constantIbLb0EES1A_EEDaS15_S16_EUlS15_E_NS1_11comp_targetILNS1_3genE3ELNS1_11target_archE908ELNS1_3gpuE7ELNS1_3repE0EEENS1_30default_config_static_selectorELNS0_4arch9wavefront6targetE1EEEvT1_,"axG",@progbits,_ZN7rocprim17ROCPRIM_400000_NS6detail17trampoline_kernelINS0_14default_configENS1_25partition_config_selectorILNS1_17partition_subalgoE8EfNS0_10empty_typeEbEEZZNS1_14partition_implILS5_8ELb0ES3_jN6thrust23THRUST_200600_302600_NS6detail15normal_iteratorINSA_10device_ptrIfEEEEPS6_PKS6_NS0_5tupleIJSF_S6_EEENSJ_IJSG_SG_EEENS0_18inequality_wrapperI22is_equal_div_10_uniqueIfEEEPmJS6_EEE10hipError_tPvRmT3_T4_T5_T6_T7_T9_mT8_P12ihipStream_tbDpT10_ENKUlT_T0_E_clISt17integral_constantIbLb0EES1A_EEDaS15_S16_EUlS15_E_NS1_11comp_targetILNS1_3genE3ELNS1_11target_archE908ELNS1_3gpuE7ELNS1_3repE0EEENS1_30default_config_static_selectorELNS0_4arch9wavefront6targetE1EEEvT1_,comdat
	.protected	_ZN7rocprim17ROCPRIM_400000_NS6detail17trampoline_kernelINS0_14default_configENS1_25partition_config_selectorILNS1_17partition_subalgoE8EfNS0_10empty_typeEbEEZZNS1_14partition_implILS5_8ELb0ES3_jN6thrust23THRUST_200600_302600_NS6detail15normal_iteratorINSA_10device_ptrIfEEEEPS6_PKS6_NS0_5tupleIJSF_S6_EEENSJ_IJSG_SG_EEENS0_18inequality_wrapperI22is_equal_div_10_uniqueIfEEEPmJS6_EEE10hipError_tPvRmT3_T4_T5_T6_T7_T9_mT8_P12ihipStream_tbDpT10_ENKUlT_T0_E_clISt17integral_constantIbLb0EES1A_EEDaS15_S16_EUlS15_E_NS1_11comp_targetILNS1_3genE3ELNS1_11target_archE908ELNS1_3gpuE7ELNS1_3repE0EEENS1_30default_config_static_selectorELNS0_4arch9wavefront6targetE1EEEvT1_ ; -- Begin function _ZN7rocprim17ROCPRIM_400000_NS6detail17trampoline_kernelINS0_14default_configENS1_25partition_config_selectorILNS1_17partition_subalgoE8EfNS0_10empty_typeEbEEZZNS1_14partition_implILS5_8ELb0ES3_jN6thrust23THRUST_200600_302600_NS6detail15normal_iteratorINSA_10device_ptrIfEEEEPS6_PKS6_NS0_5tupleIJSF_S6_EEENSJ_IJSG_SG_EEENS0_18inequality_wrapperI22is_equal_div_10_uniqueIfEEEPmJS6_EEE10hipError_tPvRmT3_T4_T5_T6_T7_T9_mT8_P12ihipStream_tbDpT10_ENKUlT_T0_E_clISt17integral_constantIbLb0EES1A_EEDaS15_S16_EUlS15_E_NS1_11comp_targetILNS1_3genE3ELNS1_11target_archE908ELNS1_3gpuE7ELNS1_3repE0EEENS1_30default_config_static_selectorELNS0_4arch9wavefront6targetE1EEEvT1_
	.globl	_ZN7rocprim17ROCPRIM_400000_NS6detail17trampoline_kernelINS0_14default_configENS1_25partition_config_selectorILNS1_17partition_subalgoE8EfNS0_10empty_typeEbEEZZNS1_14partition_implILS5_8ELb0ES3_jN6thrust23THRUST_200600_302600_NS6detail15normal_iteratorINSA_10device_ptrIfEEEEPS6_PKS6_NS0_5tupleIJSF_S6_EEENSJ_IJSG_SG_EEENS0_18inequality_wrapperI22is_equal_div_10_uniqueIfEEEPmJS6_EEE10hipError_tPvRmT3_T4_T5_T6_T7_T9_mT8_P12ihipStream_tbDpT10_ENKUlT_T0_E_clISt17integral_constantIbLb0EES1A_EEDaS15_S16_EUlS15_E_NS1_11comp_targetILNS1_3genE3ELNS1_11target_archE908ELNS1_3gpuE7ELNS1_3repE0EEENS1_30default_config_static_selectorELNS0_4arch9wavefront6targetE1EEEvT1_
	.p2align	8
	.type	_ZN7rocprim17ROCPRIM_400000_NS6detail17trampoline_kernelINS0_14default_configENS1_25partition_config_selectorILNS1_17partition_subalgoE8EfNS0_10empty_typeEbEEZZNS1_14partition_implILS5_8ELb0ES3_jN6thrust23THRUST_200600_302600_NS6detail15normal_iteratorINSA_10device_ptrIfEEEEPS6_PKS6_NS0_5tupleIJSF_S6_EEENSJ_IJSG_SG_EEENS0_18inequality_wrapperI22is_equal_div_10_uniqueIfEEEPmJS6_EEE10hipError_tPvRmT3_T4_T5_T6_T7_T9_mT8_P12ihipStream_tbDpT10_ENKUlT_T0_E_clISt17integral_constantIbLb0EES1A_EEDaS15_S16_EUlS15_E_NS1_11comp_targetILNS1_3genE3ELNS1_11target_archE908ELNS1_3gpuE7ELNS1_3repE0EEENS1_30default_config_static_selectorELNS0_4arch9wavefront6targetE1EEEvT1_,@function
_ZN7rocprim17ROCPRIM_400000_NS6detail17trampoline_kernelINS0_14default_configENS1_25partition_config_selectorILNS1_17partition_subalgoE8EfNS0_10empty_typeEbEEZZNS1_14partition_implILS5_8ELb0ES3_jN6thrust23THRUST_200600_302600_NS6detail15normal_iteratorINSA_10device_ptrIfEEEEPS6_PKS6_NS0_5tupleIJSF_S6_EEENSJ_IJSG_SG_EEENS0_18inequality_wrapperI22is_equal_div_10_uniqueIfEEEPmJS6_EEE10hipError_tPvRmT3_T4_T5_T6_T7_T9_mT8_P12ihipStream_tbDpT10_ENKUlT_T0_E_clISt17integral_constantIbLb0EES1A_EEDaS15_S16_EUlS15_E_NS1_11comp_targetILNS1_3genE3ELNS1_11target_archE908ELNS1_3gpuE7ELNS1_3repE0EEENS1_30default_config_static_selectorELNS0_4arch9wavefront6targetE1EEEvT1_: ; @_ZN7rocprim17ROCPRIM_400000_NS6detail17trampoline_kernelINS0_14default_configENS1_25partition_config_selectorILNS1_17partition_subalgoE8EfNS0_10empty_typeEbEEZZNS1_14partition_implILS5_8ELb0ES3_jN6thrust23THRUST_200600_302600_NS6detail15normal_iteratorINSA_10device_ptrIfEEEEPS6_PKS6_NS0_5tupleIJSF_S6_EEENSJ_IJSG_SG_EEENS0_18inequality_wrapperI22is_equal_div_10_uniqueIfEEEPmJS6_EEE10hipError_tPvRmT3_T4_T5_T6_T7_T9_mT8_P12ihipStream_tbDpT10_ENKUlT_T0_E_clISt17integral_constantIbLb0EES1A_EEDaS15_S16_EUlS15_E_NS1_11comp_targetILNS1_3genE3ELNS1_11target_archE908ELNS1_3gpuE7ELNS1_3repE0EEENS1_30default_config_static_selectorELNS0_4arch9wavefront6targetE1EEEvT1_
; %bb.0:
	.section	.rodata,"a",@progbits
	.p2align	6, 0x0
	.amdhsa_kernel _ZN7rocprim17ROCPRIM_400000_NS6detail17trampoline_kernelINS0_14default_configENS1_25partition_config_selectorILNS1_17partition_subalgoE8EfNS0_10empty_typeEbEEZZNS1_14partition_implILS5_8ELb0ES3_jN6thrust23THRUST_200600_302600_NS6detail15normal_iteratorINSA_10device_ptrIfEEEEPS6_PKS6_NS0_5tupleIJSF_S6_EEENSJ_IJSG_SG_EEENS0_18inequality_wrapperI22is_equal_div_10_uniqueIfEEEPmJS6_EEE10hipError_tPvRmT3_T4_T5_T6_T7_T9_mT8_P12ihipStream_tbDpT10_ENKUlT_T0_E_clISt17integral_constantIbLb0EES1A_EEDaS15_S16_EUlS15_E_NS1_11comp_targetILNS1_3genE3ELNS1_11target_archE908ELNS1_3gpuE7ELNS1_3repE0EEENS1_30default_config_static_selectorELNS0_4arch9wavefront6targetE1EEEvT1_
		.amdhsa_group_segment_fixed_size 0
		.amdhsa_private_segment_fixed_size 0
		.amdhsa_kernarg_size 112
		.amdhsa_user_sgpr_count 6
		.amdhsa_user_sgpr_private_segment_buffer 1
		.amdhsa_user_sgpr_dispatch_ptr 0
		.amdhsa_user_sgpr_queue_ptr 0
		.amdhsa_user_sgpr_kernarg_segment_ptr 1
		.amdhsa_user_sgpr_dispatch_id 0
		.amdhsa_user_sgpr_flat_scratch_init 0
		.amdhsa_user_sgpr_private_segment_size 0
		.amdhsa_uses_dynamic_stack 0
		.amdhsa_system_sgpr_private_segment_wavefront_offset 0
		.amdhsa_system_sgpr_workgroup_id_x 1
		.amdhsa_system_sgpr_workgroup_id_y 0
		.amdhsa_system_sgpr_workgroup_id_z 0
		.amdhsa_system_sgpr_workgroup_info 0
		.amdhsa_system_vgpr_workitem_id 0
		.amdhsa_next_free_vgpr 1
		.amdhsa_next_free_sgpr 0
		.amdhsa_reserve_vcc 0
		.amdhsa_reserve_flat_scratch 0
		.amdhsa_float_round_mode_32 0
		.amdhsa_float_round_mode_16_64 0
		.amdhsa_float_denorm_mode_32 3
		.amdhsa_float_denorm_mode_16_64 3
		.amdhsa_dx10_clamp 1
		.amdhsa_ieee_mode 1
		.amdhsa_fp16_overflow 0
		.amdhsa_exception_fp_ieee_invalid_op 0
		.amdhsa_exception_fp_denorm_src 0
		.amdhsa_exception_fp_ieee_div_zero 0
		.amdhsa_exception_fp_ieee_overflow 0
		.amdhsa_exception_fp_ieee_underflow 0
		.amdhsa_exception_fp_ieee_inexact 0
		.amdhsa_exception_int_div_zero 0
	.end_amdhsa_kernel
	.section	.text._ZN7rocprim17ROCPRIM_400000_NS6detail17trampoline_kernelINS0_14default_configENS1_25partition_config_selectorILNS1_17partition_subalgoE8EfNS0_10empty_typeEbEEZZNS1_14partition_implILS5_8ELb0ES3_jN6thrust23THRUST_200600_302600_NS6detail15normal_iteratorINSA_10device_ptrIfEEEEPS6_PKS6_NS0_5tupleIJSF_S6_EEENSJ_IJSG_SG_EEENS0_18inequality_wrapperI22is_equal_div_10_uniqueIfEEEPmJS6_EEE10hipError_tPvRmT3_T4_T5_T6_T7_T9_mT8_P12ihipStream_tbDpT10_ENKUlT_T0_E_clISt17integral_constantIbLb0EES1A_EEDaS15_S16_EUlS15_E_NS1_11comp_targetILNS1_3genE3ELNS1_11target_archE908ELNS1_3gpuE7ELNS1_3repE0EEENS1_30default_config_static_selectorELNS0_4arch9wavefront6targetE1EEEvT1_,"axG",@progbits,_ZN7rocprim17ROCPRIM_400000_NS6detail17trampoline_kernelINS0_14default_configENS1_25partition_config_selectorILNS1_17partition_subalgoE8EfNS0_10empty_typeEbEEZZNS1_14partition_implILS5_8ELb0ES3_jN6thrust23THRUST_200600_302600_NS6detail15normal_iteratorINSA_10device_ptrIfEEEEPS6_PKS6_NS0_5tupleIJSF_S6_EEENSJ_IJSG_SG_EEENS0_18inequality_wrapperI22is_equal_div_10_uniqueIfEEEPmJS6_EEE10hipError_tPvRmT3_T4_T5_T6_T7_T9_mT8_P12ihipStream_tbDpT10_ENKUlT_T0_E_clISt17integral_constantIbLb0EES1A_EEDaS15_S16_EUlS15_E_NS1_11comp_targetILNS1_3genE3ELNS1_11target_archE908ELNS1_3gpuE7ELNS1_3repE0EEENS1_30default_config_static_selectorELNS0_4arch9wavefront6targetE1EEEvT1_,comdat
.Lfunc_end115:
	.size	_ZN7rocprim17ROCPRIM_400000_NS6detail17trampoline_kernelINS0_14default_configENS1_25partition_config_selectorILNS1_17partition_subalgoE8EfNS0_10empty_typeEbEEZZNS1_14partition_implILS5_8ELb0ES3_jN6thrust23THRUST_200600_302600_NS6detail15normal_iteratorINSA_10device_ptrIfEEEEPS6_PKS6_NS0_5tupleIJSF_S6_EEENSJ_IJSG_SG_EEENS0_18inequality_wrapperI22is_equal_div_10_uniqueIfEEEPmJS6_EEE10hipError_tPvRmT3_T4_T5_T6_T7_T9_mT8_P12ihipStream_tbDpT10_ENKUlT_T0_E_clISt17integral_constantIbLb0EES1A_EEDaS15_S16_EUlS15_E_NS1_11comp_targetILNS1_3genE3ELNS1_11target_archE908ELNS1_3gpuE7ELNS1_3repE0EEENS1_30default_config_static_selectorELNS0_4arch9wavefront6targetE1EEEvT1_, .Lfunc_end115-_ZN7rocprim17ROCPRIM_400000_NS6detail17trampoline_kernelINS0_14default_configENS1_25partition_config_selectorILNS1_17partition_subalgoE8EfNS0_10empty_typeEbEEZZNS1_14partition_implILS5_8ELb0ES3_jN6thrust23THRUST_200600_302600_NS6detail15normal_iteratorINSA_10device_ptrIfEEEEPS6_PKS6_NS0_5tupleIJSF_S6_EEENSJ_IJSG_SG_EEENS0_18inequality_wrapperI22is_equal_div_10_uniqueIfEEEPmJS6_EEE10hipError_tPvRmT3_T4_T5_T6_T7_T9_mT8_P12ihipStream_tbDpT10_ENKUlT_T0_E_clISt17integral_constantIbLb0EES1A_EEDaS15_S16_EUlS15_E_NS1_11comp_targetILNS1_3genE3ELNS1_11target_archE908ELNS1_3gpuE7ELNS1_3repE0EEENS1_30default_config_static_selectorELNS0_4arch9wavefront6targetE1EEEvT1_
                                        ; -- End function
	.set _ZN7rocprim17ROCPRIM_400000_NS6detail17trampoline_kernelINS0_14default_configENS1_25partition_config_selectorILNS1_17partition_subalgoE8EfNS0_10empty_typeEbEEZZNS1_14partition_implILS5_8ELb0ES3_jN6thrust23THRUST_200600_302600_NS6detail15normal_iteratorINSA_10device_ptrIfEEEEPS6_PKS6_NS0_5tupleIJSF_S6_EEENSJ_IJSG_SG_EEENS0_18inequality_wrapperI22is_equal_div_10_uniqueIfEEEPmJS6_EEE10hipError_tPvRmT3_T4_T5_T6_T7_T9_mT8_P12ihipStream_tbDpT10_ENKUlT_T0_E_clISt17integral_constantIbLb0EES1A_EEDaS15_S16_EUlS15_E_NS1_11comp_targetILNS1_3genE3ELNS1_11target_archE908ELNS1_3gpuE7ELNS1_3repE0EEENS1_30default_config_static_selectorELNS0_4arch9wavefront6targetE1EEEvT1_.num_vgpr, 0
	.set _ZN7rocprim17ROCPRIM_400000_NS6detail17trampoline_kernelINS0_14default_configENS1_25partition_config_selectorILNS1_17partition_subalgoE8EfNS0_10empty_typeEbEEZZNS1_14partition_implILS5_8ELb0ES3_jN6thrust23THRUST_200600_302600_NS6detail15normal_iteratorINSA_10device_ptrIfEEEEPS6_PKS6_NS0_5tupleIJSF_S6_EEENSJ_IJSG_SG_EEENS0_18inequality_wrapperI22is_equal_div_10_uniqueIfEEEPmJS6_EEE10hipError_tPvRmT3_T4_T5_T6_T7_T9_mT8_P12ihipStream_tbDpT10_ENKUlT_T0_E_clISt17integral_constantIbLb0EES1A_EEDaS15_S16_EUlS15_E_NS1_11comp_targetILNS1_3genE3ELNS1_11target_archE908ELNS1_3gpuE7ELNS1_3repE0EEENS1_30default_config_static_selectorELNS0_4arch9wavefront6targetE1EEEvT1_.num_agpr, 0
	.set _ZN7rocprim17ROCPRIM_400000_NS6detail17trampoline_kernelINS0_14default_configENS1_25partition_config_selectorILNS1_17partition_subalgoE8EfNS0_10empty_typeEbEEZZNS1_14partition_implILS5_8ELb0ES3_jN6thrust23THRUST_200600_302600_NS6detail15normal_iteratorINSA_10device_ptrIfEEEEPS6_PKS6_NS0_5tupleIJSF_S6_EEENSJ_IJSG_SG_EEENS0_18inequality_wrapperI22is_equal_div_10_uniqueIfEEEPmJS6_EEE10hipError_tPvRmT3_T4_T5_T6_T7_T9_mT8_P12ihipStream_tbDpT10_ENKUlT_T0_E_clISt17integral_constantIbLb0EES1A_EEDaS15_S16_EUlS15_E_NS1_11comp_targetILNS1_3genE3ELNS1_11target_archE908ELNS1_3gpuE7ELNS1_3repE0EEENS1_30default_config_static_selectorELNS0_4arch9wavefront6targetE1EEEvT1_.numbered_sgpr, 0
	.set _ZN7rocprim17ROCPRIM_400000_NS6detail17trampoline_kernelINS0_14default_configENS1_25partition_config_selectorILNS1_17partition_subalgoE8EfNS0_10empty_typeEbEEZZNS1_14partition_implILS5_8ELb0ES3_jN6thrust23THRUST_200600_302600_NS6detail15normal_iteratorINSA_10device_ptrIfEEEEPS6_PKS6_NS0_5tupleIJSF_S6_EEENSJ_IJSG_SG_EEENS0_18inequality_wrapperI22is_equal_div_10_uniqueIfEEEPmJS6_EEE10hipError_tPvRmT3_T4_T5_T6_T7_T9_mT8_P12ihipStream_tbDpT10_ENKUlT_T0_E_clISt17integral_constantIbLb0EES1A_EEDaS15_S16_EUlS15_E_NS1_11comp_targetILNS1_3genE3ELNS1_11target_archE908ELNS1_3gpuE7ELNS1_3repE0EEENS1_30default_config_static_selectorELNS0_4arch9wavefront6targetE1EEEvT1_.num_named_barrier, 0
	.set _ZN7rocprim17ROCPRIM_400000_NS6detail17trampoline_kernelINS0_14default_configENS1_25partition_config_selectorILNS1_17partition_subalgoE8EfNS0_10empty_typeEbEEZZNS1_14partition_implILS5_8ELb0ES3_jN6thrust23THRUST_200600_302600_NS6detail15normal_iteratorINSA_10device_ptrIfEEEEPS6_PKS6_NS0_5tupleIJSF_S6_EEENSJ_IJSG_SG_EEENS0_18inequality_wrapperI22is_equal_div_10_uniqueIfEEEPmJS6_EEE10hipError_tPvRmT3_T4_T5_T6_T7_T9_mT8_P12ihipStream_tbDpT10_ENKUlT_T0_E_clISt17integral_constantIbLb0EES1A_EEDaS15_S16_EUlS15_E_NS1_11comp_targetILNS1_3genE3ELNS1_11target_archE908ELNS1_3gpuE7ELNS1_3repE0EEENS1_30default_config_static_selectorELNS0_4arch9wavefront6targetE1EEEvT1_.private_seg_size, 0
	.set _ZN7rocprim17ROCPRIM_400000_NS6detail17trampoline_kernelINS0_14default_configENS1_25partition_config_selectorILNS1_17partition_subalgoE8EfNS0_10empty_typeEbEEZZNS1_14partition_implILS5_8ELb0ES3_jN6thrust23THRUST_200600_302600_NS6detail15normal_iteratorINSA_10device_ptrIfEEEEPS6_PKS6_NS0_5tupleIJSF_S6_EEENSJ_IJSG_SG_EEENS0_18inequality_wrapperI22is_equal_div_10_uniqueIfEEEPmJS6_EEE10hipError_tPvRmT3_T4_T5_T6_T7_T9_mT8_P12ihipStream_tbDpT10_ENKUlT_T0_E_clISt17integral_constantIbLb0EES1A_EEDaS15_S16_EUlS15_E_NS1_11comp_targetILNS1_3genE3ELNS1_11target_archE908ELNS1_3gpuE7ELNS1_3repE0EEENS1_30default_config_static_selectorELNS0_4arch9wavefront6targetE1EEEvT1_.uses_vcc, 0
	.set _ZN7rocprim17ROCPRIM_400000_NS6detail17trampoline_kernelINS0_14default_configENS1_25partition_config_selectorILNS1_17partition_subalgoE8EfNS0_10empty_typeEbEEZZNS1_14partition_implILS5_8ELb0ES3_jN6thrust23THRUST_200600_302600_NS6detail15normal_iteratorINSA_10device_ptrIfEEEEPS6_PKS6_NS0_5tupleIJSF_S6_EEENSJ_IJSG_SG_EEENS0_18inequality_wrapperI22is_equal_div_10_uniqueIfEEEPmJS6_EEE10hipError_tPvRmT3_T4_T5_T6_T7_T9_mT8_P12ihipStream_tbDpT10_ENKUlT_T0_E_clISt17integral_constantIbLb0EES1A_EEDaS15_S16_EUlS15_E_NS1_11comp_targetILNS1_3genE3ELNS1_11target_archE908ELNS1_3gpuE7ELNS1_3repE0EEENS1_30default_config_static_selectorELNS0_4arch9wavefront6targetE1EEEvT1_.uses_flat_scratch, 0
	.set _ZN7rocprim17ROCPRIM_400000_NS6detail17trampoline_kernelINS0_14default_configENS1_25partition_config_selectorILNS1_17partition_subalgoE8EfNS0_10empty_typeEbEEZZNS1_14partition_implILS5_8ELb0ES3_jN6thrust23THRUST_200600_302600_NS6detail15normal_iteratorINSA_10device_ptrIfEEEEPS6_PKS6_NS0_5tupleIJSF_S6_EEENSJ_IJSG_SG_EEENS0_18inequality_wrapperI22is_equal_div_10_uniqueIfEEEPmJS6_EEE10hipError_tPvRmT3_T4_T5_T6_T7_T9_mT8_P12ihipStream_tbDpT10_ENKUlT_T0_E_clISt17integral_constantIbLb0EES1A_EEDaS15_S16_EUlS15_E_NS1_11comp_targetILNS1_3genE3ELNS1_11target_archE908ELNS1_3gpuE7ELNS1_3repE0EEENS1_30default_config_static_selectorELNS0_4arch9wavefront6targetE1EEEvT1_.has_dyn_sized_stack, 0
	.set _ZN7rocprim17ROCPRIM_400000_NS6detail17trampoline_kernelINS0_14default_configENS1_25partition_config_selectorILNS1_17partition_subalgoE8EfNS0_10empty_typeEbEEZZNS1_14partition_implILS5_8ELb0ES3_jN6thrust23THRUST_200600_302600_NS6detail15normal_iteratorINSA_10device_ptrIfEEEEPS6_PKS6_NS0_5tupleIJSF_S6_EEENSJ_IJSG_SG_EEENS0_18inequality_wrapperI22is_equal_div_10_uniqueIfEEEPmJS6_EEE10hipError_tPvRmT3_T4_T5_T6_T7_T9_mT8_P12ihipStream_tbDpT10_ENKUlT_T0_E_clISt17integral_constantIbLb0EES1A_EEDaS15_S16_EUlS15_E_NS1_11comp_targetILNS1_3genE3ELNS1_11target_archE908ELNS1_3gpuE7ELNS1_3repE0EEENS1_30default_config_static_selectorELNS0_4arch9wavefront6targetE1EEEvT1_.has_recursion, 0
	.set _ZN7rocprim17ROCPRIM_400000_NS6detail17trampoline_kernelINS0_14default_configENS1_25partition_config_selectorILNS1_17partition_subalgoE8EfNS0_10empty_typeEbEEZZNS1_14partition_implILS5_8ELb0ES3_jN6thrust23THRUST_200600_302600_NS6detail15normal_iteratorINSA_10device_ptrIfEEEEPS6_PKS6_NS0_5tupleIJSF_S6_EEENSJ_IJSG_SG_EEENS0_18inequality_wrapperI22is_equal_div_10_uniqueIfEEEPmJS6_EEE10hipError_tPvRmT3_T4_T5_T6_T7_T9_mT8_P12ihipStream_tbDpT10_ENKUlT_T0_E_clISt17integral_constantIbLb0EES1A_EEDaS15_S16_EUlS15_E_NS1_11comp_targetILNS1_3genE3ELNS1_11target_archE908ELNS1_3gpuE7ELNS1_3repE0EEENS1_30default_config_static_selectorELNS0_4arch9wavefront6targetE1EEEvT1_.has_indirect_call, 0
	.section	.AMDGPU.csdata,"",@progbits
; Kernel info:
; codeLenInByte = 0
; TotalNumSgprs: 4
; NumVgprs: 0
; ScratchSize: 0
; MemoryBound: 0
; FloatMode: 240
; IeeeMode: 1
; LDSByteSize: 0 bytes/workgroup (compile time only)
; SGPRBlocks: 0
; VGPRBlocks: 0
; NumSGPRsForWavesPerEU: 4
; NumVGPRsForWavesPerEU: 1
; Occupancy: 10
; WaveLimiterHint : 0
; COMPUTE_PGM_RSRC2:SCRATCH_EN: 0
; COMPUTE_PGM_RSRC2:USER_SGPR: 6
; COMPUTE_PGM_RSRC2:TRAP_HANDLER: 0
; COMPUTE_PGM_RSRC2:TGID_X_EN: 1
; COMPUTE_PGM_RSRC2:TGID_Y_EN: 0
; COMPUTE_PGM_RSRC2:TGID_Z_EN: 0
; COMPUTE_PGM_RSRC2:TIDIG_COMP_CNT: 0
	.section	.text._ZN7rocprim17ROCPRIM_400000_NS6detail17trampoline_kernelINS0_14default_configENS1_25partition_config_selectorILNS1_17partition_subalgoE8EfNS0_10empty_typeEbEEZZNS1_14partition_implILS5_8ELb0ES3_jN6thrust23THRUST_200600_302600_NS6detail15normal_iteratorINSA_10device_ptrIfEEEEPS6_PKS6_NS0_5tupleIJSF_S6_EEENSJ_IJSG_SG_EEENS0_18inequality_wrapperI22is_equal_div_10_uniqueIfEEEPmJS6_EEE10hipError_tPvRmT3_T4_T5_T6_T7_T9_mT8_P12ihipStream_tbDpT10_ENKUlT_T0_E_clISt17integral_constantIbLb0EES1A_EEDaS15_S16_EUlS15_E_NS1_11comp_targetILNS1_3genE2ELNS1_11target_archE906ELNS1_3gpuE6ELNS1_3repE0EEENS1_30default_config_static_selectorELNS0_4arch9wavefront6targetE1EEEvT1_,"axG",@progbits,_ZN7rocprim17ROCPRIM_400000_NS6detail17trampoline_kernelINS0_14default_configENS1_25partition_config_selectorILNS1_17partition_subalgoE8EfNS0_10empty_typeEbEEZZNS1_14partition_implILS5_8ELb0ES3_jN6thrust23THRUST_200600_302600_NS6detail15normal_iteratorINSA_10device_ptrIfEEEEPS6_PKS6_NS0_5tupleIJSF_S6_EEENSJ_IJSG_SG_EEENS0_18inequality_wrapperI22is_equal_div_10_uniqueIfEEEPmJS6_EEE10hipError_tPvRmT3_T4_T5_T6_T7_T9_mT8_P12ihipStream_tbDpT10_ENKUlT_T0_E_clISt17integral_constantIbLb0EES1A_EEDaS15_S16_EUlS15_E_NS1_11comp_targetILNS1_3genE2ELNS1_11target_archE906ELNS1_3gpuE6ELNS1_3repE0EEENS1_30default_config_static_selectorELNS0_4arch9wavefront6targetE1EEEvT1_,comdat
	.protected	_ZN7rocprim17ROCPRIM_400000_NS6detail17trampoline_kernelINS0_14default_configENS1_25partition_config_selectorILNS1_17partition_subalgoE8EfNS0_10empty_typeEbEEZZNS1_14partition_implILS5_8ELb0ES3_jN6thrust23THRUST_200600_302600_NS6detail15normal_iteratorINSA_10device_ptrIfEEEEPS6_PKS6_NS0_5tupleIJSF_S6_EEENSJ_IJSG_SG_EEENS0_18inequality_wrapperI22is_equal_div_10_uniqueIfEEEPmJS6_EEE10hipError_tPvRmT3_T4_T5_T6_T7_T9_mT8_P12ihipStream_tbDpT10_ENKUlT_T0_E_clISt17integral_constantIbLb0EES1A_EEDaS15_S16_EUlS15_E_NS1_11comp_targetILNS1_3genE2ELNS1_11target_archE906ELNS1_3gpuE6ELNS1_3repE0EEENS1_30default_config_static_selectorELNS0_4arch9wavefront6targetE1EEEvT1_ ; -- Begin function _ZN7rocprim17ROCPRIM_400000_NS6detail17trampoline_kernelINS0_14default_configENS1_25partition_config_selectorILNS1_17partition_subalgoE8EfNS0_10empty_typeEbEEZZNS1_14partition_implILS5_8ELb0ES3_jN6thrust23THRUST_200600_302600_NS6detail15normal_iteratorINSA_10device_ptrIfEEEEPS6_PKS6_NS0_5tupleIJSF_S6_EEENSJ_IJSG_SG_EEENS0_18inequality_wrapperI22is_equal_div_10_uniqueIfEEEPmJS6_EEE10hipError_tPvRmT3_T4_T5_T6_T7_T9_mT8_P12ihipStream_tbDpT10_ENKUlT_T0_E_clISt17integral_constantIbLb0EES1A_EEDaS15_S16_EUlS15_E_NS1_11comp_targetILNS1_3genE2ELNS1_11target_archE906ELNS1_3gpuE6ELNS1_3repE0EEENS1_30default_config_static_selectorELNS0_4arch9wavefront6targetE1EEEvT1_
	.globl	_ZN7rocprim17ROCPRIM_400000_NS6detail17trampoline_kernelINS0_14default_configENS1_25partition_config_selectorILNS1_17partition_subalgoE8EfNS0_10empty_typeEbEEZZNS1_14partition_implILS5_8ELb0ES3_jN6thrust23THRUST_200600_302600_NS6detail15normal_iteratorINSA_10device_ptrIfEEEEPS6_PKS6_NS0_5tupleIJSF_S6_EEENSJ_IJSG_SG_EEENS0_18inequality_wrapperI22is_equal_div_10_uniqueIfEEEPmJS6_EEE10hipError_tPvRmT3_T4_T5_T6_T7_T9_mT8_P12ihipStream_tbDpT10_ENKUlT_T0_E_clISt17integral_constantIbLb0EES1A_EEDaS15_S16_EUlS15_E_NS1_11comp_targetILNS1_3genE2ELNS1_11target_archE906ELNS1_3gpuE6ELNS1_3repE0EEENS1_30default_config_static_selectorELNS0_4arch9wavefront6targetE1EEEvT1_
	.p2align	8
	.type	_ZN7rocprim17ROCPRIM_400000_NS6detail17trampoline_kernelINS0_14default_configENS1_25partition_config_selectorILNS1_17partition_subalgoE8EfNS0_10empty_typeEbEEZZNS1_14partition_implILS5_8ELb0ES3_jN6thrust23THRUST_200600_302600_NS6detail15normal_iteratorINSA_10device_ptrIfEEEEPS6_PKS6_NS0_5tupleIJSF_S6_EEENSJ_IJSG_SG_EEENS0_18inequality_wrapperI22is_equal_div_10_uniqueIfEEEPmJS6_EEE10hipError_tPvRmT3_T4_T5_T6_T7_T9_mT8_P12ihipStream_tbDpT10_ENKUlT_T0_E_clISt17integral_constantIbLb0EES1A_EEDaS15_S16_EUlS15_E_NS1_11comp_targetILNS1_3genE2ELNS1_11target_archE906ELNS1_3gpuE6ELNS1_3repE0EEENS1_30default_config_static_selectorELNS0_4arch9wavefront6targetE1EEEvT1_,@function
_ZN7rocprim17ROCPRIM_400000_NS6detail17trampoline_kernelINS0_14default_configENS1_25partition_config_selectorILNS1_17partition_subalgoE8EfNS0_10empty_typeEbEEZZNS1_14partition_implILS5_8ELb0ES3_jN6thrust23THRUST_200600_302600_NS6detail15normal_iteratorINSA_10device_ptrIfEEEEPS6_PKS6_NS0_5tupleIJSF_S6_EEENSJ_IJSG_SG_EEENS0_18inequality_wrapperI22is_equal_div_10_uniqueIfEEEPmJS6_EEE10hipError_tPvRmT3_T4_T5_T6_T7_T9_mT8_P12ihipStream_tbDpT10_ENKUlT_T0_E_clISt17integral_constantIbLb0EES1A_EEDaS15_S16_EUlS15_E_NS1_11comp_targetILNS1_3genE2ELNS1_11target_archE906ELNS1_3gpuE6ELNS1_3repE0EEENS1_30default_config_static_selectorELNS0_4arch9wavefront6targetE1EEEvT1_: ; @_ZN7rocprim17ROCPRIM_400000_NS6detail17trampoline_kernelINS0_14default_configENS1_25partition_config_selectorILNS1_17partition_subalgoE8EfNS0_10empty_typeEbEEZZNS1_14partition_implILS5_8ELb0ES3_jN6thrust23THRUST_200600_302600_NS6detail15normal_iteratorINSA_10device_ptrIfEEEEPS6_PKS6_NS0_5tupleIJSF_S6_EEENSJ_IJSG_SG_EEENS0_18inequality_wrapperI22is_equal_div_10_uniqueIfEEEPmJS6_EEE10hipError_tPvRmT3_T4_T5_T6_T7_T9_mT8_P12ihipStream_tbDpT10_ENKUlT_T0_E_clISt17integral_constantIbLb0EES1A_EEDaS15_S16_EUlS15_E_NS1_11comp_targetILNS1_3genE2ELNS1_11target_archE906ELNS1_3gpuE6ELNS1_3repE0EEENS1_30default_config_static_selectorELNS0_4arch9wavefront6targetE1EEEvT1_
; %bb.0:
	s_load_dwordx4 s[0:3], s[4:5], 0x8
	s_load_dwordx4 s[36:39], s[4:5], 0x40
	s_load_dwordx2 s[8:9], s[4:5], 0x50
	s_load_dword s12, s[4:5], 0x68
	v_lshrrev_b32_e32 v18, 3, v0
	s_waitcnt lgkmcnt(0)
	s_lshl_b64 s[10:11], s[2:3], 2
	s_add_u32 s13, s0, s10
	s_addc_u32 s14, s1, s11
	s_add_i32 s15, s12, -1
	s_lshl_b32 s0, s15, 12
	s_lshl_b32 s10, s6, 12
	s_add_i32 s7, s2, s0
	s_lshl_b32 s0, s12, 12
	s_add_u32 s0, s2, s0
	s_addc_u32 s1, s3, 0
	v_mov_b32_e32 v2, s1
	v_mov_b32_e32 v1, s0
	v_cmp_le_u64_e32 vcc, s[8:9], v[1:2]
	s_cmp_eq_u32 s6, s15
	s_load_dwordx2 s[38:39], s[38:39], 0x0
	s_cselect_b64 s[40:41], -1, 0
	s_mov_b32 s11, 0
	s_and_b64 s[44:45], s[40:41], vcc
	s_xor_b64 s[42:43], s[44:45], -1
	s_lshl_b64 s[10:11], s[10:11], 2
	s_add_u32 s9, s13, s10
	s_mov_b64 s[0:1], -1
	s_addc_u32 s10, s14, s11
	s_and_b64 vcc, exec, s[42:43]
	s_cbranch_vccz .LBB116_2
; %bb.1:
	v_lshlrev_b32_e32 v5, 2, v0
	v_mov_b32_e32 v2, s10
	v_add_co_u32_e32 v1, vcc, s9, v5
	v_addc_co_u32_e32 v2, vcc, 0, v2, vcc
	v_add_co_u32_e32 v3, vcc, 0x1000, v1
	v_addc_co_u32_e32 v4, vcc, 0, v2, vcc
	flat_load_dword v6, v[1:2]
	flat_load_dword v7, v[1:2] offset:1024
	flat_load_dword v8, v[1:2] offset:2048
	;; [unrolled: 1-line block ×3, first 2 shown]
	flat_load_dword v10, v[3:4]
	flat_load_dword v11, v[3:4] offset:1024
	flat_load_dword v12, v[3:4] offset:2048
	;; [unrolled: 1-line block ×3, first 2 shown]
	v_add_co_u32_e32 v3, vcc, 0x2000, v1
	v_addc_co_u32_e32 v4, vcc, 0, v2, vcc
	flat_load_dword v14, v[3:4]
	flat_load_dword v15, v[3:4] offset:1024
	flat_load_dword v16, v[3:4] offset:2048
	;; [unrolled: 1-line block ×3, first 2 shown]
	v_add_co_u32_e32 v1, vcc, 0x3000, v1
	v_addc_co_u32_e32 v2, vcc, 0, v2, vcc
	flat_load_dword v3, v[1:2]
	flat_load_dword v4, v[1:2] offset:1024
	flat_load_dword v19, v[1:2] offset:2048
	;; [unrolled: 1-line block ×3, first 2 shown]
	v_or_b32_e32 v2, 0x100, v0
	v_or_b32_e32 v21, 0x200, v0
	;; [unrolled: 1-line block ×9, first 2 shown]
	v_and_b32_e32 v1, 28, v18
	v_lshrrev_b32_e32 v2, 3, v2
	v_lshrrev_b32_e32 v21, 3, v21
	;; [unrolled: 1-line block ×9, first 2 shown]
	v_or_b32_e32 v29, 0xa00, v0
	v_add_u32_e32 v1, v1, v5
	v_and_b32_e32 v2, 60, v2
	v_and_b32_e32 v21, 0x5c, v21
	;; [unrolled: 1-line block ×9, first 2 shown]
	v_add_u32_e32 v2, v2, v5
	v_add_u32_e32 v21, v21, v5
	;; [unrolled: 1-line block ×9, first 2 shown]
	s_mov_b64 s[0:1], 0
	s_waitcnt vmcnt(0) lgkmcnt(0)
	ds_write_b32 v1, v6
	ds_write_b32 v2, v7 offset:1024
	ds_write_b32 v21, v8 offset:2048
	;; [unrolled: 1-line block ×9, first 2 shown]
	v_lshrrev_b32_e32 v1, 3, v29
	v_and_b32_e32 v1, 0x15c, v1
	v_add_u32_e32 v1, v1, v5
	ds_write_b32 v1, v16 offset:10240
	v_or_b32_e32 v1, 0xb00, v0
	v_lshrrev_b32_e32 v1, 3, v1
	v_and_b32_e32 v1, 0x17c, v1
	v_add_u32_e32 v1, v1, v5
	ds_write_b32 v1, v17 offset:11264
	v_or_b32_e32 v1, 0xc00, v0
	;; [unrolled: 5-line block ×5, first 2 shown]
	v_lshrrev_b32_e32 v1, 3, v1
	v_and_b32_e32 v1, 0x1fc, v1
	v_add_u32_e32 v1, v1, v5
	ds_write_b32 v1, v20 offset:15360
	s_waitcnt lgkmcnt(0)
	s_barrier
.LBB116_2:
	s_andn2_b64 vcc, exec, s[0:1]
	s_sub_i32 s7, s8, s7
	s_cbranch_vccnz .LBB116_36
; %bb.3:
	v_mov_b32_e32 v1, 0
	v_cmp_gt_u32_e32 vcc, s7, v0
	v_mov_b32_e32 v2, v1
	v_mov_b32_e32 v3, v1
	v_mov_b32_e32 v4, v1
	v_mov_b32_e32 v5, v1
	v_mov_b32_e32 v6, v1
	v_mov_b32_e32 v7, v1
	v_mov_b32_e32 v8, v1
	v_mov_b32_e32 v9, v1
	v_mov_b32_e32 v10, v1
	v_mov_b32_e32 v11, v1
	v_mov_b32_e32 v12, v1
	v_mov_b32_e32 v13, v1
	v_mov_b32_e32 v14, v1
	v_mov_b32_e32 v15, v1
	v_mov_b32_e32 v16, v1
	s_and_saveexec_b64 s[0:1], vcc
	s_cbranch_execz .LBB116_5
; %bb.4:
	v_lshlrev_b32_e32 v2, 2, v0
	v_mov_b32_e32 v3, s10
	v_add_co_u32_e32 v2, vcc, s9, v2
	v_addc_co_u32_e32 v3, vcc, 0, v3, vcc
	flat_load_dword v2, v[2:3]
	v_mov_b32_e32 v3, v1
	v_mov_b32_e32 v4, v1
	;; [unrolled: 1-line block ×15, first 2 shown]
	s_waitcnt vmcnt(0) lgkmcnt(0)
	v_mov_b32_e32 v1, v2
	v_mov_b32_e32 v2, v3
	;; [unrolled: 1-line block ×16, first 2 shown]
.LBB116_5:
	s_or_b64 exec, exec, s[0:1]
	v_or_b32_e32 v17, 0x100, v0
	v_cmp_gt_u32_e32 vcc, s7, v17
	s_and_saveexec_b64 s[0:1], vcc
	s_cbranch_execz .LBB116_7
; %bb.6:
	v_lshlrev_b32_e32 v2, 2, v0
	v_mov_b32_e32 v20, s10
	v_add_co_u32_e32 v19, vcc, s9, v2
	v_addc_co_u32_e32 v20, vcc, 0, v20, vcc
	flat_load_dword v2, v[19:20] offset:1024
.LBB116_7:
	s_or_b64 exec, exec, s[0:1]
	v_or_b32_e32 v19, 0x200, v0
	v_cmp_gt_u32_e32 vcc, s7, v19
	s_and_saveexec_b64 s[0:1], vcc
	s_cbranch_execz .LBB116_9
; %bb.8:
	v_lshlrev_b32_e32 v3, 2, v0
	v_mov_b32_e32 v21, s10
	v_add_co_u32_e32 v20, vcc, s9, v3
	v_addc_co_u32_e32 v21, vcc, 0, v21, vcc
	flat_load_dword v3, v[20:21] offset:2048
.LBB116_9:
	;; [unrolled: 12-line block ×3, first 2 shown]
	s_or_b64 exec, exec, s[0:1]
	v_or_b32_e32 v21, 0x400, v0
	v_cmp_gt_u32_e32 vcc, s7, v21
	s_and_saveexec_b64 s[0:1], vcc
	s_cbranch_execz .LBB116_13
; %bb.12:
	v_lshlrev_b32_e32 v5, 2, v21
	v_mov_b32_e32 v23, s10
	v_add_co_u32_e32 v22, vcc, s9, v5
	v_addc_co_u32_e32 v23, vcc, 0, v23, vcc
	flat_load_dword v5, v[22:23]
.LBB116_13:
	s_or_b64 exec, exec, s[0:1]
	v_or_b32_e32 v22, 0x500, v0
	v_cmp_gt_u32_e32 vcc, s7, v22
	s_and_saveexec_b64 s[0:1], vcc
	s_cbranch_execz .LBB116_15
; %bb.14:
	v_lshlrev_b32_e32 v6, 2, v22
	v_mov_b32_e32 v24, s10
	v_add_co_u32_e32 v23, vcc, s9, v6
	v_addc_co_u32_e32 v24, vcc, 0, v24, vcc
	flat_load_dword v6, v[23:24]
.LBB116_15:
	;; [unrolled: 12-line block ×12, first 2 shown]
	s_or_b64 exec, exec, s[0:1]
	v_and_b32_e32 v18, 28, v18
	v_lshlrev_b32_e32 v33, 2, v0
	v_add_u32_e32 v18, v18, v33
	ds_write_b32 v18, v1
	v_lshrrev_b32_e32 v1, 3, v17
	v_and_b32_e32 v1, 60, v1
	v_add_u32_e32 v1, v1, v33
	s_waitcnt vmcnt(0) lgkmcnt(0)
	ds_write_b32 v1, v2 offset:1024
	v_lshrrev_b32_e32 v1, 3, v19
	v_and_b32_e32 v1, 0x7c, v1
	v_add_u32_e32 v1, v1, v33
	ds_write_b32 v1, v3 offset:2048
	v_lshrrev_b32_e32 v1, 3, v20
	v_and_b32_e32 v1, 0x7c, v1
	v_add_u32_e32 v1, v1, v33
	;; [unrolled: 4-line block ×14, first 2 shown]
	ds_write_b32 v1, v16 offset:15360
	s_waitcnt lgkmcnt(0)
	s_barrier
.LBB116_36:
	v_lshlrev_b32_e32 v1, 1, v0
	v_and_b32_e32 v1, 0x1fc, v1
	v_lshl_add_u32 v1, v0, 6, v1
	s_waitcnt lgkmcnt(0)
	ds_read2_b32 v[15:16], v1 offset1:1
	ds_read2_b32 v[13:14], v1 offset0:2 offset1:3
	ds_read2_b32 v[11:12], v1 offset0:4 offset1:5
	;; [unrolled: 1-line block ×7, first 2 shown]
	s_cmp_lg_u32 s6, 0
	s_cselect_b64 s[46:47], -1, 0
	s_cmp_lg_u64 s[2:3], 0
	s_cselect_b64 s[0:1], -1, 0
	s_or_b64 s[0:1], s[46:47], s[0:1]
	v_lshlrev_b32_e32 v17, 4, v0
	s_mov_b64 s[48:49], 0
	s_and_b64 vcc, exec, s[0:1]
	s_waitcnt lgkmcnt(0)
	s_barrier
	s_cbranch_vccz .LBB116_41
; %bb.37:
	v_mov_b32_e32 v19, s10
	v_add_co_u32_e64 v18, vcc, -4, s9
	v_addc_co_u32_e32 v19, vcc, -1, v19, vcc
	flat_load_dword v18, v[18:19]
	v_lshlrev_b32_e32 v19, 2, v0
	s_and_b64 vcc, exec, s[42:43]
	ds_write_b32 v19, v2
	s_cbranch_vccz .LBB116_42
; %bb.38:
	v_cmp_ne_u32_e32 vcc, 0, v0
	s_waitcnt vmcnt(0) lgkmcnt(0)
	v_mov_b32_e32 v20, v18
	s_barrier
	s_and_saveexec_b64 s[0:1], vcc
; %bb.39:
	v_add_u32_e32 v20, -4, v19
	ds_read_b32 v20, v20
; %bb.40:
	s_or_b64 exec, exec, s[0:1]
	v_cvt_i32_f32_e32 v21, v1
	v_cvt_i32_f32_e32 v22, v2
	s_mov_b32 s0, 0x66666667
	v_cvt_i32_f32_e32 v23, v4
	v_mul_hi_i32 v21, v21, s0
	v_mul_hi_i32 v22, v22, s0
	s_waitcnt lgkmcnt(0)
	v_cvt_i32_f32_e32 v20, v20
	v_mul_hi_i32 v23, v23, s0
	v_lshrrev_b32_e32 v24, 31, v21
	v_ashrrev_i32_e32 v21, 2, v21
	v_lshrrev_b32_e32 v25, 31, v22
	v_ashrrev_i32_e32 v22, 2, v22
	v_add_u32_e32 v21, v21, v24
	v_add_u32_e32 v22, v22, v25
	v_cmp_ne_u32_e32 vcc, v21, v22
	v_cvt_i32_f32_e32 v22, v3
	v_lshrrev_b32_e32 v24, 31, v23
	v_ashrrev_i32_e32 v23, 2, v23
	v_add_u32_e32 v23, v23, v24
	v_mul_hi_i32 v22, v22, s0
	v_cndmask_b32_e64 v51, 0, 1, vcc
	v_cmp_ne_u32_e32 vcc, v23, v21
	v_cvt_i32_f32_e32 v21, v6
	v_lshrrev_b32_e32 v24, 31, v22
	v_ashrrev_i32_e32 v22, 2, v22
	v_add_u32_e32 v22, v22, v24
	v_cndmask_b32_e64 v52, 0, 1, vcc
	v_cmp_ne_u32_e32 vcc, v22, v23
	v_cvt_i32_f32_e32 v23, v5
	v_mul_hi_i32 v21, v21, s0
	v_cndmask_b32_e64 v53, 0, 1, vcc
	v_mul_hi_i32 v20, v20, s0
	v_mul_hi_i32 v23, v23, s0
	v_lshrrev_b32_e32 v24, 31, v21
	v_ashrrev_i32_e32 v21, 2, v21
	v_add_u32_e32 v21, v21, v24
	v_cmp_ne_u32_e32 vcc, v21, v22
	v_cvt_i32_f32_e32 v22, v8
	v_lshrrev_b32_e32 v24, 31, v23
	v_ashrrev_i32_e32 v23, 2, v23
	v_add_u32_e32 v23, v23, v24
	v_cndmask_b32_e64 v54, 0, 1, vcc
	v_cmp_ne_u32_e32 vcc, v23, v21
	v_cvt_i32_f32_e32 v21, v7
	v_mul_hi_i32 v22, v22, s0
	v_cndmask_b32_e64 v55, 0, 1, vcc
	v_mul_hi_i32 v21, v21, s0
	v_lshrrev_b32_e32 v24, 31, v22
	v_ashrrev_i32_e32 v22, 2, v22
	v_add_u32_e32 v22, v22, v24
	v_cmp_ne_u32_e32 vcc, v22, v23
	v_cvt_i32_f32_e32 v23, v10
	v_lshrrev_b32_e32 v24, 31, v21
	v_ashrrev_i32_e32 v21, 2, v21
	v_add_u32_e32 v21, v21, v24
	v_cndmask_b32_e64 v56, 0, 1, vcc
	v_cmp_ne_u32_e32 vcc, v21, v22
	v_cvt_i32_f32_e32 v22, v9
	v_mul_hi_i32 v23, v23, s0
	v_cndmask_b32_e64 v57, 0, 1, vcc
	;; [unrolled: 14-line block ×5, first 2 shown]
	v_mul_hi_i32 v22, v22, s0
	v_lshrrev_b32_e32 v24, 31, v23
	v_ashrrev_i32_e32 v23, 2, v23
	v_add_u32_e32 v23, v23, v24
	v_cmp_ne_u32_e32 vcc, v23, v21
	v_lshrrev_b32_e32 v21, 31, v22
	v_ashrrev_i32_e32 v22, 2, v22
	v_add_u32_e32 v21, v22, v21
	v_lshrrev_b32_e32 v22, 31, v20
	v_ashrrev_i32_e32 v20, 2, v20
	v_cndmask_b32_e64 v64, 0, 1, vcc
	v_cmp_ne_u32_e32 vcc, v21, v23
	v_add_u32_e32 v20, v20, v22
	v_cndmask_b32_e64 v65, 0, 1, vcc
	v_cmp_ne_u32_e64 s[50:51], v20, v21
	s_branch .LBB116_78
.LBB116_41:
                                        ; implicit-def: $sgpr50_sgpr51
                                        ; implicit-def: $vgpr51
                                        ; implicit-def: $vgpr52
                                        ; implicit-def: $vgpr53
                                        ; implicit-def: $vgpr54
                                        ; implicit-def: $vgpr55
                                        ; implicit-def: $vgpr56
                                        ; implicit-def: $vgpr57
                                        ; implicit-def: $vgpr58
                                        ; implicit-def: $vgpr59
                                        ; implicit-def: $vgpr65
                                        ; implicit-def: $vgpr64
                                        ; implicit-def: $vgpr63
                                        ; implicit-def: $vgpr62
                                        ; implicit-def: $vgpr61
                                        ; implicit-def: $vgpr60
	s_branch .LBB116_79
.LBB116_42:
                                        ; implicit-def: $sgpr50_sgpr51
                                        ; implicit-def: $vgpr51
                                        ; implicit-def: $vgpr52
                                        ; implicit-def: $vgpr53
                                        ; implicit-def: $vgpr54
                                        ; implicit-def: $vgpr55
                                        ; implicit-def: $vgpr56
                                        ; implicit-def: $vgpr57
                                        ; implicit-def: $vgpr58
                                        ; implicit-def: $vgpr59
                                        ; implicit-def: $vgpr65
                                        ; implicit-def: $vgpr64
                                        ; implicit-def: $vgpr63
                                        ; implicit-def: $vgpr62
                                        ; implicit-def: $vgpr61
                                        ; implicit-def: $vgpr60
	s_cbranch_execz .LBB116_78
; %bb.43:
	v_or_b32_e32 v20, 15, v17
	v_cmp_gt_u32_e32 vcc, s7, v20
	s_mov_b64 s[2:3], 0
	s_mov_b64 s[0:1], 0
	s_and_saveexec_b64 s[8:9], vcc
	s_cbranch_execz .LBB116_45
; %bb.44:
	v_cvt_i32_f32_e32 v20, v1
	v_cvt_i32_f32_e32 v21, v2
	s_mov_b32 s0, 0x66666667
	v_mul_hi_i32 v20, v20, s0
	v_mul_hi_i32 v21, v21, s0
	v_lshrrev_b32_e32 v22, 31, v20
	v_ashrrev_i32_e32 v20, 2, v20
	v_lshrrev_b32_e32 v23, 31, v21
	v_ashrrev_i32_e32 v21, 2, v21
	v_add_u32_e32 v20, v20, v22
	v_add_u32_e32 v21, v21, v23
	v_cmp_ne_u32_e32 vcc, v20, v21
	s_and_b64 s[0:1], vcc, exec
.LBB116_45:
	s_or_b64 exec, exec, s[8:9]
	v_or_b32_e32 v20, 14, v17
	v_cmp_gt_u32_e32 vcc, s7, v20
	s_and_saveexec_b64 s[8:9], vcc
	s_cbranch_execz .LBB116_47
; %bb.46:
	v_cvt_i32_f32_e32 v20, v4
	v_cvt_i32_f32_e32 v21, v1
	s_mov_b32 s2, 0x66666667
	v_mul_hi_i32 v20, v20, s2
	v_mul_hi_i32 v21, v21, s2
	v_lshrrev_b32_e32 v22, 31, v20
	v_ashrrev_i32_e32 v20, 2, v20
	v_lshrrev_b32_e32 v23, 31, v21
	v_ashrrev_i32_e32 v21, 2, v21
	v_add_u32_e32 v20, v20, v22
	v_add_u32_e32 v21, v21, v23
	v_cmp_ne_u32_e32 vcc, v20, v21
	s_and_b64 s[2:3], vcc, exec
.LBB116_47:
	s_or_b64 exec, exec, s[8:9]
	v_or_b32_e32 v20, 13, v17
	v_cmp_gt_u32_e32 vcc, s7, v20
	s_mov_b64 s[10:11], 0
	s_mov_b64 s[8:9], 0
	s_and_saveexec_b64 s[12:13], vcc
	s_cbranch_execz .LBB116_49
; %bb.48:
	v_cvt_i32_f32_e32 v20, v3
	v_cvt_i32_f32_e32 v21, v4
	s_mov_b32 s8, 0x66666667
	v_mul_hi_i32 v20, v20, s8
	v_mul_hi_i32 v21, v21, s8
	v_lshrrev_b32_e32 v22, 31, v20
	v_ashrrev_i32_e32 v20, 2, v20
	v_lshrrev_b32_e32 v23, 31, v21
	v_ashrrev_i32_e32 v21, 2, v21
	v_add_u32_e32 v20, v20, v22
	v_add_u32_e32 v21, v21, v23
	v_cmp_ne_u32_e32 vcc, v20, v21
	s_and_b64 s[8:9], vcc, exec
.LBB116_49:
	s_or_b64 exec, exec, s[12:13]
	v_or_b32_e32 v20, 12, v17
	v_cmp_gt_u32_e32 vcc, s7, v20
	s_and_saveexec_b64 s[12:13], vcc
	s_cbranch_execz .LBB116_51
; %bb.50:
	v_cvt_i32_f32_e32 v20, v6
	v_cvt_i32_f32_e32 v21, v3
	s_mov_b32 s10, 0x66666667
	v_mul_hi_i32 v20, v20, s10
	v_mul_hi_i32 v21, v21, s10
	v_lshrrev_b32_e32 v22, 31, v20
	v_ashrrev_i32_e32 v20, 2, v20
	v_lshrrev_b32_e32 v23, 31, v21
	v_ashrrev_i32_e32 v21, 2, v21
	v_add_u32_e32 v20, v20, v22
	v_add_u32_e32 v21, v21, v23
	v_cmp_ne_u32_e32 vcc, v20, v21
	s_and_b64 s[10:11], vcc, exec
.LBB116_51:
	s_or_b64 exec, exec, s[12:13]
	v_or_b32_e32 v20, 11, v17
	v_cmp_gt_u32_e32 vcc, s7, v20
	s_mov_b64 s[14:15], 0
	s_mov_b64 s[12:13], 0
	s_and_saveexec_b64 s[16:17], vcc
	s_cbranch_execz .LBB116_53
; %bb.52:
	v_cvt_i32_f32_e32 v20, v5
	v_cvt_i32_f32_e32 v21, v6
	s_mov_b32 s12, 0x66666667
	v_mul_hi_i32 v20, v20, s12
	v_mul_hi_i32 v21, v21, s12
	v_lshrrev_b32_e32 v22, 31, v20
	v_ashrrev_i32_e32 v20, 2, v20
	v_lshrrev_b32_e32 v23, 31, v21
	v_ashrrev_i32_e32 v21, 2, v21
	v_add_u32_e32 v20, v20, v22
	v_add_u32_e32 v21, v21, v23
	v_cmp_ne_u32_e32 vcc, v20, v21
	s_and_b64 s[12:13], vcc, exec
.LBB116_53:
	s_or_b64 exec, exec, s[16:17]
	v_or_b32_e32 v20, 10, v17
	v_cmp_gt_u32_e32 vcc, s7, v20
	s_and_saveexec_b64 s[16:17], vcc
	s_cbranch_execz .LBB116_55
; %bb.54:
	v_cvt_i32_f32_e32 v20, v8
	v_cvt_i32_f32_e32 v21, v5
	s_mov_b32 s14, 0x66666667
	v_mul_hi_i32 v20, v20, s14
	v_mul_hi_i32 v21, v21, s14
	v_lshrrev_b32_e32 v22, 31, v20
	v_ashrrev_i32_e32 v20, 2, v20
	v_lshrrev_b32_e32 v23, 31, v21
	v_ashrrev_i32_e32 v21, 2, v21
	v_add_u32_e32 v20, v20, v22
	v_add_u32_e32 v21, v21, v23
	v_cmp_ne_u32_e32 vcc, v20, v21
	s_and_b64 s[14:15], vcc, exec
.LBB116_55:
	s_or_b64 exec, exec, s[16:17]
	v_or_b32_e32 v20, 9, v17
	v_cmp_gt_u32_e32 vcc, s7, v20
	s_mov_b64 s[18:19], 0
	s_mov_b64 s[16:17], 0
	s_and_saveexec_b64 s[20:21], vcc
	s_cbranch_execz .LBB116_57
; %bb.56:
	v_cvt_i32_f32_e32 v20, v7
	v_cvt_i32_f32_e32 v21, v8
	s_mov_b32 s16, 0x66666667
	v_mul_hi_i32 v20, v20, s16
	v_mul_hi_i32 v21, v21, s16
	v_lshrrev_b32_e32 v22, 31, v20
	v_ashrrev_i32_e32 v20, 2, v20
	v_lshrrev_b32_e32 v23, 31, v21
	v_ashrrev_i32_e32 v21, 2, v21
	v_add_u32_e32 v20, v20, v22
	v_add_u32_e32 v21, v21, v23
	v_cmp_ne_u32_e32 vcc, v20, v21
	s_and_b64 s[16:17], vcc, exec
.LBB116_57:
	s_or_b64 exec, exec, s[20:21]
	v_or_b32_e32 v20, 8, v17
	v_cmp_gt_u32_e32 vcc, s7, v20
	s_and_saveexec_b64 s[20:21], vcc
	s_cbranch_execz .LBB116_59
; %bb.58:
	v_cvt_i32_f32_e32 v20, v10
	v_cvt_i32_f32_e32 v21, v7
	s_mov_b32 s18, 0x66666667
	v_mul_hi_i32 v20, v20, s18
	v_mul_hi_i32 v21, v21, s18
	v_lshrrev_b32_e32 v22, 31, v20
	v_ashrrev_i32_e32 v20, 2, v20
	v_lshrrev_b32_e32 v23, 31, v21
	v_ashrrev_i32_e32 v21, 2, v21
	v_add_u32_e32 v20, v20, v22
	v_add_u32_e32 v21, v21, v23
	v_cmp_ne_u32_e32 vcc, v20, v21
	s_and_b64 s[18:19], vcc, exec
.LBB116_59:
	s_or_b64 exec, exec, s[20:21]
	v_or_b32_e32 v20, 7, v17
	v_cmp_gt_u32_e32 vcc, s7, v20
	s_mov_b64 s[22:23], 0
	s_mov_b64 s[20:21], 0
	s_and_saveexec_b64 s[24:25], vcc
	s_cbranch_execz .LBB116_61
; %bb.60:
	v_cvt_i32_f32_e32 v20, v9
	v_cvt_i32_f32_e32 v21, v10
	s_mov_b32 s20, 0x66666667
	v_mul_hi_i32 v20, v20, s20
	v_mul_hi_i32 v21, v21, s20
	v_lshrrev_b32_e32 v22, 31, v20
	v_ashrrev_i32_e32 v20, 2, v20
	v_lshrrev_b32_e32 v23, 31, v21
	v_ashrrev_i32_e32 v21, 2, v21
	v_add_u32_e32 v20, v20, v22
	v_add_u32_e32 v21, v21, v23
	v_cmp_ne_u32_e32 vcc, v20, v21
	s_and_b64 s[20:21], vcc, exec
.LBB116_61:
	s_or_b64 exec, exec, s[24:25]
	v_or_b32_e32 v20, 6, v17
	v_cmp_gt_u32_e32 vcc, s7, v20
	s_and_saveexec_b64 s[24:25], vcc
	s_cbranch_execz .LBB116_63
; %bb.62:
	v_cvt_i32_f32_e32 v20, v12
	v_cvt_i32_f32_e32 v21, v9
	s_mov_b32 s22, 0x66666667
	v_mul_hi_i32 v20, v20, s22
	v_mul_hi_i32 v21, v21, s22
	v_lshrrev_b32_e32 v22, 31, v20
	v_ashrrev_i32_e32 v20, 2, v20
	v_lshrrev_b32_e32 v23, 31, v21
	v_ashrrev_i32_e32 v21, 2, v21
	v_add_u32_e32 v20, v20, v22
	v_add_u32_e32 v21, v21, v23
	v_cmp_ne_u32_e32 vcc, v20, v21
	s_and_b64 s[22:23], vcc, exec
.LBB116_63:
	s_or_b64 exec, exec, s[24:25]
	v_or_b32_e32 v20, 5, v17
	v_cmp_gt_u32_e32 vcc, s7, v20
	s_mov_b64 s[26:27], 0
	s_mov_b64 s[24:25], 0
	s_and_saveexec_b64 s[28:29], vcc
	s_cbranch_execz .LBB116_65
; %bb.64:
	v_cvt_i32_f32_e32 v20, v11
	v_cvt_i32_f32_e32 v21, v12
	s_mov_b32 s24, 0x66666667
	v_mul_hi_i32 v20, v20, s24
	v_mul_hi_i32 v21, v21, s24
	v_lshrrev_b32_e32 v22, 31, v20
	v_ashrrev_i32_e32 v20, 2, v20
	v_lshrrev_b32_e32 v23, 31, v21
	v_ashrrev_i32_e32 v21, 2, v21
	v_add_u32_e32 v20, v20, v22
	v_add_u32_e32 v21, v21, v23
	v_cmp_ne_u32_e32 vcc, v20, v21
	s_and_b64 s[24:25], vcc, exec
.LBB116_65:
	s_or_b64 exec, exec, s[28:29]
	v_or_b32_e32 v20, 4, v17
	v_cmp_gt_u32_e32 vcc, s7, v20
	s_and_saveexec_b64 s[28:29], vcc
	s_cbranch_execz .LBB116_67
; %bb.66:
	v_cvt_i32_f32_e32 v20, v14
	v_cvt_i32_f32_e32 v21, v11
	s_mov_b32 s26, 0x66666667
	v_mul_hi_i32 v20, v20, s26
	v_mul_hi_i32 v21, v21, s26
	v_lshrrev_b32_e32 v22, 31, v20
	v_ashrrev_i32_e32 v20, 2, v20
	v_lshrrev_b32_e32 v23, 31, v21
	v_ashrrev_i32_e32 v21, 2, v21
	v_add_u32_e32 v20, v20, v22
	v_add_u32_e32 v21, v21, v23
	v_cmp_ne_u32_e32 vcc, v20, v21
	s_and_b64 s[26:27], vcc, exec
.LBB116_67:
	s_or_b64 exec, exec, s[28:29]
	v_or_b32_e32 v20, 3, v17
	v_cmp_gt_u32_e32 vcc, s7, v20
	s_mov_b64 s[30:31], 0
	s_mov_b64 s[28:29], 0
	s_and_saveexec_b64 s[34:35], vcc
	s_cbranch_execz .LBB116_69
; %bb.68:
	v_cvt_i32_f32_e32 v20, v13
	v_cvt_i32_f32_e32 v21, v14
	s_mov_b32 s28, 0x66666667
	v_mul_hi_i32 v20, v20, s28
	v_mul_hi_i32 v21, v21, s28
	v_lshrrev_b32_e32 v22, 31, v20
	v_ashrrev_i32_e32 v20, 2, v20
	v_lshrrev_b32_e32 v23, 31, v21
	v_ashrrev_i32_e32 v21, 2, v21
	v_add_u32_e32 v20, v20, v22
	v_add_u32_e32 v21, v21, v23
	v_cmp_ne_u32_e32 vcc, v20, v21
	s_and_b64 s[28:29], vcc, exec
.LBB116_69:
	s_or_b64 exec, exec, s[34:35]
	v_or_b32_e32 v20, 2, v17
	v_cmp_gt_u32_e32 vcc, s7, v20
	s_and_saveexec_b64 s[34:35], vcc
	s_cbranch_execz .LBB116_71
; %bb.70:
	v_cvt_i32_f32_e32 v20, v16
	v_cvt_i32_f32_e32 v21, v13
	s_mov_b32 s30, 0x66666667
	v_mul_hi_i32 v20, v20, s30
	v_mul_hi_i32 v21, v21, s30
	v_lshrrev_b32_e32 v22, 31, v20
	v_ashrrev_i32_e32 v20, 2, v20
	v_lshrrev_b32_e32 v23, 31, v21
	v_ashrrev_i32_e32 v21, 2, v21
	v_add_u32_e32 v20, v20, v22
	v_add_u32_e32 v21, v21, v23
	v_cmp_ne_u32_e32 vcc, v20, v21
	s_and_b64 s[30:31], vcc, exec
.LBB116_71:
	s_or_b64 exec, exec, s[34:35]
	v_or_b32_e32 v20, 1, v17
	v_cmp_gt_u32_e32 vcc, s7, v20
	s_mov_b64 s[34:35], 0
	s_and_saveexec_b64 s[48:49], vcc
	s_cbranch_execz .LBB116_73
; %bb.72:
	v_cvt_i32_f32_e32 v20, v15
	v_cvt_i32_f32_e32 v21, v16
	s_mov_b32 s33, 0x66666667
	v_mul_hi_i32 v20, v20, s33
	v_mul_hi_i32 v21, v21, s33
	v_lshrrev_b32_e32 v22, 31, v20
	v_ashrrev_i32_e32 v20, 2, v20
	v_lshrrev_b32_e32 v23, 31, v21
	v_ashrrev_i32_e32 v21, 2, v21
	v_add_u32_e32 v20, v20, v22
	v_add_u32_e32 v21, v21, v23
	v_cmp_ne_u32_e32 vcc, v20, v21
	s_and_b64 s[34:35], vcc, exec
.LBB116_73:
	s_or_b64 exec, exec, s[48:49]
	v_cmp_ne_u32_e32 vcc, 0, v0
	s_waitcnt vmcnt(0) lgkmcnt(0)
	s_barrier
	s_and_saveexec_b64 s[48:49], vcc
; %bb.74:
	v_add_u32_e32 v18, -4, v19
	ds_read_b32 v18, v18
; %bb.75:
	s_or_b64 exec, exec, s[48:49]
	v_cmp_gt_u32_e32 vcc, s7, v17
	s_mov_b64 s[50:51], 0
	s_and_saveexec_b64 s[48:49], vcc
	s_cbranch_execz .LBB116_77
; %bb.76:
	s_waitcnt lgkmcnt(0)
	v_cvt_i32_f32_e32 v18, v18
	v_cvt_i32_f32_e32 v19, v15
	s_mov_b32 s33, 0x66666667
	v_mul_hi_i32 v18, v18, s33
	v_mul_hi_i32 v19, v19, s33
	v_lshrrev_b32_e32 v20, 31, v18
	v_ashrrev_i32_e32 v18, 2, v18
	v_lshrrev_b32_e32 v21, 31, v19
	v_ashrrev_i32_e32 v19, 2, v19
	v_add_u32_e32 v18, v18, v20
	v_add_u32_e32 v19, v19, v21
	v_cmp_ne_u32_e32 vcc, v18, v19
	s_and_b64 s[50:51], vcc, exec
.LBB116_77:
	s_or_b64 exec, exec, s[48:49]
	v_cndmask_b32_e64 v65, 0, 1, s[34:35]
	v_cndmask_b32_e64 v64, 0, 1, s[30:31]
	;; [unrolled: 1-line block ×15, first 2 shown]
.LBB116_78:
	s_mov_b64 s[48:49], -1
	s_cbranch_execnz .LBB116_119
.LBB116_79:
	v_cvt_i32_f32_e32 v32, v1
	v_cvt_i32_f32_e32 v31, v4
	;; [unrolled: 1-line block ×14, first 2 shown]
	s_waitcnt vmcnt(0) lgkmcnt(0)
	v_lshlrev_b32_e32 v18, 2, v0
	s_and_b64 vcc, exec, s[42:43]
	ds_write_b32 v18, v2
	s_cbranch_vccz .LBB116_83
; %bb.80:
	v_cvt_i32_f32_e32 v33, v2
	s_mov_b32 s33, 0x66666667
	v_mul_hi_i32 v34, v32, s33
	v_mul_hi_i32 v35, v31, s33
	;; [unrolled: 1-line block ×3, first 2 shown]
	v_cvt_i32_f32_e32 v37, v15
	v_lshrrev_b32_e32 v36, 31, v34
	v_ashrrev_i32_e32 v34, 2, v34
	v_add_u32_e32 v34, v34, v36
	v_lshrrev_b32_e32 v36, 31, v33
	v_ashrrev_i32_e32 v33, 2, v33
	v_add_u32_e32 v33, v33, v36
	v_mul_hi_i32 v36, v30, s33
	v_cmp_ne_u32_e32 vcc, v34, v33
	v_lshrrev_b32_e32 v33, 31, v35
	v_ashrrev_i32_e32 v35, 2, v35
	v_add_u32_e32 v33, v35, v33
	v_mul_hi_i32 v35, v29, s33
	v_cmp_ne_u32_e64 s[0:1], v33, v34
	v_lshrrev_b32_e32 v34, 31, v36
	v_ashrrev_i32_e32 v36, 2, v36
	v_add_u32_e32 v34, v36, v34
	v_mul_hi_i32 v36, v28, s33
	v_cmp_ne_u32_e64 s[2:3], v34, v33
	;; [unrolled: 5-line block ×10, first 2 shown]
	v_lshrrev_b32_e32 v33, 31, v35
	v_ashrrev_i32_e32 v35, 2, v35
	v_add_u32_e32 v33, v35, v33
	v_cmp_ne_u32_e64 s[22:23], v33, v34
	v_lshrrev_b32_e32 v34, 31, v36
	v_ashrrev_i32_e32 v35, 2, v36
	v_mul_hi_i32 v36, v19, s33
	v_add_u32_e32 v34, v35, v34
	v_mul_hi_i32 v35, v37, s33
	v_cmp_ne_u32_e64 s[24:25], v34, v33
	v_lshrrev_b32_e32 v33, 31, v36
	v_ashrrev_i32_e32 v36, 2, v36
	v_add_u32_e32 v36, v36, v33
	v_cmp_ne_u32_e64 s[26:27], v36, v34
	v_lshrrev_b32_e32 v33, 31, v35
	v_ashrrev_i32_e32 v34, 2, v35
	v_add_u32_e32 v33, v34, v33
	v_cmp_ne_u32_e64 s[28:29], v33, v36
	v_cmp_ne_u32_e64 s[34:35], 0, v0
	s_waitcnt lgkmcnt(0)
	s_barrier
                                        ; implicit-def: $sgpr50_sgpr51
	s_and_saveexec_b64 s[52:53], s[34:35]
	s_xor_b64 s[34:35], exec, s[52:53]
	s_cbranch_execz .LBB116_82
; %bb.81:
	v_add_u32_e32 v34, -4, v18
	ds_read_b32 v34, v34
	s_or_b64 s[48:49], s[48:49], exec
	s_waitcnt lgkmcnt(0)
	v_cvt_i32_f32_e32 v34, v34
	v_mul_hi_i32 v34, v34, s33
	v_lshrrev_b32_e32 v35, 31, v34
	v_ashrrev_i32_e32 v34, 2, v34
	v_add_u32_e32 v34, v34, v35
	v_cmp_ne_u32_e64 s[50:51], v34, v33
.LBB116_82:
	s_or_b64 exec, exec, s[34:35]
	v_cndmask_b32_e64 v51, 0, 1, vcc
	v_cndmask_b32_e64 v52, 0, 1, s[0:1]
	v_cndmask_b32_e64 v53, 0, 1, s[2:3]
	;; [unrolled: 1-line block ×14, first 2 shown]
	s_branch .LBB116_119
.LBB116_83:
                                        ; implicit-def: $sgpr50_sgpr51
                                        ; implicit-def: $vgpr51
                                        ; implicit-def: $vgpr52
                                        ; implicit-def: $vgpr53
                                        ; implicit-def: $vgpr54
                                        ; implicit-def: $vgpr55
                                        ; implicit-def: $vgpr56
                                        ; implicit-def: $vgpr57
                                        ; implicit-def: $vgpr58
                                        ; implicit-def: $vgpr59
                                        ; implicit-def: $vgpr65
                                        ; implicit-def: $vgpr64
                                        ; implicit-def: $vgpr63
                                        ; implicit-def: $vgpr62
                                        ; implicit-def: $vgpr61
                                        ; implicit-def: $vgpr60
	s_cbranch_execz .LBB116_119
; %bb.84:
	v_or_b32_e32 v33, 15, v17
	v_cmp_gt_u32_e32 vcc, s7, v33
	s_mov_b64 s[0:1], 0
	s_mov_b64 s[2:3], 0
	s_and_saveexec_b64 s[8:9], vcc
	s_cbranch_execz .LBB116_86
; %bb.85:
	v_cvt_i32_f32_e32 v33, v2
	s_mov_b32 s2, 0x66666667
	v_mul_hi_i32 v34, v32, s2
	v_mul_hi_i32 v33, v33, s2
	v_lshrrev_b32_e32 v35, 31, v34
	v_ashrrev_i32_e32 v34, 2, v34
	v_add_u32_e32 v34, v34, v35
	v_lshrrev_b32_e32 v35, 31, v33
	v_ashrrev_i32_e32 v33, 2, v33
	v_add_u32_e32 v33, v33, v35
	v_cmp_ne_u32_e32 vcc, v34, v33
	s_and_b64 s[2:3], vcc, exec
.LBB116_86:
	s_or_b64 exec, exec, s[8:9]
	v_or_b32_e32 v33, 14, v17
	v_cmp_gt_u32_e32 vcc, s7, v33
	s_and_saveexec_b64 s[8:9], vcc
	s_cbranch_execz .LBB116_88
; %bb.87:
	s_mov_b32 s0, 0x66666667
	v_mul_hi_i32 v33, v31, s0
	v_mul_hi_i32 v32, v32, s0
	v_lshrrev_b32_e32 v34, 31, v33
	v_ashrrev_i32_e32 v33, 2, v33
	v_lshrrev_b32_e32 v35, 31, v32
	v_ashrrev_i32_e32 v32, 2, v32
	v_add_u32_e32 v33, v33, v34
	v_add_u32_e32 v32, v32, v35
	v_cmp_ne_u32_e32 vcc, v33, v32
	s_and_b64 s[0:1], vcc, exec
.LBB116_88:
	s_or_b64 exec, exec, s[8:9]
	v_or_b32_e32 v32, 13, v17
	v_cmp_gt_u32_e32 vcc, s7, v32
	s_mov_b64 s[10:11], 0
	s_mov_b64 s[8:9], 0
	s_and_saveexec_b64 s[12:13], vcc
	s_cbranch_execz .LBB116_90
; %bb.89:
	s_mov_b32 s8, 0x66666667
	v_mul_hi_i32 v32, v30, s8
	v_mul_hi_i32 v31, v31, s8
	v_lshrrev_b32_e32 v33, 31, v32
	v_ashrrev_i32_e32 v32, 2, v32
	v_lshrrev_b32_e32 v34, 31, v31
	v_ashrrev_i32_e32 v31, 2, v31
	v_add_u32_e32 v32, v32, v33
	v_add_u32_e32 v31, v31, v34
	v_cmp_ne_u32_e32 vcc, v32, v31
	s_and_b64 s[8:9], vcc, exec
.LBB116_90:
	s_or_b64 exec, exec, s[12:13]
	v_or_b32_e32 v31, 12, v17
	v_cmp_gt_u32_e32 vcc, s7, v31
	s_and_saveexec_b64 s[12:13], vcc
	s_cbranch_execz .LBB116_92
; %bb.91:
	s_mov_b32 s10, 0x66666667
	v_mul_hi_i32 v31, v29, s10
	v_mul_hi_i32 v30, v30, s10
	v_lshrrev_b32_e32 v32, 31, v31
	v_ashrrev_i32_e32 v31, 2, v31
	v_lshrrev_b32_e32 v33, 31, v30
	v_ashrrev_i32_e32 v30, 2, v30
	v_add_u32_e32 v31, v31, v32
	v_add_u32_e32 v30, v30, v33
	v_cmp_ne_u32_e32 vcc, v31, v30
	s_and_b64 s[10:11], vcc, exec
.LBB116_92:
	s_or_b64 exec, exec, s[12:13]
	v_or_b32_e32 v30, 11, v17
	v_cmp_gt_u32_e32 vcc, s7, v30
	s_mov_b64 s[14:15], 0
	s_mov_b64 s[12:13], 0
	s_and_saveexec_b64 s[16:17], vcc
	s_cbranch_execz .LBB116_94
; %bb.93:
	s_mov_b32 s12, 0x66666667
	v_mul_hi_i32 v30, v28, s12
	v_mul_hi_i32 v29, v29, s12
	v_lshrrev_b32_e32 v31, 31, v30
	v_ashrrev_i32_e32 v30, 2, v30
	v_lshrrev_b32_e32 v32, 31, v29
	v_ashrrev_i32_e32 v29, 2, v29
	v_add_u32_e32 v30, v30, v31
	v_add_u32_e32 v29, v29, v32
	v_cmp_ne_u32_e32 vcc, v30, v29
	s_and_b64 s[12:13], vcc, exec
.LBB116_94:
	;; [unrolled: 38-line block ×6, first 2 shown]
	s_or_b64 exec, exec, s[34:35]
	v_or_b32_e32 v21, 2, v17
	v_cmp_gt_u32_e32 vcc, s7, v21
	s_and_saveexec_b64 s[34:35], vcc
	s_cbranch_execz .LBB116_112
; %bb.111:
	s_mov_b32 s30, 0x66666667
	v_mul_hi_i32 v21, v19, s30
	v_mul_hi_i32 v20, v20, s30
	v_lshrrev_b32_e32 v22, 31, v21
	v_ashrrev_i32_e32 v21, 2, v21
	v_lshrrev_b32_e32 v23, 31, v20
	v_ashrrev_i32_e32 v20, 2, v20
	v_add_u32_e32 v21, v21, v22
	v_add_u32_e32 v20, v20, v23
	v_cmp_ne_u32_e32 vcc, v21, v20
	s_and_b64 s[30:31], vcc, exec
.LBB116_112:
	s_or_b64 exec, exec, s[34:35]
	v_or_b32_e32 v20, 1, v17
	v_cmp_gt_u32_e32 vcc, s7, v20
	s_mov_b64 s[34:35], 0
	s_and_saveexec_b64 s[50:51], vcc
	s_cbranch_execz .LBB116_114
; %bb.113:
	v_cvt_i32_f32_e32 v20, v15
	s_mov_b32 s33, 0x66666667
	v_mul_hi_i32 v19, v19, s33
	v_mul_hi_i32 v20, v20, s33
	v_lshrrev_b32_e32 v21, 31, v19
	v_ashrrev_i32_e32 v19, 2, v19
	v_lshrrev_b32_e32 v22, 31, v20
	v_ashrrev_i32_e32 v20, 2, v20
	v_add_u32_e32 v20, v20, v22
	v_add_u32_e32 v19, v19, v21
	v_cmp_ne_u32_e32 vcc, v20, v19
	s_and_b64 s[34:35], vcc, exec
.LBB116_114:
	s_or_b64 exec, exec, s[50:51]
	v_cmp_ne_u32_e32 vcc, 0, v0
	s_waitcnt lgkmcnt(0)
	s_barrier
                                        ; implicit-def: $sgpr50_sgpr51
	s_and_saveexec_b64 s[52:53], vcc
	s_cbranch_execz .LBB116_118
; %bb.115:
	v_cmp_gt_u32_e32 vcc, s7, v17
	s_mov_b64 s[50:51], 0
	s_and_saveexec_b64 s[54:55], vcc
	s_cbranch_execz .LBB116_117
; %bb.116:
	v_add_u32_e32 v18, -4, v18
	ds_read_b32 v18, v18
	v_cvt_i32_f32_e32 v19, v15
	s_mov_b32 s33, 0x66666667
	v_mul_hi_i32 v19, v19, s33
	s_waitcnt lgkmcnt(0)
	v_cvt_i32_f32_e32 v18, v18
	v_lshrrev_b32_e32 v20, 31, v19
	v_mul_hi_i32 v18, v18, s33
	v_ashrrev_i32_e32 v19, 2, v19
	v_add_u32_e32 v19, v19, v20
	v_lshrrev_b32_e32 v21, 31, v18
	v_ashrrev_i32_e32 v18, 2, v18
	v_add_u32_e32 v18, v18, v21
	v_cmp_ne_u32_e32 vcc, v18, v19
	s_and_b64 s[50:51], vcc, exec
.LBB116_117:
	s_or_b64 exec, exec, s[54:55]
	s_or_b64 s[48:49], s[48:49], exec
.LBB116_118:
	s_or_b64 exec, exec, s[52:53]
	v_cndmask_b32_e64 v64, 0, 1, s[30:31]
	v_cndmask_b32_e64 v63, 0, 1, s[28:29]
	;; [unrolled: 1-line block ×15, first 2 shown]
.LBB116_119:
	v_mov_b32_e32 v28, 1
	s_and_saveexec_b64 s[0:1], s[48:49]
; %bb.120:
	v_cndmask_b32_e64 v28, 0, 1, s[50:51]
; %bb.121:
	s_or_b64 exec, exec, s[0:1]
	s_load_dwordx2 s[22:23], s[4:5], 0x60
	s_andn2_b64 vcc, exec, s[44:45]
	s_cbranch_vccnz .LBB116_123
; %bb.122:
	v_cmp_gt_u32_e32 vcc, s7, v17
	s_waitcnt vmcnt(0) lgkmcnt(0)
	v_or_b32_e32 v18, 1, v17
	v_cndmask_b32_e32 v28, 0, v28, vcc
	v_cmp_gt_u32_e32 vcc, s7, v18
	v_or_b32_e32 v18, 2, v17
	v_cndmask_b32_e32 v65, 0, v65, vcc
	v_cmp_gt_u32_e32 vcc, s7, v18
	v_or_b32_e32 v18, 3, v17
	v_cndmask_b32_e32 v64, 0, v64, vcc
	v_cmp_gt_u32_e32 vcc, s7, v18
	v_or_b32_e32 v18, 4, v17
	v_cndmask_b32_e32 v63, 0, v63, vcc
	v_cmp_gt_u32_e32 vcc, s7, v18
	v_or_b32_e32 v18, 5, v17
	v_cndmask_b32_e32 v62, 0, v62, vcc
	v_cmp_gt_u32_e32 vcc, s7, v18
	v_or_b32_e32 v18, 6, v17
	v_cndmask_b32_e32 v61, 0, v61, vcc
	v_cmp_gt_u32_e32 vcc, s7, v18
	v_or_b32_e32 v18, 7, v17
	v_cndmask_b32_e32 v60, 0, v60, vcc
	v_cmp_gt_u32_e32 vcc, s7, v18
	v_or_b32_e32 v18, 8, v17
	v_cndmask_b32_e32 v59, 0, v59, vcc
	v_cmp_gt_u32_e32 vcc, s7, v18
	v_or_b32_e32 v18, 9, v17
	v_cndmask_b32_e32 v58, 0, v58, vcc
	v_cmp_gt_u32_e32 vcc, s7, v18
	v_or_b32_e32 v18, 10, v17
	v_cndmask_b32_e32 v57, 0, v57, vcc
	v_cmp_gt_u32_e32 vcc, s7, v18
	v_or_b32_e32 v18, 11, v17
	v_cndmask_b32_e32 v56, 0, v56, vcc
	v_cmp_gt_u32_e32 vcc, s7, v18
	v_or_b32_e32 v18, 12, v17
	v_cndmask_b32_e32 v55, 0, v55, vcc
	v_cmp_gt_u32_e32 vcc, s7, v18
	v_or_b32_e32 v18, 13, v17
	v_cndmask_b32_e32 v54, 0, v54, vcc
	v_cmp_gt_u32_e32 vcc, s7, v18
	v_or_b32_e32 v18, 14, v17
	v_cndmask_b32_e32 v53, 0, v53, vcc
	v_cmp_gt_u32_e32 vcc, s7, v18
	v_or_b32_e32 v17, 15, v17
	v_cndmask_b32_e32 v52, 0, v52, vcc
	v_cmp_gt_u32_e32 vcc, s7, v17
	v_cndmask_b32_e32 v51, 0, v51, vcc
.LBB116_123:
	v_and_b32_e32 v37, 0xff, v63
	v_and_b32_e32 v39, 0xff, v62
	s_waitcnt vmcnt(0) lgkmcnt(0)
	v_add_u32_sdwa v18, v61, v60 dst_sel:DWORD dst_unused:UNUSED_PAD src0_sel:BYTE_0 src1_sel:BYTE_0
	v_and_b32_e32 v33, 0xff, v65
	v_and_b32_e32 v35, 0xff, v64
	v_add3_u32 v18, v18, v39, v37
	v_and_b32_e32 v31, 0xffff, v28
	v_and_b32_e32 v27, 0xff, v59
	v_add3_u32 v18, v18, v35, v33
	;; [unrolled: 3-line block ×6, first 2 shown]
	v_add3_u32 v44, v18, v40, v17
	v_mbcnt_lo_u32_b32 v17, -1, 0
	v_mbcnt_hi_u32_b32 v41, -1, v17
	v_and_b32_e32 v17, 15, v41
	v_cmp_eq_u32_e64 s[14:15], 0, v17
	v_cmp_lt_u32_e64 s[12:13], 1, v17
	v_cmp_lt_u32_e64 s[10:11], 3, v17
	;; [unrolled: 1-line block ×3, first 2 shown]
	v_and_b32_e32 v17, 16, v41
	v_cmp_eq_u32_e64 s[18:19], 0, v17
	v_or_b32_e32 v17, 63, v0
	v_cmp_lt_u32_e64 s[0:1], 31, v41
	v_lshrrev_b32_e32 v42, 6, v0
	v_cmp_eq_u32_e64 s[2:3], v0, v17
	s_and_b64 vcc, exec, s[46:47]
	s_barrier
	s_cbranch_vccz .LBB116_145
; %bb.124:
	v_mov_b32_dpp v17, v44 row_shr:1 row_mask:0xf bank_mask:0xf
	v_cndmask_b32_e64 v17, v17, 0, s[14:15]
	v_add_u32_e32 v17, v17, v44
	s_nop 1
	v_mov_b32_dpp v18, v17 row_shr:2 row_mask:0xf bank_mask:0xf
	v_cndmask_b32_e64 v18, 0, v18, s[12:13]
	v_add_u32_e32 v17, v17, v18
	s_nop 1
	;; [unrolled: 4-line block ×4, first 2 shown]
	v_mov_b32_dpp v18, v17 row_bcast:15 row_mask:0xf bank_mask:0xf
	v_cndmask_b32_e64 v18, v18, 0, s[18:19]
	v_add_u32_e32 v17, v17, v18
	s_nop 1
	v_mov_b32_dpp v18, v17 row_bcast:31 row_mask:0xf bank_mask:0xf
	v_cndmask_b32_e64 v18, 0, v18, s[0:1]
	v_add_u32_e32 v17, v17, v18
	s_and_saveexec_b64 s[16:17], s[2:3]
; %bb.125:
	v_lshlrev_b32_e32 v18, 2, v42
	ds_write_b32 v18, v17
; %bb.126:
	s_or_b64 exec, exec, s[16:17]
	v_cmp_gt_u32_e32 vcc, 4, v0
	s_waitcnt lgkmcnt(0)
	s_barrier
	s_and_saveexec_b64 s[16:17], vcc
	s_cbranch_execz .LBB116_128
; %bb.127:
	v_lshlrev_b32_e32 v18, 2, v0
	ds_read_b32 v19, v18
	v_and_b32_e32 v20, 3, v41
	v_cmp_ne_u32_e32 vcc, 0, v20
	s_waitcnt lgkmcnt(0)
	v_mov_b32_dpp v21, v19 row_shr:1 row_mask:0xf bank_mask:0xf
	v_cndmask_b32_e32 v21, 0, v21, vcc
	v_add_u32_e32 v19, v21, v19
	v_cmp_lt_u32_e32 vcc, 1, v20
	s_nop 0
	v_mov_b32_dpp v21, v19 row_shr:2 row_mask:0xf bank_mask:0xf
	v_cndmask_b32_e32 v20, 0, v21, vcc
	v_add_u32_e32 v19, v19, v20
	ds_write_b32 v18, v19
.LBB116_128:
	s_or_b64 exec, exec, s[16:17]
	v_cmp_gt_u32_e32 vcc, 64, v0
	v_cmp_lt_u32_e64 s[16:17], 63, v0
	s_waitcnt lgkmcnt(0)
	s_barrier
                                        ; implicit-def: $vgpr43
	s_and_saveexec_b64 s[20:21], s[16:17]
	s_cbranch_execz .LBB116_130
; %bb.129:
	v_lshl_add_u32 v18, v42, 2, -4
	ds_read_b32 v43, v18
	s_waitcnt lgkmcnt(0)
	v_add_u32_e32 v17, v43, v17
.LBB116_130:
	s_or_b64 exec, exec, s[20:21]
	v_subrev_co_u32_e64 v18, s[16:17], 1, v41
	v_and_b32_e32 v19, 64, v41
	v_cmp_lt_i32_e64 s[20:21], v18, v19
	v_cndmask_b32_e64 v18, v18, v41, s[20:21]
	v_lshlrev_b32_e32 v18, 2, v18
	ds_bpermute_b32 v45, v18, v17
	s_and_saveexec_b64 s[20:21], vcc
	s_cbranch_execz .LBB116_150
; %bb.131:
	v_mov_b32_e32 v23, 0
	ds_read_b32 v17, v23 offset:12
	s_and_saveexec_b64 s[24:25], s[16:17]
	s_cbranch_execz .LBB116_133
; %bb.132:
	s_add_i32 s26, s6, 64
	s_mov_b32 s27, 0
	s_lshl_b64 s[26:27], s[26:27], 3
	s_add_u32 s26, s22, s26
	v_mov_b32_e32 v18, 1
	s_addc_u32 s27, s23, s27
	s_waitcnt lgkmcnt(0)
	global_store_dwordx2 v23, v[17:18], s[26:27]
.LBB116_133:
	s_or_b64 exec, exec, s[24:25]
	v_xad_u32 v19, v41, -1, s6
	v_add_u32_e32 v22, 64, v19
	v_lshlrev_b64 v[20:21], 3, v[22:23]
	v_mov_b32_e32 v18, s23
	v_add_co_u32_e32 v24, vcc, s22, v20
	v_addc_co_u32_e32 v25, vcc, v18, v21, vcc
	global_load_dwordx2 v[21:22], v[24:25], off glc
	s_waitcnt vmcnt(0)
	v_cmp_eq_u16_sdwa s[26:27], v22, v23 src0_sel:BYTE_0 src1_sel:DWORD
	s_and_saveexec_b64 s[24:25], s[26:27]
	s_cbranch_execz .LBB116_137
; %bb.134:
	s_mov_b64 s[26:27], 0
	v_mov_b32_e32 v18, 0
.LBB116_135:                            ; =>This Inner Loop Header: Depth=1
	global_load_dwordx2 v[21:22], v[24:25], off glc
	s_waitcnt vmcnt(0)
	v_cmp_ne_u16_sdwa s[28:29], v22, v18 src0_sel:BYTE_0 src1_sel:DWORD
	s_or_b64 s[26:27], s[28:29], s[26:27]
	s_andn2_b64 exec, exec, s[26:27]
	s_cbranch_execnz .LBB116_135
; %bb.136:
	s_or_b64 exec, exec, s[26:27]
.LBB116_137:
	s_or_b64 exec, exec, s[24:25]
	v_and_b32_e32 v47, 63, v41
	v_mov_b32_e32 v46, 2
	v_lshlrev_b64 v[23:24], v41, -1
	v_cmp_ne_u32_e32 vcc, 63, v47
	v_cmp_eq_u16_sdwa s[24:25], v22, v46 src0_sel:BYTE_0 src1_sel:DWORD
	v_addc_co_u32_e32 v25, vcc, 0, v41, vcc
	v_and_b32_e32 v18, s25, v24
	v_lshlrev_b32_e32 v48, 2, v25
	v_or_b32_e32 v18, 0x80000000, v18
	ds_bpermute_b32 v25, v48, v21
	v_and_b32_e32 v20, s24, v23
	v_ffbl_b32_e32 v18, v18
	v_add_u32_e32 v18, 32, v18
	v_ffbl_b32_e32 v20, v20
	v_min_u32_e32 v18, v20, v18
	v_cmp_lt_u32_e32 vcc, v47, v18
	s_waitcnt lgkmcnt(0)
	v_cndmask_b32_e32 v20, 0, v25, vcc
	v_cmp_gt_u32_e32 vcc, 62, v47
	v_add_u32_e32 v20, v20, v21
	v_cndmask_b32_e64 v21, 0, 2, vcc
	v_add_lshl_u32 v49, v21, v41, 2
	ds_bpermute_b32 v21, v49, v20
	v_add_u32_e32 v50, 2, v47
	v_cmp_le_u32_e32 vcc, v50, v18
	v_add_u32_e32 v67, 4, v47
	v_add_u32_e32 v69, 8, v47
	s_waitcnt lgkmcnt(0)
	v_cndmask_b32_e32 v21, 0, v21, vcc
	v_cmp_gt_u32_e32 vcc, 60, v47
	v_add_u32_e32 v20, v20, v21
	v_cndmask_b32_e64 v21, 0, 4, vcc
	v_add_lshl_u32 v66, v21, v41, 2
	ds_bpermute_b32 v21, v66, v20
	v_cmp_le_u32_e32 vcc, v67, v18
	v_add_u32_e32 v71, 16, v47
	v_add_u32_e32 v73, 32, v47
	s_waitcnt lgkmcnt(0)
	v_cndmask_b32_e32 v21, 0, v21, vcc
	v_cmp_gt_u32_e32 vcc, 56, v47
	v_add_u32_e32 v20, v20, v21
	v_cndmask_b32_e64 v21, 0, 8, vcc
	v_add_lshl_u32 v68, v21, v41, 2
	ds_bpermute_b32 v21, v68, v20
	v_cmp_le_u32_e32 vcc, v69, v18
	s_waitcnt lgkmcnt(0)
	v_cndmask_b32_e32 v21, 0, v21, vcc
	v_cmp_gt_u32_e32 vcc, 48, v47
	v_add_u32_e32 v20, v20, v21
	v_cndmask_b32_e64 v21, 0, 16, vcc
	v_add_lshl_u32 v70, v21, v41, 2
	ds_bpermute_b32 v21, v70, v20
	v_cmp_le_u32_e32 vcc, v71, v18
	s_waitcnt lgkmcnt(0)
	v_cndmask_b32_e32 v21, 0, v21, vcc
	v_add_u32_e32 v20, v20, v21
	v_mov_b32_e32 v21, 0x80
	v_lshl_or_b32 v72, v41, 2, v21
	ds_bpermute_b32 v21, v72, v20
	v_cmp_le_u32_e32 vcc, v73, v18
	s_waitcnt lgkmcnt(0)
	v_cndmask_b32_e32 v18, 0, v21, vcc
	v_add_u32_e32 v21, v20, v18
	v_mov_b32_e32 v20, 0
	s_branch .LBB116_140
.LBB116_138:                            ;   in Loop: Header=BB116_140 Depth=1
	s_or_b64 exec, exec, s[24:25]
	v_cmp_eq_u16_sdwa s[24:25], v22, v46 src0_sel:BYTE_0 src1_sel:DWORD
	v_and_b32_e32 v25, s25, v24
	v_or_b32_e32 v25, 0x80000000, v25
	ds_bpermute_b32 v74, v48, v21
	v_and_b32_e32 v26, s24, v23
	v_ffbl_b32_e32 v25, v25
	v_add_u32_e32 v25, 32, v25
	v_ffbl_b32_e32 v26, v26
	v_min_u32_e32 v25, v26, v25
	v_cmp_lt_u32_e32 vcc, v47, v25
	s_waitcnt lgkmcnt(0)
	v_cndmask_b32_e32 v26, 0, v74, vcc
	v_add_u32_e32 v21, v26, v21
	ds_bpermute_b32 v26, v49, v21
	v_cmp_le_u32_e32 vcc, v50, v25
	v_subrev_u32_e32 v19, 64, v19
	s_mov_b64 s[24:25], 0
	s_waitcnt lgkmcnt(0)
	v_cndmask_b32_e32 v26, 0, v26, vcc
	v_add_u32_e32 v21, v21, v26
	ds_bpermute_b32 v26, v66, v21
	v_cmp_le_u32_e32 vcc, v67, v25
	s_waitcnt lgkmcnt(0)
	v_cndmask_b32_e32 v26, 0, v26, vcc
	v_add_u32_e32 v21, v21, v26
	ds_bpermute_b32 v26, v68, v21
	v_cmp_le_u32_e32 vcc, v69, v25
	;; [unrolled: 5-line block ×4, first 2 shown]
	s_waitcnt lgkmcnt(0)
	v_cndmask_b32_e32 v25, 0, v26, vcc
	v_add3_u32 v21, v25, v18, v21
.LBB116_139:                            ;   in Loop: Header=BB116_140 Depth=1
	s_and_b64 vcc, exec, s[24:25]
	s_cbranch_vccnz .LBB116_146
.LBB116_140:                            ; =>This Loop Header: Depth=1
                                        ;     Child Loop BB116_143 Depth 2
	v_cmp_ne_u16_sdwa s[24:25], v22, v46 src0_sel:BYTE_0 src1_sel:DWORD
	v_mov_b32_e32 v18, v21
	s_cmp_lg_u64 s[24:25], exec
	s_mov_b64 s[24:25], -1
                                        ; implicit-def: $vgpr21
                                        ; implicit-def: $vgpr22
	s_cbranch_scc1 .LBB116_139
; %bb.141:                              ;   in Loop: Header=BB116_140 Depth=1
	v_lshlrev_b64 v[21:22], 3, v[19:20]
	v_mov_b32_e32 v26, s23
	v_add_co_u32_e32 v25, vcc, s22, v21
	v_addc_co_u32_e32 v26, vcc, v26, v22, vcc
	global_load_dwordx2 v[21:22], v[25:26], off glc
	s_waitcnt vmcnt(0)
	v_cmp_eq_u16_sdwa s[26:27], v22, v20 src0_sel:BYTE_0 src1_sel:DWORD
	s_and_saveexec_b64 s[24:25], s[26:27]
	s_cbranch_execz .LBB116_138
; %bb.142:                              ;   in Loop: Header=BB116_140 Depth=1
	s_mov_b64 s[26:27], 0
.LBB116_143:                            ;   Parent Loop BB116_140 Depth=1
                                        ; =>  This Inner Loop Header: Depth=2
	global_load_dwordx2 v[21:22], v[25:26], off glc
	s_waitcnt vmcnt(0)
	v_cmp_ne_u16_sdwa s[28:29], v22, v20 src0_sel:BYTE_0 src1_sel:DWORD
	s_or_b64 s[26:27], s[28:29], s[26:27]
	s_andn2_b64 exec, exec, s[26:27]
	s_cbranch_execnz .LBB116_143
; %bb.144:                              ;   in Loop: Header=BB116_140 Depth=1
	s_or_b64 exec, exec, s[26:27]
	s_branch .LBB116_138
.LBB116_145:
                                        ; implicit-def: $vgpr18
                                        ; implicit-def: $vgpr43
	s_load_dwordx2 s[4:5], s[4:5], 0x28
	s_cbranch_execnz .LBB116_151
	s_branch .LBB116_160
.LBB116_146:
	s_and_saveexec_b64 s[24:25], s[16:17]
	s_cbranch_execz .LBB116_148
; %bb.147:
	s_add_i32 s6, s6, 64
	s_mov_b32 s7, 0
	s_lshl_b64 s[6:7], s[6:7], 3
	s_add_u32 s6, s22, s6
	v_add_u32_e32 v19, v18, v17
	v_mov_b32_e32 v20, 2
	s_addc_u32 s7, s23, s7
	v_mov_b32_e32 v21, 0
	global_store_dwordx2 v21, v[19:20], s[6:7]
	ds_write_b64 v21, v[17:18] offset:16896
.LBB116_148:
	s_or_b64 exec, exec, s[24:25]
	v_cmp_eq_u32_e32 vcc, 0, v0
	s_and_b64 exec, exec, vcc
; %bb.149:
	v_mov_b32_e32 v17, 0
	ds_write_b32 v17, v18 offset:12
.LBB116_150:
	s_or_b64 exec, exec, s[20:21]
	v_mov_b32_e32 v17, 0
	s_waitcnt vmcnt(0) lgkmcnt(0)
	s_barrier
	ds_read_b32 v20, v17 offset:12
	s_waitcnt lgkmcnt(0)
	s_barrier
	ds_read_b64 v[17:18], v17 offset:16896
	v_cndmask_b32_e64 v19, v45, v43, s[16:17]
	v_cmp_ne_u32_e32 vcc, 0, v0
	v_cndmask_b32_e32 v19, 0, v19, vcc
	v_add_u32_e32 v43, v20, v19
	s_load_dwordx2 s[4:5], s[4:5], 0x28
	s_branch .LBB116_160
.LBB116_151:
	s_waitcnt lgkmcnt(0)
	v_mov_b32_dpp v17, v44 row_shr:1 row_mask:0xf bank_mask:0xf
	v_cndmask_b32_e64 v17, v17, 0, s[14:15]
	v_add_u32_e32 v17, v17, v44
	s_nop 1
	v_mov_b32_dpp v18, v17 row_shr:2 row_mask:0xf bank_mask:0xf
	v_cndmask_b32_e64 v18, 0, v18, s[12:13]
	v_add_u32_e32 v17, v17, v18
	s_nop 1
	;; [unrolled: 4-line block ×4, first 2 shown]
	v_mov_b32_dpp v18, v17 row_bcast:15 row_mask:0xf bank_mask:0xf
	v_cndmask_b32_e64 v18, v18, 0, s[18:19]
	v_add_u32_e32 v17, v17, v18
	s_nop 1
	v_mov_b32_dpp v18, v17 row_bcast:31 row_mask:0xf bank_mask:0xf
	v_cndmask_b32_e64 v18, 0, v18, s[0:1]
	v_add_u32_e32 v17, v17, v18
	s_and_saveexec_b64 s[0:1], s[2:3]
; %bb.152:
	v_lshlrev_b32_e32 v18, 2, v42
	ds_write_b32 v18, v17
; %bb.153:
	s_or_b64 exec, exec, s[0:1]
	v_cmp_gt_u32_e32 vcc, 4, v0
	s_waitcnt lgkmcnt(0)
	s_barrier
	s_and_saveexec_b64 s[0:1], vcc
	s_cbranch_execz .LBB116_155
; %bb.154:
	v_lshlrev_b32_e32 v18, 2, v0
	ds_read_b32 v19, v18
	v_and_b32_e32 v20, 3, v41
	v_cmp_ne_u32_e32 vcc, 0, v20
	s_waitcnt lgkmcnt(0)
	v_mov_b32_dpp v21, v19 row_shr:1 row_mask:0xf bank_mask:0xf
	v_cndmask_b32_e32 v21, 0, v21, vcc
	v_add_u32_e32 v19, v21, v19
	v_cmp_lt_u32_e32 vcc, 1, v20
	s_nop 0
	v_mov_b32_dpp v21, v19 row_shr:2 row_mask:0xf bank_mask:0xf
	v_cndmask_b32_e32 v20, 0, v21, vcc
	v_add_u32_e32 v19, v19, v20
	ds_write_b32 v18, v19
.LBB116_155:
	s_or_b64 exec, exec, s[0:1]
	v_cmp_lt_u32_e32 vcc, 63, v0
	v_mov_b32_e32 v18, 0
	v_mov_b32_e32 v19, 0
	s_waitcnt lgkmcnt(0)
	s_barrier
	s_and_saveexec_b64 s[0:1], vcc
; %bb.156:
	v_lshl_add_u32 v19, v42, 2, -4
	ds_read_b32 v19, v19
; %bb.157:
	s_or_b64 exec, exec, s[0:1]
	v_subrev_co_u32_e32 v20, vcc, 1, v41
	v_and_b32_e32 v21, 64, v41
	v_cmp_lt_i32_e64 s[0:1], v20, v21
	v_cndmask_b32_e64 v20, v20, v41, s[0:1]
	s_waitcnt lgkmcnt(0)
	v_add_u32_e32 v17, v19, v17
	v_lshlrev_b32_e32 v20, 2, v20
	ds_bpermute_b32 v20, v20, v17
	ds_read_b32 v17, v18 offset:12
	v_cmp_eq_u32_e64 s[0:1], 0, v0
	s_and_saveexec_b64 s[2:3], s[0:1]
	s_cbranch_execz .LBB116_159
; %bb.158:
	v_mov_b32_e32 v21, 0
	v_mov_b32_e32 v18, 2
	s_waitcnt lgkmcnt(0)
	global_store_dwordx2 v21, v[17:18], s[22:23] offset:512
.LBB116_159:
	s_or_b64 exec, exec, s[2:3]
	s_waitcnt lgkmcnt(1)
	v_cndmask_b32_e32 v18, v20, v19, vcc
	v_cndmask_b32_e64 v43, v18, 0, s[0:1]
	s_waitcnt vmcnt(0) lgkmcnt(0)
	s_barrier
	v_mov_b32_e32 v18, 0
.LBB116_160:
	v_add_u32_e32 v49, v43, v31
	v_add_u32_e32 v47, v49, v33
	;; [unrolled: 1-line block ×5, first 2 shown]
	v_add_u32_sdwa v37, v39, v61 dst_sel:DWORD dst_unused:UNUSED_PAD src0_sel:DWORD src1_sel:BYTE_0
	v_add_u32_sdwa v35, v37, v60 dst_sel:DWORD dst_unused:UNUSED_PAD src0_sel:DWORD src1_sel:BYTE_0
	v_add_u32_e32 v33, v35, v27
	v_add_u32_e32 v31, v33, v29
	;; [unrolled: 1-line block ×6, first 2 shown]
	s_movk_i32 s2, 0x101
	v_add_u32_e32 v21, v23, v38
	s_waitcnt lgkmcnt(0)
	v_cmp_gt_u32_e32 vcc, s2, v17
	v_add_u32_e32 v19, v21, v40
	s_mov_b64 s[0:1], -1
	v_and_b32_e32 v66, 1, v28
	s_cbranch_vccnz .LBB116_164
; %bb.161:
	s_and_b64 vcc, exec, s[0:1]
	s_cbranch_vccnz .LBB116_197
.LBB116_162:
	v_cmp_eq_u32_e32 vcc, 0, v0
	s_and_b64 s[0:1], vcc, s[40:41]
	s_and_saveexec_b64 s[2:3], s[0:1]
	s_cbranch_execnz .LBB116_233
.LBB116_163:
	s_endpgm
.LBB116_164:
	v_add_u32_e32 v20, v18, v17
	s_lshl_b64 s[0:1], s[38:39], 2
	s_add_u32 s2, s4, s0
	v_cmp_lt_u32_e32 vcc, v43, v20
	s_addc_u32 s3, s5, s1
	s_or_b64 s[0:1], s[42:43], vcc
	v_cmp_eq_u32_e32 vcc, 1, v66
	s_and_b64 s[6:7], s[0:1], vcc
	s_and_saveexec_b64 s[0:1], s[6:7]
	s_cbranch_execz .LBB116_166
; %bb.165:
	v_mov_b32_e32 v44, 0
	v_lshlrev_b64 v[67:68], 2, v[43:44]
	v_mov_b32_e32 v22, s3
	v_add_co_u32_e32 v67, vcc, s2, v67
	v_addc_co_u32_e32 v68, vcc, v22, v68, vcc
	global_store_dword v[67:68], v15, off
.LBB116_166:
	s_or_b64 exec, exec, s[0:1]
	v_cmp_lt_u32_e32 vcc, v49, v20
	v_and_b32_e32 v22, 1, v65
	s_or_b64 s[0:1], s[42:43], vcc
	v_cmp_eq_u32_e32 vcc, 1, v22
	s_and_b64 s[6:7], s[0:1], vcc
	s_and_saveexec_b64 s[0:1], s[6:7]
	s_cbranch_execz .LBB116_168
; %bb.167:
	v_mov_b32_e32 v50, 0
	v_lshlrev_b64 v[67:68], 2, v[49:50]
	v_mov_b32_e32 v22, s3
	v_add_co_u32_e32 v67, vcc, s2, v67
	v_addc_co_u32_e32 v68, vcc, v22, v68, vcc
	global_store_dword v[67:68], v16, off
.LBB116_168:
	s_or_b64 exec, exec, s[0:1]
	v_cmp_lt_u32_e32 vcc, v47, v20
	v_and_b32_e32 v22, 1, v64
	s_or_b64 s[0:1], s[42:43], vcc
	v_cmp_eq_u32_e32 vcc, 1, v22
	s_and_b64 s[6:7], s[0:1], vcc
	s_and_saveexec_b64 s[0:1], s[6:7]
	s_cbranch_execz .LBB116_170
; %bb.169:
	v_mov_b32_e32 v48, 0
	v_lshlrev_b64 v[67:68], 2, v[47:48]
	v_mov_b32_e32 v22, s3
	v_add_co_u32_e32 v67, vcc, s2, v67
	v_addc_co_u32_e32 v68, vcc, v22, v68, vcc
	global_store_dword v[67:68], v13, off
.LBB116_170:
	s_or_b64 exec, exec, s[0:1]
	v_cmp_lt_u32_e32 vcc, v45, v20
	v_and_b32_e32 v22, 1, v63
	s_or_b64 s[0:1], s[42:43], vcc
	v_cmp_eq_u32_e32 vcc, 1, v22
	s_and_b64 s[6:7], s[0:1], vcc
	s_and_saveexec_b64 s[0:1], s[6:7]
	s_cbranch_execz .LBB116_172
; %bb.171:
	v_mov_b32_e32 v46, 0
	v_lshlrev_b64 v[67:68], 2, v[45:46]
	v_mov_b32_e32 v22, s3
	v_add_co_u32_e32 v67, vcc, s2, v67
	v_addc_co_u32_e32 v68, vcc, v22, v68, vcc
	global_store_dword v[67:68], v14, off
.LBB116_172:
	s_or_b64 exec, exec, s[0:1]
	v_cmp_lt_u32_e32 vcc, v41, v20
	v_and_b32_e32 v22, 1, v62
	s_or_b64 s[0:1], s[42:43], vcc
	v_cmp_eq_u32_e32 vcc, 1, v22
	s_and_b64 s[6:7], s[0:1], vcc
	s_and_saveexec_b64 s[0:1], s[6:7]
	s_cbranch_execz .LBB116_174
; %bb.173:
	v_mov_b32_e32 v42, 0
	v_lshlrev_b64 v[67:68], 2, v[41:42]
	v_mov_b32_e32 v22, s3
	v_add_co_u32_e32 v67, vcc, s2, v67
	v_addc_co_u32_e32 v68, vcc, v22, v68, vcc
	global_store_dword v[67:68], v11, off
.LBB116_174:
	s_or_b64 exec, exec, s[0:1]
	v_cmp_lt_u32_e32 vcc, v39, v20
	v_and_b32_e32 v22, 1, v61
	s_or_b64 s[0:1], s[42:43], vcc
	v_cmp_eq_u32_e32 vcc, 1, v22
	s_and_b64 s[6:7], s[0:1], vcc
	s_and_saveexec_b64 s[0:1], s[6:7]
	s_cbranch_execz .LBB116_176
; %bb.175:
	v_mov_b32_e32 v40, 0
	v_lshlrev_b64 v[67:68], 2, v[39:40]
	v_mov_b32_e32 v22, s3
	v_add_co_u32_e32 v67, vcc, s2, v67
	v_addc_co_u32_e32 v68, vcc, v22, v68, vcc
	global_store_dword v[67:68], v12, off
.LBB116_176:
	s_or_b64 exec, exec, s[0:1]
	v_cmp_lt_u32_e32 vcc, v37, v20
	v_and_b32_e32 v22, 1, v60
	s_or_b64 s[0:1], s[42:43], vcc
	v_cmp_eq_u32_e32 vcc, 1, v22
	s_and_b64 s[6:7], s[0:1], vcc
	s_and_saveexec_b64 s[0:1], s[6:7]
	s_cbranch_execz .LBB116_178
; %bb.177:
	v_mov_b32_e32 v38, 0
	v_lshlrev_b64 v[67:68], 2, v[37:38]
	v_mov_b32_e32 v22, s3
	v_add_co_u32_e32 v67, vcc, s2, v67
	v_addc_co_u32_e32 v68, vcc, v22, v68, vcc
	global_store_dword v[67:68], v9, off
.LBB116_178:
	s_or_b64 exec, exec, s[0:1]
	v_cmp_lt_u32_e32 vcc, v35, v20
	v_and_b32_e32 v22, 1, v59
	s_or_b64 s[0:1], s[42:43], vcc
	v_cmp_eq_u32_e32 vcc, 1, v22
	s_and_b64 s[6:7], s[0:1], vcc
	s_and_saveexec_b64 s[0:1], s[6:7]
	s_cbranch_execz .LBB116_180
; %bb.179:
	v_mov_b32_e32 v36, 0
	v_lshlrev_b64 v[67:68], 2, v[35:36]
	v_mov_b32_e32 v22, s3
	v_add_co_u32_e32 v67, vcc, s2, v67
	v_addc_co_u32_e32 v68, vcc, v22, v68, vcc
	global_store_dword v[67:68], v10, off
.LBB116_180:
	s_or_b64 exec, exec, s[0:1]
	v_cmp_lt_u32_e32 vcc, v33, v20
	v_and_b32_e32 v22, 1, v58
	s_or_b64 s[0:1], s[42:43], vcc
	v_cmp_eq_u32_e32 vcc, 1, v22
	s_and_b64 s[6:7], s[0:1], vcc
	s_and_saveexec_b64 s[0:1], s[6:7]
	s_cbranch_execz .LBB116_182
; %bb.181:
	v_mov_b32_e32 v34, 0
	v_lshlrev_b64 v[67:68], 2, v[33:34]
	v_mov_b32_e32 v22, s3
	v_add_co_u32_e32 v67, vcc, s2, v67
	v_addc_co_u32_e32 v68, vcc, v22, v68, vcc
	global_store_dword v[67:68], v7, off
.LBB116_182:
	s_or_b64 exec, exec, s[0:1]
	v_cmp_lt_u32_e32 vcc, v31, v20
	v_and_b32_e32 v22, 1, v57
	s_or_b64 s[0:1], s[42:43], vcc
	v_cmp_eq_u32_e32 vcc, 1, v22
	s_and_b64 s[6:7], s[0:1], vcc
	s_and_saveexec_b64 s[0:1], s[6:7]
	s_cbranch_execz .LBB116_184
; %bb.183:
	v_mov_b32_e32 v32, 0
	v_lshlrev_b64 v[67:68], 2, v[31:32]
	v_mov_b32_e32 v22, s3
	v_add_co_u32_e32 v67, vcc, s2, v67
	v_addc_co_u32_e32 v68, vcc, v22, v68, vcc
	global_store_dword v[67:68], v8, off
.LBB116_184:
	s_or_b64 exec, exec, s[0:1]
	v_cmp_lt_u32_e32 vcc, v29, v20
	v_and_b32_e32 v22, 1, v56
	s_or_b64 s[0:1], s[42:43], vcc
	v_cmp_eq_u32_e32 vcc, 1, v22
	s_and_b64 s[6:7], s[0:1], vcc
	s_and_saveexec_b64 s[0:1], s[6:7]
	s_cbranch_execz .LBB116_186
; %bb.185:
	v_mov_b32_e32 v30, 0
	v_lshlrev_b64 v[67:68], 2, v[29:30]
	v_mov_b32_e32 v22, s3
	v_add_co_u32_e32 v67, vcc, s2, v67
	v_addc_co_u32_e32 v68, vcc, v22, v68, vcc
	global_store_dword v[67:68], v5, off
.LBB116_186:
	s_or_b64 exec, exec, s[0:1]
	v_cmp_lt_u32_e32 vcc, v27, v20
	v_and_b32_e32 v22, 1, v55
	s_or_b64 s[0:1], s[42:43], vcc
	v_cmp_eq_u32_e32 vcc, 1, v22
	s_and_b64 s[6:7], s[0:1], vcc
	s_and_saveexec_b64 s[0:1], s[6:7]
	s_cbranch_execz .LBB116_188
; %bb.187:
	v_mov_b32_e32 v28, 0
	v_lshlrev_b64 v[67:68], 2, v[27:28]
	v_mov_b32_e32 v22, s3
	v_add_co_u32_e32 v67, vcc, s2, v67
	v_addc_co_u32_e32 v68, vcc, v22, v68, vcc
	global_store_dword v[67:68], v6, off
.LBB116_188:
	s_or_b64 exec, exec, s[0:1]
	v_cmp_lt_u32_e32 vcc, v25, v20
	v_and_b32_e32 v22, 1, v54
	s_or_b64 s[0:1], s[42:43], vcc
	v_cmp_eq_u32_e32 vcc, 1, v22
	s_and_b64 s[6:7], s[0:1], vcc
	s_and_saveexec_b64 s[0:1], s[6:7]
	s_cbranch_execz .LBB116_190
; %bb.189:
	v_mov_b32_e32 v26, 0
	v_lshlrev_b64 v[67:68], 2, v[25:26]
	v_mov_b32_e32 v22, s3
	v_add_co_u32_e32 v67, vcc, s2, v67
	v_addc_co_u32_e32 v68, vcc, v22, v68, vcc
	global_store_dword v[67:68], v3, off
.LBB116_190:
	s_or_b64 exec, exec, s[0:1]
	v_cmp_lt_u32_e32 vcc, v23, v20
	v_and_b32_e32 v22, 1, v53
	s_or_b64 s[0:1], s[42:43], vcc
	v_cmp_eq_u32_e32 vcc, 1, v22
	s_and_b64 s[6:7], s[0:1], vcc
	s_and_saveexec_b64 s[0:1], s[6:7]
	s_cbranch_execz .LBB116_192
; %bb.191:
	v_mov_b32_e32 v24, 0
	v_lshlrev_b64 v[67:68], 2, v[23:24]
	v_mov_b32_e32 v22, s3
	v_add_co_u32_e32 v67, vcc, s2, v67
	v_addc_co_u32_e32 v68, vcc, v22, v68, vcc
	global_store_dword v[67:68], v4, off
.LBB116_192:
	s_or_b64 exec, exec, s[0:1]
	v_cmp_lt_u32_e32 vcc, v21, v20
	v_and_b32_e32 v22, 1, v52
	s_or_b64 s[0:1], s[42:43], vcc
	v_cmp_eq_u32_e32 vcc, 1, v22
	s_and_b64 s[6:7], s[0:1], vcc
	s_and_saveexec_b64 s[0:1], s[6:7]
	s_cbranch_execz .LBB116_194
; %bb.193:
	v_mov_b32_e32 v22, 0
	v_lshlrev_b64 v[67:68], 2, v[21:22]
	v_mov_b32_e32 v22, s3
	v_add_co_u32_e32 v67, vcc, s2, v67
	v_addc_co_u32_e32 v68, vcc, v22, v68, vcc
	global_store_dword v[67:68], v1, off
.LBB116_194:
	s_or_b64 exec, exec, s[0:1]
	v_cmp_lt_u32_e32 vcc, v19, v20
	v_and_b32_e32 v20, 1, v51
	s_or_b64 s[0:1], s[42:43], vcc
	v_cmp_eq_u32_e32 vcc, 1, v20
	s_and_b64 s[6:7], s[0:1], vcc
	s_and_saveexec_b64 s[0:1], s[6:7]
	s_cbranch_execz .LBB116_196
; %bb.195:
	v_mov_b32_e32 v20, 0
	v_lshlrev_b64 v[67:68], 2, v[19:20]
	v_mov_b32_e32 v20, s3
	v_add_co_u32_e32 v67, vcc, s2, v67
	v_addc_co_u32_e32 v68, vcc, v20, v68, vcc
	global_store_dword v[67:68], v2, off
.LBB116_196:
	s_or_b64 exec, exec, s[0:1]
	s_branch .LBB116_162
.LBB116_197:
	v_cmp_eq_u32_e32 vcc, 1, v66
	s_and_saveexec_b64 s[0:1], vcc
; %bb.198:
	v_sub_u32_e32 v20, v43, v18
	v_lshlrev_b32_e32 v20, 2, v20
	ds_write_b32 v20, v15
; %bb.199:
	s_or_b64 exec, exec, s[0:1]
	v_and_b32_e32 v15, 1, v65
	v_cmp_eq_u32_e32 vcc, 1, v15
	s_and_saveexec_b64 s[0:1], vcc
; %bb.200:
	v_sub_u32_e32 v15, v49, v18
	v_lshlrev_b32_e32 v15, 2, v15
	ds_write_b32 v15, v16
; %bb.201:
	s_or_b64 exec, exec, s[0:1]
	v_and_b32_e32 v15, 1, v64
	;; [unrolled: 9-line block ×15, first 2 shown]
	v_cmp_eq_u32_e32 vcc, 1, v1
	s_and_saveexec_b64 s[0:1], vcc
; %bb.228:
	v_sub_u32_e32 v1, v19, v18
	v_lshlrev_b32_e32 v1, 2, v1
	ds_write_b32 v1, v2
; %bb.229:
	s_or_b64 exec, exec, s[0:1]
	v_cmp_lt_u32_e32 vcc, v0, v17
	s_waitcnt vmcnt(0) lgkmcnt(0)
	s_barrier
	s_and_saveexec_b64 s[2:3], vcc
	s_cbranch_execz .LBB116_232
; %bb.230:
	v_mov_b32_e32 v2, 0
	v_mov_b32_e32 v1, v18
	s_lshl_b64 s[0:1], s[38:39], 2
	s_add_u32 s0, s4, s0
	v_lshlrev_b64 v[3:4], 2, v[1:2]
	s_addc_u32 s1, s5, s1
	v_mov_b32_e32 v1, s1
	v_add_co_u32_e32 v3, vcc, s0, v3
	v_addc_co_u32_e32 v4, vcc, v1, v4, vcc
	v_lshlrev_b32_e32 v5, 2, v0
	s_mov_b64 s[4:5], 0
	v_mov_b32_e32 v1, v0
.LBB116_231:                            ; =>This Inner Loop Header: Depth=1
	ds_read_b32 v8, v5
	v_lshlrev_b64 v[6:7], 2, v[1:2]
	v_add_u32_e32 v1, 0x100, v1
	v_cmp_ge_u32_e32 vcc, v1, v17
	v_add_co_u32_e64 v6, s[0:1], v3, v6
	v_add_u32_e32 v5, 0x400, v5
	v_addc_co_u32_e64 v7, s[0:1], v4, v7, s[0:1]
	s_or_b64 s[4:5], vcc, s[4:5]
	s_waitcnt lgkmcnt(0)
	global_store_dword v[6:7], v8, off
	s_andn2_b64 exec, exec, s[4:5]
	s_cbranch_execnz .LBB116_231
.LBB116_232:
	s_or_b64 exec, exec, s[2:3]
	v_cmp_eq_u32_e32 vcc, 0, v0
	s_and_b64 s[0:1], vcc, s[40:41]
	s_and_saveexec_b64 s[2:3], s[0:1]
	s_cbranch_execz .LBB116_163
.LBB116_233:
	v_mov_b32_e32 v0, s39
	v_add_co_u32_e32 v1, vcc, s38, v17
	v_addc_co_u32_e32 v3, vcc, 0, v0, vcc
	v_add_co_u32_e32 v0, vcc, v1, v18
	v_mov_b32_e32 v2, 0
	v_addc_co_u32_e32 v1, vcc, 0, v3, vcc
	global_store_dwordx2 v2, v[0:1], s[36:37]
	s_endpgm
	.section	.rodata,"a",@progbits
	.p2align	6, 0x0
	.amdhsa_kernel _ZN7rocprim17ROCPRIM_400000_NS6detail17trampoline_kernelINS0_14default_configENS1_25partition_config_selectorILNS1_17partition_subalgoE8EfNS0_10empty_typeEbEEZZNS1_14partition_implILS5_8ELb0ES3_jN6thrust23THRUST_200600_302600_NS6detail15normal_iteratorINSA_10device_ptrIfEEEEPS6_PKS6_NS0_5tupleIJSF_S6_EEENSJ_IJSG_SG_EEENS0_18inequality_wrapperI22is_equal_div_10_uniqueIfEEEPmJS6_EEE10hipError_tPvRmT3_T4_T5_T6_T7_T9_mT8_P12ihipStream_tbDpT10_ENKUlT_T0_E_clISt17integral_constantIbLb0EES1A_EEDaS15_S16_EUlS15_E_NS1_11comp_targetILNS1_3genE2ELNS1_11target_archE906ELNS1_3gpuE6ELNS1_3repE0EEENS1_30default_config_static_selectorELNS0_4arch9wavefront6targetE1EEEvT1_
		.amdhsa_group_segment_fixed_size 16904
		.amdhsa_private_segment_fixed_size 0
		.amdhsa_kernarg_size 112
		.amdhsa_user_sgpr_count 6
		.amdhsa_user_sgpr_private_segment_buffer 1
		.amdhsa_user_sgpr_dispatch_ptr 0
		.amdhsa_user_sgpr_queue_ptr 0
		.amdhsa_user_sgpr_kernarg_segment_ptr 1
		.amdhsa_user_sgpr_dispatch_id 0
		.amdhsa_user_sgpr_flat_scratch_init 0
		.amdhsa_user_sgpr_private_segment_size 0
		.amdhsa_uses_dynamic_stack 0
		.amdhsa_system_sgpr_private_segment_wavefront_offset 0
		.amdhsa_system_sgpr_workgroup_id_x 1
		.amdhsa_system_sgpr_workgroup_id_y 0
		.amdhsa_system_sgpr_workgroup_id_z 0
		.amdhsa_system_sgpr_workgroup_info 0
		.amdhsa_system_vgpr_workitem_id 0
		.amdhsa_next_free_vgpr 75
		.amdhsa_next_free_sgpr 98
		.amdhsa_reserve_vcc 1
		.amdhsa_reserve_flat_scratch 0
		.amdhsa_float_round_mode_32 0
		.amdhsa_float_round_mode_16_64 0
		.amdhsa_float_denorm_mode_32 3
		.amdhsa_float_denorm_mode_16_64 3
		.amdhsa_dx10_clamp 1
		.amdhsa_ieee_mode 1
		.amdhsa_fp16_overflow 0
		.amdhsa_exception_fp_ieee_invalid_op 0
		.amdhsa_exception_fp_denorm_src 0
		.amdhsa_exception_fp_ieee_div_zero 0
		.amdhsa_exception_fp_ieee_overflow 0
		.amdhsa_exception_fp_ieee_underflow 0
		.amdhsa_exception_fp_ieee_inexact 0
		.amdhsa_exception_int_div_zero 0
	.end_amdhsa_kernel
	.section	.text._ZN7rocprim17ROCPRIM_400000_NS6detail17trampoline_kernelINS0_14default_configENS1_25partition_config_selectorILNS1_17partition_subalgoE8EfNS0_10empty_typeEbEEZZNS1_14partition_implILS5_8ELb0ES3_jN6thrust23THRUST_200600_302600_NS6detail15normal_iteratorINSA_10device_ptrIfEEEEPS6_PKS6_NS0_5tupleIJSF_S6_EEENSJ_IJSG_SG_EEENS0_18inequality_wrapperI22is_equal_div_10_uniqueIfEEEPmJS6_EEE10hipError_tPvRmT3_T4_T5_T6_T7_T9_mT8_P12ihipStream_tbDpT10_ENKUlT_T0_E_clISt17integral_constantIbLb0EES1A_EEDaS15_S16_EUlS15_E_NS1_11comp_targetILNS1_3genE2ELNS1_11target_archE906ELNS1_3gpuE6ELNS1_3repE0EEENS1_30default_config_static_selectorELNS0_4arch9wavefront6targetE1EEEvT1_,"axG",@progbits,_ZN7rocprim17ROCPRIM_400000_NS6detail17trampoline_kernelINS0_14default_configENS1_25partition_config_selectorILNS1_17partition_subalgoE8EfNS0_10empty_typeEbEEZZNS1_14partition_implILS5_8ELb0ES3_jN6thrust23THRUST_200600_302600_NS6detail15normal_iteratorINSA_10device_ptrIfEEEEPS6_PKS6_NS0_5tupleIJSF_S6_EEENSJ_IJSG_SG_EEENS0_18inequality_wrapperI22is_equal_div_10_uniqueIfEEEPmJS6_EEE10hipError_tPvRmT3_T4_T5_T6_T7_T9_mT8_P12ihipStream_tbDpT10_ENKUlT_T0_E_clISt17integral_constantIbLb0EES1A_EEDaS15_S16_EUlS15_E_NS1_11comp_targetILNS1_3genE2ELNS1_11target_archE906ELNS1_3gpuE6ELNS1_3repE0EEENS1_30default_config_static_selectorELNS0_4arch9wavefront6targetE1EEEvT1_,comdat
.Lfunc_end116:
	.size	_ZN7rocprim17ROCPRIM_400000_NS6detail17trampoline_kernelINS0_14default_configENS1_25partition_config_selectorILNS1_17partition_subalgoE8EfNS0_10empty_typeEbEEZZNS1_14partition_implILS5_8ELb0ES3_jN6thrust23THRUST_200600_302600_NS6detail15normal_iteratorINSA_10device_ptrIfEEEEPS6_PKS6_NS0_5tupleIJSF_S6_EEENSJ_IJSG_SG_EEENS0_18inequality_wrapperI22is_equal_div_10_uniqueIfEEEPmJS6_EEE10hipError_tPvRmT3_T4_T5_T6_T7_T9_mT8_P12ihipStream_tbDpT10_ENKUlT_T0_E_clISt17integral_constantIbLb0EES1A_EEDaS15_S16_EUlS15_E_NS1_11comp_targetILNS1_3genE2ELNS1_11target_archE906ELNS1_3gpuE6ELNS1_3repE0EEENS1_30default_config_static_selectorELNS0_4arch9wavefront6targetE1EEEvT1_, .Lfunc_end116-_ZN7rocprim17ROCPRIM_400000_NS6detail17trampoline_kernelINS0_14default_configENS1_25partition_config_selectorILNS1_17partition_subalgoE8EfNS0_10empty_typeEbEEZZNS1_14partition_implILS5_8ELb0ES3_jN6thrust23THRUST_200600_302600_NS6detail15normal_iteratorINSA_10device_ptrIfEEEEPS6_PKS6_NS0_5tupleIJSF_S6_EEENSJ_IJSG_SG_EEENS0_18inequality_wrapperI22is_equal_div_10_uniqueIfEEEPmJS6_EEE10hipError_tPvRmT3_T4_T5_T6_T7_T9_mT8_P12ihipStream_tbDpT10_ENKUlT_T0_E_clISt17integral_constantIbLb0EES1A_EEDaS15_S16_EUlS15_E_NS1_11comp_targetILNS1_3genE2ELNS1_11target_archE906ELNS1_3gpuE6ELNS1_3repE0EEENS1_30default_config_static_selectorELNS0_4arch9wavefront6targetE1EEEvT1_
                                        ; -- End function
	.set _ZN7rocprim17ROCPRIM_400000_NS6detail17trampoline_kernelINS0_14default_configENS1_25partition_config_selectorILNS1_17partition_subalgoE8EfNS0_10empty_typeEbEEZZNS1_14partition_implILS5_8ELb0ES3_jN6thrust23THRUST_200600_302600_NS6detail15normal_iteratorINSA_10device_ptrIfEEEEPS6_PKS6_NS0_5tupleIJSF_S6_EEENSJ_IJSG_SG_EEENS0_18inequality_wrapperI22is_equal_div_10_uniqueIfEEEPmJS6_EEE10hipError_tPvRmT3_T4_T5_T6_T7_T9_mT8_P12ihipStream_tbDpT10_ENKUlT_T0_E_clISt17integral_constantIbLb0EES1A_EEDaS15_S16_EUlS15_E_NS1_11comp_targetILNS1_3genE2ELNS1_11target_archE906ELNS1_3gpuE6ELNS1_3repE0EEENS1_30default_config_static_selectorELNS0_4arch9wavefront6targetE1EEEvT1_.num_vgpr, 75
	.set _ZN7rocprim17ROCPRIM_400000_NS6detail17trampoline_kernelINS0_14default_configENS1_25partition_config_selectorILNS1_17partition_subalgoE8EfNS0_10empty_typeEbEEZZNS1_14partition_implILS5_8ELb0ES3_jN6thrust23THRUST_200600_302600_NS6detail15normal_iteratorINSA_10device_ptrIfEEEEPS6_PKS6_NS0_5tupleIJSF_S6_EEENSJ_IJSG_SG_EEENS0_18inequality_wrapperI22is_equal_div_10_uniqueIfEEEPmJS6_EEE10hipError_tPvRmT3_T4_T5_T6_T7_T9_mT8_P12ihipStream_tbDpT10_ENKUlT_T0_E_clISt17integral_constantIbLb0EES1A_EEDaS15_S16_EUlS15_E_NS1_11comp_targetILNS1_3genE2ELNS1_11target_archE906ELNS1_3gpuE6ELNS1_3repE0EEENS1_30default_config_static_selectorELNS0_4arch9wavefront6targetE1EEEvT1_.num_agpr, 0
	.set _ZN7rocprim17ROCPRIM_400000_NS6detail17trampoline_kernelINS0_14default_configENS1_25partition_config_selectorILNS1_17partition_subalgoE8EfNS0_10empty_typeEbEEZZNS1_14partition_implILS5_8ELb0ES3_jN6thrust23THRUST_200600_302600_NS6detail15normal_iteratorINSA_10device_ptrIfEEEEPS6_PKS6_NS0_5tupleIJSF_S6_EEENSJ_IJSG_SG_EEENS0_18inequality_wrapperI22is_equal_div_10_uniqueIfEEEPmJS6_EEE10hipError_tPvRmT3_T4_T5_T6_T7_T9_mT8_P12ihipStream_tbDpT10_ENKUlT_T0_E_clISt17integral_constantIbLb0EES1A_EEDaS15_S16_EUlS15_E_NS1_11comp_targetILNS1_3genE2ELNS1_11target_archE906ELNS1_3gpuE6ELNS1_3repE0EEENS1_30default_config_static_selectorELNS0_4arch9wavefront6targetE1EEEvT1_.numbered_sgpr, 56
	.set _ZN7rocprim17ROCPRIM_400000_NS6detail17trampoline_kernelINS0_14default_configENS1_25partition_config_selectorILNS1_17partition_subalgoE8EfNS0_10empty_typeEbEEZZNS1_14partition_implILS5_8ELb0ES3_jN6thrust23THRUST_200600_302600_NS6detail15normal_iteratorINSA_10device_ptrIfEEEEPS6_PKS6_NS0_5tupleIJSF_S6_EEENSJ_IJSG_SG_EEENS0_18inequality_wrapperI22is_equal_div_10_uniqueIfEEEPmJS6_EEE10hipError_tPvRmT3_T4_T5_T6_T7_T9_mT8_P12ihipStream_tbDpT10_ENKUlT_T0_E_clISt17integral_constantIbLb0EES1A_EEDaS15_S16_EUlS15_E_NS1_11comp_targetILNS1_3genE2ELNS1_11target_archE906ELNS1_3gpuE6ELNS1_3repE0EEENS1_30default_config_static_selectorELNS0_4arch9wavefront6targetE1EEEvT1_.num_named_barrier, 0
	.set _ZN7rocprim17ROCPRIM_400000_NS6detail17trampoline_kernelINS0_14default_configENS1_25partition_config_selectorILNS1_17partition_subalgoE8EfNS0_10empty_typeEbEEZZNS1_14partition_implILS5_8ELb0ES3_jN6thrust23THRUST_200600_302600_NS6detail15normal_iteratorINSA_10device_ptrIfEEEEPS6_PKS6_NS0_5tupleIJSF_S6_EEENSJ_IJSG_SG_EEENS0_18inequality_wrapperI22is_equal_div_10_uniqueIfEEEPmJS6_EEE10hipError_tPvRmT3_T4_T5_T6_T7_T9_mT8_P12ihipStream_tbDpT10_ENKUlT_T0_E_clISt17integral_constantIbLb0EES1A_EEDaS15_S16_EUlS15_E_NS1_11comp_targetILNS1_3genE2ELNS1_11target_archE906ELNS1_3gpuE6ELNS1_3repE0EEENS1_30default_config_static_selectorELNS0_4arch9wavefront6targetE1EEEvT1_.private_seg_size, 0
	.set _ZN7rocprim17ROCPRIM_400000_NS6detail17trampoline_kernelINS0_14default_configENS1_25partition_config_selectorILNS1_17partition_subalgoE8EfNS0_10empty_typeEbEEZZNS1_14partition_implILS5_8ELb0ES3_jN6thrust23THRUST_200600_302600_NS6detail15normal_iteratorINSA_10device_ptrIfEEEEPS6_PKS6_NS0_5tupleIJSF_S6_EEENSJ_IJSG_SG_EEENS0_18inequality_wrapperI22is_equal_div_10_uniqueIfEEEPmJS6_EEE10hipError_tPvRmT3_T4_T5_T6_T7_T9_mT8_P12ihipStream_tbDpT10_ENKUlT_T0_E_clISt17integral_constantIbLb0EES1A_EEDaS15_S16_EUlS15_E_NS1_11comp_targetILNS1_3genE2ELNS1_11target_archE906ELNS1_3gpuE6ELNS1_3repE0EEENS1_30default_config_static_selectorELNS0_4arch9wavefront6targetE1EEEvT1_.uses_vcc, 1
	.set _ZN7rocprim17ROCPRIM_400000_NS6detail17trampoline_kernelINS0_14default_configENS1_25partition_config_selectorILNS1_17partition_subalgoE8EfNS0_10empty_typeEbEEZZNS1_14partition_implILS5_8ELb0ES3_jN6thrust23THRUST_200600_302600_NS6detail15normal_iteratorINSA_10device_ptrIfEEEEPS6_PKS6_NS0_5tupleIJSF_S6_EEENSJ_IJSG_SG_EEENS0_18inequality_wrapperI22is_equal_div_10_uniqueIfEEEPmJS6_EEE10hipError_tPvRmT3_T4_T5_T6_T7_T9_mT8_P12ihipStream_tbDpT10_ENKUlT_T0_E_clISt17integral_constantIbLb0EES1A_EEDaS15_S16_EUlS15_E_NS1_11comp_targetILNS1_3genE2ELNS1_11target_archE906ELNS1_3gpuE6ELNS1_3repE0EEENS1_30default_config_static_selectorELNS0_4arch9wavefront6targetE1EEEvT1_.uses_flat_scratch, 0
	.set _ZN7rocprim17ROCPRIM_400000_NS6detail17trampoline_kernelINS0_14default_configENS1_25partition_config_selectorILNS1_17partition_subalgoE8EfNS0_10empty_typeEbEEZZNS1_14partition_implILS5_8ELb0ES3_jN6thrust23THRUST_200600_302600_NS6detail15normal_iteratorINSA_10device_ptrIfEEEEPS6_PKS6_NS0_5tupleIJSF_S6_EEENSJ_IJSG_SG_EEENS0_18inequality_wrapperI22is_equal_div_10_uniqueIfEEEPmJS6_EEE10hipError_tPvRmT3_T4_T5_T6_T7_T9_mT8_P12ihipStream_tbDpT10_ENKUlT_T0_E_clISt17integral_constantIbLb0EES1A_EEDaS15_S16_EUlS15_E_NS1_11comp_targetILNS1_3genE2ELNS1_11target_archE906ELNS1_3gpuE6ELNS1_3repE0EEENS1_30default_config_static_selectorELNS0_4arch9wavefront6targetE1EEEvT1_.has_dyn_sized_stack, 0
	.set _ZN7rocprim17ROCPRIM_400000_NS6detail17trampoline_kernelINS0_14default_configENS1_25partition_config_selectorILNS1_17partition_subalgoE8EfNS0_10empty_typeEbEEZZNS1_14partition_implILS5_8ELb0ES3_jN6thrust23THRUST_200600_302600_NS6detail15normal_iteratorINSA_10device_ptrIfEEEEPS6_PKS6_NS0_5tupleIJSF_S6_EEENSJ_IJSG_SG_EEENS0_18inequality_wrapperI22is_equal_div_10_uniqueIfEEEPmJS6_EEE10hipError_tPvRmT3_T4_T5_T6_T7_T9_mT8_P12ihipStream_tbDpT10_ENKUlT_T0_E_clISt17integral_constantIbLb0EES1A_EEDaS15_S16_EUlS15_E_NS1_11comp_targetILNS1_3genE2ELNS1_11target_archE906ELNS1_3gpuE6ELNS1_3repE0EEENS1_30default_config_static_selectorELNS0_4arch9wavefront6targetE1EEEvT1_.has_recursion, 0
	.set _ZN7rocprim17ROCPRIM_400000_NS6detail17trampoline_kernelINS0_14default_configENS1_25partition_config_selectorILNS1_17partition_subalgoE8EfNS0_10empty_typeEbEEZZNS1_14partition_implILS5_8ELb0ES3_jN6thrust23THRUST_200600_302600_NS6detail15normal_iteratorINSA_10device_ptrIfEEEEPS6_PKS6_NS0_5tupleIJSF_S6_EEENSJ_IJSG_SG_EEENS0_18inequality_wrapperI22is_equal_div_10_uniqueIfEEEPmJS6_EEE10hipError_tPvRmT3_T4_T5_T6_T7_T9_mT8_P12ihipStream_tbDpT10_ENKUlT_T0_E_clISt17integral_constantIbLb0EES1A_EEDaS15_S16_EUlS15_E_NS1_11comp_targetILNS1_3genE2ELNS1_11target_archE906ELNS1_3gpuE6ELNS1_3repE0EEENS1_30default_config_static_selectorELNS0_4arch9wavefront6targetE1EEEvT1_.has_indirect_call, 0
	.section	.AMDGPU.csdata,"",@progbits
; Kernel info:
; codeLenInByte = 10944
; TotalNumSgprs: 60
; NumVgprs: 75
; ScratchSize: 0
; MemoryBound: 0
; FloatMode: 240
; IeeeMode: 1
; LDSByteSize: 16904 bytes/workgroup (compile time only)
; SGPRBlocks: 12
; VGPRBlocks: 18
; NumSGPRsForWavesPerEU: 102
; NumVGPRsForWavesPerEU: 75
; Occupancy: 3
; WaveLimiterHint : 1
; COMPUTE_PGM_RSRC2:SCRATCH_EN: 0
; COMPUTE_PGM_RSRC2:USER_SGPR: 6
; COMPUTE_PGM_RSRC2:TRAP_HANDLER: 0
; COMPUTE_PGM_RSRC2:TGID_X_EN: 1
; COMPUTE_PGM_RSRC2:TGID_Y_EN: 0
; COMPUTE_PGM_RSRC2:TGID_Z_EN: 0
; COMPUTE_PGM_RSRC2:TIDIG_COMP_CNT: 0
	.section	.text._ZN7rocprim17ROCPRIM_400000_NS6detail17trampoline_kernelINS0_14default_configENS1_25partition_config_selectorILNS1_17partition_subalgoE8EfNS0_10empty_typeEbEEZZNS1_14partition_implILS5_8ELb0ES3_jN6thrust23THRUST_200600_302600_NS6detail15normal_iteratorINSA_10device_ptrIfEEEEPS6_PKS6_NS0_5tupleIJSF_S6_EEENSJ_IJSG_SG_EEENS0_18inequality_wrapperI22is_equal_div_10_uniqueIfEEEPmJS6_EEE10hipError_tPvRmT3_T4_T5_T6_T7_T9_mT8_P12ihipStream_tbDpT10_ENKUlT_T0_E_clISt17integral_constantIbLb0EES1A_EEDaS15_S16_EUlS15_E_NS1_11comp_targetILNS1_3genE10ELNS1_11target_archE1200ELNS1_3gpuE4ELNS1_3repE0EEENS1_30default_config_static_selectorELNS0_4arch9wavefront6targetE1EEEvT1_,"axG",@progbits,_ZN7rocprim17ROCPRIM_400000_NS6detail17trampoline_kernelINS0_14default_configENS1_25partition_config_selectorILNS1_17partition_subalgoE8EfNS0_10empty_typeEbEEZZNS1_14partition_implILS5_8ELb0ES3_jN6thrust23THRUST_200600_302600_NS6detail15normal_iteratorINSA_10device_ptrIfEEEEPS6_PKS6_NS0_5tupleIJSF_S6_EEENSJ_IJSG_SG_EEENS0_18inequality_wrapperI22is_equal_div_10_uniqueIfEEEPmJS6_EEE10hipError_tPvRmT3_T4_T5_T6_T7_T9_mT8_P12ihipStream_tbDpT10_ENKUlT_T0_E_clISt17integral_constantIbLb0EES1A_EEDaS15_S16_EUlS15_E_NS1_11comp_targetILNS1_3genE10ELNS1_11target_archE1200ELNS1_3gpuE4ELNS1_3repE0EEENS1_30default_config_static_selectorELNS0_4arch9wavefront6targetE1EEEvT1_,comdat
	.protected	_ZN7rocprim17ROCPRIM_400000_NS6detail17trampoline_kernelINS0_14default_configENS1_25partition_config_selectorILNS1_17partition_subalgoE8EfNS0_10empty_typeEbEEZZNS1_14partition_implILS5_8ELb0ES3_jN6thrust23THRUST_200600_302600_NS6detail15normal_iteratorINSA_10device_ptrIfEEEEPS6_PKS6_NS0_5tupleIJSF_S6_EEENSJ_IJSG_SG_EEENS0_18inequality_wrapperI22is_equal_div_10_uniqueIfEEEPmJS6_EEE10hipError_tPvRmT3_T4_T5_T6_T7_T9_mT8_P12ihipStream_tbDpT10_ENKUlT_T0_E_clISt17integral_constantIbLb0EES1A_EEDaS15_S16_EUlS15_E_NS1_11comp_targetILNS1_3genE10ELNS1_11target_archE1200ELNS1_3gpuE4ELNS1_3repE0EEENS1_30default_config_static_selectorELNS0_4arch9wavefront6targetE1EEEvT1_ ; -- Begin function _ZN7rocprim17ROCPRIM_400000_NS6detail17trampoline_kernelINS0_14default_configENS1_25partition_config_selectorILNS1_17partition_subalgoE8EfNS0_10empty_typeEbEEZZNS1_14partition_implILS5_8ELb0ES3_jN6thrust23THRUST_200600_302600_NS6detail15normal_iteratorINSA_10device_ptrIfEEEEPS6_PKS6_NS0_5tupleIJSF_S6_EEENSJ_IJSG_SG_EEENS0_18inequality_wrapperI22is_equal_div_10_uniqueIfEEEPmJS6_EEE10hipError_tPvRmT3_T4_T5_T6_T7_T9_mT8_P12ihipStream_tbDpT10_ENKUlT_T0_E_clISt17integral_constantIbLb0EES1A_EEDaS15_S16_EUlS15_E_NS1_11comp_targetILNS1_3genE10ELNS1_11target_archE1200ELNS1_3gpuE4ELNS1_3repE0EEENS1_30default_config_static_selectorELNS0_4arch9wavefront6targetE1EEEvT1_
	.globl	_ZN7rocprim17ROCPRIM_400000_NS6detail17trampoline_kernelINS0_14default_configENS1_25partition_config_selectorILNS1_17partition_subalgoE8EfNS0_10empty_typeEbEEZZNS1_14partition_implILS5_8ELb0ES3_jN6thrust23THRUST_200600_302600_NS6detail15normal_iteratorINSA_10device_ptrIfEEEEPS6_PKS6_NS0_5tupleIJSF_S6_EEENSJ_IJSG_SG_EEENS0_18inequality_wrapperI22is_equal_div_10_uniqueIfEEEPmJS6_EEE10hipError_tPvRmT3_T4_T5_T6_T7_T9_mT8_P12ihipStream_tbDpT10_ENKUlT_T0_E_clISt17integral_constantIbLb0EES1A_EEDaS15_S16_EUlS15_E_NS1_11comp_targetILNS1_3genE10ELNS1_11target_archE1200ELNS1_3gpuE4ELNS1_3repE0EEENS1_30default_config_static_selectorELNS0_4arch9wavefront6targetE1EEEvT1_
	.p2align	8
	.type	_ZN7rocprim17ROCPRIM_400000_NS6detail17trampoline_kernelINS0_14default_configENS1_25partition_config_selectorILNS1_17partition_subalgoE8EfNS0_10empty_typeEbEEZZNS1_14partition_implILS5_8ELb0ES3_jN6thrust23THRUST_200600_302600_NS6detail15normal_iteratorINSA_10device_ptrIfEEEEPS6_PKS6_NS0_5tupleIJSF_S6_EEENSJ_IJSG_SG_EEENS0_18inequality_wrapperI22is_equal_div_10_uniqueIfEEEPmJS6_EEE10hipError_tPvRmT3_T4_T5_T6_T7_T9_mT8_P12ihipStream_tbDpT10_ENKUlT_T0_E_clISt17integral_constantIbLb0EES1A_EEDaS15_S16_EUlS15_E_NS1_11comp_targetILNS1_3genE10ELNS1_11target_archE1200ELNS1_3gpuE4ELNS1_3repE0EEENS1_30default_config_static_selectorELNS0_4arch9wavefront6targetE1EEEvT1_,@function
_ZN7rocprim17ROCPRIM_400000_NS6detail17trampoline_kernelINS0_14default_configENS1_25partition_config_selectorILNS1_17partition_subalgoE8EfNS0_10empty_typeEbEEZZNS1_14partition_implILS5_8ELb0ES3_jN6thrust23THRUST_200600_302600_NS6detail15normal_iteratorINSA_10device_ptrIfEEEEPS6_PKS6_NS0_5tupleIJSF_S6_EEENSJ_IJSG_SG_EEENS0_18inequality_wrapperI22is_equal_div_10_uniqueIfEEEPmJS6_EEE10hipError_tPvRmT3_T4_T5_T6_T7_T9_mT8_P12ihipStream_tbDpT10_ENKUlT_T0_E_clISt17integral_constantIbLb0EES1A_EEDaS15_S16_EUlS15_E_NS1_11comp_targetILNS1_3genE10ELNS1_11target_archE1200ELNS1_3gpuE4ELNS1_3repE0EEENS1_30default_config_static_selectorELNS0_4arch9wavefront6targetE1EEEvT1_: ; @_ZN7rocprim17ROCPRIM_400000_NS6detail17trampoline_kernelINS0_14default_configENS1_25partition_config_selectorILNS1_17partition_subalgoE8EfNS0_10empty_typeEbEEZZNS1_14partition_implILS5_8ELb0ES3_jN6thrust23THRUST_200600_302600_NS6detail15normal_iteratorINSA_10device_ptrIfEEEEPS6_PKS6_NS0_5tupleIJSF_S6_EEENSJ_IJSG_SG_EEENS0_18inequality_wrapperI22is_equal_div_10_uniqueIfEEEPmJS6_EEE10hipError_tPvRmT3_T4_T5_T6_T7_T9_mT8_P12ihipStream_tbDpT10_ENKUlT_T0_E_clISt17integral_constantIbLb0EES1A_EEDaS15_S16_EUlS15_E_NS1_11comp_targetILNS1_3genE10ELNS1_11target_archE1200ELNS1_3gpuE4ELNS1_3repE0EEENS1_30default_config_static_selectorELNS0_4arch9wavefront6targetE1EEEvT1_
; %bb.0:
	.section	.rodata,"a",@progbits
	.p2align	6, 0x0
	.amdhsa_kernel _ZN7rocprim17ROCPRIM_400000_NS6detail17trampoline_kernelINS0_14default_configENS1_25partition_config_selectorILNS1_17partition_subalgoE8EfNS0_10empty_typeEbEEZZNS1_14partition_implILS5_8ELb0ES3_jN6thrust23THRUST_200600_302600_NS6detail15normal_iteratorINSA_10device_ptrIfEEEEPS6_PKS6_NS0_5tupleIJSF_S6_EEENSJ_IJSG_SG_EEENS0_18inequality_wrapperI22is_equal_div_10_uniqueIfEEEPmJS6_EEE10hipError_tPvRmT3_T4_T5_T6_T7_T9_mT8_P12ihipStream_tbDpT10_ENKUlT_T0_E_clISt17integral_constantIbLb0EES1A_EEDaS15_S16_EUlS15_E_NS1_11comp_targetILNS1_3genE10ELNS1_11target_archE1200ELNS1_3gpuE4ELNS1_3repE0EEENS1_30default_config_static_selectorELNS0_4arch9wavefront6targetE1EEEvT1_
		.amdhsa_group_segment_fixed_size 0
		.amdhsa_private_segment_fixed_size 0
		.amdhsa_kernarg_size 112
		.amdhsa_user_sgpr_count 6
		.amdhsa_user_sgpr_private_segment_buffer 1
		.amdhsa_user_sgpr_dispatch_ptr 0
		.amdhsa_user_sgpr_queue_ptr 0
		.amdhsa_user_sgpr_kernarg_segment_ptr 1
		.amdhsa_user_sgpr_dispatch_id 0
		.amdhsa_user_sgpr_flat_scratch_init 0
		.amdhsa_user_sgpr_private_segment_size 0
		.amdhsa_uses_dynamic_stack 0
		.amdhsa_system_sgpr_private_segment_wavefront_offset 0
		.amdhsa_system_sgpr_workgroup_id_x 1
		.amdhsa_system_sgpr_workgroup_id_y 0
		.amdhsa_system_sgpr_workgroup_id_z 0
		.amdhsa_system_sgpr_workgroup_info 0
		.amdhsa_system_vgpr_workitem_id 0
		.amdhsa_next_free_vgpr 1
		.amdhsa_next_free_sgpr 0
		.amdhsa_reserve_vcc 0
		.amdhsa_reserve_flat_scratch 0
		.amdhsa_float_round_mode_32 0
		.amdhsa_float_round_mode_16_64 0
		.amdhsa_float_denorm_mode_32 3
		.amdhsa_float_denorm_mode_16_64 3
		.amdhsa_dx10_clamp 1
		.amdhsa_ieee_mode 1
		.amdhsa_fp16_overflow 0
		.amdhsa_exception_fp_ieee_invalid_op 0
		.amdhsa_exception_fp_denorm_src 0
		.amdhsa_exception_fp_ieee_div_zero 0
		.amdhsa_exception_fp_ieee_overflow 0
		.amdhsa_exception_fp_ieee_underflow 0
		.amdhsa_exception_fp_ieee_inexact 0
		.amdhsa_exception_int_div_zero 0
	.end_amdhsa_kernel
	.section	.text._ZN7rocprim17ROCPRIM_400000_NS6detail17trampoline_kernelINS0_14default_configENS1_25partition_config_selectorILNS1_17partition_subalgoE8EfNS0_10empty_typeEbEEZZNS1_14partition_implILS5_8ELb0ES3_jN6thrust23THRUST_200600_302600_NS6detail15normal_iteratorINSA_10device_ptrIfEEEEPS6_PKS6_NS0_5tupleIJSF_S6_EEENSJ_IJSG_SG_EEENS0_18inequality_wrapperI22is_equal_div_10_uniqueIfEEEPmJS6_EEE10hipError_tPvRmT3_T4_T5_T6_T7_T9_mT8_P12ihipStream_tbDpT10_ENKUlT_T0_E_clISt17integral_constantIbLb0EES1A_EEDaS15_S16_EUlS15_E_NS1_11comp_targetILNS1_3genE10ELNS1_11target_archE1200ELNS1_3gpuE4ELNS1_3repE0EEENS1_30default_config_static_selectorELNS0_4arch9wavefront6targetE1EEEvT1_,"axG",@progbits,_ZN7rocprim17ROCPRIM_400000_NS6detail17trampoline_kernelINS0_14default_configENS1_25partition_config_selectorILNS1_17partition_subalgoE8EfNS0_10empty_typeEbEEZZNS1_14partition_implILS5_8ELb0ES3_jN6thrust23THRUST_200600_302600_NS6detail15normal_iteratorINSA_10device_ptrIfEEEEPS6_PKS6_NS0_5tupleIJSF_S6_EEENSJ_IJSG_SG_EEENS0_18inequality_wrapperI22is_equal_div_10_uniqueIfEEEPmJS6_EEE10hipError_tPvRmT3_T4_T5_T6_T7_T9_mT8_P12ihipStream_tbDpT10_ENKUlT_T0_E_clISt17integral_constantIbLb0EES1A_EEDaS15_S16_EUlS15_E_NS1_11comp_targetILNS1_3genE10ELNS1_11target_archE1200ELNS1_3gpuE4ELNS1_3repE0EEENS1_30default_config_static_selectorELNS0_4arch9wavefront6targetE1EEEvT1_,comdat
.Lfunc_end117:
	.size	_ZN7rocprim17ROCPRIM_400000_NS6detail17trampoline_kernelINS0_14default_configENS1_25partition_config_selectorILNS1_17partition_subalgoE8EfNS0_10empty_typeEbEEZZNS1_14partition_implILS5_8ELb0ES3_jN6thrust23THRUST_200600_302600_NS6detail15normal_iteratorINSA_10device_ptrIfEEEEPS6_PKS6_NS0_5tupleIJSF_S6_EEENSJ_IJSG_SG_EEENS0_18inequality_wrapperI22is_equal_div_10_uniqueIfEEEPmJS6_EEE10hipError_tPvRmT3_T4_T5_T6_T7_T9_mT8_P12ihipStream_tbDpT10_ENKUlT_T0_E_clISt17integral_constantIbLb0EES1A_EEDaS15_S16_EUlS15_E_NS1_11comp_targetILNS1_3genE10ELNS1_11target_archE1200ELNS1_3gpuE4ELNS1_3repE0EEENS1_30default_config_static_selectorELNS0_4arch9wavefront6targetE1EEEvT1_, .Lfunc_end117-_ZN7rocprim17ROCPRIM_400000_NS6detail17trampoline_kernelINS0_14default_configENS1_25partition_config_selectorILNS1_17partition_subalgoE8EfNS0_10empty_typeEbEEZZNS1_14partition_implILS5_8ELb0ES3_jN6thrust23THRUST_200600_302600_NS6detail15normal_iteratorINSA_10device_ptrIfEEEEPS6_PKS6_NS0_5tupleIJSF_S6_EEENSJ_IJSG_SG_EEENS0_18inequality_wrapperI22is_equal_div_10_uniqueIfEEEPmJS6_EEE10hipError_tPvRmT3_T4_T5_T6_T7_T9_mT8_P12ihipStream_tbDpT10_ENKUlT_T0_E_clISt17integral_constantIbLb0EES1A_EEDaS15_S16_EUlS15_E_NS1_11comp_targetILNS1_3genE10ELNS1_11target_archE1200ELNS1_3gpuE4ELNS1_3repE0EEENS1_30default_config_static_selectorELNS0_4arch9wavefront6targetE1EEEvT1_
                                        ; -- End function
	.set _ZN7rocprim17ROCPRIM_400000_NS6detail17trampoline_kernelINS0_14default_configENS1_25partition_config_selectorILNS1_17partition_subalgoE8EfNS0_10empty_typeEbEEZZNS1_14partition_implILS5_8ELb0ES3_jN6thrust23THRUST_200600_302600_NS6detail15normal_iteratorINSA_10device_ptrIfEEEEPS6_PKS6_NS0_5tupleIJSF_S6_EEENSJ_IJSG_SG_EEENS0_18inequality_wrapperI22is_equal_div_10_uniqueIfEEEPmJS6_EEE10hipError_tPvRmT3_T4_T5_T6_T7_T9_mT8_P12ihipStream_tbDpT10_ENKUlT_T0_E_clISt17integral_constantIbLb0EES1A_EEDaS15_S16_EUlS15_E_NS1_11comp_targetILNS1_3genE10ELNS1_11target_archE1200ELNS1_3gpuE4ELNS1_3repE0EEENS1_30default_config_static_selectorELNS0_4arch9wavefront6targetE1EEEvT1_.num_vgpr, 0
	.set _ZN7rocprim17ROCPRIM_400000_NS6detail17trampoline_kernelINS0_14default_configENS1_25partition_config_selectorILNS1_17partition_subalgoE8EfNS0_10empty_typeEbEEZZNS1_14partition_implILS5_8ELb0ES3_jN6thrust23THRUST_200600_302600_NS6detail15normal_iteratorINSA_10device_ptrIfEEEEPS6_PKS6_NS0_5tupleIJSF_S6_EEENSJ_IJSG_SG_EEENS0_18inequality_wrapperI22is_equal_div_10_uniqueIfEEEPmJS6_EEE10hipError_tPvRmT3_T4_T5_T6_T7_T9_mT8_P12ihipStream_tbDpT10_ENKUlT_T0_E_clISt17integral_constantIbLb0EES1A_EEDaS15_S16_EUlS15_E_NS1_11comp_targetILNS1_3genE10ELNS1_11target_archE1200ELNS1_3gpuE4ELNS1_3repE0EEENS1_30default_config_static_selectorELNS0_4arch9wavefront6targetE1EEEvT1_.num_agpr, 0
	.set _ZN7rocprim17ROCPRIM_400000_NS6detail17trampoline_kernelINS0_14default_configENS1_25partition_config_selectorILNS1_17partition_subalgoE8EfNS0_10empty_typeEbEEZZNS1_14partition_implILS5_8ELb0ES3_jN6thrust23THRUST_200600_302600_NS6detail15normal_iteratorINSA_10device_ptrIfEEEEPS6_PKS6_NS0_5tupleIJSF_S6_EEENSJ_IJSG_SG_EEENS0_18inequality_wrapperI22is_equal_div_10_uniqueIfEEEPmJS6_EEE10hipError_tPvRmT3_T4_T5_T6_T7_T9_mT8_P12ihipStream_tbDpT10_ENKUlT_T0_E_clISt17integral_constantIbLb0EES1A_EEDaS15_S16_EUlS15_E_NS1_11comp_targetILNS1_3genE10ELNS1_11target_archE1200ELNS1_3gpuE4ELNS1_3repE0EEENS1_30default_config_static_selectorELNS0_4arch9wavefront6targetE1EEEvT1_.numbered_sgpr, 0
	.set _ZN7rocprim17ROCPRIM_400000_NS6detail17trampoline_kernelINS0_14default_configENS1_25partition_config_selectorILNS1_17partition_subalgoE8EfNS0_10empty_typeEbEEZZNS1_14partition_implILS5_8ELb0ES3_jN6thrust23THRUST_200600_302600_NS6detail15normal_iteratorINSA_10device_ptrIfEEEEPS6_PKS6_NS0_5tupleIJSF_S6_EEENSJ_IJSG_SG_EEENS0_18inequality_wrapperI22is_equal_div_10_uniqueIfEEEPmJS6_EEE10hipError_tPvRmT3_T4_T5_T6_T7_T9_mT8_P12ihipStream_tbDpT10_ENKUlT_T0_E_clISt17integral_constantIbLb0EES1A_EEDaS15_S16_EUlS15_E_NS1_11comp_targetILNS1_3genE10ELNS1_11target_archE1200ELNS1_3gpuE4ELNS1_3repE0EEENS1_30default_config_static_selectorELNS0_4arch9wavefront6targetE1EEEvT1_.num_named_barrier, 0
	.set _ZN7rocprim17ROCPRIM_400000_NS6detail17trampoline_kernelINS0_14default_configENS1_25partition_config_selectorILNS1_17partition_subalgoE8EfNS0_10empty_typeEbEEZZNS1_14partition_implILS5_8ELb0ES3_jN6thrust23THRUST_200600_302600_NS6detail15normal_iteratorINSA_10device_ptrIfEEEEPS6_PKS6_NS0_5tupleIJSF_S6_EEENSJ_IJSG_SG_EEENS0_18inequality_wrapperI22is_equal_div_10_uniqueIfEEEPmJS6_EEE10hipError_tPvRmT3_T4_T5_T6_T7_T9_mT8_P12ihipStream_tbDpT10_ENKUlT_T0_E_clISt17integral_constantIbLb0EES1A_EEDaS15_S16_EUlS15_E_NS1_11comp_targetILNS1_3genE10ELNS1_11target_archE1200ELNS1_3gpuE4ELNS1_3repE0EEENS1_30default_config_static_selectorELNS0_4arch9wavefront6targetE1EEEvT1_.private_seg_size, 0
	.set _ZN7rocprim17ROCPRIM_400000_NS6detail17trampoline_kernelINS0_14default_configENS1_25partition_config_selectorILNS1_17partition_subalgoE8EfNS0_10empty_typeEbEEZZNS1_14partition_implILS5_8ELb0ES3_jN6thrust23THRUST_200600_302600_NS6detail15normal_iteratorINSA_10device_ptrIfEEEEPS6_PKS6_NS0_5tupleIJSF_S6_EEENSJ_IJSG_SG_EEENS0_18inequality_wrapperI22is_equal_div_10_uniqueIfEEEPmJS6_EEE10hipError_tPvRmT3_T4_T5_T6_T7_T9_mT8_P12ihipStream_tbDpT10_ENKUlT_T0_E_clISt17integral_constantIbLb0EES1A_EEDaS15_S16_EUlS15_E_NS1_11comp_targetILNS1_3genE10ELNS1_11target_archE1200ELNS1_3gpuE4ELNS1_3repE0EEENS1_30default_config_static_selectorELNS0_4arch9wavefront6targetE1EEEvT1_.uses_vcc, 0
	.set _ZN7rocprim17ROCPRIM_400000_NS6detail17trampoline_kernelINS0_14default_configENS1_25partition_config_selectorILNS1_17partition_subalgoE8EfNS0_10empty_typeEbEEZZNS1_14partition_implILS5_8ELb0ES3_jN6thrust23THRUST_200600_302600_NS6detail15normal_iteratorINSA_10device_ptrIfEEEEPS6_PKS6_NS0_5tupleIJSF_S6_EEENSJ_IJSG_SG_EEENS0_18inequality_wrapperI22is_equal_div_10_uniqueIfEEEPmJS6_EEE10hipError_tPvRmT3_T4_T5_T6_T7_T9_mT8_P12ihipStream_tbDpT10_ENKUlT_T0_E_clISt17integral_constantIbLb0EES1A_EEDaS15_S16_EUlS15_E_NS1_11comp_targetILNS1_3genE10ELNS1_11target_archE1200ELNS1_3gpuE4ELNS1_3repE0EEENS1_30default_config_static_selectorELNS0_4arch9wavefront6targetE1EEEvT1_.uses_flat_scratch, 0
	.set _ZN7rocprim17ROCPRIM_400000_NS6detail17trampoline_kernelINS0_14default_configENS1_25partition_config_selectorILNS1_17partition_subalgoE8EfNS0_10empty_typeEbEEZZNS1_14partition_implILS5_8ELb0ES3_jN6thrust23THRUST_200600_302600_NS6detail15normal_iteratorINSA_10device_ptrIfEEEEPS6_PKS6_NS0_5tupleIJSF_S6_EEENSJ_IJSG_SG_EEENS0_18inequality_wrapperI22is_equal_div_10_uniqueIfEEEPmJS6_EEE10hipError_tPvRmT3_T4_T5_T6_T7_T9_mT8_P12ihipStream_tbDpT10_ENKUlT_T0_E_clISt17integral_constantIbLb0EES1A_EEDaS15_S16_EUlS15_E_NS1_11comp_targetILNS1_3genE10ELNS1_11target_archE1200ELNS1_3gpuE4ELNS1_3repE0EEENS1_30default_config_static_selectorELNS0_4arch9wavefront6targetE1EEEvT1_.has_dyn_sized_stack, 0
	.set _ZN7rocprim17ROCPRIM_400000_NS6detail17trampoline_kernelINS0_14default_configENS1_25partition_config_selectorILNS1_17partition_subalgoE8EfNS0_10empty_typeEbEEZZNS1_14partition_implILS5_8ELb0ES3_jN6thrust23THRUST_200600_302600_NS6detail15normal_iteratorINSA_10device_ptrIfEEEEPS6_PKS6_NS0_5tupleIJSF_S6_EEENSJ_IJSG_SG_EEENS0_18inequality_wrapperI22is_equal_div_10_uniqueIfEEEPmJS6_EEE10hipError_tPvRmT3_T4_T5_T6_T7_T9_mT8_P12ihipStream_tbDpT10_ENKUlT_T0_E_clISt17integral_constantIbLb0EES1A_EEDaS15_S16_EUlS15_E_NS1_11comp_targetILNS1_3genE10ELNS1_11target_archE1200ELNS1_3gpuE4ELNS1_3repE0EEENS1_30default_config_static_selectorELNS0_4arch9wavefront6targetE1EEEvT1_.has_recursion, 0
	.set _ZN7rocprim17ROCPRIM_400000_NS6detail17trampoline_kernelINS0_14default_configENS1_25partition_config_selectorILNS1_17partition_subalgoE8EfNS0_10empty_typeEbEEZZNS1_14partition_implILS5_8ELb0ES3_jN6thrust23THRUST_200600_302600_NS6detail15normal_iteratorINSA_10device_ptrIfEEEEPS6_PKS6_NS0_5tupleIJSF_S6_EEENSJ_IJSG_SG_EEENS0_18inequality_wrapperI22is_equal_div_10_uniqueIfEEEPmJS6_EEE10hipError_tPvRmT3_T4_T5_T6_T7_T9_mT8_P12ihipStream_tbDpT10_ENKUlT_T0_E_clISt17integral_constantIbLb0EES1A_EEDaS15_S16_EUlS15_E_NS1_11comp_targetILNS1_3genE10ELNS1_11target_archE1200ELNS1_3gpuE4ELNS1_3repE0EEENS1_30default_config_static_selectorELNS0_4arch9wavefront6targetE1EEEvT1_.has_indirect_call, 0
	.section	.AMDGPU.csdata,"",@progbits
; Kernel info:
; codeLenInByte = 0
; TotalNumSgprs: 4
; NumVgprs: 0
; ScratchSize: 0
; MemoryBound: 0
; FloatMode: 240
; IeeeMode: 1
; LDSByteSize: 0 bytes/workgroup (compile time only)
; SGPRBlocks: 0
; VGPRBlocks: 0
; NumSGPRsForWavesPerEU: 4
; NumVGPRsForWavesPerEU: 1
; Occupancy: 10
; WaveLimiterHint : 0
; COMPUTE_PGM_RSRC2:SCRATCH_EN: 0
; COMPUTE_PGM_RSRC2:USER_SGPR: 6
; COMPUTE_PGM_RSRC2:TRAP_HANDLER: 0
; COMPUTE_PGM_RSRC2:TGID_X_EN: 1
; COMPUTE_PGM_RSRC2:TGID_Y_EN: 0
; COMPUTE_PGM_RSRC2:TGID_Z_EN: 0
; COMPUTE_PGM_RSRC2:TIDIG_COMP_CNT: 0
	.section	.text._ZN7rocprim17ROCPRIM_400000_NS6detail17trampoline_kernelINS0_14default_configENS1_25partition_config_selectorILNS1_17partition_subalgoE8EfNS0_10empty_typeEbEEZZNS1_14partition_implILS5_8ELb0ES3_jN6thrust23THRUST_200600_302600_NS6detail15normal_iteratorINSA_10device_ptrIfEEEEPS6_PKS6_NS0_5tupleIJSF_S6_EEENSJ_IJSG_SG_EEENS0_18inequality_wrapperI22is_equal_div_10_uniqueIfEEEPmJS6_EEE10hipError_tPvRmT3_T4_T5_T6_T7_T9_mT8_P12ihipStream_tbDpT10_ENKUlT_T0_E_clISt17integral_constantIbLb0EES1A_EEDaS15_S16_EUlS15_E_NS1_11comp_targetILNS1_3genE9ELNS1_11target_archE1100ELNS1_3gpuE3ELNS1_3repE0EEENS1_30default_config_static_selectorELNS0_4arch9wavefront6targetE1EEEvT1_,"axG",@progbits,_ZN7rocprim17ROCPRIM_400000_NS6detail17trampoline_kernelINS0_14default_configENS1_25partition_config_selectorILNS1_17partition_subalgoE8EfNS0_10empty_typeEbEEZZNS1_14partition_implILS5_8ELb0ES3_jN6thrust23THRUST_200600_302600_NS6detail15normal_iteratorINSA_10device_ptrIfEEEEPS6_PKS6_NS0_5tupleIJSF_S6_EEENSJ_IJSG_SG_EEENS0_18inequality_wrapperI22is_equal_div_10_uniqueIfEEEPmJS6_EEE10hipError_tPvRmT3_T4_T5_T6_T7_T9_mT8_P12ihipStream_tbDpT10_ENKUlT_T0_E_clISt17integral_constantIbLb0EES1A_EEDaS15_S16_EUlS15_E_NS1_11comp_targetILNS1_3genE9ELNS1_11target_archE1100ELNS1_3gpuE3ELNS1_3repE0EEENS1_30default_config_static_selectorELNS0_4arch9wavefront6targetE1EEEvT1_,comdat
	.protected	_ZN7rocprim17ROCPRIM_400000_NS6detail17trampoline_kernelINS0_14default_configENS1_25partition_config_selectorILNS1_17partition_subalgoE8EfNS0_10empty_typeEbEEZZNS1_14partition_implILS5_8ELb0ES3_jN6thrust23THRUST_200600_302600_NS6detail15normal_iteratorINSA_10device_ptrIfEEEEPS6_PKS6_NS0_5tupleIJSF_S6_EEENSJ_IJSG_SG_EEENS0_18inequality_wrapperI22is_equal_div_10_uniqueIfEEEPmJS6_EEE10hipError_tPvRmT3_T4_T5_T6_T7_T9_mT8_P12ihipStream_tbDpT10_ENKUlT_T0_E_clISt17integral_constantIbLb0EES1A_EEDaS15_S16_EUlS15_E_NS1_11comp_targetILNS1_3genE9ELNS1_11target_archE1100ELNS1_3gpuE3ELNS1_3repE0EEENS1_30default_config_static_selectorELNS0_4arch9wavefront6targetE1EEEvT1_ ; -- Begin function _ZN7rocprim17ROCPRIM_400000_NS6detail17trampoline_kernelINS0_14default_configENS1_25partition_config_selectorILNS1_17partition_subalgoE8EfNS0_10empty_typeEbEEZZNS1_14partition_implILS5_8ELb0ES3_jN6thrust23THRUST_200600_302600_NS6detail15normal_iteratorINSA_10device_ptrIfEEEEPS6_PKS6_NS0_5tupleIJSF_S6_EEENSJ_IJSG_SG_EEENS0_18inequality_wrapperI22is_equal_div_10_uniqueIfEEEPmJS6_EEE10hipError_tPvRmT3_T4_T5_T6_T7_T9_mT8_P12ihipStream_tbDpT10_ENKUlT_T0_E_clISt17integral_constantIbLb0EES1A_EEDaS15_S16_EUlS15_E_NS1_11comp_targetILNS1_3genE9ELNS1_11target_archE1100ELNS1_3gpuE3ELNS1_3repE0EEENS1_30default_config_static_selectorELNS0_4arch9wavefront6targetE1EEEvT1_
	.globl	_ZN7rocprim17ROCPRIM_400000_NS6detail17trampoline_kernelINS0_14default_configENS1_25partition_config_selectorILNS1_17partition_subalgoE8EfNS0_10empty_typeEbEEZZNS1_14partition_implILS5_8ELb0ES3_jN6thrust23THRUST_200600_302600_NS6detail15normal_iteratorINSA_10device_ptrIfEEEEPS6_PKS6_NS0_5tupleIJSF_S6_EEENSJ_IJSG_SG_EEENS0_18inequality_wrapperI22is_equal_div_10_uniqueIfEEEPmJS6_EEE10hipError_tPvRmT3_T4_T5_T6_T7_T9_mT8_P12ihipStream_tbDpT10_ENKUlT_T0_E_clISt17integral_constantIbLb0EES1A_EEDaS15_S16_EUlS15_E_NS1_11comp_targetILNS1_3genE9ELNS1_11target_archE1100ELNS1_3gpuE3ELNS1_3repE0EEENS1_30default_config_static_selectorELNS0_4arch9wavefront6targetE1EEEvT1_
	.p2align	8
	.type	_ZN7rocprim17ROCPRIM_400000_NS6detail17trampoline_kernelINS0_14default_configENS1_25partition_config_selectorILNS1_17partition_subalgoE8EfNS0_10empty_typeEbEEZZNS1_14partition_implILS5_8ELb0ES3_jN6thrust23THRUST_200600_302600_NS6detail15normal_iteratorINSA_10device_ptrIfEEEEPS6_PKS6_NS0_5tupleIJSF_S6_EEENSJ_IJSG_SG_EEENS0_18inequality_wrapperI22is_equal_div_10_uniqueIfEEEPmJS6_EEE10hipError_tPvRmT3_T4_T5_T6_T7_T9_mT8_P12ihipStream_tbDpT10_ENKUlT_T0_E_clISt17integral_constantIbLb0EES1A_EEDaS15_S16_EUlS15_E_NS1_11comp_targetILNS1_3genE9ELNS1_11target_archE1100ELNS1_3gpuE3ELNS1_3repE0EEENS1_30default_config_static_selectorELNS0_4arch9wavefront6targetE1EEEvT1_,@function
_ZN7rocprim17ROCPRIM_400000_NS6detail17trampoline_kernelINS0_14default_configENS1_25partition_config_selectorILNS1_17partition_subalgoE8EfNS0_10empty_typeEbEEZZNS1_14partition_implILS5_8ELb0ES3_jN6thrust23THRUST_200600_302600_NS6detail15normal_iteratorINSA_10device_ptrIfEEEEPS6_PKS6_NS0_5tupleIJSF_S6_EEENSJ_IJSG_SG_EEENS0_18inequality_wrapperI22is_equal_div_10_uniqueIfEEEPmJS6_EEE10hipError_tPvRmT3_T4_T5_T6_T7_T9_mT8_P12ihipStream_tbDpT10_ENKUlT_T0_E_clISt17integral_constantIbLb0EES1A_EEDaS15_S16_EUlS15_E_NS1_11comp_targetILNS1_3genE9ELNS1_11target_archE1100ELNS1_3gpuE3ELNS1_3repE0EEENS1_30default_config_static_selectorELNS0_4arch9wavefront6targetE1EEEvT1_: ; @_ZN7rocprim17ROCPRIM_400000_NS6detail17trampoline_kernelINS0_14default_configENS1_25partition_config_selectorILNS1_17partition_subalgoE8EfNS0_10empty_typeEbEEZZNS1_14partition_implILS5_8ELb0ES3_jN6thrust23THRUST_200600_302600_NS6detail15normal_iteratorINSA_10device_ptrIfEEEEPS6_PKS6_NS0_5tupleIJSF_S6_EEENSJ_IJSG_SG_EEENS0_18inequality_wrapperI22is_equal_div_10_uniqueIfEEEPmJS6_EEE10hipError_tPvRmT3_T4_T5_T6_T7_T9_mT8_P12ihipStream_tbDpT10_ENKUlT_T0_E_clISt17integral_constantIbLb0EES1A_EEDaS15_S16_EUlS15_E_NS1_11comp_targetILNS1_3genE9ELNS1_11target_archE1100ELNS1_3gpuE3ELNS1_3repE0EEENS1_30default_config_static_selectorELNS0_4arch9wavefront6targetE1EEEvT1_
; %bb.0:
	.section	.rodata,"a",@progbits
	.p2align	6, 0x0
	.amdhsa_kernel _ZN7rocprim17ROCPRIM_400000_NS6detail17trampoline_kernelINS0_14default_configENS1_25partition_config_selectorILNS1_17partition_subalgoE8EfNS0_10empty_typeEbEEZZNS1_14partition_implILS5_8ELb0ES3_jN6thrust23THRUST_200600_302600_NS6detail15normal_iteratorINSA_10device_ptrIfEEEEPS6_PKS6_NS0_5tupleIJSF_S6_EEENSJ_IJSG_SG_EEENS0_18inequality_wrapperI22is_equal_div_10_uniqueIfEEEPmJS6_EEE10hipError_tPvRmT3_T4_T5_T6_T7_T9_mT8_P12ihipStream_tbDpT10_ENKUlT_T0_E_clISt17integral_constantIbLb0EES1A_EEDaS15_S16_EUlS15_E_NS1_11comp_targetILNS1_3genE9ELNS1_11target_archE1100ELNS1_3gpuE3ELNS1_3repE0EEENS1_30default_config_static_selectorELNS0_4arch9wavefront6targetE1EEEvT1_
		.amdhsa_group_segment_fixed_size 0
		.amdhsa_private_segment_fixed_size 0
		.amdhsa_kernarg_size 112
		.amdhsa_user_sgpr_count 6
		.amdhsa_user_sgpr_private_segment_buffer 1
		.amdhsa_user_sgpr_dispatch_ptr 0
		.amdhsa_user_sgpr_queue_ptr 0
		.amdhsa_user_sgpr_kernarg_segment_ptr 1
		.amdhsa_user_sgpr_dispatch_id 0
		.amdhsa_user_sgpr_flat_scratch_init 0
		.amdhsa_user_sgpr_private_segment_size 0
		.amdhsa_uses_dynamic_stack 0
		.amdhsa_system_sgpr_private_segment_wavefront_offset 0
		.amdhsa_system_sgpr_workgroup_id_x 1
		.amdhsa_system_sgpr_workgroup_id_y 0
		.amdhsa_system_sgpr_workgroup_id_z 0
		.amdhsa_system_sgpr_workgroup_info 0
		.amdhsa_system_vgpr_workitem_id 0
		.amdhsa_next_free_vgpr 1
		.amdhsa_next_free_sgpr 0
		.amdhsa_reserve_vcc 0
		.amdhsa_reserve_flat_scratch 0
		.amdhsa_float_round_mode_32 0
		.amdhsa_float_round_mode_16_64 0
		.amdhsa_float_denorm_mode_32 3
		.amdhsa_float_denorm_mode_16_64 3
		.amdhsa_dx10_clamp 1
		.amdhsa_ieee_mode 1
		.amdhsa_fp16_overflow 0
		.amdhsa_exception_fp_ieee_invalid_op 0
		.amdhsa_exception_fp_denorm_src 0
		.amdhsa_exception_fp_ieee_div_zero 0
		.amdhsa_exception_fp_ieee_overflow 0
		.amdhsa_exception_fp_ieee_underflow 0
		.amdhsa_exception_fp_ieee_inexact 0
		.amdhsa_exception_int_div_zero 0
	.end_amdhsa_kernel
	.section	.text._ZN7rocprim17ROCPRIM_400000_NS6detail17trampoline_kernelINS0_14default_configENS1_25partition_config_selectorILNS1_17partition_subalgoE8EfNS0_10empty_typeEbEEZZNS1_14partition_implILS5_8ELb0ES3_jN6thrust23THRUST_200600_302600_NS6detail15normal_iteratorINSA_10device_ptrIfEEEEPS6_PKS6_NS0_5tupleIJSF_S6_EEENSJ_IJSG_SG_EEENS0_18inequality_wrapperI22is_equal_div_10_uniqueIfEEEPmJS6_EEE10hipError_tPvRmT3_T4_T5_T6_T7_T9_mT8_P12ihipStream_tbDpT10_ENKUlT_T0_E_clISt17integral_constantIbLb0EES1A_EEDaS15_S16_EUlS15_E_NS1_11comp_targetILNS1_3genE9ELNS1_11target_archE1100ELNS1_3gpuE3ELNS1_3repE0EEENS1_30default_config_static_selectorELNS0_4arch9wavefront6targetE1EEEvT1_,"axG",@progbits,_ZN7rocprim17ROCPRIM_400000_NS6detail17trampoline_kernelINS0_14default_configENS1_25partition_config_selectorILNS1_17partition_subalgoE8EfNS0_10empty_typeEbEEZZNS1_14partition_implILS5_8ELb0ES3_jN6thrust23THRUST_200600_302600_NS6detail15normal_iteratorINSA_10device_ptrIfEEEEPS6_PKS6_NS0_5tupleIJSF_S6_EEENSJ_IJSG_SG_EEENS0_18inequality_wrapperI22is_equal_div_10_uniqueIfEEEPmJS6_EEE10hipError_tPvRmT3_T4_T5_T6_T7_T9_mT8_P12ihipStream_tbDpT10_ENKUlT_T0_E_clISt17integral_constantIbLb0EES1A_EEDaS15_S16_EUlS15_E_NS1_11comp_targetILNS1_3genE9ELNS1_11target_archE1100ELNS1_3gpuE3ELNS1_3repE0EEENS1_30default_config_static_selectorELNS0_4arch9wavefront6targetE1EEEvT1_,comdat
.Lfunc_end118:
	.size	_ZN7rocprim17ROCPRIM_400000_NS6detail17trampoline_kernelINS0_14default_configENS1_25partition_config_selectorILNS1_17partition_subalgoE8EfNS0_10empty_typeEbEEZZNS1_14partition_implILS5_8ELb0ES3_jN6thrust23THRUST_200600_302600_NS6detail15normal_iteratorINSA_10device_ptrIfEEEEPS6_PKS6_NS0_5tupleIJSF_S6_EEENSJ_IJSG_SG_EEENS0_18inequality_wrapperI22is_equal_div_10_uniqueIfEEEPmJS6_EEE10hipError_tPvRmT3_T4_T5_T6_T7_T9_mT8_P12ihipStream_tbDpT10_ENKUlT_T0_E_clISt17integral_constantIbLb0EES1A_EEDaS15_S16_EUlS15_E_NS1_11comp_targetILNS1_3genE9ELNS1_11target_archE1100ELNS1_3gpuE3ELNS1_3repE0EEENS1_30default_config_static_selectorELNS0_4arch9wavefront6targetE1EEEvT1_, .Lfunc_end118-_ZN7rocprim17ROCPRIM_400000_NS6detail17trampoline_kernelINS0_14default_configENS1_25partition_config_selectorILNS1_17partition_subalgoE8EfNS0_10empty_typeEbEEZZNS1_14partition_implILS5_8ELb0ES3_jN6thrust23THRUST_200600_302600_NS6detail15normal_iteratorINSA_10device_ptrIfEEEEPS6_PKS6_NS0_5tupleIJSF_S6_EEENSJ_IJSG_SG_EEENS0_18inequality_wrapperI22is_equal_div_10_uniqueIfEEEPmJS6_EEE10hipError_tPvRmT3_T4_T5_T6_T7_T9_mT8_P12ihipStream_tbDpT10_ENKUlT_T0_E_clISt17integral_constantIbLb0EES1A_EEDaS15_S16_EUlS15_E_NS1_11comp_targetILNS1_3genE9ELNS1_11target_archE1100ELNS1_3gpuE3ELNS1_3repE0EEENS1_30default_config_static_selectorELNS0_4arch9wavefront6targetE1EEEvT1_
                                        ; -- End function
	.set _ZN7rocprim17ROCPRIM_400000_NS6detail17trampoline_kernelINS0_14default_configENS1_25partition_config_selectorILNS1_17partition_subalgoE8EfNS0_10empty_typeEbEEZZNS1_14partition_implILS5_8ELb0ES3_jN6thrust23THRUST_200600_302600_NS6detail15normal_iteratorINSA_10device_ptrIfEEEEPS6_PKS6_NS0_5tupleIJSF_S6_EEENSJ_IJSG_SG_EEENS0_18inequality_wrapperI22is_equal_div_10_uniqueIfEEEPmJS6_EEE10hipError_tPvRmT3_T4_T5_T6_T7_T9_mT8_P12ihipStream_tbDpT10_ENKUlT_T0_E_clISt17integral_constantIbLb0EES1A_EEDaS15_S16_EUlS15_E_NS1_11comp_targetILNS1_3genE9ELNS1_11target_archE1100ELNS1_3gpuE3ELNS1_3repE0EEENS1_30default_config_static_selectorELNS0_4arch9wavefront6targetE1EEEvT1_.num_vgpr, 0
	.set _ZN7rocprim17ROCPRIM_400000_NS6detail17trampoline_kernelINS0_14default_configENS1_25partition_config_selectorILNS1_17partition_subalgoE8EfNS0_10empty_typeEbEEZZNS1_14partition_implILS5_8ELb0ES3_jN6thrust23THRUST_200600_302600_NS6detail15normal_iteratorINSA_10device_ptrIfEEEEPS6_PKS6_NS0_5tupleIJSF_S6_EEENSJ_IJSG_SG_EEENS0_18inequality_wrapperI22is_equal_div_10_uniqueIfEEEPmJS6_EEE10hipError_tPvRmT3_T4_T5_T6_T7_T9_mT8_P12ihipStream_tbDpT10_ENKUlT_T0_E_clISt17integral_constantIbLb0EES1A_EEDaS15_S16_EUlS15_E_NS1_11comp_targetILNS1_3genE9ELNS1_11target_archE1100ELNS1_3gpuE3ELNS1_3repE0EEENS1_30default_config_static_selectorELNS0_4arch9wavefront6targetE1EEEvT1_.num_agpr, 0
	.set _ZN7rocprim17ROCPRIM_400000_NS6detail17trampoline_kernelINS0_14default_configENS1_25partition_config_selectorILNS1_17partition_subalgoE8EfNS0_10empty_typeEbEEZZNS1_14partition_implILS5_8ELb0ES3_jN6thrust23THRUST_200600_302600_NS6detail15normal_iteratorINSA_10device_ptrIfEEEEPS6_PKS6_NS0_5tupleIJSF_S6_EEENSJ_IJSG_SG_EEENS0_18inequality_wrapperI22is_equal_div_10_uniqueIfEEEPmJS6_EEE10hipError_tPvRmT3_T4_T5_T6_T7_T9_mT8_P12ihipStream_tbDpT10_ENKUlT_T0_E_clISt17integral_constantIbLb0EES1A_EEDaS15_S16_EUlS15_E_NS1_11comp_targetILNS1_3genE9ELNS1_11target_archE1100ELNS1_3gpuE3ELNS1_3repE0EEENS1_30default_config_static_selectorELNS0_4arch9wavefront6targetE1EEEvT1_.numbered_sgpr, 0
	.set _ZN7rocprim17ROCPRIM_400000_NS6detail17trampoline_kernelINS0_14default_configENS1_25partition_config_selectorILNS1_17partition_subalgoE8EfNS0_10empty_typeEbEEZZNS1_14partition_implILS5_8ELb0ES3_jN6thrust23THRUST_200600_302600_NS6detail15normal_iteratorINSA_10device_ptrIfEEEEPS6_PKS6_NS0_5tupleIJSF_S6_EEENSJ_IJSG_SG_EEENS0_18inequality_wrapperI22is_equal_div_10_uniqueIfEEEPmJS6_EEE10hipError_tPvRmT3_T4_T5_T6_T7_T9_mT8_P12ihipStream_tbDpT10_ENKUlT_T0_E_clISt17integral_constantIbLb0EES1A_EEDaS15_S16_EUlS15_E_NS1_11comp_targetILNS1_3genE9ELNS1_11target_archE1100ELNS1_3gpuE3ELNS1_3repE0EEENS1_30default_config_static_selectorELNS0_4arch9wavefront6targetE1EEEvT1_.num_named_barrier, 0
	.set _ZN7rocprim17ROCPRIM_400000_NS6detail17trampoline_kernelINS0_14default_configENS1_25partition_config_selectorILNS1_17partition_subalgoE8EfNS0_10empty_typeEbEEZZNS1_14partition_implILS5_8ELb0ES3_jN6thrust23THRUST_200600_302600_NS6detail15normal_iteratorINSA_10device_ptrIfEEEEPS6_PKS6_NS0_5tupleIJSF_S6_EEENSJ_IJSG_SG_EEENS0_18inequality_wrapperI22is_equal_div_10_uniqueIfEEEPmJS6_EEE10hipError_tPvRmT3_T4_T5_T6_T7_T9_mT8_P12ihipStream_tbDpT10_ENKUlT_T0_E_clISt17integral_constantIbLb0EES1A_EEDaS15_S16_EUlS15_E_NS1_11comp_targetILNS1_3genE9ELNS1_11target_archE1100ELNS1_3gpuE3ELNS1_3repE0EEENS1_30default_config_static_selectorELNS0_4arch9wavefront6targetE1EEEvT1_.private_seg_size, 0
	.set _ZN7rocprim17ROCPRIM_400000_NS6detail17trampoline_kernelINS0_14default_configENS1_25partition_config_selectorILNS1_17partition_subalgoE8EfNS0_10empty_typeEbEEZZNS1_14partition_implILS5_8ELb0ES3_jN6thrust23THRUST_200600_302600_NS6detail15normal_iteratorINSA_10device_ptrIfEEEEPS6_PKS6_NS0_5tupleIJSF_S6_EEENSJ_IJSG_SG_EEENS0_18inequality_wrapperI22is_equal_div_10_uniqueIfEEEPmJS6_EEE10hipError_tPvRmT3_T4_T5_T6_T7_T9_mT8_P12ihipStream_tbDpT10_ENKUlT_T0_E_clISt17integral_constantIbLb0EES1A_EEDaS15_S16_EUlS15_E_NS1_11comp_targetILNS1_3genE9ELNS1_11target_archE1100ELNS1_3gpuE3ELNS1_3repE0EEENS1_30default_config_static_selectorELNS0_4arch9wavefront6targetE1EEEvT1_.uses_vcc, 0
	.set _ZN7rocprim17ROCPRIM_400000_NS6detail17trampoline_kernelINS0_14default_configENS1_25partition_config_selectorILNS1_17partition_subalgoE8EfNS0_10empty_typeEbEEZZNS1_14partition_implILS5_8ELb0ES3_jN6thrust23THRUST_200600_302600_NS6detail15normal_iteratorINSA_10device_ptrIfEEEEPS6_PKS6_NS0_5tupleIJSF_S6_EEENSJ_IJSG_SG_EEENS0_18inequality_wrapperI22is_equal_div_10_uniqueIfEEEPmJS6_EEE10hipError_tPvRmT3_T4_T5_T6_T7_T9_mT8_P12ihipStream_tbDpT10_ENKUlT_T0_E_clISt17integral_constantIbLb0EES1A_EEDaS15_S16_EUlS15_E_NS1_11comp_targetILNS1_3genE9ELNS1_11target_archE1100ELNS1_3gpuE3ELNS1_3repE0EEENS1_30default_config_static_selectorELNS0_4arch9wavefront6targetE1EEEvT1_.uses_flat_scratch, 0
	.set _ZN7rocprim17ROCPRIM_400000_NS6detail17trampoline_kernelINS0_14default_configENS1_25partition_config_selectorILNS1_17partition_subalgoE8EfNS0_10empty_typeEbEEZZNS1_14partition_implILS5_8ELb0ES3_jN6thrust23THRUST_200600_302600_NS6detail15normal_iteratorINSA_10device_ptrIfEEEEPS6_PKS6_NS0_5tupleIJSF_S6_EEENSJ_IJSG_SG_EEENS0_18inequality_wrapperI22is_equal_div_10_uniqueIfEEEPmJS6_EEE10hipError_tPvRmT3_T4_T5_T6_T7_T9_mT8_P12ihipStream_tbDpT10_ENKUlT_T0_E_clISt17integral_constantIbLb0EES1A_EEDaS15_S16_EUlS15_E_NS1_11comp_targetILNS1_3genE9ELNS1_11target_archE1100ELNS1_3gpuE3ELNS1_3repE0EEENS1_30default_config_static_selectorELNS0_4arch9wavefront6targetE1EEEvT1_.has_dyn_sized_stack, 0
	.set _ZN7rocprim17ROCPRIM_400000_NS6detail17trampoline_kernelINS0_14default_configENS1_25partition_config_selectorILNS1_17partition_subalgoE8EfNS0_10empty_typeEbEEZZNS1_14partition_implILS5_8ELb0ES3_jN6thrust23THRUST_200600_302600_NS6detail15normal_iteratorINSA_10device_ptrIfEEEEPS6_PKS6_NS0_5tupleIJSF_S6_EEENSJ_IJSG_SG_EEENS0_18inequality_wrapperI22is_equal_div_10_uniqueIfEEEPmJS6_EEE10hipError_tPvRmT3_T4_T5_T6_T7_T9_mT8_P12ihipStream_tbDpT10_ENKUlT_T0_E_clISt17integral_constantIbLb0EES1A_EEDaS15_S16_EUlS15_E_NS1_11comp_targetILNS1_3genE9ELNS1_11target_archE1100ELNS1_3gpuE3ELNS1_3repE0EEENS1_30default_config_static_selectorELNS0_4arch9wavefront6targetE1EEEvT1_.has_recursion, 0
	.set _ZN7rocprim17ROCPRIM_400000_NS6detail17trampoline_kernelINS0_14default_configENS1_25partition_config_selectorILNS1_17partition_subalgoE8EfNS0_10empty_typeEbEEZZNS1_14partition_implILS5_8ELb0ES3_jN6thrust23THRUST_200600_302600_NS6detail15normal_iteratorINSA_10device_ptrIfEEEEPS6_PKS6_NS0_5tupleIJSF_S6_EEENSJ_IJSG_SG_EEENS0_18inequality_wrapperI22is_equal_div_10_uniqueIfEEEPmJS6_EEE10hipError_tPvRmT3_T4_T5_T6_T7_T9_mT8_P12ihipStream_tbDpT10_ENKUlT_T0_E_clISt17integral_constantIbLb0EES1A_EEDaS15_S16_EUlS15_E_NS1_11comp_targetILNS1_3genE9ELNS1_11target_archE1100ELNS1_3gpuE3ELNS1_3repE0EEENS1_30default_config_static_selectorELNS0_4arch9wavefront6targetE1EEEvT1_.has_indirect_call, 0
	.section	.AMDGPU.csdata,"",@progbits
; Kernel info:
; codeLenInByte = 0
; TotalNumSgprs: 4
; NumVgprs: 0
; ScratchSize: 0
; MemoryBound: 0
; FloatMode: 240
; IeeeMode: 1
; LDSByteSize: 0 bytes/workgroup (compile time only)
; SGPRBlocks: 0
; VGPRBlocks: 0
; NumSGPRsForWavesPerEU: 4
; NumVGPRsForWavesPerEU: 1
; Occupancy: 10
; WaveLimiterHint : 0
; COMPUTE_PGM_RSRC2:SCRATCH_EN: 0
; COMPUTE_PGM_RSRC2:USER_SGPR: 6
; COMPUTE_PGM_RSRC2:TRAP_HANDLER: 0
; COMPUTE_PGM_RSRC2:TGID_X_EN: 1
; COMPUTE_PGM_RSRC2:TGID_Y_EN: 0
; COMPUTE_PGM_RSRC2:TGID_Z_EN: 0
; COMPUTE_PGM_RSRC2:TIDIG_COMP_CNT: 0
	.section	.text._ZN7rocprim17ROCPRIM_400000_NS6detail17trampoline_kernelINS0_14default_configENS1_25partition_config_selectorILNS1_17partition_subalgoE8EfNS0_10empty_typeEbEEZZNS1_14partition_implILS5_8ELb0ES3_jN6thrust23THRUST_200600_302600_NS6detail15normal_iteratorINSA_10device_ptrIfEEEEPS6_PKS6_NS0_5tupleIJSF_S6_EEENSJ_IJSG_SG_EEENS0_18inequality_wrapperI22is_equal_div_10_uniqueIfEEEPmJS6_EEE10hipError_tPvRmT3_T4_T5_T6_T7_T9_mT8_P12ihipStream_tbDpT10_ENKUlT_T0_E_clISt17integral_constantIbLb0EES1A_EEDaS15_S16_EUlS15_E_NS1_11comp_targetILNS1_3genE8ELNS1_11target_archE1030ELNS1_3gpuE2ELNS1_3repE0EEENS1_30default_config_static_selectorELNS0_4arch9wavefront6targetE1EEEvT1_,"axG",@progbits,_ZN7rocprim17ROCPRIM_400000_NS6detail17trampoline_kernelINS0_14default_configENS1_25partition_config_selectorILNS1_17partition_subalgoE8EfNS0_10empty_typeEbEEZZNS1_14partition_implILS5_8ELb0ES3_jN6thrust23THRUST_200600_302600_NS6detail15normal_iteratorINSA_10device_ptrIfEEEEPS6_PKS6_NS0_5tupleIJSF_S6_EEENSJ_IJSG_SG_EEENS0_18inequality_wrapperI22is_equal_div_10_uniqueIfEEEPmJS6_EEE10hipError_tPvRmT3_T4_T5_T6_T7_T9_mT8_P12ihipStream_tbDpT10_ENKUlT_T0_E_clISt17integral_constantIbLb0EES1A_EEDaS15_S16_EUlS15_E_NS1_11comp_targetILNS1_3genE8ELNS1_11target_archE1030ELNS1_3gpuE2ELNS1_3repE0EEENS1_30default_config_static_selectorELNS0_4arch9wavefront6targetE1EEEvT1_,comdat
	.protected	_ZN7rocprim17ROCPRIM_400000_NS6detail17trampoline_kernelINS0_14default_configENS1_25partition_config_selectorILNS1_17partition_subalgoE8EfNS0_10empty_typeEbEEZZNS1_14partition_implILS5_8ELb0ES3_jN6thrust23THRUST_200600_302600_NS6detail15normal_iteratorINSA_10device_ptrIfEEEEPS6_PKS6_NS0_5tupleIJSF_S6_EEENSJ_IJSG_SG_EEENS0_18inequality_wrapperI22is_equal_div_10_uniqueIfEEEPmJS6_EEE10hipError_tPvRmT3_T4_T5_T6_T7_T9_mT8_P12ihipStream_tbDpT10_ENKUlT_T0_E_clISt17integral_constantIbLb0EES1A_EEDaS15_S16_EUlS15_E_NS1_11comp_targetILNS1_3genE8ELNS1_11target_archE1030ELNS1_3gpuE2ELNS1_3repE0EEENS1_30default_config_static_selectorELNS0_4arch9wavefront6targetE1EEEvT1_ ; -- Begin function _ZN7rocprim17ROCPRIM_400000_NS6detail17trampoline_kernelINS0_14default_configENS1_25partition_config_selectorILNS1_17partition_subalgoE8EfNS0_10empty_typeEbEEZZNS1_14partition_implILS5_8ELb0ES3_jN6thrust23THRUST_200600_302600_NS6detail15normal_iteratorINSA_10device_ptrIfEEEEPS6_PKS6_NS0_5tupleIJSF_S6_EEENSJ_IJSG_SG_EEENS0_18inequality_wrapperI22is_equal_div_10_uniqueIfEEEPmJS6_EEE10hipError_tPvRmT3_T4_T5_T6_T7_T9_mT8_P12ihipStream_tbDpT10_ENKUlT_T0_E_clISt17integral_constantIbLb0EES1A_EEDaS15_S16_EUlS15_E_NS1_11comp_targetILNS1_3genE8ELNS1_11target_archE1030ELNS1_3gpuE2ELNS1_3repE0EEENS1_30default_config_static_selectorELNS0_4arch9wavefront6targetE1EEEvT1_
	.globl	_ZN7rocprim17ROCPRIM_400000_NS6detail17trampoline_kernelINS0_14default_configENS1_25partition_config_selectorILNS1_17partition_subalgoE8EfNS0_10empty_typeEbEEZZNS1_14partition_implILS5_8ELb0ES3_jN6thrust23THRUST_200600_302600_NS6detail15normal_iteratorINSA_10device_ptrIfEEEEPS6_PKS6_NS0_5tupleIJSF_S6_EEENSJ_IJSG_SG_EEENS0_18inequality_wrapperI22is_equal_div_10_uniqueIfEEEPmJS6_EEE10hipError_tPvRmT3_T4_T5_T6_T7_T9_mT8_P12ihipStream_tbDpT10_ENKUlT_T0_E_clISt17integral_constantIbLb0EES1A_EEDaS15_S16_EUlS15_E_NS1_11comp_targetILNS1_3genE8ELNS1_11target_archE1030ELNS1_3gpuE2ELNS1_3repE0EEENS1_30default_config_static_selectorELNS0_4arch9wavefront6targetE1EEEvT1_
	.p2align	8
	.type	_ZN7rocprim17ROCPRIM_400000_NS6detail17trampoline_kernelINS0_14default_configENS1_25partition_config_selectorILNS1_17partition_subalgoE8EfNS0_10empty_typeEbEEZZNS1_14partition_implILS5_8ELb0ES3_jN6thrust23THRUST_200600_302600_NS6detail15normal_iteratorINSA_10device_ptrIfEEEEPS6_PKS6_NS0_5tupleIJSF_S6_EEENSJ_IJSG_SG_EEENS0_18inequality_wrapperI22is_equal_div_10_uniqueIfEEEPmJS6_EEE10hipError_tPvRmT3_T4_T5_T6_T7_T9_mT8_P12ihipStream_tbDpT10_ENKUlT_T0_E_clISt17integral_constantIbLb0EES1A_EEDaS15_S16_EUlS15_E_NS1_11comp_targetILNS1_3genE8ELNS1_11target_archE1030ELNS1_3gpuE2ELNS1_3repE0EEENS1_30default_config_static_selectorELNS0_4arch9wavefront6targetE1EEEvT1_,@function
_ZN7rocprim17ROCPRIM_400000_NS6detail17trampoline_kernelINS0_14default_configENS1_25partition_config_selectorILNS1_17partition_subalgoE8EfNS0_10empty_typeEbEEZZNS1_14partition_implILS5_8ELb0ES3_jN6thrust23THRUST_200600_302600_NS6detail15normal_iteratorINSA_10device_ptrIfEEEEPS6_PKS6_NS0_5tupleIJSF_S6_EEENSJ_IJSG_SG_EEENS0_18inequality_wrapperI22is_equal_div_10_uniqueIfEEEPmJS6_EEE10hipError_tPvRmT3_T4_T5_T6_T7_T9_mT8_P12ihipStream_tbDpT10_ENKUlT_T0_E_clISt17integral_constantIbLb0EES1A_EEDaS15_S16_EUlS15_E_NS1_11comp_targetILNS1_3genE8ELNS1_11target_archE1030ELNS1_3gpuE2ELNS1_3repE0EEENS1_30default_config_static_selectorELNS0_4arch9wavefront6targetE1EEEvT1_: ; @_ZN7rocprim17ROCPRIM_400000_NS6detail17trampoline_kernelINS0_14default_configENS1_25partition_config_selectorILNS1_17partition_subalgoE8EfNS0_10empty_typeEbEEZZNS1_14partition_implILS5_8ELb0ES3_jN6thrust23THRUST_200600_302600_NS6detail15normal_iteratorINSA_10device_ptrIfEEEEPS6_PKS6_NS0_5tupleIJSF_S6_EEENSJ_IJSG_SG_EEENS0_18inequality_wrapperI22is_equal_div_10_uniqueIfEEEPmJS6_EEE10hipError_tPvRmT3_T4_T5_T6_T7_T9_mT8_P12ihipStream_tbDpT10_ENKUlT_T0_E_clISt17integral_constantIbLb0EES1A_EEDaS15_S16_EUlS15_E_NS1_11comp_targetILNS1_3genE8ELNS1_11target_archE1030ELNS1_3gpuE2ELNS1_3repE0EEENS1_30default_config_static_selectorELNS0_4arch9wavefront6targetE1EEEvT1_
; %bb.0:
	.section	.rodata,"a",@progbits
	.p2align	6, 0x0
	.amdhsa_kernel _ZN7rocprim17ROCPRIM_400000_NS6detail17trampoline_kernelINS0_14default_configENS1_25partition_config_selectorILNS1_17partition_subalgoE8EfNS0_10empty_typeEbEEZZNS1_14partition_implILS5_8ELb0ES3_jN6thrust23THRUST_200600_302600_NS6detail15normal_iteratorINSA_10device_ptrIfEEEEPS6_PKS6_NS0_5tupleIJSF_S6_EEENSJ_IJSG_SG_EEENS0_18inequality_wrapperI22is_equal_div_10_uniqueIfEEEPmJS6_EEE10hipError_tPvRmT3_T4_T5_T6_T7_T9_mT8_P12ihipStream_tbDpT10_ENKUlT_T0_E_clISt17integral_constantIbLb0EES1A_EEDaS15_S16_EUlS15_E_NS1_11comp_targetILNS1_3genE8ELNS1_11target_archE1030ELNS1_3gpuE2ELNS1_3repE0EEENS1_30default_config_static_selectorELNS0_4arch9wavefront6targetE1EEEvT1_
		.amdhsa_group_segment_fixed_size 0
		.amdhsa_private_segment_fixed_size 0
		.amdhsa_kernarg_size 112
		.amdhsa_user_sgpr_count 6
		.amdhsa_user_sgpr_private_segment_buffer 1
		.amdhsa_user_sgpr_dispatch_ptr 0
		.amdhsa_user_sgpr_queue_ptr 0
		.amdhsa_user_sgpr_kernarg_segment_ptr 1
		.amdhsa_user_sgpr_dispatch_id 0
		.amdhsa_user_sgpr_flat_scratch_init 0
		.amdhsa_user_sgpr_private_segment_size 0
		.amdhsa_uses_dynamic_stack 0
		.amdhsa_system_sgpr_private_segment_wavefront_offset 0
		.amdhsa_system_sgpr_workgroup_id_x 1
		.amdhsa_system_sgpr_workgroup_id_y 0
		.amdhsa_system_sgpr_workgroup_id_z 0
		.amdhsa_system_sgpr_workgroup_info 0
		.amdhsa_system_vgpr_workitem_id 0
		.amdhsa_next_free_vgpr 1
		.amdhsa_next_free_sgpr 0
		.amdhsa_reserve_vcc 0
		.amdhsa_reserve_flat_scratch 0
		.amdhsa_float_round_mode_32 0
		.amdhsa_float_round_mode_16_64 0
		.amdhsa_float_denorm_mode_32 3
		.amdhsa_float_denorm_mode_16_64 3
		.amdhsa_dx10_clamp 1
		.amdhsa_ieee_mode 1
		.amdhsa_fp16_overflow 0
		.amdhsa_exception_fp_ieee_invalid_op 0
		.amdhsa_exception_fp_denorm_src 0
		.amdhsa_exception_fp_ieee_div_zero 0
		.amdhsa_exception_fp_ieee_overflow 0
		.amdhsa_exception_fp_ieee_underflow 0
		.amdhsa_exception_fp_ieee_inexact 0
		.amdhsa_exception_int_div_zero 0
	.end_amdhsa_kernel
	.section	.text._ZN7rocprim17ROCPRIM_400000_NS6detail17trampoline_kernelINS0_14default_configENS1_25partition_config_selectorILNS1_17partition_subalgoE8EfNS0_10empty_typeEbEEZZNS1_14partition_implILS5_8ELb0ES3_jN6thrust23THRUST_200600_302600_NS6detail15normal_iteratorINSA_10device_ptrIfEEEEPS6_PKS6_NS0_5tupleIJSF_S6_EEENSJ_IJSG_SG_EEENS0_18inequality_wrapperI22is_equal_div_10_uniqueIfEEEPmJS6_EEE10hipError_tPvRmT3_T4_T5_T6_T7_T9_mT8_P12ihipStream_tbDpT10_ENKUlT_T0_E_clISt17integral_constantIbLb0EES1A_EEDaS15_S16_EUlS15_E_NS1_11comp_targetILNS1_3genE8ELNS1_11target_archE1030ELNS1_3gpuE2ELNS1_3repE0EEENS1_30default_config_static_selectorELNS0_4arch9wavefront6targetE1EEEvT1_,"axG",@progbits,_ZN7rocprim17ROCPRIM_400000_NS6detail17trampoline_kernelINS0_14default_configENS1_25partition_config_selectorILNS1_17partition_subalgoE8EfNS0_10empty_typeEbEEZZNS1_14partition_implILS5_8ELb0ES3_jN6thrust23THRUST_200600_302600_NS6detail15normal_iteratorINSA_10device_ptrIfEEEEPS6_PKS6_NS0_5tupleIJSF_S6_EEENSJ_IJSG_SG_EEENS0_18inequality_wrapperI22is_equal_div_10_uniqueIfEEEPmJS6_EEE10hipError_tPvRmT3_T4_T5_T6_T7_T9_mT8_P12ihipStream_tbDpT10_ENKUlT_T0_E_clISt17integral_constantIbLb0EES1A_EEDaS15_S16_EUlS15_E_NS1_11comp_targetILNS1_3genE8ELNS1_11target_archE1030ELNS1_3gpuE2ELNS1_3repE0EEENS1_30default_config_static_selectorELNS0_4arch9wavefront6targetE1EEEvT1_,comdat
.Lfunc_end119:
	.size	_ZN7rocprim17ROCPRIM_400000_NS6detail17trampoline_kernelINS0_14default_configENS1_25partition_config_selectorILNS1_17partition_subalgoE8EfNS0_10empty_typeEbEEZZNS1_14partition_implILS5_8ELb0ES3_jN6thrust23THRUST_200600_302600_NS6detail15normal_iteratorINSA_10device_ptrIfEEEEPS6_PKS6_NS0_5tupleIJSF_S6_EEENSJ_IJSG_SG_EEENS0_18inequality_wrapperI22is_equal_div_10_uniqueIfEEEPmJS6_EEE10hipError_tPvRmT3_T4_T5_T6_T7_T9_mT8_P12ihipStream_tbDpT10_ENKUlT_T0_E_clISt17integral_constantIbLb0EES1A_EEDaS15_S16_EUlS15_E_NS1_11comp_targetILNS1_3genE8ELNS1_11target_archE1030ELNS1_3gpuE2ELNS1_3repE0EEENS1_30default_config_static_selectorELNS0_4arch9wavefront6targetE1EEEvT1_, .Lfunc_end119-_ZN7rocprim17ROCPRIM_400000_NS6detail17trampoline_kernelINS0_14default_configENS1_25partition_config_selectorILNS1_17partition_subalgoE8EfNS0_10empty_typeEbEEZZNS1_14partition_implILS5_8ELb0ES3_jN6thrust23THRUST_200600_302600_NS6detail15normal_iteratorINSA_10device_ptrIfEEEEPS6_PKS6_NS0_5tupleIJSF_S6_EEENSJ_IJSG_SG_EEENS0_18inequality_wrapperI22is_equal_div_10_uniqueIfEEEPmJS6_EEE10hipError_tPvRmT3_T4_T5_T6_T7_T9_mT8_P12ihipStream_tbDpT10_ENKUlT_T0_E_clISt17integral_constantIbLb0EES1A_EEDaS15_S16_EUlS15_E_NS1_11comp_targetILNS1_3genE8ELNS1_11target_archE1030ELNS1_3gpuE2ELNS1_3repE0EEENS1_30default_config_static_selectorELNS0_4arch9wavefront6targetE1EEEvT1_
                                        ; -- End function
	.set _ZN7rocprim17ROCPRIM_400000_NS6detail17trampoline_kernelINS0_14default_configENS1_25partition_config_selectorILNS1_17partition_subalgoE8EfNS0_10empty_typeEbEEZZNS1_14partition_implILS5_8ELb0ES3_jN6thrust23THRUST_200600_302600_NS6detail15normal_iteratorINSA_10device_ptrIfEEEEPS6_PKS6_NS0_5tupleIJSF_S6_EEENSJ_IJSG_SG_EEENS0_18inequality_wrapperI22is_equal_div_10_uniqueIfEEEPmJS6_EEE10hipError_tPvRmT3_T4_T5_T6_T7_T9_mT8_P12ihipStream_tbDpT10_ENKUlT_T0_E_clISt17integral_constantIbLb0EES1A_EEDaS15_S16_EUlS15_E_NS1_11comp_targetILNS1_3genE8ELNS1_11target_archE1030ELNS1_3gpuE2ELNS1_3repE0EEENS1_30default_config_static_selectorELNS0_4arch9wavefront6targetE1EEEvT1_.num_vgpr, 0
	.set _ZN7rocprim17ROCPRIM_400000_NS6detail17trampoline_kernelINS0_14default_configENS1_25partition_config_selectorILNS1_17partition_subalgoE8EfNS0_10empty_typeEbEEZZNS1_14partition_implILS5_8ELb0ES3_jN6thrust23THRUST_200600_302600_NS6detail15normal_iteratorINSA_10device_ptrIfEEEEPS6_PKS6_NS0_5tupleIJSF_S6_EEENSJ_IJSG_SG_EEENS0_18inequality_wrapperI22is_equal_div_10_uniqueIfEEEPmJS6_EEE10hipError_tPvRmT3_T4_T5_T6_T7_T9_mT8_P12ihipStream_tbDpT10_ENKUlT_T0_E_clISt17integral_constantIbLb0EES1A_EEDaS15_S16_EUlS15_E_NS1_11comp_targetILNS1_3genE8ELNS1_11target_archE1030ELNS1_3gpuE2ELNS1_3repE0EEENS1_30default_config_static_selectorELNS0_4arch9wavefront6targetE1EEEvT1_.num_agpr, 0
	.set _ZN7rocprim17ROCPRIM_400000_NS6detail17trampoline_kernelINS0_14default_configENS1_25partition_config_selectorILNS1_17partition_subalgoE8EfNS0_10empty_typeEbEEZZNS1_14partition_implILS5_8ELb0ES3_jN6thrust23THRUST_200600_302600_NS6detail15normal_iteratorINSA_10device_ptrIfEEEEPS6_PKS6_NS0_5tupleIJSF_S6_EEENSJ_IJSG_SG_EEENS0_18inequality_wrapperI22is_equal_div_10_uniqueIfEEEPmJS6_EEE10hipError_tPvRmT3_T4_T5_T6_T7_T9_mT8_P12ihipStream_tbDpT10_ENKUlT_T0_E_clISt17integral_constantIbLb0EES1A_EEDaS15_S16_EUlS15_E_NS1_11comp_targetILNS1_3genE8ELNS1_11target_archE1030ELNS1_3gpuE2ELNS1_3repE0EEENS1_30default_config_static_selectorELNS0_4arch9wavefront6targetE1EEEvT1_.numbered_sgpr, 0
	.set _ZN7rocprim17ROCPRIM_400000_NS6detail17trampoline_kernelINS0_14default_configENS1_25partition_config_selectorILNS1_17partition_subalgoE8EfNS0_10empty_typeEbEEZZNS1_14partition_implILS5_8ELb0ES3_jN6thrust23THRUST_200600_302600_NS6detail15normal_iteratorINSA_10device_ptrIfEEEEPS6_PKS6_NS0_5tupleIJSF_S6_EEENSJ_IJSG_SG_EEENS0_18inequality_wrapperI22is_equal_div_10_uniqueIfEEEPmJS6_EEE10hipError_tPvRmT3_T4_T5_T6_T7_T9_mT8_P12ihipStream_tbDpT10_ENKUlT_T0_E_clISt17integral_constantIbLb0EES1A_EEDaS15_S16_EUlS15_E_NS1_11comp_targetILNS1_3genE8ELNS1_11target_archE1030ELNS1_3gpuE2ELNS1_3repE0EEENS1_30default_config_static_selectorELNS0_4arch9wavefront6targetE1EEEvT1_.num_named_barrier, 0
	.set _ZN7rocprim17ROCPRIM_400000_NS6detail17trampoline_kernelINS0_14default_configENS1_25partition_config_selectorILNS1_17partition_subalgoE8EfNS0_10empty_typeEbEEZZNS1_14partition_implILS5_8ELb0ES3_jN6thrust23THRUST_200600_302600_NS6detail15normal_iteratorINSA_10device_ptrIfEEEEPS6_PKS6_NS0_5tupleIJSF_S6_EEENSJ_IJSG_SG_EEENS0_18inequality_wrapperI22is_equal_div_10_uniqueIfEEEPmJS6_EEE10hipError_tPvRmT3_T4_T5_T6_T7_T9_mT8_P12ihipStream_tbDpT10_ENKUlT_T0_E_clISt17integral_constantIbLb0EES1A_EEDaS15_S16_EUlS15_E_NS1_11comp_targetILNS1_3genE8ELNS1_11target_archE1030ELNS1_3gpuE2ELNS1_3repE0EEENS1_30default_config_static_selectorELNS0_4arch9wavefront6targetE1EEEvT1_.private_seg_size, 0
	.set _ZN7rocprim17ROCPRIM_400000_NS6detail17trampoline_kernelINS0_14default_configENS1_25partition_config_selectorILNS1_17partition_subalgoE8EfNS0_10empty_typeEbEEZZNS1_14partition_implILS5_8ELb0ES3_jN6thrust23THRUST_200600_302600_NS6detail15normal_iteratorINSA_10device_ptrIfEEEEPS6_PKS6_NS0_5tupleIJSF_S6_EEENSJ_IJSG_SG_EEENS0_18inequality_wrapperI22is_equal_div_10_uniqueIfEEEPmJS6_EEE10hipError_tPvRmT3_T4_T5_T6_T7_T9_mT8_P12ihipStream_tbDpT10_ENKUlT_T0_E_clISt17integral_constantIbLb0EES1A_EEDaS15_S16_EUlS15_E_NS1_11comp_targetILNS1_3genE8ELNS1_11target_archE1030ELNS1_3gpuE2ELNS1_3repE0EEENS1_30default_config_static_selectorELNS0_4arch9wavefront6targetE1EEEvT1_.uses_vcc, 0
	.set _ZN7rocprim17ROCPRIM_400000_NS6detail17trampoline_kernelINS0_14default_configENS1_25partition_config_selectorILNS1_17partition_subalgoE8EfNS0_10empty_typeEbEEZZNS1_14partition_implILS5_8ELb0ES3_jN6thrust23THRUST_200600_302600_NS6detail15normal_iteratorINSA_10device_ptrIfEEEEPS6_PKS6_NS0_5tupleIJSF_S6_EEENSJ_IJSG_SG_EEENS0_18inequality_wrapperI22is_equal_div_10_uniqueIfEEEPmJS6_EEE10hipError_tPvRmT3_T4_T5_T6_T7_T9_mT8_P12ihipStream_tbDpT10_ENKUlT_T0_E_clISt17integral_constantIbLb0EES1A_EEDaS15_S16_EUlS15_E_NS1_11comp_targetILNS1_3genE8ELNS1_11target_archE1030ELNS1_3gpuE2ELNS1_3repE0EEENS1_30default_config_static_selectorELNS0_4arch9wavefront6targetE1EEEvT1_.uses_flat_scratch, 0
	.set _ZN7rocprim17ROCPRIM_400000_NS6detail17trampoline_kernelINS0_14default_configENS1_25partition_config_selectorILNS1_17partition_subalgoE8EfNS0_10empty_typeEbEEZZNS1_14partition_implILS5_8ELb0ES3_jN6thrust23THRUST_200600_302600_NS6detail15normal_iteratorINSA_10device_ptrIfEEEEPS6_PKS6_NS0_5tupleIJSF_S6_EEENSJ_IJSG_SG_EEENS0_18inequality_wrapperI22is_equal_div_10_uniqueIfEEEPmJS6_EEE10hipError_tPvRmT3_T4_T5_T6_T7_T9_mT8_P12ihipStream_tbDpT10_ENKUlT_T0_E_clISt17integral_constantIbLb0EES1A_EEDaS15_S16_EUlS15_E_NS1_11comp_targetILNS1_3genE8ELNS1_11target_archE1030ELNS1_3gpuE2ELNS1_3repE0EEENS1_30default_config_static_selectorELNS0_4arch9wavefront6targetE1EEEvT1_.has_dyn_sized_stack, 0
	.set _ZN7rocprim17ROCPRIM_400000_NS6detail17trampoline_kernelINS0_14default_configENS1_25partition_config_selectorILNS1_17partition_subalgoE8EfNS0_10empty_typeEbEEZZNS1_14partition_implILS5_8ELb0ES3_jN6thrust23THRUST_200600_302600_NS6detail15normal_iteratorINSA_10device_ptrIfEEEEPS6_PKS6_NS0_5tupleIJSF_S6_EEENSJ_IJSG_SG_EEENS0_18inequality_wrapperI22is_equal_div_10_uniqueIfEEEPmJS6_EEE10hipError_tPvRmT3_T4_T5_T6_T7_T9_mT8_P12ihipStream_tbDpT10_ENKUlT_T0_E_clISt17integral_constantIbLb0EES1A_EEDaS15_S16_EUlS15_E_NS1_11comp_targetILNS1_3genE8ELNS1_11target_archE1030ELNS1_3gpuE2ELNS1_3repE0EEENS1_30default_config_static_selectorELNS0_4arch9wavefront6targetE1EEEvT1_.has_recursion, 0
	.set _ZN7rocprim17ROCPRIM_400000_NS6detail17trampoline_kernelINS0_14default_configENS1_25partition_config_selectorILNS1_17partition_subalgoE8EfNS0_10empty_typeEbEEZZNS1_14partition_implILS5_8ELb0ES3_jN6thrust23THRUST_200600_302600_NS6detail15normal_iteratorINSA_10device_ptrIfEEEEPS6_PKS6_NS0_5tupleIJSF_S6_EEENSJ_IJSG_SG_EEENS0_18inequality_wrapperI22is_equal_div_10_uniqueIfEEEPmJS6_EEE10hipError_tPvRmT3_T4_T5_T6_T7_T9_mT8_P12ihipStream_tbDpT10_ENKUlT_T0_E_clISt17integral_constantIbLb0EES1A_EEDaS15_S16_EUlS15_E_NS1_11comp_targetILNS1_3genE8ELNS1_11target_archE1030ELNS1_3gpuE2ELNS1_3repE0EEENS1_30default_config_static_selectorELNS0_4arch9wavefront6targetE1EEEvT1_.has_indirect_call, 0
	.section	.AMDGPU.csdata,"",@progbits
; Kernel info:
; codeLenInByte = 0
; TotalNumSgprs: 4
; NumVgprs: 0
; ScratchSize: 0
; MemoryBound: 0
; FloatMode: 240
; IeeeMode: 1
; LDSByteSize: 0 bytes/workgroup (compile time only)
; SGPRBlocks: 0
; VGPRBlocks: 0
; NumSGPRsForWavesPerEU: 4
; NumVGPRsForWavesPerEU: 1
; Occupancy: 10
; WaveLimiterHint : 0
; COMPUTE_PGM_RSRC2:SCRATCH_EN: 0
; COMPUTE_PGM_RSRC2:USER_SGPR: 6
; COMPUTE_PGM_RSRC2:TRAP_HANDLER: 0
; COMPUTE_PGM_RSRC2:TGID_X_EN: 1
; COMPUTE_PGM_RSRC2:TGID_Y_EN: 0
; COMPUTE_PGM_RSRC2:TGID_Z_EN: 0
; COMPUTE_PGM_RSRC2:TIDIG_COMP_CNT: 0
	.section	.text._ZN7rocprim17ROCPRIM_400000_NS6detail17trampoline_kernelINS0_14default_configENS1_25partition_config_selectorILNS1_17partition_subalgoE8EfNS0_10empty_typeEbEEZZNS1_14partition_implILS5_8ELb0ES3_jN6thrust23THRUST_200600_302600_NS6detail15normal_iteratorINSA_10device_ptrIfEEEEPS6_PKS6_NS0_5tupleIJSF_S6_EEENSJ_IJSG_SG_EEENS0_18inequality_wrapperI22is_equal_div_10_uniqueIfEEEPmJS6_EEE10hipError_tPvRmT3_T4_T5_T6_T7_T9_mT8_P12ihipStream_tbDpT10_ENKUlT_T0_E_clISt17integral_constantIbLb1EES1A_EEDaS15_S16_EUlS15_E_NS1_11comp_targetILNS1_3genE0ELNS1_11target_archE4294967295ELNS1_3gpuE0ELNS1_3repE0EEENS1_30default_config_static_selectorELNS0_4arch9wavefront6targetE1EEEvT1_,"axG",@progbits,_ZN7rocprim17ROCPRIM_400000_NS6detail17trampoline_kernelINS0_14default_configENS1_25partition_config_selectorILNS1_17partition_subalgoE8EfNS0_10empty_typeEbEEZZNS1_14partition_implILS5_8ELb0ES3_jN6thrust23THRUST_200600_302600_NS6detail15normal_iteratorINSA_10device_ptrIfEEEEPS6_PKS6_NS0_5tupleIJSF_S6_EEENSJ_IJSG_SG_EEENS0_18inequality_wrapperI22is_equal_div_10_uniqueIfEEEPmJS6_EEE10hipError_tPvRmT3_T4_T5_T6_T7_T9_mT8_P12ihipStream_tbDpT10_ENKUlT_T0_E_clISt17integral_constantIbLb1EES1A_EEDaS15_S16_EUlS15_E_NS1_11comp_targetILNS1_3genE0ELNS1_11target_archE4294967295ELNS1_3gpuE0ELNS1_3repE0EEENS1_30default_config_static_selectorELNS0_4arch9wavefront6targetE1EEEvT1_,comdat
	.protected	_ZN7rocprim17ROCPRIM_400000_NS6detail17trampoline_kernelINS0_14default_configENS1_25partition_config_selectorILNS1_17partition_subalgoE8EfNS0_10empty_typeEbEEZZNS1_14partition_implILS5_8ELb0ES3_jN6thrust23THRUST_200600_302600_NS6detail15normal_iteratorINSA_10device_ptrIfEEEEPS6_PKS6_NS0_5tupleIJSF_S6_EEENSJ_IJSG_SG_EEENS0_18inequality_wrapperI22is_equal_div_10_uniqueIfEEEPmJS6_EEE10hipError_tPvRmT3_T4_T5_T6_T7_T9_mT8_P12ihipStream_tbDpT10_ENKUlT_T0_E_clISt17integral_constantIbLb1EES1A_EEDaS15_S16_EUlS15_E_NS1_11comp_targetILNS1_3genE0ELNS1_11target_archE4294967295ELNS1_3gpuE0ELNS1_3repE0EEENS1_30default_config_static_selectorELNS0_4arch9wavefront6targetE1EEEvT1_ ; -- Begin function _ZN7rocprim17ROCPRIM_400000_NS6detail17trampoline_kernelINS0_14default_configENS1_25partition_config_selectorILNS1_17partition_subalgoE8EfNS0_10empty_typeEbEEZZNS1_14partition_implILS5_8ELb0ES3_jN6thrust23THRUST_200600_302600_NS6detail15normal_iteratorINSA_10device_ptrIfEEEEPS6_PKS6_NS0_5tupleIJSF_S6_EEENSJ_IJSG_SG_EEENS0_18inequality_wrapperI22is_equal_div_10_uniqueIfEEEPmJS6_EEE10hipError_tPvRmT3_T4_T5_T6_T7_T9_mT8_P12ihipStream_tbDpT10_ENKUlT_T0_E_clISt17integral_constantIbLb1EES1A_EEDaS15_S16_EUlS15_E_NS1_11comp_targetILNS1_3genE0ELNS1_11target_archE4294967295ELNS1_3gpuE0ELNS1_3repE0EEENS1_30default_config_static_selectorELNS0_4arch9wavefront6targetE1EEEvT1_
	.globl	_ZN7rocprim17ROCPRIM_400000_NS6detail17trampoline_kernelINS0_14default_configENS1_25partition_config_selectorILNS1_17partition_subalgoE8EfNS0_10empty_typeEbEEZZNS1_14partition_implILS5_8ELb0ES3_jN6thrust23THRUST_200600_302600_NS6detail15normal_iteratorINSA_10device_ptrIfEEEEPS6_PKS6_NS0_5tupleIJSF_S6_EEENSJ_IJSG_SG_EEENS0_18inequality_wrapperI22is_equal_div_10_uniqueIfEEEPmJS6_EEE10hipError_tPvRmT3_T4_T5_T6_T7_T9_mT8_P12ihipStream_tbDpT10_ENKUlT_T0_E_clISt17integral_constantIbLb1EES1A_EEDaS15_S16_EUlS15_E_NS1_11comp_targetILNS1_3genE0ELNS1_11target_archE4294967295ELNS1_3gpuE0ELNS1_3repE0EEENS1_30default_config_static_selectorELNS0_4arch9wavefront6targetE1EEEvT1_
	.p2align	8
	.type	_ZN7rocprim17ROCPRIM_400000_NS6detail17trampoline_kernelINS0_14default_configENS1_25partition_config_selectorILNS1_17partition_subalgoE8EfNS0_10empty_typeEbEEZZNS1_14partition_implILS5_8ELb0ES3_jN6thrust23THRUST_200600_302600_NS6detail15normal_iteratorINSA_10device_ptrIfEEEEPS6_PKS6_NS0_5tupleIJSF_S6_EEENSJ_IJSG_SG_EEENS0_18inequality_wrapperI22is_equal_div_10_uniqueIfEEEPmJS6_EEE10hipError_tPvRmT3_T4_T5_T6_T7_T9_mT8_P12ihipStream_tbDpT10_ENKUlT_T0_E_clISt17integral_constantIbLb1EES1A_EEDaS15_S16_EUlS15_E_NS1_11comp_targetILNS1_3genE0ELNS1_11target_archE4294967295ELNS1_3gpuE0ELNS1_3repE0EEENS1_30default_config_static_selectorELNS0_4arch9wavefront6targetE1EEEvT1_,@function
_ZN7rocprim17ROCPRIM_400000_NS6detail17trampoline_kernelINS0_14default_configENS1_25partition_config_selectorILNS1_17partition_subalgoE8EfNS0_10empty_typeEbEEZZNS1_14partition_implILS5_8ELb0ES3_jN6thrust23THRUST_200600_302600_NS6detail15normal_iteratorINSA_10device_ptrIfEEEEPS6_PKS6_NS0_5tupleIJSF_S6_EEENSJ_IJSG_SG_EEENS0_18inequality_wrapperI22is_equal_div_10_uniqueIfEEEPmJS6_EEE10hipError_tPvRmT3_T4_T5_T6_T7_T9_mT8_P12ihipStream_tbDpT10_ENKUlT_T0_E_clISt17integral_constantIbLb1EES1A_EEDaS15_S16_EUlS15_E_NS1_11comp_targetILNS1_3genE0ELNS1_11target_archE4294967295ELNS1_3gpuE0ELNS1_3repE0EEENS1_30default_config_static_selectorELNS0_4arch9wavefront6targetE1EEEvT1_: ; @_ZN7rocprim17ROCPRIM_400000_NS6detail17trampoline_kernelINS0_14default_configENS1_25partition_config_selectorILNS1_17partition_subalgoE8EfNS0_10empty_typeEbEEZZNS1_14partition_implILS5_8ELb0ES3_jN6thrust23THRUST_200600_302600_NS6detail15normal_iteratorINSA_10device_ptrIfEEEEPS6_PKS6_NS0_5tupleIJSF_S6_EEENSJ_IJSG_SG_EEENS0_18inequality_wrapperI22is_equal_div_10_uniqueIfEEEPmJS6_EEE10hipError_tPvRmT3_T4_T5_T6_T7_T9_mT8_P12ihipStream_tbDpT10_ENKUlT_T0_E_clISt17integral_constantIbLb1EES1A_EEDaS15_S16_EUlS15_E_NS1_11comp_targetILNS1_3genE0ELNS1_11target_archE4294967295ELNS1_3gpuE0ELNS1_3repE0EEENS1_30default_config_static_selectorELNS0_4arch9wavefront6targetE1EEEvT1_
; %bb.0:
	.section	.rodata,"a",@progbits
	.p2align	6, 0x0
	.amdhsa_kernel _ZN7rocprim17ROCPRIM_400000_NS6detail17trampoline_kernelINS0_14default_configENS1_25partition_config_selectorILNS1_17partition_subalgoE8EfNS0_10empty_typeEbEEZZNS1_14partition_implILS5_8ELb0ES3_jN6thrust23THRUST_200600_302600_NS6detail15normal_iteratorINSA_10device_ptrIfEEEEPS6_PKS6_NS0_5tupleIJSF_S6_EEENSJ_IJSG_SG_EEENS0_18inequality_wrapperI22is_equal_div_10_uniqueIfEEEPmJS6_EEE10hipError_tPvRmT3_T4_T5_T6_T7_T9_mT8_P12ihipStream_tbDpT10_ENKUlT_T0_E_clISt17integral_constantIbLb1EES1A_EEDaS15_S16_EUlS15_E_NS1_11comp_targetILNS1_3genE0ELNS1_11target_archE4294967295ELNS1_3gpuE0ELNS1_3repE0EEENS1_30default_config_static_selectorELNS0_4arch9wavefront6targetE1EEEvT1_
		.amdhsa_group_segment_fixed_size 0
		.amdhsa_private_segment_fixed_size 0
		.amdhsa_kernarg_size 128
		.amdhsa_user_sgpr_count 6
		.amdhsa_user_sgpr_private_segment_buffer 1
		.amdhsa_user_sgpr_dispatch_ptr 0
		.amdhsa_user_sgpr_queue_ptr 0
		.amdhsa_user_sgpr_kernarg_segment_ptr 1
		.amdhsa_user_sgpr_dispatch_id 0
		.amdhsa_user_sgpr_flat_scratch_init 0
		.amdhsa_user_sgpr_private_segment_size 0
		.amdhsa_uses_dynamic_stack 0
		.amdhsa_system_sgpr_private_segment_wavefront_offset 0
		.amdhsa_system_sgpr_workgroup_id_x 1
		.amdhsa_system_sgpr_workgroup_id_y 0
		.amdhsa_system_sgpr_workgroup_id_z 0
		.amdhsa_system_sgpr_workgroup_info 0
		.amdhsa_system_vgpr_workitem_id 0
		.amdhsa_next_free_vgpr 1
		.amdhsa_next_free_sgpr 0
		.amdhsa_reserve_vcc 0
		.amdhsa_reserve_flat_scratch 0
		.amdhsa_float_round_mode_32 0
		.amdhsa_float_round_mode_16_64 0
		.amdhsa_float_denorm_mode_32 3
		.amdhsa_float_denorm_mode_16_64 3
		.amdhsa_dx10_clamp 1
		.amdhsa_ieee_mode 1
		.amdhsa_fp16_overflow 0
		.amdhsa_exception_fp_ieee_invalid_op 0
		.amdhsa_exception_fp_denorm_src 0
		.amdhsa_exception_fp_ieee_div_zero 0
		.amdhsa_exception_fp_ieee_overflow 0
		.amdhsa_exception_fp_ieee_underflow 0
		.amdhsa_exception_fp_ieee_inexact 0
		.amdhsa_exception_int_div_zero 0
	.end_amdhsa_kernel
	.section	.text._ZN7rocprim17ROCPRIM_400000_NS6detail17trampoline_kernelINS0_14default_configENS1_25partition_config_selectorILNS1_17partition_subalgoE8EfNS0_10empty_typeEbEEZZNS1_14partition_implILS5_8ELb0ES3_jN6thrust23THRUST_200600_302600_NS6detail15normal_iteratorINSA_10device_ptrIfEEEEPS6_PKS6_NS0_5tupleIJSF_S6_EEENSJ_IJSG_SG_EEENS0_18inequality_wrapperI22is_equal_div_10_uniqueIfEEEPmJS6_EEE10hipError_tPvRmT3_T4_T5_T6_T7_T9_mT8_P12ihipStream_tbDpT10_ENKUlT_T0_E_clISt17integral_constantIbLb1EES1A_EEDaS15_S16_EUlS15_E_NS1_11comp_targetILNS1_3genE0ELNS1_11target_archE4294967295ELNS1_3gpuE0ELNS1_3repE0EEENS1_30default_config_static_selectorELNS0_4arch9wavefront6targetE1EEEvT1_,"axG",@progbits,_ZN7rocprim17ROCPRIM_400000_NS6detail17trampoline_kernelINS0_14default_configENS1_25partition_config_selectorILNS1_17partition_subalgoE8EfNS0_10empty_typeEbEEZZNS1_14partition_implILS5_8ELb0ES3_jN6thrust23THRUST_200600_302600_NS6detail15normal_iteratorINSA_10device_ptrIfEEEEPS6_PKS6_NS0_5tupleIJSF_S6_EEENSJ_IJSG_SG_EEENS0_18inequality_wrapperI22is_equal_div_10_uniqueIfEEEPmJS6_EEE10hipError_tPvRmT3_T4_T5_T6_T7_T9_mT8_P12ihipStream_tbDpT10_ENKUlT_T0_E_clISt17integral_constantIbLb1EES1A_EEDaS15_S16_EUlS15_E_NS1_11comp_targetILNS1_3genE0ELNS1_11target_archE4294967295ELNS1_3gpuE0ELNS1_3repE0EEENS1_30default_config_static_selectorELNS0_4arch9wavefront6targetE1EEEvT1_,comdat
.Lfunc_end120:
	.size	_ZN7rocprim17ROCPRIM_400000_NS6detail17trampoline_kernelINS0_14default_configENS1_25partition_config_selectorILNS1_17partition_subalgoE8EfNS0_10empty_typeEbEEZZNS1_14partition_implILS5_8ELb0ES3_jN6thrust23THRUST_200600_302600_NS6detail15normal_iteratorINSA_10device_ptrIfEEEEPS6_PKS6_NS0_5tupleIJSF_S6_EEENSJ_IJSG_SG_EEENS0_18inequality_wrapperI22is_equal_div_10_uniqueIfEEEPmJS6_EEE10hipError_tPvRmT3_T4_T5_T6_T7_T9_mT8_P12ihipStream_tbDpT10_ENKUlT_T0_E_clISt17integral_constantIbLb1EES1A_EEDaS15_S16_EUlS15_E_NS1_11comp_targetILNS1_3genE0ELNS1_11target_archE4294967295ELNS1_3gpuE0ELNS1_3repE0EEENS1_30default_config_static_selectorELNS0_4arch9wavefront6targetE1EEEvT1_, .Lfunc_end120-_ZN7rocprim17ROCPRIM_400000_NS6detail17trampoline_kernelINS0_14default_configENS1_25partition_config_selectorILNS1_17partition_subalgoE8EfNS0_10empty_typeEbEEZZNS1_14partition_implILS5_8ELb0ES3_jN6thrust23THRUST_200600_302600_NS6detail15normal_iteratorINSA_10device_ptrIfEEEEPS6_PKS6_NS0_5tupleIJSF_S6_EEENSJ_IJSG_SG_EEENS0_18inequality_wrapperI22is_equal_div_10_uniqueIfEEEPmJS6_EEE10hipError_tPvRmT3_T4_T5_T6_T7_T9_mT8_P12ihipStream_tbDpT10_ENKUlT_T0_E_clISt17integral_constantIbLb1EES1A_EEDaS15_S16_EUlS15_E_NS1_11comp_targetILNS1_3genE0ELNS1_11target_archE4294967295ELNS1_3gpuE0ELNS1_3repE0EEENS1_30default_config_static_selectorELNS0_4arch9wavefront6targetE1EEEvT1_
                                        ; -- End function
	.set _ZN7rocprim17ROCPRIM_400000_NS6detail17trampoline_kernelINS0_14default_configENS1_25partition_config_selectorILNS1_17partition_subalgoE8EfNS0_10empty_typeEbEEZZNS1_14partition_implILS5_8ELb0ES3_jN6thrust23THRUST_200600_302600_NS6detail15normal_iteratorINSA_10device_ptrIfEEEEPS6_PKS6_NS0_5tupleIJSF_S6_EEENSJ_IJSG_SG_EEENS0_18inequality_wrapperI22is_equal_div_10_uniqueIfEEEPmJS6_EEE10hipError_tPvRmT3_T4_T5_T6_T7_T9_mT8_P12ihipStream_tbDpT10_ENKUlT_T0_E_clISt17integral_constantIbLb1EES1A_EEDaS15_S16_EUlS15_E_NS1_11comp_targetILNS1_3genE0ELNS1_11target_archE4294967295ELNS1_3gpuE0ELNS1_3repE0EEENS1_30default_config_static_selectorELNS0_4arch9wavefront6targetE1EEEvT1_.num_vgpr, 0
	.set _ZN7rocprim17ROCPRIM_400000_NS6detail17trampoline_kernelINS0_14default_configENS1_25partition_config_selectorILNS1_17partition_subalgoE8EfNS0_10empty_typeEbEEZZNS1_14partition_implILS5_8ELb0ES3_jN6thrust23THRUST_200600_302600_NS6detail15normal_iteratorINSA_10device_ptrIfEEEEPS6_PKS6_NS0_5tupleIJSF_S6_EEENSJ_IJSG_SG_EEENS0_18inequality_wrapperI22is_equal_div_10_uniqueIfEEEPmJS6_EEE10hipError_tPvRmT3_T4_T5_T6_T7_T9_mT8_P12ihipStream_tbDpT10_ENKUlT_T0_E_clISt17integral_constantIbLb1EES1A_EEDaS15_S16_EUlS15_E_NS1_11comp_targetILNS1_3genE0ELNS1_11target_archE4294967295ELNS1_3gpuE0ELNS1_3repE0EEENS1_30default_config_static_selectorELNS0_4arch9wavefront6targetE1EEEvT1_.num_agpr, 0
	.set _ZN7rocprim17ROCPRIM_400000_NS6detail17trampoline_kernelINS0_14default_configENS1_25partition_config_selectorILNS1_17partition_subalgoE8EfNS0_10empty_typeEbEEZZNS1_14partition_implILS5_8ELb0ES3_jN6thrust23THRUST_200600_302600_NS6detail15normal_iteratorINSA_10device_ptrIfEEEEPS6_PKS6_NS0_5tupleIJSF_S6_EEENSJ_IJSG_SG_EEENS0_18inequality_wrapperI22is_equal_div_10_uniqueIfEEEPmJS6_EEE10hipError_tPvRmT3_T4_T5_T6_T7_T9_mT8_P12ihipStream_tbDpT10_ENKUlT_T0_E_clISt17integral_constantIbLb1EES1A_EEDaS15_S16_EUlS15_E_NS1_11comp_targetILNS1_3genE0ELNS1_11target_archE4294967295ELNS1_3gpuE0ELNS1_3repE0EEENS1_30default_config_static_selectorELNS0_4arch9wavefront6targetE1EEEvT1_.numbered_sgpr, 0
	.set _ZN7rocprim17ROCPRIM_400000_NS6detail17trampoline_kernelINS0_14default_configENS1_25partition_config_selectorILNS1_17partition_subalgoE8EfNS0_10empty_typeEbEEZZNS1_14partition_implILS5_8ELb0ES3_jN6thrust23THRUST_200600_302600_NS6detail15normal_iteratorINSA_10device_ptrIfEEEEPS6_PKS6_NS0_5tupleIJSF_S6_EEENSJ_IJSG_SG_EEENS0_18inequality_wrapperI22is_equal_div_10_uniqueIfEEEPmJS6_EEE10hipError_tPvRmT3_T4_T5_T6_T7_T9_mT8_P12ihipStream_tbDpT10_ENKUlT_T0_E_clISt17integral_constantIbLb1EES1A_EEDaS15_S16_EUlS15_E_NS1_11comp_targetILNS1_3genE0ELNS1_11target_archE4294967295ELNS1_3gpuE0ELNS1_3repE0EEENS1_30default_config_static_selectorELNS0_4arch9wavefront6targetE1EEEvT1_.num_named_barrier, 0
	.set _ZN7rocprim17ROCPRIM_400000_NS6detail17trampoline_kernelINS0_14default_configENS1_25partition_config_selectorILNS1_17partition_subalgoE8EfNS0_10empty_typeEbEEZZNS1_14partition_implILS5_8ELb0ES3_jN6thrust23THRUST_200600_302600_NS6detail15normal_iteratorINSA_10device_ptrIfEEEEPS6_PKS6_NS0_5tupleIJSF_S6_EEENSJ_IJSG_SG_EEENS0_18inequality_wrapperI22is_equal_div_10_uniqueIfEEEPmJS6_EEE10hipError_tPvRmT3_T4_T5_T6_T7_T9_mT8_P12ihipStream_tbDpT10_ENKUlT_T0_E_clISt17integral_constantIbLb1EES1A_EEDaS15_S16_EUlS15_E_NS1_11comp_targetILNS1_3genE0ELNS1_11target_archE4294967295ELNS1_3gpuE0ELNS1_3repE0EEENS1_30default_config_static_selectorELNS0_4arch9wavefront6targetE1EEEvT1_.private_seg_size, 0
	.set _ZN7rocprim17ROCPRIM_400000_NS6detail17trampoline_kernelINS0_14default_configENS1_25partition_config_selectorILNS1_17partition_subalgoE8EfNS0_10empty_typeEbEEZZNS1_14partition_implILS5_8ELb0ES3_jN6thrust23THRUST_200600_302600_NS6detail15normal_iteratorINSA_10device_ptrIfEEEEPS6_PKS6_NS0_5tupleIJSF_S6_EEENSJ_IJSG_SG_EEENS0_18inequality_wrapperI22is_equal_div_10_uniqueIfEEEPmJS6_EEE10hipError_tPvRmT3_T4_T5_T6_T7_T9_mT8_P12ihipStream_tbDpT10_ENKUlT_T0_E_clISt17integral_constantIbLb1EES1A_EEDaS15_S16_EUlS15_E_NS1_11comp_targetILNS1_3genE0ELNS1_11target_archE4294967295ELNS1_3gpuE0ELNS1_3repE0EEENS1_30default_config_static_selectorELNS0_4arch9wavefront6targetE1EEEvT1_.uses_vcc, 0
	.set _ZN7rocprim17ROCPRIM_400000_NS6detail17trampoline_kernelINS0_14default_configENS1_25partition_config_selectorILNS1_17partition_subalgoE8EfNS0_10empty_typeEbEEZZNS1_14partition_implILS5_8ELb0ES3_jN6thrust23THRUST_200600_302600_NS6detail15normal_iteratorINSA_10device_ptrIfEEEEPS6_PKS6_NS0_5tupleIJSF_S6_EEENSJ_IJSG_SG_EEENS0_18inequality_wrapperI22is_equal_div_10_uniqueIfEEEPmJS6_EEE10hipError_tPvRmT3_T4_T5_T6_T7_T9_mT8_P12ihipStream_tbDpT10_ENKUlT_T0_E_clISt17integral_constantIbLb1EES1A_EEDaS15_S16_EUlS15_E_NS1_11comp_targetILNS1_3genE0ELNS1_11target_archE4294967295ELNS1_3gpuE0ELNS1_3repE0EEENS1_30default_config_static_selectorELNS0_4arch9wavefront6targetE1EEEvT1_.uses_flat_scratch, 0
	.set _ZN7rocprim17ROCPRIM_400000_NS6detail17trampoline_kernelINS0_14default_configENS1_25partition_config_selectorILNS1_17partition_subalgoE8EfNS0_10empty_typeEbEEZZNS1_14partition_implILS5_8ELb0ES3_jN6thrust23THRUST_200600_302600_NS6detail15normal_iteratorINSA_10device_ptrIfEEEEPS6_PKS6_NS0_5tupleIJSF_S6_EEENSJ_IJSG_SG_EEENS0_18inequality_wrapperI22is_equal_div_10_uniqueIfEEEPmJS6_EEE10hipError_tPvRmT3_T4_T5_T6_T7_T9_mT8_P12ihipStream_tbDpT10_ENKUlT_T0_E_clISt17integral_constantIbLb1EES1A_EEDaS15_S16_EUlS15_E_NS1_11comp_targetILNS1_3genE0ELNS1_11target_archE4294967295ELNS1_3gpuE0ELNS1_3repE0EEENS1_30default_config_static_selectorELNS0_4arch9wavefront6targetE1EEEvT1_.has_dyn_sized_stack, 0
	.set _ZN7rocprim17ROCPRIM_400000_NS6detail17trampoline_kernelINS0_14default_configENS1_25partition_config_selectorILNS1_17partition_subalgoE8EfNS0_10empty_typeEbEEZZNS1_14partition_implILS5_8ELb0ES3_jN6thrust23THRUST_200600_302600_NS6detail15normal_iteratorINSA_10device_ptrIfEEEEPS6_PKS6_NS0_5tupleIJSF_S6_EEENSJ_IJSG_SG_EEENS0_18inequality_wrapperI22is_equal_div_10_uniqueIfEEEPmJS6_EEE10hipError_tPvRmT3_T4_T5_T6_T7_T9_mT8_P12ihipStream_tbDpT10_ENKUlT_T0_E_clISt17integral_constantIbLb1EES1A_EEDaS15_S16_EUlS15_E_NS1_11comp_targetILNS1_3genE0ELNS1_11target_archE4294967295ELNS1_3gpuE0ELNS1_3repE0EEENS1_30default_config_static_selectorELNS0_4arch9wavefront6targetE1EEEvT1_.has_recursion, 0
	.set _ZN7rocprim17ROCPRIM_400000_NS6detail17trampoline_kernelINS0_14default_configENS1_25partition_config_selectorILNS1_17partition_subalgoE8EfNS0_10empty_typeEbEEZZNS1_14partition_implILS5_8ELb0ES3_jN6thrust23THRUST_200600_302600_NS6detail15normal_iteratorINSA_10device_ptrIfEEEEPS6_PKS6_NS0_5tupleIJSF_S6_EEENSJ_IJSG_SG_EEENS0_18inequality_wrapperI22is_equal_div_10_uniqueIfEEEPmJS6_EEE10hipError_tPvRmT3_T4_T5_T6_T7_T9_mT8_P12ihipStream_tbDpT10_ENKUlT_T0_E_clISt17integral_constantIbLb1EES1A_EEDaS15_S16_EUlS15_E_NS1_11comp_targetILNS1_3genE0ELNS1_11target_archE4294967295ELNS1_3gpuE0ELNS1_3repE0EEENS1_30default_config_static_selectorELNS0_4arch9wavefront6targetE1EEEvT1_.has_indirect_call, 0
	.section	.AMDGPU.csdata,"",@progbits
; Kernel info:
; codeLenInByte = 0
; TotalNumSgprs: 4
; NumVgprs: 0
; ScratchSize: 0
; MemoryBound: 0
; FloatMode: 240
; IeeeMode: 1
; LDSByteSize: 0 bytes/workgroup (compile time only)
; SGPRBlocks: 0
; VGPRBlocks: 0
; NumSGPRsForWavesPerEU: 4
; NumVGPRsForWavesPerEU: 1
; Occupancy: 10
; WaveLimiterHint : 0
; COMPUTE_PGM_RSRC2:SCRATCH_EN: 0
; COMPUTE_PGM_RSRC2:USER_SGPR: 6
; COMPUTE_PGM_RSRC2:TRAP_HANDLER: 0
; COMPUTE_PGM_RSRC2:TGID_X_EN: 1
; COMPUTE_PGM_RSRC2:TGID_Y_EN: 0
; COMPUTE_PGM_RSRC2:TGID_Z_EN: 0
; COMPUTE_PGM_RSRC2:TIDIG_COMP_CNT: 0
	.section	.text._ZN7rocprim17ROCPRIM_400000_NS6detail17trampoline_kernelINS0_14default_configENS1_25partition_config_selectorILNS1_17partition_subalgoE8EfNS0_10empty_typeEbEEZZNS1_14partition_implILS5_8ELb0ES3_jN6thrust23THRUST_200600_302600_NS6detail15normal_iteratorINSA_10device_ptrIfEEEEPS6_PKS6_NS0_5tupleIJSF_S6_EEENSJ_IJSG_SG_EEENS0_18inequality_wrapperI22is_equal_div_10_uniqueIfEEEPmJS6_EEE10hipError_tPvRmT3_T4_T5_T6_T7_T9_mT8_P12ihipStream_tbDpT10_ENKUlT_T0_E_clISt17integral_constantIbLb1EES1A_EEDaS15_S16_EUlS15_E_NS1_11comp_targetILNS1_3genE5ELNS1_11target_archE942ELNS1_3gpuE9ELNS1_3repE0EEENS1_30default_config_static_selectorELNS0_4arch9wavefront6targetE1EEEvT1_,"axG",@progbits,_ZN7rocprim17ROCPRIM_400000_NS6detail17trampoline_kernelINS0_14default_configENS1_25partition_config_selectorILNS1_17partition_subalgoE8EfNS0_10empty_typeEbEEZZNS1_14partition_implILS5_8ELb0ES3_jN6thrust23THRUST_200600_302600_NS6detail15normal_iteratorINSA_10device_ptrIfEEEEPS6_PKS6_NS0_5tupleIJSF_S6_EEENSJ_IJSG_SG_EEENS0_18inequality_wrapperI22is_equal_div_10_uniqueIfEEEPmJS6_EEE10hipError_tPvRmT3_T4_T5_T6_T7_T9_mT8_P12ihipStream_tbDpT10_ENKUlT_T0_E_clISt17integral_constantIbLb1EES1A_EEDaS15_S16_EUlS15_E_NS1_11comp_targetILNS1_3genE5ELNS1_11target_archE942ELNS1_3gpuE9ELNS1_3repE0EEENS1_30default_config_static_selectorELNS0_4arch9wavefront6targetE1EEEvT1_,comdat
	.protected	_ZN7rocprim17ROCPRIM_400000_NS6detail17trampoline_kernelINS0_14default_configENS1_25partition_config_selectorILNS1_17partition_subalgoE8EfNS0_10empty_typeEbEEZZNS1_14partition_implILS5_8ELb0ES3_jN6thrust23THRUST_200600_302600_NS6detail15normal_iteratorINSA_10device_ptrIfEEEEPS6_PKS6_NS0_5tupleIJSF_S6_EEENSJ_IJSG_SG_EEENS0_18inequality_wrapperI22is_equal_div_10_uniqueIfEEEPmJS6_EEE10hipError_tPvRmT3_T4_T5_T6_T7_T9_mT8_P12ihipStream_tbDpT10_ENKUlT_T0_E_clISt17integral_constantIbLb1EES1A_EEDaS15_S16_EUlS15_E_NS1_11comp_targetILNS1_3genE5ELNS1_11target_archE942ELNS1_3gpuE9ELNS1_3repE0EEENS1_30default_config_static_selectorELNS0_4arch9wavefront6targetE1EEEvT1_ ; -- Begin function _ZN7rocprim17ROCPRIM_400000_NS6detail17trampoline_kernelINS0_14default_configENS1_25partition_config_selectorILNS1_17partition_subalgoE8EfNS0_10empty_typeEbEEZZNS1_14partition_implILS5_8ELb0ES3_jN6thrust23THRUST_200600_302600_NS6detail15normal_iteratorINSA_10device_ptrIfEEEEPS6_PKS6_NS0_5tupleIJSF_S6_EEENSJ_IJSG_SG_EEENS0_18inequality_wrapperI22is_equal_div_10_uniqueIfEEEPmJS6_EEE10hipError_tPvRmT3_T4_T5_T6_T7_T9_mT8_P12ihipStream_tbDpT10_ENKUlT_T0_E_clISt17integral_constantIbLb1EES1A_EEDaS15_S16_EUlS15_E_NS1_11comp_targetILNS1_3genE5ELNS1_11target_archE942ELNS1_3gpuE9ELNS1_3repE0EEENS1_30default_config_static_selectorELNS0_4arch9wavefront6targetE1EEEvT1_
	.globl	_ZN7rocprim17ROCPRIM_400000_NS6detail17trampoline_kernelINS0_14default_configENS1_25partition_config_selectorILNS1_17partition_subalgoE8EfNS0_10empty_typeEbEEZZNS1_14partition_implILS5_8ELb0ES3_jN6thrust23THRUST_200600_302600_NS6detail15normal_iteratorINSA_10device_ptrIfEEEEPS6_PKS6_NS0_5tupleIJSF_S6_EEENSJ_IJSG_SG_EEENS0_18inequality_wrapperI22is_equal_div_10_uniqueIfEEEPmJS6_EEE10hipError_tPvRmT3_T4_T5_T6_T7_T9_mT8_P12ihipStream_tbDpT10_ENKUlT_T0_E_clISt17integral_constantIbLb1EES1A_EEDaS15_S16_EUlS15_E_NS1_11comp_targetILNS1_3genE5ELNS1_11target_archE942ELNS1_3gpuE9ELNS1_3repE0EEENS1_30default_config_static_selectorELNS0_4arch9wavefront6targetE1EEEvT1_
	.p2align	8
	.type	_ZN7rocprim17ROCPRIM_400000_NS6detail17trampoline_kernelINS0_14default_configENS1_25partition_config_selectorILNS1_17partition_subalgoE8EfNS0_10empty_typeEbEEZZNS1_14partition_implILS5_8ELb0ES3_jN6thrust23THRUST_200600_302600_NS6detail15normal_iteratorINSA_10device_ptrIfEEEEPS6_PKS6_NS0_5tupleIJSF_S6_EEENSJ_IJSG_SG_EEENS0_18inequality_wrapperI22is_equal_div_10_uniqueIfEEEPmJS6_EEE10hipError_tPvRmT3_T4_T5_T6_T7_T9_mT8_P12ihipStream_tbDpT10_ENKUlT_T0_E_clISt17integral_constantIbLb1EES1A_EEDaS15_S16_EUlS15_E_NS1_11comp_targetILNS1_3genE5ELNS1_11target_archE942ELNS1_3gpuE9ELNS1_3repE0EEENS1_30default_config_static_selectorELNS0_4arch9wavefront6targetE1EEEvT1_,@function
_ZN7rocprim17ROCPRIM_400000_NS6detail17trampoline_kernelINS0_14default_configENS1_25partition_config_selectorILNS1_17partition_subalgoE8EfNS0_10empty_typeEbEEZZNS1_14partition_implILS5_8ELb0ES3_jN6thrust23THRUST_200600_302600_NS6detail15normal_iteratorINSA_10device_ptrIfEEEEPS6_PKS6_NS0_5tupleIJSF_S6_EEENSJ_IJSG_SG_EEENS0_18inequality_wrapperI22is_equal_div_10_uniqueIfEEEPmJS6_EEE10hipError_tPvRmT3_T4_T5_T6_T7_T9_mT8_P12ihipStream_tbDpT10_ENKUlT_T0_E_clISt17integral_constantIbLb1EES1A_EEDaS15_S16_EUlS15_E_NS1_11comp_targetILNS1_3genE5ELNS1_11target_archE942ELNS1_3gpuE9ELNS1_3repE0EEENS1_30default_config_static_selectorELNS0_4arch9wavefront6targetE1EEEvT1_: ; @_ZN7rocprim17ROCPRIM_400000_NS6detail17trampoline_kernelINS0_14default_configENS1_25partition_config_selectorILNS1_17partition_subalgoE8EfNS0_10empty_typeEbEEZZNS1_14partition_implILS5_8ELb0ES3_jN6thrust23THRUST_200600_302600_NS6detail15normal_iteratorINSA_10device_ptrIfEEEEPS6_PKS6_NS0_5tupleIJSF_S6_EEENSJ_IJSG_SG_EEENS0_18inequality_wrapperI22is_equal_div_10_uniqueIfEEEPmJS6_EEE10hipError_tPvRmT3_T4_T5_T6_T7_T9_mT8_P12ihipStream_tbDpT10_ENKUlT_T0_E_clISt17integral_constantIbLb1EES1A_EEDaS15_S16_EUlS15_E_NS1_11comp_targetILNS1_3genE5ELNS1_11target_archE942ELNS1_3gpuE9ELNS1_3repE0EEENS1_30default_config_static_selectorELNS0_4arch9wavefront6targetE1EEEvT1_
; %bb.0:
	.section	.rodata,"a",@progbits
	.p2align	6, 0x0
	.amdhsa_kernel _ZN7rocprim17ROCPRIM_400000_NS6detail17trampoline_kernelINS0_14default_configENS1_25partition_config_selectorILNS1_17partition_subalgoE8EfNS0_10empty_typeEbEEZZNS1_14partition_implILS5_8ELb0ES3_jN6thrust23THRUST_200600_302600_NS6detail15normal_iteratorINSA_10device_ptrIfEEEEPS6_PKS6_NS0_5tupleIJSF_S6_EEENSJ_IJSG_SG_EEENS0_18inequality_wrapperI22is_equal_div_10_uniqueIfEEEPmJS6_EEE10hipError_tPvRmT3_T4_T5_T6_T7_T9_mT8_P12ihipStream_tbDpT10_ENKUlT_T0_E_clISt17integral_constantIbLb1EES1A_EEDaS15_S16_EUlS15_E_NS1_11comp_targetILNS1_3genE5ELNS1_11target_archE942ELNS1_3gpuE9ELNS1_3repE0EEENS1_30default_config_static_selectorELNS0_4arch9wavefront6targetE1EEEvT1_
		.amdhsa_group_segment_fixed_size 0
		.amdhsa_private_segment_fixed_size 0
		.amdhsa_kernarg_size 128
		.amdhsa_user_sgpr_count 6
		.amdhsa_user_sgpr_private_segment_buffer 1
		.amdhsa_user_sgpr_dispatch_ptr 0
		.amdhsa_user_sgpr_queue_ptr 0
		.amdhsa_user_sgpr_kernarg_segment_ptr 1
		.amdhsa_user_sgpr_dispatch_id 0
		.amdhsa_user_sgpr_flat_scratch_init 0
		.amdhsa_user_sgpr_private_segment_size 0
		.amdhsa_uses_dynamic_stack 0
		.amdhsa_system_sgpr_private_segment_wavefront_offset 0
		.amdhsa_system_sgpr_workgroup_id_x 1
		.amdhsa_system_sgpr_workgroup_id_y 0
		.amdhsa_system_sgpr_workgroup_id_z 0
		.amdhsa_system_sgpr_workgroup_info 0
		.amdhsa_system_vgpr_workitem_id 0
		.amdhsa_next_free_vgpr 1
		.amdhsa_next_free_sgpr 0
		.amdhsa_reserve_vcc 0
		.amdhsa_reserve_flat_scratch 0
		.amdhsa_float_round_mode_32 0
		.amdhsa_float_round_mode_16_64 0
		.amdhsa_float_denorm_mode_32 3
		.amdhsa_float_denorm_mode_16_64 3
		.amdhsa_dx10_clamp 1
		.amdhsa_ieee_mode 1
		.amdhsa_fp16_overflow 0
		.amdhsa_exception_fp_ieee_invalid_op 0
		.amdhsa_exception_fp_denorm_src 0
		.amdhsa_exception_fp_ieee_div_zero 0
		.amdhsa_exception_fp_ieee_overflow 0
		.amdhsa_exception_fp_ieee_underflow 0
		.amdhsa_exception_fp_ieee_inexact 0
		.amdhsa_exception_int_div_zero 0
	.end_amdhsa_kernel
	.section	.text._ZN7rocprim17ROCPRIM_400000_NS6detail17trampoline_kernelINS0_14default_configENS1_25partition_config_selectorILNS1_17partition_subalgoE8EfNS0_10empty_typeEbEEZZNS1_14partition_implILS5_8ELb0ES3_jN6thrust23THRUST_200600_302600_NS6detail15normal_iteratorINSA_10device_ptrIfEEEEPS6_PKS6_NS0_5tupleIJSF_S6_EEENSJ_IJSG_SG_EEENS0_18inequality_wrapperI22is_equal_div_10_uniqueIfEEEPmJS6_EEE10hipError_tPvRmT3_T4_T5_T6_T7_T9_mT8_P12ihipStream_tbDpT10_ENKUlT_T0_E_clISt17integral_constantIbLb1EES1A_EEDaS15_S16_EUlS15_E_NS1_11comp_targetILNS1_3genE5ELNS1_11target_archE942ELNS1_3gpuE9ELNS1_3repE0EEENS1_30default_config_static_selectorELNS0_4arch9wavefront6targetE1EEEvT1_,"axG",@progbits,_ZN7rocprim17ROCPRIM_400000_NS6detail17trampoline_kernelINS0_14default_configENS1_25partition_config_selectorILNS1_17partition_subalgoE8EfNS0_10empty_typeEbEEZZNS1_14partition_implILS5_8ELb0ES3_jN6thrust23THRUST_200600_302600_NS6detail15normal_iteratorINSA_10device_ptrIfEEEEPS6_PKS6_NS0_5tupleIJSF_S6_EEENSJ_IJSG_SG_EEENS0_18inequality_wrapperI22is_equal_div_10_uniqueIfEEEPmJS6_EEE10hipError_tPvRmT3_T4_T5_T6_T7_T9_mT8_P12ihipStream_tbDpT10_ENKUlT_T0_E_clISt17integral_constantIbLb1EES1A_EEDaS15_S16_EUlS15_E_NS1_11comp_targetILNS1_3genE5ELNS1_11target_archE942ELNS1_3gpuE9ELNS1_3repE0EEENS1_30default_config_static_selectorELNS0_4arch9wavefront6targetE1EEEvT1_,comdat
.Lfunc_end121:
	.size	_ZN7rocprim17ROCPRIM_400000_NS6detail17trampoline_kernelINS0_14default_configENS1_25partition_config_selectorILNS1_17partition_subalgoE8EfNS0_10empty_typeEbEEZZNS1_14partition_implILS5_8ELb0ES3_jN6thrust23THRUST_200600_302600_NS6detail15normal_iteratorINSA_10device_ptrIfEEEEPS6_PKS6_NS0_5tupleIJSF_S6_EEENSJ_IJSG_SG_EEENS0_18inequality_wrapperI22is_equal_div_10_uniqueIfEEEPmJS6_EEE10hipError_tPvRmT3_T4_T5_T6_T7_T9_mT8_P12ihipStream_tbDpT10_ENKUlT_T0_E_clISt17integral_constantIbLb1EES1A_EEDaS15_S16_EUlS15_E_NS1_11comp_targetILNS1_3genE5ELNS1_11target_archE942ELNS1_3gpuE9ELNS1_3repE0EEENS1_30default_config_static_selectorELNS0_4arch9wavefront6targetE1EEEvT1_, .Lfunc_end121-_ZN7rocprim17ROCPRIM_400000_NS6detail17trampoline_kernelINS0_14default_configENS1_25partition_config_selectorILNS1_17partition_subalgoE8EfNS0_10empty_typeEbEEZZNS1_14partition_implILS5_8ELb0ES3_jN6thrust23THRUST_200600_302600_NS6detail15normal_iteratorINSA_10device_ptrIfEEEEPS6_PKS6_NS0_5tupleIJSF_S6_EEENSJ_IJSG_SG_EEENS0_18inequality_wrapperI22is_equal_div_10_uniqueIfEEEPmJS6_EEE10hipError_tPvRmT3_T4_T5_T6_T7_T9_mT8_P12ihipStream_tbDpT10_ENKUlT_T0_E_clISt17integral_constantIbLb1EES1A_EEDaS15_S16_EUlS15_E_NS1_11comp_targetILNS1_3genE5ELNS1_11target_archE942ELNS1_3gpuE9ELNS1_3repE0EEENS1_30default_config_static_selectorELNS0_4arch9wavefront6targetE1EEEvT1_
                                        ; -- End function
	.set _ZN7rocprim17ROCPRIM_400000_NS6detail17trampoline_kernelINS0_14default_configENS1_25partition_config_selectorILNS1_17partition_subalgoE8EfNS0_10empty_typeEbEEZZNS1_14partition_implILS5_8ELb0ES3_jN6thrust23THRUST_200600_302600_NS6detail15normal_iteratorINSA_10device_ptrIfEEEEPS6_PKS6_NS0_5tupleIJSF_S6_EEENSJ_IJSG_SG_EEENS0_18inequality_wrapperI22is_equal_div_10_uniqueIfEEEPmJS6_EEE10hipError_tPvRmT3_T4_T5_T6_T7_T9_mT8_P12ihipStream_tbDpT10_ENKUlT_T0_E_clISt17integral_constantIbLb1EES1A_EEDaS15_S16_EUlS15_E_NS1_11comp_targetILNS1_3genE5ELNS1_11target_archE942ELNS1_3gpuE9ELNS1_3repE0EEENS1_30default_config_static_selectorELNS0_4arch9wavefront6targetE1EEEvT1_.num_vgpr, 0
	.set _ZN7rocprim17ROCPRIM_400000_NS6detail17trampoline_kernelINS0_14default_configENS1_25partition_config_selectorILNS1_17partition_subalgoE8EfNS0_10empty_typeEbEEZZNS1_14partition_implILS5_8ELb0ES3_jN6thrust23THRUST_200600_302600_NS6detail15normal_iteratorINSA_10device_ptrIfEEEEPS6_PKS6_NS0_5tupleIJSF_S6_EEENSJ_IJSG_SG_EEENS0_18inequality_wrapperI22is_equal_div_10_uniqueIfEEEPmJS6_EEE10hipError_tPvRmT3_T4_T5_T6_T7_T9_mT8_P12ihipStream_tbDpT10_ENKUlT_T0_E_clISt17integral_constantIbLb1EES1A_EEDaS15_S16_EUlS15_E_NS1_11comp_targetILNS1_3genE5ELNS1_11target_archE942ELNS1_3gpuE9ELNS1_3repE0EEENS1_30default_config_static_selectorELNS0_4arch9wavefront6targetE1EEEvT1_.num_agpr, 0
	.set _ZN7rocprim17ROCPRIM_400000_NS6detail17trampoline_kernelINS0_14default_configENS1_25partition_config_selectorILNS1_17partition_subalgoE8EfNS0_10empty_typeEbEEZZNS1_14partition_implILS5_8ELb0ES3_jN6thrust23THRUST_200600_302600_NS6detail15normal_iteratorINSA_10device_ptrIfEEEEPS6_PKS6_NS0_5tupleIJSF_S6_EEENSJ_IJSG_SG_EEENS0_18inequality_wrapperI22is_equal_div_10_uniqueIfEEEPmJS6_EEE10hipError_tPvRmT3_T4_T5_T6_T7_T9_mT8_P12ihipStream_tbDpT10_ENKUlT_T0_E_clISt17integral_constantIbLb1EES1A_EEDaS15_S16_EUlS15_E_NS1_11comp_targetILNS1_3genE5ELNS1_11target_archE942ELNS1_3gpuE9ELNS1_3repE0EEENS1_30default_config_static_selectorELNS0_4arch9wavefront6targetE1EEEvT1_.numbered_sgpr, 0
	.set _ZN7rocprim17ROCPRIM_400000_NS6detail17trampoline_kernelINS0_14default_configENS1_25partition_config_selectorILNS1_17partition_subalgoE8EfNS0_10empty_typeEbEEZZNS1_14partition_implILS5_8ELb0ES3_jN6thrust23THRUST_200600_302600_NS6detail15normal_iteratorINSA_10device_ptrIfEEEEPS6_PKS6_NS0_5tupleIJSF_S6_EEENSJ_IJSG_SG_EEENS0_18inequality_wrapperI22is_equal_div_10_uniqueIfEEEPmJS6_EEE10hipError_tPvRmT3_T4_T5_T6_T7_T9_mT8_P12ihipStream_tbDpT10_ENKUlT_T0_E_clISt17integral_constantIbLb1EES1A_EEDaS15_S16_EUlS15_E_NS1_11comp_targetILNS1_3genE5ELNS1_11target_archE942ELNS1_3gpuE9ELNS1_3repE0EEENS1_30default_config_static_selectorELNS0_4arch9wavefront6targetE1EEEvT1_.num_named_barrier, 0
	.set _ZN7rocprim17ROCPRIM_400000_NS6detail17trampoline_kernelINS0_14default_configENS1_25partition_config_selectorILNS1_17partition_subalgoE8EfNS0_10empty_typeEbEEZZNS1_14partition_implILS5_8ELb0ES3_jN6thrust23THRUST_200600_302600_NS6detail15normal_iteratorINSA_10device_ptrIfEEEEPS6_PKS6_NS0_5tupleIJSF_S6_EEENSJ_IJSG_SG_EEENS0_18inequality_wrapperI22is_equal_div_10_uniqueIfEEEPmJS6_EEE10hipError_tPvRmT3_T4_T5_T6_T7_T9_mT8_P12ihipStream_tbDpT10_ENKUlT_T0_E_clISt17integral_constantIbLb1EES1A_EEDaS15_S16_EUlS15_E_NS1_11comp_targetILNS1_3genE5ELNS1_11target_archE942ELNS1_3gpuE9ELNS1_3repE0EEENS1_30default_config_static_selectorELNS0_4arch9wavefront6targetE1EEEvT1_.private_seg_size, 0
	.set _ZN7rocprim17ROCPRIM_400000_NS6detail17trampoline_kernelINS0_14default_configENS1_25partition_config_selectorILNS1_17partition_subalgoE8EfNS0_10empty_typeEbEEZZNS1_14partition_implILS5_8ELb0ES3_jN6thrust23THRUST_200600_302600_NS6detail15normal_iteratorINSA_10device_ptrIfEEEEPS6_PKS6_NS0_5tupleIJSF_S6_EEENSJ_IJSG_SG_EEENS0_18inequality_wrapperI22is_equal_div_10_uniqueIfEEEPmJS6_EEE10hipError_tPvRmT3_T4_T5_T6_T7_T9_mT8_P12ihipStream_tbDpT10_ENKUlT_T0_E_clISt17integral_constantIbLb1EES1A_EEDaS15_S16_EUlS15_E_NS1_11comp_targetILNS1_3genE5ELNS1_11target_archE942ELNS1_3gpuE9ELNS1_3repE0EEENS1_30default_config_static_selectorELNS0_4arch9wavefront6targetE1EEEvT1_.uses_vcc, 0
	.set _ZN7rocprim17ROCPRIM_400000_NS6detail17trampoline_kernelINS0_14default_configENS1_25partition_config_selectorILNS1_17partition_subalgoE8EfNS0_10empty_typeEbEEZZNS1_14partition_implILS5_8ELb0ES3_jN6thrust23THRUST_200600_302600_NS6detail15normal_iteratorINSA_10device_ptrIfEEEEPS6_PKS6_NS0_5tupleIJSF_S6_EEENSJ_IJSG_SG_EEENS0_18inequality_wrapperI22is_equal_div_10_uniqueIfEEEPmJS6_EEE10hipError_tPvRmT3_T4_T5_T6_T7_T9_mT8_P12ihipStream_tbDpT10_ENKUlT_T0_E_clISt17integral_constantIbLb1EES1A_EEDaS15_S16_EUlS15_E_NS1_11comp_targetILNS1_3genE5ELNS1_11target_archE942ELNS1_3gpuE9ELNS1_3repE0EEENS1_30default_config_static_selectorELNS0_4arch9wavefront6targetE1EEEvT1_.uses_flat_scratch, 0
	.set _ZN7rocprim17ROCPRIM_400000_NS6detail17trampoline_kernelINS0_14default_configENS1_25partition_config_selectorILNS1_17partition_subalgoE8EfNS0_10empty_typeEbEEZZNS1_14partition_implILS5_8ELb0ES3_jN6thrust23THRUST_200600_302600_NS6detail15normal_iteratorINSA_10device_ptrIfEEEEPS6_PKS6_NS0_5tupleIJSF_S6_EEENSJ_IJSG_SG_EEENS0_18inequality_wrapperI22is_equal_div_10_uniqueIfEEEPmJS6_EEE10hipError_tPvRmT3_T4_T5_T6_T7_T9_mT8_P12ihipStream_tbDpT10_ENKUlT_T0_E_clISt17integral_constantIbLb1EES1A_EEDaS15_S16_EUlS15_E_NS1_11comp_targetILNS1_3genE5ELNS1_11target_archE942ELNS1_3gpuE9ELNS1_3repE0EEENS1_30default_config_static_selectorELNS0_4arch9wavefront6targetE1EEEvT1_.has_dyn_sized_stack, 0
	.set _ZN7rocprim17ROCPRIM_400000_NS6detail17trampoline_kernelINS0_14default_configENS1_25partition_config_selectorILNS1_17partition_subalgoE8EfNS0_10empty_typeEbEEZZNS1_14partition_implILS5_8ELb0ES3_jN6thrust23THRUST_200600_302600_NS6detail15normal_iteratorINSA_10device_ptrIfEEEEPS6_PKS6_NS0_5tupleIJSF_S6_EEENSJ_IJSG_SG_EEENS0_18inequality_wrapperI22is_equal_div_10_uniqueIfEEEPmJS6_EEE10hipError_tPvRmT3_T4_T5_T6_T7_T9_mT8_P12ihipStream_tbDpT10_ENKUlT_T0_E_clISt17integral_constantIbLb1EES1A_EEDaS15_S16_EUlS15_E_NS1_11comp_targetILNS1_3genE5ELNS1_11target_archE942ELNS1_3gpuE9ELNS1_3repE0EEENS1_30default_config_static_selectorELNS0_4arch9wavefront6targetE1EEEvT1_.has_recursion, 0
	.set _ZN7rocprim17ROCPRIM_400000_NS6detail17trampoline_kernelINS0_14default_configENS1_25partition_config_selectorILNS1_17partition_subalgoE8EfNS0_10empty_typeEbEEZZNS1_14partition_implILS5_8ELb0ES3_jN6thrust23THRUST_200600_302600_NS6detail15normal_iteratorINSA_10device_ptrIfEEEEPS6_PKS6_NS0_5tupleIJSF_S6_EEENSJ_IJSG_SG_EEENS0_18inequality_wrapperI22is_equal_div_10_uniqueIfEEEPmJS6_EEE10hipError_tPvRmT3_T4_T5_T6_T7_T9_mT8_P12ihipStream_tbDpT10_ENKUlT_T0_E_clISt17integral_constantIbLb1EES1A_EEDaS15_S16_EUlS15_E_NS1_11comp_targetILNS1_3genE5ELNS1_11target_archE942ELNS1_3gpuE9ELNS1_3repE0EEENS1_30default_config_static_selectorELNS0_4arch9wavefront6targetE1EEEvT1_.has_indirect_call, 0
	.section	.AMDGPU.csdata,"",@progbits
; Kernel info:
; codeLenInByte = 0
; TotalNumSgprs: 4
; NumVgprs: 0
; ScratchSize: 0
; MemoryBound: 0
; FloatMode: 240
; IeeeMode: 1
; LDSByteSize: 0 bytes/workgroup (compile time only)
; SGPRBlocks: 0
; VGPRBlocks: 0
; NumSGPRsForWavesPerEU: 4
; NumVGPRsForWavesPerEU: 1
; Occupancy: 10
; WaveLimiterHint : 0
; COMPUTE_PGM_RSRC2:SCRATCH_EN: 0
; COMPUTE_PGM_RSRC2:USER_SGPR: 6
; COMPUTE_PGM_RSRC2:TRAP_HANDLER: 0
; COMPUTE_PGM_RSRC2:TGID_X_EN: 1
; COMPUTE_PGM_RSRC2:TGID_Y_EN: 0
; COMPUTE_PGM_RSRC2:TGID_Z_EN: 0
; COMPUTE_PGM_RSRC2:TIDIG_COMP_CNT: 0
	.section	.text._ZN7rocprim17ROCPRIM_400000_NS6detail17trampoline_kernelINS0_14default_configENS1_25partition_config_selectorILNS1_17partition_subalgoE8EfNS0_10empty_typeEbEEZZNS1_14partition_implILS5_8ELb0ES3_jN6thrust23THRUST_200600_302600_NS6detail15normal_iteratorINSA_10device_ptrIfEEEEPS6_PKS6_NS0_5tupleIJSF_S6_EEENSJ_IJSG_SG_EEENS0_18inequality_wrapperI22is_equal_div_10_uniqueIfEEEPmJS6_EEE10hipError_tPvRmT3_T4_T5_T6_T7_T9_mT8_P12ihipStream_tbDpT10_ENKUlT_T0_E_clISt17integral_constantIbLb1EES1A_EEDaS15_S16_EUlS15_E_NS1_11comp_targetILNS1_3genE4ELNS1_11target_archE910ELNS1_3gpuE8ELNS1_3repE0EEENS1_30default_config_static_selectorELNS0_4arch9wavefront6targetE1EEEvT1_,"axG",@progbits,_ZN7rocprim17ROCPRIM_400000_NS6detail17trampoline_kernelINS0_14default_configENS1_25partition_config_selectorILNS1_17partition_subalgoE8EfNS0_10empty_typeEbEEZZNS1_14partition_implILS5_8ELb0ES3_jN6thrust23THRUST_200600_302600_NS6detail15normal_iteratorINSA_10device_ptrIfEEEEPS6_PKS6_NS0_5tupleIJSF_S6_EEENSJ_IJSG_SG_EEENS0_18inequality_wrapperI22is_equal_div_10_uniqueIfEEEPmJS6_EEE10hipError_tPvRmT3_T4_T5_T6_T7_T9_mT8_P12ihipStream_tbDpT10_ENKUlT_T0_E_clISt17integral_constantIbLb1EES1A_EEDaS15_S16_EUlS15_E_NS1_11comp_targetILNS1_3genE4ELNS1_11target_archE910ELNS1_3gpuE8ELNS1_3repE0EEENS1_30default_config_static_selectorELNS0_4arch9wavefront6targetE1EEEvT1_,comdat
	.protected	_ZN7rocprim17ROCPRIM_400000_NS6detail17trampoline_kernelINS0_14default_configENS1_25partition_config_selectorILNS1_17partition_subalgoE8EfNS0_10empty_typeEbEEZZNS1_14partition_implILS5_8ELb0ES3_jN6thrust23THRUST_200600_302600_NS6detail15normal_iteratorINSA_10device_ptrIfEEEEPS6_PKS6_NS0_5tupleIJSF_S6_EEENSJ_IJSG_SG_EEENS0_18inequality_wrapperI22is_equal_div_10_uniqueIfEEEPmJS6_EEE10hipError_tPvRmT3_T4_T5_T6_T7_T9_mT8_P12ihipStream_tbDpT10_ENKUlT_T0_E_clISt17integral_constantIbLb1EES1A_EEDaS15_S16_EUlS15_E_NS1_11comp_targetILNS1_3genE4ELNS1_11target_archE910ELNS1_3gpuE8ELNS1_3repE0EEENS1_30default_config_static_selectorELNS0_4arch9wavefront6targetE1EEEvT1_ ; -- Begin function _ZN7rocprim17ROCPRIM_400000_NS6detail17trampoline_kernelINS0_14default_configENS1_25partition_config_selectorILNS1_17partition_subalgoE8EfNS0_10empty_typeEbEEZZNS1_14partition_implILS5_8ELb0ES3_jN6thrust23THRUST_200600_302600_NS6detail15normal_iteratorINSA_10device_ptrIfEEEEPS6_PKS6_NS0_5tupleIJSF_S6_EEENSJ_IJSG_SG_EEENS0_18inequality_wrapperI22is_equal_div_10_uniqueIfEEEPmJS6_EEE10hipError_tPvRmT3_T4_T5_T6_T7_T9_mT8_P12ihipStream_tbDpT10_ENKUlT_T0_E_clISt17integral_constantIbLb1EES1A_EEDaS15_S16_EUlS15_E_NS1_11comp_targetILNS1_3genE4ELNS1_11target_archE910ELNS1_3gpuE8ELNS1_3repE0EEENS1_30default_config_static_selectorELNS0_4arch9wavefront6targetE1EEEvT1_
	.globl	_ZN7rocprim17ROCPRIM_400000_NS6detail17trampoline_kernelINS0_14default_configENS1_25partition_config_selectorILNS1_17partition_subalgoE8EfNS0_10empty_typeEbEEZZNS1_14partition_implILS5_8ELb0ES3_jN6thrust23THRUST_200600_302600_NS6detail15normal_iteratorINSA_10device_ptrIfEEEEPS6_PKS6_NS0_5tupleIJSF_S6_EEENSJ_IJSG_SG_EEENS0_18inequality_wrapperI22is_equal_div_10_uniqueIfEEEPmJS6_EEE10hipError_tPvRmT3_T4_T5_T6_T7_T9_mT8_P12ihipStream_tbDpT10_ENKUlT_T0_E_clISt17integral_constantIbLb1EES1A_EEDaS15_S16_EUlS15_E_NS1_11comp_targetILNS1_3genE4ELNS1_11target_archE910ELNS1_3gpuE8ELNS1_3repE0EEENS1_30default_config_static_selectorELNS0_4arch9wavefront6targetE1EEEvT1_
	.p2align	8
	.type	_ZN7rocprim17ROCPRIM_400000_NS6detail17trampoline_kernelINS0_14default_configENS1_25partition_config_selectorILNS1_17partition_subalgoE8EfNS0_10empty_typeEbEEZZNS1_14partition_implILS5_8ELb0ES3_jN6thrust23THRUST_200600_302600_NS6detail15normal_iteratorINSA_10device_ptrIfEEEEPS6_PKS6_NS0_5tupleIJSF_S6_EEENSJ_IJSG_SG_EEENS0_18inequality_wrapperI22is_equal_div_10_uniqueIfEEEPmJS6_EEE10hipError_tPvRmT3_T4_T5_T6_T7_T9_mT8_P12ihipStream_tbDpT10_ENKUlT_T0_E_clISt17integral_constantIbLb1EES1A_EEDaS15_S16_EUlS15_E_NS1_11comp_targetILNS1_3genE4ELNS1_11target_archE910ELNS1_3gpuE8ELNS1_3repE0EEENS1_30default_config_static_selectorELNS0_4arch9wavefront6targetE1EEEvT1_,@function
_ZN7rocprim17ROCPRIM_400000_NS6detail17trampoline_kernelINS0_14default_configENS1_25partition_config_selectorILNS1_17partition_subalgoE8EfNS0_10empty_typeEbEEZZNS1_14partition_implILS5_8ELb0ES3_jN6thrust23THRUST_200600_302600_NS6detail15normal_iteratorINSA_10device_ptrIfEEEEPS6_PKS6_NS0_5tupleIJSF_S6_EEENSJ_IJSG_SG_EEENS0_18inequality_wrapperI22is_equal_div_10_uniqueIfEEEPmJS6_EEE10hipError_tPvRmT3_T4_T5_T6_T7_T9_mT8_P12ihipStream_tbDpT10_ENKUlT_T0_E_clISt17integral_constantIbLb1EES1A_EEDaS15_S16_EUlS15_E_NS1_11comp_targetILNS1_3genE4ELNS1_11target_archE910ELNS1_3gpuE8ELNS1_3repE0EEENS1_30default_config_static_selectorELNS0_4arch9wavefront6targetE1EEEvT1_: ; @_ZN7rocprim17ROCPRIM_400000_NS6detail17trampoline_kernelINS0_14default_configENS1_25partition_config_selectorILNS1_17partition_subalgoE8EfNS0_10empty_typeEbEEZZNS1_14partition_implILS5_8ELb0ES3_jN6thrust23THRUST_200600_302600_NS6detail15normal_iteratorINSA_10device_ptrIfEEEEPS6_PKS6_NS0_5tupleIJSF_S6_EEENSJ_IJSG_SG_EEENS0_18inequality_wrapperI22is_equal_div_10_uniqueIfEEEPmJS6_EEE10hipError_tPvRmT3_T4_T5_T6_T7_T9_mT8_P12ihipStream_tbDpT10_ENKUlT_T0_E_clISt17integral_constantIbLb1EES1A_EEDaS15_S16_EUlS15_E_NS1_11comp_targetILNS1_3genE4ELNS1_11target_archE910ELNS1_3gpuE8ELNS1_3repE0EEENS1_30default_config_static_selectorELNS0_4arch9wavefront6targetE1EEEvT1_
; %bb.0:
	.section	.rodata,"a",@progbits
	.p2align	6, 0x0
	.amdhsa_kernel _ZN7rocprim17ROCPRIM_400000_NS6detail17trampoline_kernelINS0_14default_configENS1_25partition_config_selectorILNS1_17partition_subalgoE8EfNS0_10empty_typeEbEEZZNS1_14partition_implILS5_8ELb0ES3_jN6thrust23THRUST_200600_302600_NS6detail15normal_iteratorINSA_10device_ptrIfEEEEPS6_PKS6_NS0_5tupleIJSF_S6_EEENSJ_IJSG_SG_EEENS0_18inequality_wrapperI22is_equal_div_10_uniqueIfEEEPmJS6_EEE10hipError_tPvRmT3_T4_T5_T6_T7_T9_mT8_P12ihipStream_tbDpT10_ENKUlT_T0_E_clISt17integral_constantIbLb1EES1A_EEDaS15_S16_EUlS15_E_NS1_11comp_targetILNS1_3genE4ELNS1_11target_archE910ELNS1_3gpuE8ELNS1_3repE0EEENS1_30default_config_static_selectorELNS0_4arch9wavefront6targetE1EEEvT1_
		.amdhsa_group_segment_fixed_size 0
		.amdhsa_private_segment_fixed_size 0
		.amdhsa_kernarg_size 128
		.amdhsa_user_sgpr_count 6
		.amdhsa_user_sgpr_private_segment_buffer 1
		.amdhsa_user_sgpr_dispatch_ptr 0
		.amdhsa_user_sgpr_queue_ptr 0
		.amdhsa_user_sgpr_kernarg_segment_ptr 1
		.amdhsa_user_sgpr_dispatch_id 0
		.amdhsa_user_sgpr_flat_scratch_init 0
		.amdhsa_user_sgpr_private_segment_size 0
		.amdhsa_uses_dynamic_stack 0
		.amdhsa_system_sgpr_private_segment_wavefront_offset 0
		.amdhsa_system_sgpr_workgroup_id_x 1
		.amdhsa_system_sgpr_workgroup_id_y 0
		.amdhsa_system_sgpr_workgroup_id_z 0
		.amdhsa_system_sgpr_workgroup_info 0
		.amdhsa_system_vgpr_workitem_id 0
		.amdhsa_next_free_vgpr 1
		.amdhsa_next_free_sgpr 0
		.amdhsa_reserve_vcc 0
		.amdhsa_reserve_flat_scratch 0
		.amdhsa_float_round_mode_32 0
		.amdhsa_float_round_mode_16_64 0
		.amdhsa_float_denorm_mode_32 3
		.amdhsa_float_denorm_mode_16_64 3
		.amdhsa_dx10_clamp 1
		.amdhsa_ieee_mode 1
		.amdhsa_fp16_overflow 0
		.amdhsa_exception_fp_ieee_invalid_op 0
		.amdhsa_exception_fp_denorm_src 0
		.amdhsa_exception_fp_ieee_div_zero 0
		.amdhsa_exception_fp_ieee_overflow 0
		.amdhsa_exception_fp_ieee_underflow 0
		.amdhsa_exception_fp_ieee_inexact 0
		.amdhsa_exception_int_div_zero 0
	.end_amdhsa_kernel
	.section	.text._ZN7rocprim17ROCPRIM_400000_NS6detail17trampoline_kernelINS0_14default_configENS1_25partition_config_selectorILNS1_17partition_subalgoE8EfNS0_10empty_typeEbEEZZNS1_14partition_implILS5_8ELb0ES3_jN6thrust23THRUST_200600_302600_NS6detail15normal_iteratorINSA_10device_ptrIfEEEEPS6_PKS6_NS0_5tupleIJSF_S6_EEENSJ_IJSG_SG_EEENS0_18inequality_wrapperI22is_equal_div_10_uniqueIfEEEPmJS6_EEE10hipError_tPvRmT3_T4_T5_T6_T7_T9_mT8_P12ihipStream_tbDpT10_ENKUlT_T0_E_clISt17integral_constantIbLb1EES1A_EEDaS15_S16_EUlS15_E_NS1_11comp_targetILNS1_3genE4ELNS1_11target_archE910ELNS1_3gpuE8ELNS1_3repE0EEENS1_30default_config_static_selectorELNS0_4arch9wavefront6targetE1EEEvT1_,"axG",@progbits,_ZN7rocprim17ROCPRIM_400000_NS6detail17trampoline_kernelINS0_14default_configENS1_25partition_config_selectorILNS1_17partition_subalgoE8EfNS0_10empty_typeEbEEZZNS1_14partition_implILS5_8ELb0ES3_jN6thrust23THRUST_200600_302600_NS6detail15normal_iteratorINSA_10device_ptrIfEEEEPS6_PKS6_NS0_5tupleIJSF_S6_EEENSJ_IJSG_SG_EEENS0_18inequality_wrapperI22is_equal_div_10_uniqueIfEEEPmJS6_EEE10hipError_tPvRmT3_T4_T5_T6_T7_T9_mT8_P12ihipStream_tbDpT10_ENKUlT_T0_E_clISt17integral_constantIbLb1EES1A_EEDaS15_S16_EUlS15_E_NS1_11comp_targetILNS1_3genE4ELNS1_11target_archE910ELNS1_3gpuE8ELNS1_3repE0EEENS1_30default_config_static_selectorELNS0_4arch9wavefront6targetE1EEEvT1_,comdat
.Lfunc_end122:
	.size	_ZN7rocprim17ROCPRIM_400000_NS6detail17trampoline_kernelINS0_14default_configENS1_25partition_config_selectorILNS1_17partition_subalgoE8EfNS0_10empty_typeEbEEZZNS1_14partition_implILS5_8ELb0ES3_jN6thrust23THRUST_200600_302600_NS6detail15normal_iteratorINSA_10device_ptrIfEEEEPS6_PKS6_NS0_5tupleIJSF_S6_EEENSJ_IJSG_SG_EEENS0_18inequality_wrapperI22is_equal_div_10_uniqueIfEEEPmJS6_EEE10hipError_tPvRmT3_T4_T5_T6_T7_T9_mT8_P12ihipStream_tbDpT10_ENKUlT_T0_E_clISt17integral_constantIbLb1EES1A_EEDaS15_S16_EUlS15_E_NS1_11comp_targetILNS1_3genE4ELNS1_11target_archE910ELNS1_3gpuE8ELNS1_3repE0EEENS1_30default_config_static_selectorELNS0_4arch9wavefront6targetE1EEEvT1_, .Lfunc_end122-_ZN7rocprim17ROCPRIM_400000_NS6detail17trampoline_kernelINS0_14default_configENS1_25partition_config_selectorILNS1_17partition_subalgoE8EfNS0_10empty_typeEbEEZZNS1_14partition_implILS5_8ELb0ES3_jN6thrust23THRUST_200600_302600_NS6detail15normal_iteratorINSA_10device_ptrIfEEEEPS6_PKS6_NS0_5tupleIJSF_S6_EEENSJ_IJSG_SG_EEENS0_18inequality_wrapperI22is_equal_div_10_uniqueIfEEEPmJS6_EEE10hipError_tPvRmT3_T4_T5_T6_T7_T9_mT8_P12ihipStream_tbDpT10_ENKUlT_T0_E_clISt17integral_constantIbLb1EES1A_EEDaS15_S16_EUlS15_E_NS1_11comp_targetILNS1_3genE4ELNS1_11target_archE910ELNS1_3gpuE8ELNS1_3repE0EEENS1_30default_config_static_selectorELNS0_4arch9wavefront6targetE1EEEvT1_
                                        ; -- End function
	.set _ZN7rocprim17ROCPRIM_400000_NS6detail17trampoline_kernelINS0_14default_configENS1_25partition_config_selectorILNS1_17partition_subalgoE8EfNS0_10empty_typeEbEEZZNS1_14partition_implILS5_8ELb0ES3_jN6thrust23THRUST_200600_302600_NS6detail15normal_iteratorINSA_10device_ptrIfEEEEPS6_PKS6_NS0_5tupleIJSF_S6_EEENSJ_IJSG_SG_EEENS0_18inequality_wrapperI22is_equal_div_10_uniqueIfEEEPmJS6_EEE10hipError_tPvRmT3_T4_T5_T6_T7_T9_mT8_P12ihipStream_tbDpT10_ENKUlT_T0_E_clISt17integral_constantIbLb1EES1A_EEDaS15_S16_EUlS15_E_NS1_11comp_targetILNS1_3genE4ELNS1_11target_archE910ELNS1_3gpuE8ELNS1_3repE0EEENS1_30default_config_static_selectorELNS0_4arch9wavefront6targetE1EEEvT1_.num_vgpr, 0
	.set _ZN7rocprim17ROCPRIM_400000_NS6detail17trampoline_kernelINS0_14default_configENS1_25partition_config_selectorILNS1_17partition_subalgoE8EfNS0_10empty_typeEbEEZZNS1_14partition_implILS5_8ELb0ES3_jN6thrust23THRUST_200600_302600_NS6detail15normal_iteratorINSA_10device_ptrIfEEEEPS6_PKS6_NS0_5tupleIJSF_S6_EEENSJ_IJSG_SG_EEENS0_18inequality_wrapperI22is_equal_div_10_uniqueIfEEEPmJS6_EEE10hipError_tPvRmT3_T4_T5_T6_T7_T9_mT8_P12ihipStream_tbDpT10_ENKUlT_T0_E_clISt17integral_constantIbLb1EES1A_EEDaS15_S16_EUlS15_E_NS1_11comp_targetILNS1_3genE4ELNS1_11target_archE910ELNS1_3gpuE8ELNS1_3repE0EEENS1_30default_config_static_selectorELNS0_4arch9wavefront6targetE1EEEvT1_.num_agpr, 0
	.set _ZN7rocprim17ROCPRIM_400000_NS6detail17trampoline_kernelINS0_14default_configENS1_25partition_config_selectorILNS1_17partition_subalgoE8EfNS0_10empty_typeEbEEZZNS1_14partition_implILS5_8ELb0ES3_jN6thrust23THRUST_200600_302600_NS6detail15normal_iteratorINSA_10device_ptrIfEEEEPS6_PKS6_NS0_5tupleIJSF_S6_EEENSJ_IJSG_SG_EEENS0_18inequality_wrapperI22is_equal_div_10_uniqueIfEEEPmJS6_EEE10hipError_tPvRmT3_T4_T5_T6_T7_T9_mT8_P12ihipStream_tbDpT10_ENKUlT_T0_E_clISt17integral_constantIbLb1EES1A_EEDaS15_S16_EUlS15_E_NS1_11comp_targetILNS1_3genE4ELNS1_11target_archE910ELNS1_3gpuE8ELNS1_3repE0EEENS1_30default_config_static_selectorELNS0_4arch9wavefront6targetE1EEEvT1_.numbered_sgpr, 0
	.set _ZN7rocprim17ROCPRIM_400000_NS6detail17trampoline_kernelINS0_14default_configENS1_25partition_config_selectorILNS1_17partition_subalgoE8EfNS0_10empty_typeEbEEZZNS1_14partition_implILS5_8ELb0ES3_jN6thrust23THRUST_200600_302600_NS6detail15normal_iteratorINSA_10device_ptrIfEEEEPS6_PKS6_NS0_5tupleIJSF_S6_EEENSJ_IJSG_SG_EEENS0_18inequality_wrapperI22is_equal_div_10_uniqueIfEEEPmJS6_EEE10hipError_tPvRmT3_T4_T5_T6_T7_T9_mT8_P12ihipStream_tbDpT10_ENKUlT_T0_E_clISt17integral_constantIbLb1EES1A_EEDaS15_S16_EUlS15_E_NS1_11comp_targetILNS1_3genE4ELNS1_11target_archE910ELNS1_3gpuE8ELNS1_3repE0EEENS1_30default_config_static_selectorELNS0_4arch9wavefront6targetE1EEEvT1_.num_named_barrier, 0
	.set _ZN7rocprim17ROCPRIM_400000_NS6detail17trampoline_kernelINS0_14default_configENS1_25partition_config_selectorILNS1_17partition_subalgoE8EfNS0_10empty_typeEbEEZZNS1_14partition_implILS5_8ELb0ES3_jN6thrust23THRUST_200600_302600_NS6detail15normal_iteratorINSA_10device_ptrIfEEEEPS6_PKS6_NS0_5tupleIJSF_S6_EEENSJ_IJSG_SG_EEENS0_18inequality_wrapperI22is_equal_div_10_uniqueIfEEEPmJS6_EEE10hipError_tPvRmT3_T4_T5_T6_T7_T9_mT8_P12ihipStream_tbDpT10_ENKUlT_T0_E_clISt17integral_constantIbLb1EES1A_EEDaS15_S16_EUlS15_E_NS1_11comp_targetILNS1_3genE4ELNS1_11target_archE910ELNS1_3gpuE8ELNS1_3repE0EEENS1_30default_config_static_selectorELNS0_4arch9wavefront6targetE1EEEvT1_.private_seg_size, 0
	.set _ZN7rocprim17ROCPRIM_400000_NS6detail17trampoline_kernelINS0_14default_configENS1_25partition_config_selectorILNS1_17partition_subalgoE8EfNS0_10empty_typeEbEEZZNS1_14partition_implILS5_8ELb0ES3_jN6thrust23THRUST_200600_302600_NS6detail15normal_iteratorINSA_10device_ptrIfEEEEPS6_PKS6_NS0_5tupleIJSF_S6_EEENSJ_IJSG_SG_EEENS0_18inequality_wrapperI22is_equal_div_10_uniqueIfEEEPmJS6_EEE10hipError_tPvRmT3_T4_T5_T6_T7_T9_mT8_P12ihipStream_tbDpT10_ENKUlT_T0_E_clISt17integral_constantIbLb1EES1A_EEDaS15_S16_EUlS15_E_NS1_11comp_targetILNS1_3genE4ELNS1_11target_archE910ELNS1_3gpuE8ELNS1_3repE0EEENS1_30default_config_static_selectorELNS0_4arch9wavefront6targetE1EEEvT1_.uses_vcc, 0
	.set _ZN7rocprim17ROCPRIM_400000_NS6detail17trampoline_kernelINS0_14default_configENS1_25partition_config_selectorILNS1_17partition_subalgoE8EfNS0_10empty_typeEbEEZZNS1_14partition_implILS5_8ELb0ES3_jN6thrust23THRUST_200600_302600_NS6detail15normal_iteratorINSA_10device_ptrIfEEEEPS6_PKS6_NS0_5tupleIJSF_S6_EEENSJ_IJSG_SG_EEENS0_18inequality_wrapperI22is_equal_div_10_uniqueIfEEEPmJS6_EEE10hipError_tPvRmT3_T4_T5_T6_T7_T9_mT8_P12ihipStream_tbDpT10_ENKUlT_T0_E_clISt17integral_constantIbLb1EES1A_EEDaS15_S16_EUlS15_E_NS1_11comp_targetILNS1_3genE4ELNS1_11target_archE910ELNS1_3gpuE8ELNS1_3repE0EEENS1_30default_config_static_selectorELNS0_4arch9wavefront6targetE1EEEvT1_.uses_flat_scratch, 0
	.set _ZN7rocprim17ROCPRIM_400000_NS6detail17trampoline_kernelINS0_14default_configENS1_25partition_config_selectorILNS1_17partition_subalgoE8EfNS0_10empty_typeEbEEZZNS1_14partition_implILS5_8ELb0ES3_jN6thrust23THRUST_200600_302600_NS6detail15normal_iteratorINSA_10device_ptrIfEEEEPS6_PKS6_NS0_5tupleIJSF_S6_EEENSJ_IJSG_SG_EEENS0_18inequality_wrapperI22is_equal_div_10_uniqueIfEEEPmJS6_EEE10hipError_tPvRmT3_T4_T5_T6_T7_T9_mT8_P12ihipStream_tbDpT10_ENKUlT_T0_E_clISt17integral_constantIbLb1EES1A_EEDaS15_S16_EUlS15_E_NS1_11comp_targetILNS1_3genE4ELNS1_11target_archE910ELNS1_3gpuE8ELNS1_3repE0EEENS1_30default_config_static_selectorELNS0_4arch9wavefront6targetE1EEEvT1_.has_dyn_sized_stack, 0
	.set _ZN7rocprim17ROCPRIM_400000_NS6detail17trampoline_kernelINS0_14default_configENS1_25partition_config_selectorILNS1_17partition_subalgoE8EfNS0_10empty_typeEbEEZZNS1_14partition_implILS5_8ELb0ES3_jN6thrust23THRUST_200600_302600_NS6detail15normal_iteratorINSA_10device_ptrIfEEEEPS6_PKS6_NS0_5tupleIJSF_S6_EEENSJ_IJSG_SG_EEENS0_18inequality_wrapperI22is_equal_div_10_uniqueIfEEEPmJS6_EEE10hipError_tPvRmT3_T4_T5_T6_T7_T9_mT8_P12ihipStream_tbDpT10_ENKUlT_T0_E_clISt17integral_constantIbLb1EES1A_EEDaS15_S16_EUlS15_E_NS1_11comp_targetILNS1_3genE4ELNS1_11target_archE910ELNS1_3gpuE8ELNS1_3repE0EEENS1_30default_config_static_selectorELNS0_4arch9wavefront6targetE1EEEvT1_.has_recursion, 0
	.set _ZN7rocprim17ROCPRIM_400000_NS6detail17trampoline_kernelINS0_14default_configENS1_25partition_config_selectorILNS1_17partition_subalgoE8EfNS0_10empty_typeEbEEZZNS1_14partition_implILS5_8ELb0ES3_jN6thrust23THRUST_200600_302600_NS6detail15normal_iteratorINSA_10device_ptrIfEEEEPS6_PKS6_NS0_5tupleIJSF_S6_EEENSJ_IJSG_SG_EEENS0_18inequality_wrapperI22is_equal_div_10_uniqueIfEEEPmJS6_EEE10hipError_tPvRmT3_T4_T5_T6_T7_T9_mT8_P12ihipStream_tbDpT10_ENKUlT_T0_E_clISt17integral_constantIbLb1EES1A_EEDaS15_S16_EUlS15_E_NS1_11comp_targetILNS1_3genE4ELNS1_11target_archE910ELNS1_3gpuE8ELNS1_3repE0EEENS1_30default_config_static_selectorELNS0_4arch9wavefront6targetE1EEEvT1_.has_indirect_call, 0
	.section	.AMDGPU.csdata,"",@progbits
; Kernel info:
; codeLenInByte = 0
; TotalNumSgprs: 4
; NumVgprs: 0
; ScratchSize: 0
; MemoryBound: 0
; FloatMode: 240
; IeeeMode: 1
; LDSByteSize: 0 bytes/workgroup (compile time only)
; SGPRBlocks: 0
; VGPRBlocks: 0
; NumSGPRsForWavesPerEU: 4
; NumVGPRsForWavesPerEU: 1
; Occupancy: 10
; WaveLimiterHint : 0
; COMPUTE_PGM_RSRC2:SCRATCH_EN: 0
; COMPUTE_PGM_RSRC2:USER_SGPR: 6
; COMPUTE_PGM_RSRC2:TRAP_HANDLER: 0
; COMPUTE_PGM_RSRC2:TGID_X_EN: 1
; COMPUTE_PGM_RSRC2:TGID_Y_EN: 0
; COMPUTE_PGM_RSRC2:TGID_Z_EN: 0
; COMPUTE_PGM_RSRC2:TIDIG_COMP_CNT: 0
	.section	.text._ZN7rocprim17ROCPRIM_400000_NS6detail17trampoline_kernelINS0_14default_configENS1_25partition_config_selectorILNS1_17partition_subalgoE8EfNS0_10empty_typeEbEEZZNS1_14partition_implILS5_8ELb0ES3_jN6thrust23THRUST_200600_302600_NS6detail15normal_iteratorINSA_10device_ptrIfEEEEPS6_PKS6_NS0_5tupleIJSF_S6_EEENSJ_IJSG_SG_EEENS0_18inequality_wrapperI22is_equal_div_10_uniqueIfEEEPmJS6_EEE10hipError_tPvRmT3_T4_T5_T6_T7_T9_mT8_P12ihipStream_tbDpT10_ENKUlT_T0_E_clISt17integral_constantIbLb1EES1A_EEDaS15_S16_EUlS15_E_NS1_11comp_targetILNS1_3genE3ELNS1_11target_archE908ELNS1_3gpuE7ELNS1_3repE0EEENS1_30default_config_static_selectorELNS0_4arch9wavefront6targetE1EEEvT1_,"axG",@progbits,_ZN7rocprim17ROCPRIM_400000_NS6detail17trampoline_kernelINS0_14default_configENS1_25partition_config_selectorILNS1_17partition_subalgoE8EfNS0_10empty_typeEbEEZZNS1_14partition_implILS5_8ELb0ES3_jN6thrust23THRUST_200600_302600_NS6detail15normal_iteratorINSA_10device_ptrIfEEEEPS6_PKS6_NS0_5tupleIJSF_S6_EEENSJ_IJSG_SG_EEENS0_18inequality_wrapperI22is_equal_div_10_uniqueIfEEEPmJS6_EEE10hipError_tPvRmT3_T4_T5_T6_T7_T9_mT8_P12ihipStream_tbDpT10_ENKUlT_T0_E_clISt17integral_constantIbLb1EES1A_EEDaS15_S16_EUlS15_E_NS1_11comp_targetILNS1_3genE3ELNS1_11target_archE908ELNS1_3gpuE7ELNS1_3repE0EEENS1_30default_config_static_selectorELNS0_4arch9wavefront6targetE1EEEvT1_,comdat
	.protected	_ZN7rocprim17ROCPRIM_400000_NS6detail17trampoline_kernelINS0_14default_configENS1_25partition_config_selectorILNS1_17partition_subalgoE8EfNS0_10empty_typeEbEEZZNS1_14partition_implILS5_8ELb0ES3_jN6thrust23THRUST_200600_302600_NS6detail15normal_iteratorINSA_10device_ptrIfEEEEPS6_PKS6_NS0_5tupleIJSF_S6_EEENSJ_IJSG_SG_EEENS0_18inequality_wrapperI22is_equal_div_10_uniqueIfEEEPmJS6_EEE10hipError_tPvRmT3_T4_T5_T6_T7_T9_mT8_P12ihipStream_tbDpT10_ENKUlT_T0_E_clISt17integral_constantIbLb1EES1A_EEDaS15_S16_EUlS15_E_NS1_11comp_targetILNS1_3genE3ELNS1_11target_archE908ELNS1_3gpuE7ELNS1_3repE0EEENS1_30default_config_static_selectorELNS0_4arch9wavefront6targetE1EEEvT1_ ; -- Begin function _ZN7rocprim17ROCPRIM_400000_NS6detail17trampoline_kernelINS0_14default_configENS1_25partition_config_selectorILNS1_17partition_subalgoE8EfNS0_10empty_typeEbEEZZNS1_14partition_implILS5_8ELb0ES3_jN6thrust23THRUST_200600_302600_NS6detail15normal_iteratorINSA_10device_ptrIfEEEEPS6_PKS6_NS0_5tupleIJSF_S6_EEENSJ_IJSG_SG_EEENS0_18inequality_wrapperI22is_equal_div_10_uniqueIfEEEPmJS6_EEE10hipError_tPvRmT3_T4_T5_T6_T7_T9_mT8_P12ihipStream_tbDpT10_ENKUlT_T0_E_clISt17integral_constantIbLb1EES1A_EEDaS15_S16_EUlS15_E_NS1_11comp_targetILNS1_3genE3ELNS1_11target_archE908ELNS1_3gpuE7ELNS1_3repE0EEENS1_30default_config_static_selectorELNS0_4arch9wavefront6targetE1EEEvT1_
	.globl	_ZN7rocprim17ROCPRIM_400000_NS6detail17trampoline_kernelINS0_14default_configENS1_25partition_config_selectorILNS1_17partition_subalgoE8EfNS0_10empty_typeEbEEZZNS1_14partition_implILS5_8ELb0ES3_jN6thrust23THRUST_200600_302600_NS6detail15normal_iteratorINSA_10device_ptrIfEEEEPS6_PKS6_NS0_5tupleIJSF_S6_EEENSJ_IJSG_SG_EEENS0_18inequality_wrapperI22is_equal_div_10_uniqueIfEEEPmJS6_EEE10hipError_tPvRmT3_T4_T5_T6_T7_T9_mT8_P12ihipStream_tbDpT10_ENKUlT_T0_E_clISt17integral_constantIbLb1EES1A_EEDaS15_S16_EUlS15_E_NS1_11comp_targetILNS1_3genE3ELNS1_11target_archE908ELNS1_3gpuE7ELNS1_3repE0EEENS1_30default_config_static_selectorELNS0_4arch9wavefront6targetE1EEEvT1_
	.p2align	8
	.type	_ZN7rocprim17ROCPRIM_400000_NS6detail17trampoline_kernelINS0_14default_configENS1_25partition_config_selectorILNS1_17partition_subalgoE8EfNS0_10empty_typeEbEEZZNS1_14partition_implILS5_8ELb0ES3_jN6thrust23THRUST_200600_302600_NS6detail15normal_iteratorINSA_10device_ptrIfEEEEPS6_PKS6_NS0_5tupleIJSF_S6_EEENSJ_IJSG_SG_EEENS0_18inequality_wrapperI22is_equal_div_10_uniqueIfEEEPmJS6_EEE10hipError_tPvRmT3_T4_T5_T6_T7_T9_mT8_P12ihipStream_tbDpT10_ENKUlT_T0_E_clISt17integral_constantIbLb1EES1A_EEDaS15_S16_EUlS15_E_NS1_11comp_targetILNS1_3genE3ELNS1_11target_archE908ELNS1_3gpuE7ELNS1_3repE0EEENS1_30default_config_static_selectorELNS0_4arch9wavefront6targetE1EEEvT1_,@function
_ZN7rocprim17ROCPRIM_400000_NS6detail17trampoline_kernelINS0_14default_configENS1_25partition_config_selectorILNS1_17partition_subalgoE8EfNS0_10empty_typeEbEEZZNS1_14partition_implILS5_8ELb0ES3_jN6thrust23THRUST_200600_302600_NS6detail15normal_iteratorINSA_10device_ptrIfEEEEPS6_PKS6_NS0_5tupleIJSF_S6_EEENSJ_IJSG_SG_EEENS0_18inequality_wrapperI22is_equal_div_10_uniqueIfEEEPmJS6_EEE10hipError_tPvRmT3_T4_T5_T6_T7_T9_mT8_P12ihipStream_tbDpT10_ENKUlT_T0_E_clISt17integral_constantIbLb1EES1A_EEDaS15_S16_EUlS15_E_NS1_11comp_targetILNS1_3genE3ELNS1_11target_archE908ELNS1_3gpuE7ELNS1_3repE0EEENS1_30default_config_static_selectorELNS0_4arch9wavefront6targetE1EEEvT1_: ; @_ZN7rocprim17ROCPRIM_400000_NS6detail17trampoline_kernelINS0_14default_configENS1_25partition_config_selectorILNS1_17partition_subalgoE8EfNS0_10empty_typeEbEEZZNS1_14partition_implILS5_8ELb0ES3_jN6thrust23THRUST_200600_302600_NS6detail15normal_iteratorINSA_10device_ptrIfEEEEPS6_PKS6_NS0_5tupleIJSF_S6_EEENSJ_IJSG_SG_EEENS0_18inequality_wrapperI22is_equal_div_10_uniqueIfEEEPmJS6_EEE10hipError_tPvRmT3_T4_T5_T6_T7_T9_mT8_P12ihipStream_tbDpT10_ENKUlT_T0_E_clISt17integral_constantIbLb1EES1A_EEDaS15_S16_EUlS15_E_NS1_11comp_targetILNS1_3genE3ELNS1_11target_archE908ELNS1_3gpuE7ELNS1_3repE0EEENS1_30default_config_static_selectorELNS0_4arch9wavefront6targetE1EEEvT1_
; %bb.0:
	.section	.rodata,"a",@progbits
	.p2align	6, 0x0
	.amdhsa_kernel _ZN7rocprim17ROCPRIM_400000_NS6detail17trampoline_kernelINS0_14default_configENS1_25partition_config_selectorILNS1_17partition_subalgoE8EfNS0_10empty_typeEbEEZZNS1_14partition_implILS5_8ELb0ES3_jN6thrust23THRUST_200600_302600_NS6detail15normal_iteratorINSA_10device_ptrIfEEEEPS6_PKS6_NS0_5tupleIJSF_S6_EEENSJ_IJSG_SG_EEENS0_18inequality_wrapperI22is_equal_div_10_uniqueIfEEEPmJS6_EEE10hipError_tPvRmT3_T4_T5_T6_T7_T9_mT8_P12ihipStream_tbDpT10_ENKUlT_T0_E_clISt17integral_constantIbLb1EES1A_EEDaS15_S16_EUlS15_E_NS1_11comp_targetILNS1_3genE3ELNS1_11target_archE908ELNS1_3gpuE7ELNS1_3repE0EEENS1_30default_config_static_selectorELNS0_4arch9wavefront6targetE1EEEvT1_
		.amdhsa_group_segment_fixed_size 0
		.amdhsa_private_segment_fixed_size 0
		.amdhsa_kernarg_size 128
		.amdhsa_user_sgpr_count 6
		.amdhsa_user_sgpr_private_segment_buffer 1
		.amdhsa_user_sgpr_dispatch_ptr 0
		.amdhsa_user_sgpr_queue_ptr 0
		.amdhsa_user_sgpr_kernarg_segment_ptr 1
		.amdhsa_user_sgpr_dispatch_id 0
		.amdhsa_user_sgpr_flat_scratch_init 0
		.amdhsa_user_sgpr_private_segment_size 0
		.amdhsa_uses_dynamic_stack 0
		.amdhsa_system_sgpr_private_segment_wavefront_offset 0
		.amdhsa_system_sgpr_workgroup_id_x 1
		.amdhsa_system_sgpr_workgroup_id_y 0
		.amdhsa_system_sgpr_workgroup_id_z 0
		.amdhsa_system_sgpr_workgroup_info 0
		.amdhsa_system_vgpr_workitem_id 0
		.amdhsa_next_free_vgpr 1
		.amdhsa_next_free_sgpr 0
		.amdhsa_reserve_vcc 0
		.amdhsa_reserve_flat_scratch 0
		.amdhsa_float_round_mode_32 0
		.amdhsa_float_round_mode_16_64 0
		.amdhsa_float_denorm_mode_32 3
		.amdhsa_float_denorm_mode_16_64 3
		.amdhsa_dx10_clamp 1
		.amdhsa_ieee_mode 1
		.amdhsa_fp16_overflow 0
		.amdhsa_exception_fp_ieee_invalid_op 0
		.amdhsa_exception_fp_denorm_src 0
		.amdhsa_exception_fp_ieee_div_zero 0
		.amdhsa_exception_fp_ieee_overflow 0
		.amdhsa_exception_fp_ieee_underflow 0
		.amdhsa_exception_fp_ieee_inexact 0
		.amdhsa_exception_int_div_zero 0
	.end_amdhsa_kernel
	.section	.text._ZN7rocprim17ROCPRIM_400000_NS6detail17trampoline_kernelINS0_14default_configENS1_25partition_config_selectorILNS1_17partition_subalgoE8EfNS0_10empty_typeEbEEZZNS1_14partition_implILS5_8ELb0ES3_jN6thrust23THRUST_200600_302600_NS6detail15normal_iteratorINSA_10device_ptrIfEEEEPS6_PKS6_NS0_5tupleIJSF_S6_EEENSJ_IJSG_SG_EEENS0_18inequality_wrapperI22is_equal_div_10_uniqueIfEEEPmJS6_EEE10hipError_tPvRmT3_T4_T5_T6_T7_T9_mT8_P12ihipStream_tbDpT10_ENKUlT_T0_E_clISt17integral_constantIbLb1EES1A_EEDaS15_S16_EUlS15_E_NS1_11comp_targetILNS1_3genE3ELNS1_11target_archE908ELNS1_3gpuE7ELNS1_3repE0EEENS1_30default_config_static_selectorELNS0_4arch9wavefront6targetE1EEEvT1_,"axG",@progbits,_ZN7rocprim17ROCPRIM_400000_NS6detail17trampoline_kernelINS0_14default_configENS1_25partition_config_selectorILNS1_17partition_subalgoE8EfNS0_10empty_typeEbEEZZNS1_14partition_implILS5_8ELb0ES3_jN6thrust23THRUST_200600_302600_NS6detail15normal_iteratorINSA_10device_ptrIfEEEEPS6_PKS6_NS0_5tupleIJSF_S6_EEENSJ_IJSG_SG_EEENS0_18inequality_wrapperI22is_equal_div_10_uniqueIfEEEPmJS6_EEE10hipError_tPvRmT3_T4_T5_T6_T7_T9_mT8_P12ihipStream_tbDpT10_ENKUlT_T0_E_clISt17integral_constantIbLb1EES1A_EEDaS15_S16_EUlS15_E_NS1_11comp_targetILNS1_3genE3ELNS1_11target_archE908ELNS1_3gpuE7ELNS1_3repE0EEENS1_30default_config_static_selectorELNS0_4arch9wavefront6targetE1EEEvT1_,comdat
.Lfunc_end123:
	.size	_ZN7rocprim17ROCPRIM_400000_NS6detail17trampoline_kernelINS0_14default_configENS1_25partition_config_selectorILNS1_17partition_subalgoE8EfNS0_10empty_typeEbEEZZNS1_14partition_implILS5_8ELb0ES3_jN6thrust23THRUST_200600_302600_NS6detail15normal_iteratorINSA_10device_ptrIfEEEEPS6_PKS6_NS0_5tupleIJSF_S6_EEENSJ_IJSG_SG_EEENS0_18inequality_wrapperI22is_equal_div_10_uniqueIfEEEPmJS6_EEE10hipError_tPvRmT3_T4_T5_T6_T7_T9_mT8_P12ihipStream_tbDpT10_ENKUlT_T0_E_clISt17integral_constantIbLb1EES1A_EEDaS15_S16_EUlS15_E_NS1_11comp_targetILNS1_3genE3ELNS1_11target_archE908ELNS1_3gpuE7ELNS1_3repE0EEENS1_30default_config_static_selectorELNS0_4arch9wavefront6targetE1EEEvT1_, .Lfunc_end123-_ZN7rocprim17ROCPRIM_400000_NS6detail17trampoline_kernelINS0_14default_configENS1_25partition_config_selectorILNS1_17partition_subalgoE8EfNS0_10empty_typeEbEEZZNS1_14partition_implILS5_8ELb0ES3_jN6thrust23THRUST_200600_302600_NS6detail15normal_iteratorINSA_10device_ptrIfEEEEPS6_PKS6_NS0_5tupleIJSF_S6_EEENSJ_IJSG_SG_EEENS0_18inequality_wrapperI22is_equal_div_10_uniqueIfEEEPmJS6_EEE10hipError_tPvRmT3_T4_T5_T6_T7_T9_mT8_P12ihipStream_tbDpT10_ENKUlT_T0_E_clISt17integral_constantIbLb1EES1A_EEDaS15_S16_EUlS15_E_NS1_11comp_targetILNS1_3genE3ELNS1_11target_archE908ELNS1_3gpuE7ELNS1_3repE0EEENS1_30default_config_static_selectorELNS0_4arch9wavefront6targetE1EEEvT1_
                                        ; -- End function
	.set _ZN7rocprim17ROCPRIM_400000_NS6detail17trampoline_kernelINS0_14default_configENS1_25partition_config_selectorILNS1_17partition_subalgoE8EfNS0_10empty_typeEbEEZZNS1_14partition_implILS5_8ELb0ES3_jN6thrust23THRUST_200600_302600_NS6detail15normal_iteratorINSA_10device_ptrIfEEEEPS6_PKS6_NS0_5tupleIJSF_S6_EEENSJ_IJSG_SG_EEENS0_18inequality_wrapperI22is_equal_div_10_uniqueIfEEEPmJS6_EEE10hipError_tPvRmT3_T4_T5_T6_T7_T9_mT8_P12ihipStream_tbDpT10_ENKUlT_T0_E_clISt17integral_constantIbLb1EES1A_EEDaS15_S16_EUlS15_E_NS1_11comp_targetILNS1_3genE3ELNS1_11target_archE908ELNS1_3gpuE7ELNS1_3repE0EEENS1_30default_config_static_selectorELNS0_4arch9wavefront6targetE1EEEvT1_.num_vgpr, 0
	.set _ZN7rocprim17ROCPRIM_400000_NS6detail17trampoline_kernelINS0_14default_configENS1_25partition_config_selectorILNS1_17partition_subalgoE8EfNS0_10empty_typeEbEEZZNS1_14partition_implILS5_8ELb0ES3_jN6thrust23THRUST_200600_302600_NS6detail15normal_iteratorINSA_10device_ptrIfEEEEPS6_PKS6_NS0_5tupleIJSF_S6_EEENSJ_IJSG_SG_EEENS0_18inequality_wrapperI22is_equal_div_10_uniqueIfEEEPmJS6_EEE10hipError_tPvRmT3_T4_T5_T6_T7_T9_mT8_P12ihipStream_tbDpT10_ENKUlT_T0_E_clISt17integral_constantIbLb1EES1A_EEDaS15_S16_EUlS15_E_NS1_11comp_targetILNS1_3genE3ELNS1_11target_archE908ELNS1_3gpuE7ELNS1_3repE0EEENS1_30default_config_static_selectorELNS0_4arch9wavefront6targetE1EEEvT1_.num_agpr, 0
	.set _ZN7rocprim17ROCPRIM_400000_NS6detail17trampoline_kernelINS0_14default_configENS1_25partition_config_selectorILNS1_17partition_subalgoE8EfNS0_10empty_typeEbEEZZNS1_14partition_implILS5_8ELb0ES3_jN6thrust23THRUST_200600_302600_NS6detail15normal_iteratorINSA_10device_ptrIfEEEEPS6_PKS6_NS0_5tupleIJSF_S6_EEENSJ_IJSG_SG_EEENS0_18inequality_wrapperI22is_equal_div_10_uniqueIfEEEPmJS6_EEE10hipError_tPvRmT3_T4_T5_T6_T7_T9_mT8_P12ihipStream_tbDpT10_ENKUlT_T0_E_clISt17integral_constantIbLb1EES1A_EEDaS15_S16_EUlS15_E_NS1_11comp_targetILNS1_3genE3ELNS1_11target_archE908ELNS1_3gpuE7ELNS1_3repE0EEENS1_30default_config_static_selectorELNS0_4arch9wavefront6targetE1EEEvT1_.numbered_sgpr, 0
	.set _ZN7rocprim17ROCPRIM_400000_NS6detail17trampoline_kernelINS0_14default_configENS1_25partition_config_selectorILNS1_17partition_subalgoE8EfNS0_10empty_typeEbEEZZNS1_14partition_implILS5_8ELb0ES3_jN6thrust23THRUST_200600_302600_NS6detail15normal_iteratorINSA_10device_ptrIfEEEEPS6_PKS6_NS0_5tupleIJSF_S6_EEENSJ_IJSG_SG_EEENS0_18inequality_wrapperI22is_equal_div_10_uniqueIfEEEPmJS6_EEE10hipError_tPvRmT3_T4_T5_T6_T7_T9_mT8_P12ihipStream_tbDpT10_ENKUlT_T0_E_clISt17integral_constantIbLb1EES1A_EEDaS15_S16_EUlS15_E_NS1_11comp_targetILNS1_3genE3ELNS1_11target_archE908ELNS1_3gpuE7ELNS1_3repE0EEENS1_30default_config_static_selectorELNS0_4arch9wavefront6targetE1EEEvT1_.num_named_barrier, 0
	.set _ZN7rocprim17ROCPRIM_400000_NS6detail17trampoline_kernelINS0_14default_configENS1_25partition_config_selectorILNS1_17partition_subalgoE8EfNS0_10empty_typeEbEEZZNS1_14partition_implILS5_8ELb0ES3_jN6thrust23THRUST_200600_302600_NS6detail15normal_iteratorINSA_10device_ptrIfEEEEPS6_PKS6_NS0_5tupleIJSF_S6_EEENSJ_IJSG_SG_EEENS0_18inequality_wrapperI22is_equal_div_10_uniqueIfEEEPmJS6_EEE10hipError_tPvRmT3_T4_T5_T6_T7_T9_mT8_P12ihipStream_tbDpT10_ENKUlT_T0_E_clISt17integral_constantIbLb1EES1A_EEDaS15_S16_EUlS15_E_NS1_11comp_targetILNS1_3genE3ELNS1_11target_archE908ELNS1_3gpuE7ELNS1_3repE0EEENS1_30default_config_static_selectorELNS0_4arch9wavefront6targetE1EEEvT1_.private_seg_size, 0
	.set _ZN7rocprim17ROCPRIM_400000_NS6detail17trampoline_kernelINS0_14default_configENS1_25partition_config_selectorILNS1_17partition_subalgoE8EfNS0_10empty_typeEbEEZZNS1_14partition_implILS5_8ELb0ES3_jN6thrust23THRUST_200600_302600_NS6detail15normal_iteratorINSA_10device_ptrIfEEEEPS6_PKS6_NS0_5tupleIJSF_S6_EEENSJ_IJSG_SG_EEENS0_18inequality_wrapperI22is_equal_div_10_uniqueIfEEEPmJS6_EEE10hipError_tPvRmT3_T4_T5_T6_T7_T9_mT8_P12ihipStream_tbDpT10_ENKUlT_T0_E_clISt17integral_constantIbLb1EES1A_EEDaS15_S16_EUlS15_E_NS1_11comp_targetILNS1_3genE3ELNS1_11target_archE908ELNS1_3gpuE7ELNS1_3repE0EEENS1_30default_config_static_selectorELNS0_4arch9wavefront6targetE1EEEvT1_.uses_vcc, 0
	.set _ZN7rocprim17ROCPRIM_400000_NS6detail17trampoline_kernelINS0_14default_configENS1_25partition_config_selectorILNS1_17partition_subalgoE8EfNS0_10empty_typeEbEEZZNS1_14partition_implILS5_8ELb0ES3_jN6thrust23THRUST_200600_302600_NS6detail15normal_iteratorINSA_10device_ptrIfEEEEPS6_PKS6_NS0_5tupleIJSF_S6_EEENSJ_IJSG_SG_EEENS0_18inequality_wrapperI22is_equal_div_10_uniqueIfEEEPmJS6_EEE10hipError_tPvRmT3_T4_T5_T6_T7_T9_mT8_P12ihipStream_tbDpT10_ENKUlT_T0_E_clISt17integral_constantIbLb1EES1A_EEDaS15_S16_EUlS15_E_NS1_11comp_targetILNS1_3genE3ELNS1_11target_archE908ELNS1_3gpuE7ELNS1_3repE0EEENS1_30default_config_static_selectorELNS0_4arch9wavefront6targetE1EEEvT1_.uses_flat_scratch, 0
	.set _ZN7rocprim17ROCPRIM_400000_NS6detail17trampoline_kernelINS0_14default_configENS1_25partition_config_selectorILNS1_17partition_subalgoE8EfNS0_10empty_typeEbEEZZNS1_14partition_implILS5_8ELb0ES3_jN6thrust23THRUST_200600_302600_NS6detail15normal_iteratorINSA_10device_ptrIfEEEEPS6_PKS6_NS0_5tupleIJSF_S6_EEENSJ_IJSG_SG_EEENS0_18inequality_wrapperI22is_equal_div_10_uniqueIfEEEPmJS6_EEE10hipError_tPvRmT3_T4_T5_T6_T7_T9_mT8_P12ihipStream_tbDpT10_ENKUlT_T0_E_clISt17integral_constantIbLb1EES1A_EEDaS15_S16_EUlS15_E_NS1_11comp_targetILNS1_3genE3ELNS1_11target_archE908ELNS1_3gpuE7ELNS1_3repE0EEENS1_30default_config_static_selectorELNS0_4arch9wavefront6targetE1EEEvT1_.has_dyn_sized_stack, 0
	.set _ZN7rocprim17ROCPRIM_400000_NS6detail17trampoline_kernelINS0_14default_configENS1_25partition_config_selectorILNS1_17partition_subalgoE8EfNS0_10empty_typeEbEEZZNS1_14partition_implILS5_8ELb0ES3_jN6thrust23THRUST_200600_302600_NS6detail15normal_iteratorINSA_10device_ptrIfEEEEPS6_PKS6_NS0_5tupleIJSF_S6_EEENSJ_IJSG_SG_EEENS0_18inequality_wrapperI22is_equal_div_10_uniqueIfEEEPmJS6_EEE10hipError_tPvRmT3_T4_T5_T6_T7_T9_mT8_P12ihipStream_tbDpT10_ENKUlT_T0_E_clISt17integral_constantIbLb1EES1A_EEDaS15_S16_EUlS15_E_NS1_11comp_targetILNS1_3genE3ELNS1_11target_archE908ELNS1_3gpuE7ELNS1_3repE0EEENS1_30default_config_static_selectorELNS0_4arch9wavefront6targetE1EEEvT1_.has_recursion, 0
	.set _ZN7rocprim17ROCPRIM_400000_NS6detail17trampoline_kernelINS0_14default_configENS1_25partition_config_selectorILNS1_17partition_subalgoE8EfNS0_10empty_typeEbEEZZNS1_14partition_implILS5_8ELb0ES3_jN6thrust23THRUST_200600_302600_NS6detail15normal_iteratorINSA_10device_ptrIfEEEEPS6_PKS6_NS0_5tupleIJSF_S6_EEENSJ_IJSG_SG_EEENS0_18inequality_wrapperI22is_equal_div_10_uniqueIfEEEPmJS6_EEE10hipError_tPvRmT3_T4_T5_T6_T7_T9_mT8_P12ihipStream_tbDpT10_ENKUlT_T0_E_clISt17integral_constantIbLb1EES1A_EEDaS15_S16_EUlS15_E_NS1_11comp_targetILNS1_3genE3ELNS1_11target_archE908ELNS1_3gpuE7ELNS1_3repE0EEENS1_30default_config_static_selectorELNS0_4arch9wavefront6targetE1EEEvT1_.has_indirect_call, 0
	.section	.AMDGPU.csdata,"",@progbits
; Kernel info:
; codeLenInByte = 0
; TotalNumSgprs: 4
; NumVgprs: 0
; ScratchSize: 0
; MemoryBound: 0
; FloatMode: 240
; IeeeMode: 1
; LDSByteSize: 0 bytes/workgroup (compile time only)
; SGPRBlocks: 0
; VGPRBlocks: 0
; NumSGPRsForWavesPerEU: 4
; NumVGPRsForWavesPerEU: 1
; Occupancy: 10
; WaveLimiterHint : 0
; COMPUTE_PGM_RSRC2:SCRATCH_EN: 0
; COMPUTE_PGM_RSRC2:USER_SGPR: 6
; COMPUTE_PGM_RSRC2:TRAP_HANDLER: 0
; COMPUTE_PGM_RSRC2:TGID_X_EN: 1
; COMPUTE_PGM_RSRC2:TGID_Y_EN: 0
; COMPUTE_PGM_RSRC2:TGID_Z_EN: 0
; COMPUTE_PGM_RSRC2:TIDIG_COMP_CNT: 0
	.section	.text._ZN7rocprim17ROCPRIM_400000_NS6detail17trampoline_kernelINS0_14default_configENS1_25partition_config_selectorILNS1_17partition_subalgoE8EfNS0_10empty_typeEbEEZZNS1_14partition_implILS5_8ELb0ES3_jN6thrust23THRUST_200600_302600_NS6detail15normal_iteratorINSA_10device_ptrIfEEEEPS6_PKS6_NS0_5tupleIJSF_S6_EEENSJ_IJSG_SG_EEENS0_18inequality_wrapperI22is_equal_div_10_uniqueIfEEEPmJS6_EEE10hipError_tPvRmT3_T4_T5_T6_T7_T9_mT8_P12ihipStream_tbDpT10_ENKUlT_T0_E_clISt17integral_constantIbLb1EES1A_EEDaS15_S16_EUlS15_E_NS1_11comp_targetILNS1_3genE2ELNS1_11target_archE906ELNS1_3gpuE6ELNS1_3repE0EEENS1_30default_config_static_selectorELNS0_4arch9wavefront6targetE1EEEvT1_,"axG",@progbits,_ZN7rocprim17ROCPRIM_400000_NS6detail17trampoline_kernelINS0_14default_configENS1_25partition_config_selectorILNS1_17partition_subalgoE8EfNS0_10empty_typeEbEEZZNS1_14partition_implILS5_8ELb0ES3_jN6thrust23THRUST_200600_302600_NS6detail15normal_iteratorINSA_10device_ptrIfEEEEPS6_PKS6_NS0_5tupleIJSF_S6_EEENSJ_IJSG_SG_EEENS0_18inequality_wrapperI22is_equal_div_10_uniqueIfEEEPmJS6_EEE10hipError_tPvRmT3_T4_T5_T6_T7_T9_mT8_P12ihipStream_tbDpT10_ENKUlT_T0_E_clISt17integral_constantIbLb1EES1A_EEDaS15_S16_EUlS15_E_NS1_11comp_targetILNS1_3genE2ELNS1_11target_archE906ELNS1_3gpuE6ELNS1_3repE0EEENS1_30default_config_static_selectorELNS0_4arch9wavefront6targetE1EEEvT1_,comdat
	.protected	_ZN7rocprim17ROCPRIM_400000_NS6detail17trampoline_kernelINS0_14default_configENS1_25partition_config_selectorILNS1_17partition_subalgoE8EfNS0_10empty_typeEbEEZZNS1_14partition_implILS5_8ELb0ES3_jN6thrust23THRUST_200600_302600_NS6detail15normal_iteratorINSA_10device_ptrIfEEEEPS6_PKS6_NS0_5tupleIJSF_S6_EEENSJ_IJSG_SG_EEENS0_18inequality_wrapperI22is_equal_div_10_uniqueIfEEEPmJS6_EEE10hipError_tPvRmT3_T4_T5_T6_T7_T9_mT8_P12ihipStream_tbDpT10_ENKUlT_T0_E_clISt17integral_constantIbLb1EES1A_EEDaS15_S16_EUlS15_E_NS1_11comp_targetILNS1_3genE2ELNS1_11target_archE906ELNS1_3gpuE6ELNS1_3repE0EEENS1_30default_config_static_selectorELNS0_4arch9wavefront6targetE1EEEvT1_ ; -- Begin function _ZN7rocprim17ROCPRIM_400000_NS6detail17trampoline_kernelINS0_14default_configENS1_25partition_config_selectorILNS1_17partition_subalgoE8EfNS0_10empty_typeEbEEZZNS1_14partition_implILS5_8ELb0ES3_jN6thrust23THRUST_200600_302600_NS6detail15normal_iteratorINSA_10device_ptrIfEEEEPS6_PKS6_NS0_5tupleIJSF_S6_EEENSJ_IJSG_SG_EEENS0_18inequality_wrapperI22is_equal_div_10_uniqueIfEEEPmJS6_EEE10hipError_tPvRmT3_T4_T5_T6_T7_T9_mT8_P12ihipStream_tbDpT10_ENKUlT_T0_E_clISt17integral_constantIbLb1EES1A_EEDaS15_S16_EUlS15_E_NS1_11comp_targetILNS1_3genE2ELNS1_11target_archE906ELNS1_3gpuE6ELNS1_3repE0EEENS1_30default_config_static_selectorELNS0_4arch9wavefront6targetE1EEEvT1_
	.globl	_ZN7rocprim17ROCPRIM_400000_NS6detail17trampoline_kernelINS0_14default_configENS1_25partition_config_selectorILNS1_17partition_subalgoE8EfNS0_10empty_typeEbEEZZNS1_14partition_implILS5_8ELb0ES3_jN6thrust23THRUST_200600_302600_NS6detail15normal_iteratorINSA_10device_ptrIfEEEEPS6_PKS6_NS0_5tupleIJSF_S6_EEENSJ_IJSG_SG_EEENS0_18inequality_wrapperI22is_equal_div_10_uniqueIfEEEPmJS6_EEE10hipError_tPvRmT3_T4_T5_T6_T7_T9_mT8_P12ihipStream_tbDpT10_ENKUlT_T0_E_clISt17integral_constantIbLb1EES1A_EEDaS15_S16_EUlS15_E_NS1_11comp_targetILNS1_3genE2ELNS1_11target_archE906ELNS1_3gpuE6ELNS1_3repE0EEENS1_30default_config_static_selectorELNS0_4arch9wavefront6targetE1EEEvT1_
	.p2align	8
	.type	_ZN7rocprim17ROCPRIM_400000_NS6detail17trampoline_kernelINS0_14default_configENS1_25partition_config_selectorILNS1_17partition_subalgoE8EfNS0_10empty_typeEbEEZZNS1_14partition_implILS5_8ELb0ES3_jN6thrust23THRUST_200600_302600_NS6detail15normal_iteratorINSA_10device_ptrIfEEEEPS6_PKS6_NS0_5tupleIJSF_S6_EEENSJ_IJSG_SG_EEENS0_18inequality_wrapperI22is_equal_div_10_uniqueIfEEEPmJS6_EEE10hipError_tPvRmT3_T4_T5_T6_T7_T9_mT8_P12ihipStream_tbDpT10_ENKUlT_T0_E_clISt17integral_constantIbLb1EES1A_EEDaS15_S16_EUlS15_E_NS1_11comp_targetILNS1_3genE2ELNS1_11target_archE906ELNS1_3gpuE6ELNS1_3repE0EEENS1_30default_config_static_selectorELNS0_4arch9wavefront6targetE1EEEvT1_,@function
_ZN7rocprim17ROCPRIM_400000_NS6detail17trampoline_kernelINS0_14default_configENS1_25partition_config_selectorILNS1_17partition_subalgoE8EfNS0_10empty_typeEbEEZZNS1_14partition_implILS5_8ELb0ES3_jN6thrust23THRUST_200600_302600_NS6detail15normal_iteratorINSA_10device_ptrIfEEEEPS6_PKS6_NS0_5tupleIJSF_S6_EEENSJ_IJSG_SG_EEENS0_18inequality_wrapperI22is_equal_div_10_uniqueIfEEEPmJS6_EEE10hipError_tPvRmT3_T4_T5_T6_T7_T9_mT8_P12ihipStream_tbDpT10_ENKUlT_T0_E_clISt17integral_constantIbLb1EES1A_EEDaS15_S16_EUlS15_E_NS1_11comp_targetILNS1_3genE2ELNS1_11target_archE906ELNS1_3gpuE6ELNS1_3repE0EEENS1_30default_config_static_selectorELNS0_4arch9wavefront6targetE1EEEvT1_: ; @_ZN7rocprim17ROCPRIM_400000_NS6detail17trampoline_kernelINS0_14default_configENS1_25partition_config_selectorILNS1_17partition_subalgoE8EfNS0_10empty_typeEbEEZZNS1_14partition_implILS5_8ELb0ES3_jN6thrust23THRUST_200600_302600_NS6detail15normal_iteratorINSA_10device_ptrIfEEEEPS6_PKS6_NS0_5tupleIJSF_S6_EEENSJ_IJSG_SG_EEENS0_18inequality_wrapperI22is_equal_div_10_uniqueIfEEEPmJS6_EEE10hipError_tPvRmT3_T4_T5_T6_T7_T9_mT8_P12ihipStream_tbDpT10_ENKUlT_T0_E_clISt17integral_constantIbLb1EES1A_EEDaS15_S16_EUlS15_E_NS1_11comp_targetILNS1_3genE2ELNS1_11target_archE906ELNS1_3gpuE6ELNS1_3repE0EEENS1_30default_config_static_selectorELNS0_4arch9wavefront6targetE1EEEvT1_
; %bb.0:
	s_endpgm
	.section	.rodata,"a",@progbits
	.p2align	6, 0x0
	.amdhsa_kernel _ZN7rocprim17ROCPRIM_400000_NS6detail17trampoline_kernelINS0_14default_configENS1_25partition_config_selectorILNS1_17partition_subalgoE8EfNS0_10empty_typeEbEEZZNS1_14partition_implILS5_8ELb0ES3_jN6thrust23THRUST_200600_302600_NS6detail15normal_iteratorINSA_10device_ptrIfEEEEPS6_PKS6_NS0_5tupleIJSF_S6_EEENSJ_IJSG_SG_EEENS0_18inequality_wrapperI22is_equal_div_10_uniqueIfEEEPmJS6_EEE10hipError_tPvRmT3_T4_T5_T6_T7_T9_mT8_P12ihipStream_tbDpT10_ENKUlT_T0_E_clISt17integral_constantIbLb1EES1A_EEDaS15_S16_EUlS15_E_NS1_11comp_targetILNS1_3genE2ELNS1_11target_archE906ELNS1_3gpuE6ELNS1_3repE0EEENS1_30default_config_static_selectorELNS0_4arch9wavefront6targetE1EEEvT1_
		.amdhsa_group_segment_fixed_size 0
		.amdhsa_private_segment_fixed_size 0
		.amdhsa_kernarg_size 128
		.amdhsa_user_sgpr_count 6
		.amdhsa_user_sgpr_private_segment_buffer 1
		.amdhsa_user_sgpr_dispatch_ptr 0
		.amdhsa_user_sgpr_queue_ptr 0
		.amdhsa_user_sgpr_kernarg_segment_ptr 1
		.amdhsa_user_sgpr_dispatch_id 0
		.amdhsa_user_sgpr_flat_scratch_init 0
		.amdhsa_user_sgpr_private_segment_size 0
		.amdhsa_uses_dynamic_stack 0
		.amdhsa_system_sgpr_private_segment_wavefront_offset 0
		.amdhsa_system_sgpr_workgroup_id_x 1
		.amdhsa_system_sgpr_workgroup_id_y 0
		.amdhsa_system_sgpr_workgroup_id_z 0
		.amdhsa_system_sgpr_workgroup_info 0
		.amdhsa_system_vgpr_workitem_id 0
		.amdhsa_next_free_vgpr 1
		.amdhsa_next_free_sgpr 0
		.amdhsa_reserve_vcc 0
		.amdhsa_reserve_flat_scratch 0
		.amdhsa_float_round_mode_32 0
		.amdhsa_float_round_mode_16_64 0
		.amdhsa_float_denorm_mode_32 3
		.amdhsa_float_denorm_mode_16_64 3
		.amdhsa_dx10_clamp 1
		.amdhsa_ieee_mode 1
		.amdhsa_fp16_overflow 0
		.amdhsa_exception_fp_ieee_invalid_op 0
		.amdhsa_exception_fp_denorm_src 0
		.amdhsa_exception_fp_ieee_div_zero 0
		.amdhsa_exception_fp_ieee_overflow 0
		.amdhsa_exception_fp_ieee_underflow 0
		.amdhsa_exception_fp_ieee_inexact 0
		.amdhsa_exception_int_div_zero 0
	.end_amdhsa_kernel
	.section	.text._ZN7rocprim17ROCPRIM_400000_NS6detail17trampoline_kernelINS0_14default_configENS1_25partition_config_selectorILNS1_17partition_subalgoE8EfNS0_10empty_typeEbEEZZNS1_14partition_implILS5_8ELb0ES3_jN6thrust23THRUST_200600_302600_NS6detail15normal_iteratorINSA_10device_ptrIfEEEEPS6_PKS6_NS0_5tupleIJSF_S6_EEENSJ_IJSG_SG_EEENS0_18inequality_wrapperI22is_equal_div_10_uniqueIfEEEPmJS6_EEE10hipError_tPvRmT3_T4_T5_T6_T7_T9_mT8_P12ihipStream_tbDpT10_ENKUlT_T0_E_clISt17integral_constantIbLb1EES1A_EEDaS15_S16_EUlS15_E_NS1_11comp_targetILNS1_3genE2ELNS1_11target_archE906ELNS1_3gpuE6ELNS1_3repE0EEENS1_30default_config_static_selectorELNS0_4arch9wavefront6targetE1EEEvT1_,"axG",@progbits,_ZN7rocprim17ROCPRIM_400000_NS6detail17trampoline_kernelINS0_14default_configENS1_25partition_config_selectorILNS1_17partition_subalgoE8EfNS0_10empty_typeEbEEZZNS1_14partition_implILS5_8ELb0ES3_jN6thrust23THRUST_200600_302600_NS6detail15normal_iteratorINSA_10device_ptrIfEEEEPS6_PKS6_NS0_5tupleIJSF_S6_EEENSJ_IJSG_SG_EEENS0_18inequality_wrapperI22is_equal_div_10_uniqueIfEEEPmJS6_EEE10hipError_tPvRmT3_T4_T5_T6_T7_T9_mT8_P12ihipStream_tbDpT10_ENKUlT_T0_E_clISt17integral_constantIbLb1EES1A_EEDaS15_S16_EUlS15_E_NS1_11comp_targetILNS1_3genE2ELNS1_11target_archE906ELNS1_3gpuE6ELNS1_3repE0EEENS1_30default_config_static_selectorELNS0_4arch9wavefront6targetE1EEEvT1_,comdat
.Lfunc_end124:
	.size	_ZN7rocprim17ROCPRIM_400000_NS6detail17trampoline_kernelINS0_14default_configENS1_25partition_config_selectorILNS1_17partition_subalgoE8EfNS0_10empty_typeEbEEZZNS1_14partition_implILS5_8ELb0ES3_jN6thrust23THRUST_200600_302600_NS6detail15normal_iteratorINSA_10device_ptrIfEEEEPS6_PKS6_NS0_5tupleIJSF_S6_EEENSJ_IJSG_SG_EEENS0_18inequality_wrapperI22is_equal_div_10_uniqueIfEEEPmJS6_EEE10hipError_tPvRmT3_T4_T5_T6_T7_T9_mT8_P12ihipStream_tbDpT10_ENKUlT_T0_E_clISt17integral_constantIbLb1EES1A_EEDaS15_S16_EUlS15_E_NS1_11comp_targetILNS1_3genE2ELNS1_11target_archE906ELNS1_3gpuE6ELNS1_3repE0EEENS1_30default_config_static_selectorELNS0_4arch9wavefront6targetE1EEEvT1_, .Lfunc_end124-_ZN7rocprim17ROCPRIM_400000_NS6detail17trampoline_kernelINS0_14default_configENS1_25partition_config_selectorILNS1_17partition_subalgoE8EfNS0_10empty_typeEbEEZZNS1_14partition_implILS5_8ELb0ES3_jN6thrust23THRUST_200600_302600_NS6detail15normal_iteratorINSA_10device_ptrIfEEEEPS6_PKS6_NS0_5tupleIJSF_S6_EEENSJ_IJSG_SG_EEENS0_18inequality_wrapperI22is_equal_div_10_uniqueIfEEEPmJS6_EEE10hipError_tPvRmT3_T4_T5_T6_T7_T9_mT8_P12ihipStream_tbDpT10_ENKUlT_T0_E_clISt17integral_constantIbLb1EES1A_EEDaS15_S16_EUlS15_E_NS1_11comp_targetILNS1_3genE2ELNS1_11target_archE906ELNS1_3gpuE6ELNS1_3repE0EEENS1_30default_config_static_selectorELNS0_4arch9wavefront6targetE1EEEvT1_
                                        ; -- End function
	.set _ZN7rocprim17ROCPRIM_400000_NS6detail17trampoline_kernelINS0_14default_configENS1_25partition_config_selectorILNS1_17partition_subalgoE8EfNS0_10empty_typeEbEEZZNS1_14partition_implILS5_8ELb0ES3_jN6thrust23THRUST_200600_302600_NS6detail15normal_iteratorINSA_10device_ptrIfEEEEPS6_PKS6_NS0_5tupleIJSF_S6_EEENSJ_IJSG_SG_EEENS0_18inequality_wrapperI22is_equal_div_10_uniqueIfEEEPmJS6_EEE10hipError_tPvRmT3_T4_T5_T6_T7_T9_mT8_P12ihipStream_tbDpT10_ENKUlT_T0_E_clISt17integral_constantIbLb1EES1A_EEDaS15_S16_EUlS15_E_NS1_11comp_targetILNS1_3genE2ELNS1_11target_archE906ELNS1_3gpuE6ELNS1_3repE0EEENS1_30default_config_static_selectorELNS0_4arch9wavefront6targetE1EEEvT1_.num_vgpr, 0
	.set _ZN7rocprim17ROCPRIM_400000_NS6detail17trampoline_kernelINS0_14default_configENS1_25partition_config_selectorILNS1_17partition_subalgoE8EfNS0_10empty_typeEbEEZZNS1_14partition_implILS5_8ELb0ES3_jN6thrust23THRUST_200600_302600_NS6detail15normal_iteratorINSA_10device_ptrIfEEEEPS6_PKS6_NS0_5tupleIJSF_S6_EEENSJ_IJSG_SG_EEENS0_18inequality_wrapperI22is_equal_div_10_uniqueIfEEEPmJS6_EEE10hipError_tPvRmT3_T4_T5_T6_T7_T9_mT8_P12ihipStream_tbDpT10_ENKUlT_T0_E_clISt17integral_constantIbLb1EES1A_EEDaS15_S16_EUlS15_E_NS1_11comp_targetILNS1_3genE2ELNS1_11target_archE906ELNS1_3gpuE6ELNS1_3repE0EEENS1_30default_config_static_selectorELNS0_4arch9wavefront6targetE1EEEvT1_.num_agpr, 0
	.set _ZN7rocprim17ROCPRIM_400000_NS6detail17trampoline_kernelINS0_14default_configENS1_25partition_config_selectorILNS1_17partition_subalgoE8EfNS0_10empty_typeEbEEZZNS1_14partition_implILS5_8ELb0ES3_jN6thrust23THRUST_200600_302600_NS6detail15normal_iteratorINSA_10device_ptrIfEEEEPS6_PKS6_NS0_5tupleIJSF_S6_EEENSJ_IJSG_SG_EEENS0_18inequality_wrapperI22is_equal_div_10_uniqueIfEEEPmJS6_EEE10hipError_tPvRmT3_T4_T5_T6_T7_T9_mT8_P12ihipStream_tbDpT10_ENKUlT_T0_E_clISt17integral_constantIbLb1EES1A_EEDaS15_S16_EUlS15_E_NS1_11comp_targetILNS1_3genE2ELNS1_11target_archE906ELNS1_3gpuE6ELNS1_3repE0EEENS1_30default_config_static_selectorELNS0_4arch9wavefront6targetE1EEEvT1_.numbered_sgpr, 0
	.set _ZN7rocprim17ROCPRIM_400000_NS6detail17trampoline_kernelINS0_14default_configENS1_25partition_config_selectorILNS1_17partition_subalgoE8EfNS0_10empty_typeEbEEZZNS1_14partition_implILS5_8ELb0ES3_jN6thrust23THRUST_200600_302600_NS6detail15normal_iteratorINSA_10device_ptrIfEEEEPS6_PKS6_NS0_5tupleIJSF_S6_EEENSJ_IJSG_SG_EEENS0_18inequality_wrapperI22is_equal_div_10_uniqueIfEEEPmJS6_EEE10hipError_tPvRmT3_T4_T5_T6_T7_T9_mT8_P12ihipStream_tbDpT10_ENKUlT_T0_E_clISt17integral_constantIbLb1EES1A_EEDaS15_S16_EUlS15_E_NS1_11comp_targetILNS1_3genE2ELNS1_11target_archE906ELNS1_3gpuE6ELNS1_3repE0EEENS1_30default_config_static_selectorELNS0_4arch9wavefront6targetE1EEEvT1_.num_named_barrier, 0
	.set _ZN7rocprim17ROCPRIM_400000_NS6detail17trampoline_kernelINS0_14default_configENS1_25partition_config_selectorILNS1_17partition_subalgoE8EfNS0_10empty_typeEbEEZZNS1_14partition_implILS5_8ELb0ES3_jN6thrust23THRUST_200600_302600_NS6detail15normal_iteratorINSA_10device_ptrIfEEEEPS6_PKS6_NS0_5tupleIJSF_S6_EEENSJ_IJSG_SG_EEENS0_18inequality_wrapperI22is_equal_div_10_uniqueIfEEEPmJS6_EEE10hipError_tPvRmT3_T4_T5_T6_T7_T9_mT8_P12ihipStream_tbDpT10_ENKUlT_T0_E_clISt17integral_constantIbLb1EES1A_EEDaS15_S16_EUlS15_E_NS1_11comp_targetILNS1_3genE2ELNS1_11target_archE906ELNS1_3gpuE6ELNS1_3repE0EEENS1_30default_config_static_selectorELNS0_4arch9wavefront6targetE1EEEvT1_.private_seg_size, 0
	.set _ZN7rocprim17ROCPRIM_400000_NS6detail17trampoline_kernelINS0_14default_configENS1_25partition_config_selectorILNS1_17partition_subalgoE8EfNS0_10empty_typeEbEEZZNS1_14partition_implILS5_8ELb0ES3_jN6thrust23THRUST_200600_302600_NS6detail15normal_iteratorINSA_10device_ptrIfEEEEPS6_PKS6_NS0_5tupleIJSF_S6_EEENSJ_IJSG_SG_EEENS0_18inequality_wrapperI22is_equal_div_10_uniqueIfEEEPmJS6_EEE10hipError_tPvRmT3_T4_T5_T6_T7_T9_mT8_P12ihipStream_tbDpT10_ENKUlT_T0_E_clISt17integral_constantIbLb1EES1A_EEDaS15_S16_EUlS15_E_NS1_11comp_targetILNS1_3genE2ELNS1_11target_archE906ELNS1_3gpuE6ELNS1_3repE0EEENS1_30default_config_static_selectorELNS0_4arch9wavefront6targetE1EEEvT1_.uses_vcc, 0
	.set _ZN7rocprim17ROCPRIM_400000_NS6detail17trampoline_kernelINS0_14default_configENS1_25partition_config_selectorILNS1_17partition_subalgoE8EfNS0_10empty_typeEbEEZZNS1_14partition_implILS5_8ELb0ES3_jN6thrust23THRUST_200600_302600_NS6detail15normal_iteratorINSA_10device_ptrIfEEEEPS6_PKS6_NS0_5tupleIJSF_S6_EEENSJ_IJSG_SG_EEENS0_18inequality_wrapperI22is_equal_div_10_uniqueIfEEEPmJS6_EEE10hipError_tPvRmT3_T4_T5_T6_T7_T9_mT8_P12ihipStream_tbDpT10_ENKUlT_T0_E_clISt17integral_constantIbLb1EES1A_EEDaS15_S16_EUlS15_E_NS1_11comp_targetILNS1_3genE2ELNS1_11target_archE906ELNS1_3gpuE6ELNS1_3repE0EEENS1_30default_config_static_selectorELNS0_4arch9wavefront6targetE1EEEvT1_.uses_flat_scratch, 0
	.set _ZN7rocprim17ROCPRIM_400000_NS6detail17trampoline_kernelINS0_14default_configENS1_25partition_config_selectorILNS1_17partition_subalgoE8EfNS0_10empty_typeEbEEZZNS1_14partition_implILS5_8ELb0ES3_jN6thrust23THRUST_200600_302600_NS6detail15normal_iteratorINSA_10device_ptrIfEEEEPS6_PKS6_NS0_5tupleIJSF_S6_EEENSJ_IJSG_SG_EEENS0_18inequality_wrapperI22is_equal_div_10_uniqueIfEEEPmJS6_EEE10hipError_tPvRmT3_T4_T5_T6_T7_T9_mT8_P12ihipStream_tbDpT10_ENKUlT_T0_E_clISt17integral_constantIbLb1EES1A_EEDaS15_S16_EUlS15_E_NS1_11comp_targetILNS1_3genE2ELNS1_11target_archE906ELNS1_3gpuE6ELNS1_3repE0EEENS1_30default_config_static_selectorELNS0_4arch9wavefront6targetE1EEEvT1_.has_dyn_sized_stack, 0
	.set _ZN7rocprim17ROCPRIM_400000_NS6detail17trampoline_kernelINS0_14default_configENS1_25partition_config_selectorILNS1_17partition_subalgoE8EfNS0_10empty_typeEbEEZZNS1_14partition_implILS5_8ELb0ES3_jN6thrust23THRUST_200600_302600_NS6detail15normal_iteratorINSA_10device_ptrIfEEEEPS6_PKS6_NS0_5tupleIJSF_S6_EEENSJ_IJSG_SG_EEENS0_18inequality_wrapperI22is_equal_div_10_uniqueIfEEEPmJS6_EEE10hipError_tPvRmT3_T4_T5_T6_T7_T9_mT8_P12ihipStream_tbDpT10_ENKUlT_T0_E_clISt17integral_constantIbLb1EES1A_EEDaS15_S16_EUlS15_E_NS1_11comp_targetILNS1_3genE2ELNS1_11target_archE906ELNS1_3gpuE6ELNS1_3repE0EEENS1_30default_config_static_selectorELNS0_4arch9wavefront6targetE1EEEvT1_.has_recursion, 0
	.set _ZN7rocprim17ROCPRIM_400000_NS6detail17trampoline_kernelINS0_14default_configENS1_25partition_config_selectorILNS1_17partition_subalgoE8EfNS0_10empty_typeEbEEZZNS1_14partition_implILS5_8ELb0ES3_jN6thrust23THRUST_200600_302600_NS6detail15normal_iteratorINSA_10device_ptrIfEEEEPS6_PKS6_NS0_5tupleIJSF_S6_EEENSJ_IJSG_SG_EEENS0_18inequality_wrapperI22is_equal_div_10_uniqueIfEEEPmJS6_EEE10hipError_tPvRmT3_T4_T5_T6_T7_T9_mT8_P12ihipStream_tbDpT10_ENKUlT_T0_E_clISt17integral_constantIbLb1EES1A_EEDaS15_S16_EUlS15_E_NS1_11comp_targetILNS1_3genE2ELNS1_11target_archE906ELNS1_3gpuE6ELNS1_3repE0EEENS1_30default_config_static_selectorELNS0_4arch9wavefront6targetE1EEEvT1_.has_indirect_call, 0
	.section	.AMDGPU.csdata,"",@progbits
; Kernel info:
; codeLenInByte = 4
; TotalNumSgprs: 4
; NumVgprs: 0
; ScratchSize: 0
; MemoryBound: 0
; FloatMode: 240
; IeeeMode: 1
; LDSByteSize: 0 bytes/workgroup (compile time only)
; SGPRBlocks: 0
; VGPRBlocks: 0
; NumSGPRsForWavesPerEU: 4
; NumVGPRsForWavesPerEU: 1
; Occupancy: 10
; WaveLimiterHint : 0
; COMPUTE_PGM_RSRC2:SCRATCH_EN: 0
; COMPUTE_PGM_RSRC2:USER_SGPR: 6
; COMPUTE_PGM_RSRC2:TRAP_HANDLER: 0
; COMPUTE_PGM_RSRC2:TGID_X_EN: 1
; COMPUTE_PGM_RSRC2:TGID_Y_EN: 0
; COMPUTE_PGM_RSRC2:TGID_Z_EN: 0
; COMPUTE_PGM_RSRC2:TIDIG_COMP_CNT: 0
	.section	.text._ZN7rocprim17ROCPRIM_400000_NS6detail17trampoline_kernelINS0_14default_configENS1_25partition_config_selectorILNS1_17partition_subalgoE8EfNS0_10empty_typeEbEEZZNS1_14partition_implILS5_8ELb0ES3_jN6thrust23THRUST_200600_302600_NS6detail15normal_iteratorINSA_10device_ptrIfEEEEPS6_PKS6_NS0_5tupleIJSF_S6_EEENSJ_IJSG_SG_EEENS0_18inequality_wrapperI22is_equal_div_10_uniqueIfEEEPmJS6_EEE10hipError_tPvRmT3_T4_T5_T6_T7_T9_mT8_P12ihipStream_tbDpT10_ENKUlT_T0_E_clISt17integral_constantIbLb1EES1A_EEDaS15_S16_EUlS15_E_NS1_11comp_targetILNS1_3genE10ELNS1_11target_archE1200ELNS1_3gpuE4ELNS1_3repE0EEENS1_30default_config_static_selectorELNS0_4arch9wavefront6targetE1EEEvT1_,"axG",@progbits,_ZN7rocprim17ROCPRIM_400000_NS6detail17trampoline_kernelINS0_14default_configENS1_25partition_config_selectorILNS1_17partition_subalgoE8EfNS0_10empty_typeEbEEZZNS1_14partition_implILS5_8ELb0ES3_jN6thrust23THRUST_200600_302600_NS6detail15normal_iteratorINSA_10device_ptrIfEEEEPS6_PKS6_NS0_5tupleIJSF_S6_EEENSJ_IJSG_SG_EEENS0_18inequality_wrapperI22is_equal_div_10_uniqueIfEEEPmJS6_EEE10hipError_tPvRmT3_T4_T5_T6_T7_T9_mT8_P12ihipStream_tbDpT10_ENKUlT_T0_E_clISt17integral_constantIbLb1EES1A_EEDaS15_S16_EUlS15_E_NS1_11comp_targetILNS1_3genE10ELNS1_11target_archE1200ELNS1_3gpuE4ELNS1_3repE0EEENS1_30default_config_static_selectorELNS0_4arch9wavefront6targetE1EEEvT1_,comdat
	.protected	_ZN7rocprim17ROCPRIM_400000_NS6detail17trampoline_kernelINS0_14default_configENS1_25partition_config_selectorILNS1_17partition_subalgoE8EfNS0_10empty_typeEbEEZZNS1_14partition_implILS5_8ELb0ES3_jN6thrust23THRUST_200600_302600_NS6detail15normal_iteratorINSA_10device_ptrIfEEEEPS6_PKS6_NS0_5tupleIJSF_S6_EEENSJ_IJSG_SG_EEENS0_18inequality_wrapperI22is_equal_div_10_uniqueIfEEEPmJS6_EEE10hipError_tPvRmT3_T4_T5_T6_T7_T9_mT8_P12ihipStream_tbDpT10_ENKUlT_T0_E_clISt17integral_constantIbLb1EES1A_EEDaS15_S16_EUlS15_E_NS1_11comp_targetILNS1_3genE10ELNS1_11target_archE1200ELNS1_3gpuE4ELNS1_3repE0EEENS1_30default_config_static_selectorELNS0_4arch9wavefront6targetE1EEEvT1_ ; -- Begin function _ZN7rocprim17ROCPRIM_400000_NS6detail17trampoline_kernelINS0_14default_configENS1_25partition_config_selectorILNS1_17partition_subalgoE8EfNS0_10empty_typeEbEEZZNS1_14partition_implILS5_8ELb0ES3_jN6thrust23THRUST_200600_302600_NS6detail15normal_iteratorINSA_10device_ptrIfEEEEPS6_PKS6_NS0_5tupleIJSF_S6_EEENSJ_IJSG_SG_EEENS0_18inequality_wrapperI22is_equal_div_10_uniqueIfEEEPmJS6_EEE10hipError_tPvRmT3_T4_T5_T6_T7_T9_mT8_P12ihipStream_tbDpT10_ENKUlT_T0_E_clISt17integral_constantIbLb1EES1A_EEDaS15_S16_EUlS15_E_NS1_11comp_targetILNS1_3genE10ELNS1_11target_archE1200ELNS1_3gpuE4ELNS1_3repE0EEENS1_30default_config_static_selectorELNS0_4arch9wavefront6targetE1EEEvT1_
	.globl	_ZN7rocprim17ROCPRIM_400000_NS6detail17trampoline_kernelINS0_14default_configENS1_25partition_config_selectorILNS1_17partition_subalgoE8EfNS0_10empty_typeEbEEZZNS1_14partition_implILS5_8ELb0ES3_jN6thrust23THRUST_200600_302600_NS6detail15normal_iteratorINSA_10device_ptrIfEEEEPS6_PKS6_NS0_5tupleIJSF_S6_EEENSJ_IJSG_SG_EEENS0_18inequality_wrapperI22is_equal_div_10_uniqueIfEEEPmJS6_EEE10hipError_tPvRmT3_T4_T5_T6_T7_T9_mT8_P12ihipStream_tbDpT10_ENKUlT_T0_E_clISt17integral_constantIbLb1EES1A_EEDaS15_S16_EUlS15_E_NS1_11comp_targetILNS1_3genE10ELNS1_11target_archE1200ELNS1_3gpuE4ELNS1_3repE0EEENS1_30default_config_static_selectorELNS0_4arch9wavefront6targetE1EEEvT1_
	.p2align	8
	.type	_ZN7rocprim17ROCPRIM_400000_NS6detail17trampoline_kernelINS0_14default_configENS1_25partition_config_selectorILNS1_17partition_subalgoE8EfNS0_10empty_typeEbEEZZNS1_14partition_implILS5_8ELb0ES3_jN6thrust23THRUST_200600_302600_NS6detail15normal_iteratorINSA_10device_ptrIfEEEEPS6_PKS6_NS0_5tupleIJSF_S6_EEENSJ_IJSG_SG_EEENS0_18inequality_wrapperI22is_equal_div_10_uniqueIfEEEPmJS6_EEE10hipError_tPvRmT3_T4_T5_T6_T7_T9_mT8_P12ihipStream_tbDpT10_ENKUlT_T0_E_clISt17integral_constantIbLb1EES1A_EEDaS15_S16_EUlS15_E_NS1_11comp_targetILNS1_3genE10ELNS1_11target_archE1200ELNS1_3gpuE4ELNS1_3repE0EEENS1_30default_config_static_selectorELNS0_4arch9wavefront6targetE1EEEvT1_,@function
_ZN7rocprim17ROCPRIM_400000_NS6detail17trampoline_kernelINS0_14default_configENS1_25partition_config_selectorILNS1_17partition_subalgoE8EfNS0_10empty_typeEbEEZZNS1_14partition_implILS5_8ELb0ES3_jN6thrust23THRUST_200600_302600_NS6detail15normal_iteratorINSA_10device_ptrIfEEEEPS6_PKS6_NS0_5tupleIJSF_S6_EEENSJ_IJSG_SG_EEENS0_18inequality_wrapperI22is_equal_div_10_uniqueIfEEEPmJS6_EEE10hipError_tPvRmT3_T4_T5_T6_T7_T9_mT8_P12ihipStream_tbDpT10_ENKUlT_T0_E_clISt17integral_constantIbLb1EES1A_EEDaS15_S16_EUlS15_E_NS1_11comp_targetILNS1_3genE10ELNS1_11target_archE1200ELNS1_3gpuE4ELNS1_3repE0EEENS1_30default_config_static_selectorELNS0_4arch9wavefront6targetE1EEEvT1_: ; @_ZN7rocprim17ROCPRIM_400000_NS6detail17trampoline_kernelINS0_14default_configENS1_25partition_config_selectorILNS1_17partition_subalgoE8EfNS0_10empty_typeEbEEZZNS1_14partition_implILS5_8ELb0ES3_jN6thrust23THRUST_200600_302600_NS6detail15normal_iteratorINSA_10device_ptrIfEEEEPS6_PKS6_NS0_5tupleIJSF_S6_EEENSJ_IJSG_SG_EEENS0_18inequality_wrapperI22is_equal_div_10_uniqueIfEEEPmJS6_EEE10hipError_tPvRmT3_T4_T5_T6_T7_T9_mT8_P12ihipStream_tbDpT10_ENKUlT_T0_E_clISt17integral_constantIbLb1EES1A_EEDaS15_S16_EUlS15_E_NS1_11comp_targetILNS1_3genE10ELNS1_11target_archE1200ELNS1_3gpuE4ELNS1_3repE0EEENS1_30default_config_static_selectorELNS0_4arch9wavefront6targetE1EEEvT1_
; %bb.0:
	.section	.rodata,"a",@progbits
	.p2align	6, 0x0
	.amdhsa_kernel _ZN7rocprim17ROCPRIM_400000_NS6detail17trampoline_kernelINS0_14default_configENS1_25partition_config_selectorILNS1_17partition_subalgoE8EfNS0_10empty_typeEbEEZZNS1_14partition_implILS5_8ELb0ES3_jN6thrust23THRUST_200600_302600_NS6detail15normal_iteratorINSA_10device_ptrIfEEEEPS6_PKS6_NS0_5tupleIJSF_S6_EEENSJ_IJSG_SG_EEENS0_18inequality_wrapperI22is_equal_div_10_uniqueIfEEEPmJS6_EEE10hipError_tPvRmT3_T4_T5_T6_T7_T9_mT8_P12ihipStream_tbDpT10_ENKUlT_T0_E_clISt17integral_constantIbLb1EES1A_EEDaS15_S16_EUlS15_E_NS1_11comp_targetILNS1_3genE10ELNS1_11target_archE1200ELNS1_3gpuE4ELNS1_3repE0EEENS1_30default_config_static_selectorELNS0_4arch9wavefront6targetE1EEEvT1_
		.amdhsa_group_segment_fixed_size 0
		.amdhsa_private_segment_fixed_size 0
		.amdhsa_kernarg_size 128
		.amdhsa_user_sgpr_count 6
		.amdhsa_user_sgpr_private_segment_buffer 1
		.amdhsa_user_sgpr_dispatch_ptr 0
		.amdhsa_user_sgpr_queue_ptr 0
		.amdhsa_user_sgpr_kernarg_segment_ptr 1
		.amdhsa_user_sgpr_dispatch_id 0
		.amdhsa_user_sgpr_flat_scratch_init 0
		.amdhsa_user_sgpr_private_segment_size 0
		.amdhsa_uses_dynamic_stack 0
		.amdhsa_system_sgpr_private_segment_wavefront_offset 0
		.amdhsa_system_sgpr_workgroup_id_x 1
		.amdhsa_system_sgpr_workgroup_id_y 0
		.amdhsa_system_sgpr_workgroup_id_z 0
		.amdhsa_system_sgpr_workgroup_info 0
		.amdhsa_system_vgpr_workitem_id 0
		.amdhsa_next_free_vgpr 1
		.amdhsa_next_free_sgpr 0
		.amdhsa_reserve_vcc 0
		.amdhsa_reserve_flat_scratch 0
		.amdhsa_float_round_mode_32 0
		.amdhsa_float_round_mode_16_64 0
		.amdhsa_float_denorm_mode_32 3
		.amdhsa_float_denorm_mode_16_64 3
		.amdhsa_dx10_clamp 1
		.amdhsa_ieee_mode 1
		.amdhsa_fp16_overflow 0
		.amdhsa_exception_fp_ieee_invalid_op 0
		.amdhsa_exception_fp_denorm_src 0
		.amdhsa_exception_fp_ieee_div_zero 0
		.amdhsa_exception_fp_ieee_overflow 0
		.amdhsa_exception_fp_ieee_underflow 0
		.amdhsa_exception_fp_ieee_inexact 0
		.amdhsa_exception_int_div_zero 0
	.end_amdhsa_kernel
	.section	.text._ZN7rocprim17ROCPRIM_400000_NS6detail17trampoline_kernelINS0_14default_configENS1_25partition_config_selectorILNS1_17partition_subalgoE8EfNS0_10empty_typeEbEEZZNS1_14partition_implILS5_8ELb0ES3_jN6thrust23THRUST_200600_302600_NS6detail15normal_iteratorINSA_10device_ptrIfEEEEPS6_PKS6_NS0_5tupleIJSF_S6_EEENSJ_IJSG_SG_EEENS0_18inequality_wrapperI22is_equal_div_10_uniqueIfEEEPmJS6_EEE10hipError_tPvRmT3_T4_T5_T6_T7_T9_mT8_P12ihipStream_tbDpT10_ENKUlT_T0_E_clISt17integral_constantIbLb1EES1A_EEDaS15_S16_EUlS15_E_NS1_11comp_targetILNS1_3genE10ELNS1_11target_archE1200ELNS1_3gpuE4ELNS1_3repE0EEENS1_30default_config_static_selectorELNS0_4arch9wavefront6targetE1EEEvT1_,"axG",@progbits,_ZN7rocprim17ROCPRIM_400000_NS6detail17trampoline_kernelINS0_14default_configENS1_25partition_config_selectorILNS1_17partition_subalgoE8EfNS0_10empty_typeEbEEZZNS1_14partition_implILS5_8ELb0ES3_jN6thrust23THRUST_200600_302600_NS6detail15normal_iteratorINSA_10device_ptrIfEEEEPS6_PKS6_NS0_5tupleIJSF_S6_EEENSJ_IJSG_SG_EEENS0_18inequality_wrapperI22is_equal_div_10_uniqueIfEEEPmJS6_EEE10hipError_tPvRmT3_T4_T5_T6_T7_T9_mT8_P12ihipStream_tbDpT10_ENKUlT_T0_E_clISt17integral_constantIbLb1EES1A_EEDaS15_S16_EUlS15_E_NS1_11comp_targetILNS1_3genE10ELNS1_11target_archE1200ELNS1_3gpuE4ELNS1_3repE0EEENS1_30default_config_static_selectorELNS0_4arch9wavefront6targetE1EEEvT1_,comdat
.Lfunc_end125:
	.size	_ZN7rocprim17ROCPRIM_400000_NS6detail17trampoline_kernelINS0_14default_configENS1_25partition_config_selectorILNS1_17partition_subalgoE8EfNS0_10empty_typeEbEEZZNS1_14partition_implILS5_8ELb0ES3_jN6thrust23THRUST_200600_302600_NS6detail15normal_iteratorINSA_10device_ptrIfEEEEPS6_PKS6_NS0_5tupleIJSF_S6_EEENSJ_IJSG_SG_EEENS0_18inequality_wrapperI22is_equal_div_10_uniqueIfEEEPmJS6_EEE10hipError_tPvRmT3_T4_T5_T6_T7_T9_mT8_P12ihipStream_tbDpT10_ENKUlT_T0_E_clISt17integral_constantIbLb1EES1A_EEDaS15_S16_EUlS15_E_NS1_11comp_targetILNS1_3genE10ELNS1_11target_archE1200ELNS1_3gpuE4ELNS1_3repE0EEENS1_30default_config_static_selectorELNS0_4arch9wavefront6targetE1EEEvT1_, .Lfunc_end125-_ZN7rocprim17ROCPRIM_400000_NS6detail17trampoline_kernelINS0_14default_configENS1_25partition_config_selectorILNS1_17partition_subalgoE8EfNS0_10empty_typeEbEEZZNS1_14partition_implILS5_8ELb0ES3_jN6thrust23THRUST_200600_302600_NS6detail15normal_iteratorINSA_10device_ptrIfEEEEPS6_PKS6_NS0_5tupleIJSF_S6_EEENSJ_IJSG_SG_EEENS0_18inequality_wrapperI22is_equal_div_10_uniqueIfEEEPmJS6_EEE10hipError_tPvRmT3_T4_T5_T6_T7_T9_mT8_P12ihipStream_tbDpT10_ENKUlT_T0_E_clISt17integral_constantIbLb1EES1A_EEDaS15_S16_EUlS15_E_NS1_11comp_targetILNS1_3genE10ELNS1_11target_archE1200ELNS1_3gpuE4ELNS1_3repE0EEENS1_30default_config_static_selectorELNS0_4arch9wavefront6targetE1EEEvT1_
                                        ; -- End function
	.set _ZN7rocprim17ROCPRIM_400000_NS6detail17trampoline_kernelINS0_14default_configENS1_25partition_config_selectorILNS1_17partition_subalgoE8EfNS0_10empty_typeEbEEZZNS1_14partition_implILS5_8ELb0ES3_jN6thrust23THRUST_200600_302600_NS6detail15normal_iteratorINSA_10device_ptrIfEEEEPS6_PKS6_NS0_5tupleIJSF_S6_EEENSJ_IJSG_SG_EEENS0_18inequality_wrapperI22is_equal_div_10_uniqueIfEEEPmJS6_EEE10hipError_tPvRmT3_T4_T5_T6_T7_T9_mT8_P12ihipStream_tbDpT10_ENKUlT_T0_E_clISt17integral_constantIbLb1EES1A_EEDaS15_S16_EUlS15_E_NS1_11comp_targetILNS1_3genE10ELNS1_11target_archE1200ELNS1_3gpuE4ELNS1_3repE0EEENS1_30default_config_static_selectorELNS0_4arch9wavefront6targetE1EEEvT1_.num_vgpr, 0
	.set _ZN7rocprim17ROCPRIM_400000_NS6detail17trampoline_kernelINS0_14default_configENS1_25partition_config_selectorILNS1_17partition_subalgoE8EfNS0_10empty_typeEbEEZZNS1_14partition_implILS5_8ELb0ES3_jN6thrust23THRUST_200600_302600_NS6detail15normal_iteratorINSA_10device_ptrIfEEEEPS6_PKS6_NS0_5tupleIJSF_S6_EEENSJ_IJSG_SG_EEENS0_18inequality_wrapperI22is_equal_div_10_uniqueIfEEEPmJS6_EEE10hipError_tPvRmT3_T4_T5_T6_T7_T9_mT8_P12ihipStream_tbDpT10_ENKUlT_T0_E_clISt17integral_constantIbLb1EES1A_EEDaS15_S16_EUlS15_E_NS1_11comp_targetILNS1_3genE10ELNS1_11target_archE1200ELNS1_3gpuE4ELNS1_3repE0EEENS1_30default_config_static_selectorELNS0_4arch9wavefront6targetE1EEEvT1_.num_agpr, 0
	.set _ZN7rocprim17ROCPRIM_400000_NS6detail17trampoline_kernelINS0_14default_configENS1_25partition_config_selectorILNS1_17partition_subalgoE8EfNS0_10empty_typeEbEEZZNS1_14partition_implILS5_8ELb0ES3_jN6thrust23THRUST_200600_302600_NS6detail15normal_iteratorINSA_10device_ptrIfEEEEPS6_PKS6_NS0_5tupleIJSF_S6_EEENSJ_IJSG_SG_EEENS0_18inequality_wrapperI22is_equal_div_10_uniqueIfEEEPmJS6_EEE10hipError_tPvRmT3_T4_T5_T6_T7_T9_mT8_P12ihipStream_tbDpT10_ENKUlT_T0_E_clISt17integral_constantIbLb1EES1A_EEDaS15_S16_EUlS15_E_NS1_11comp_targetILNS1_3genE10ELNS1_11target_archE1200ELNS1_3gpuE4ELNS1_3repE0EEENS1_30default_config_static_selectorELNS0_4arch9wavefront6targetE1EEEvT1_.numbered_sgpr, 0
	.set _ZN7rocprim17ROCPRIM_400000_NS6detail17trampoline_kernelINS0_14default_configENS1_25partition_config_selectorILNS1_17partition_subalgoE8EfNS0_10empty_typeEbEEZZNS1_14partition_implILS5_8ELb0ES3_jN6thrust23THRUST_200600_302600_NS6detail15normal_iteratorINSA_10device_ptrIfEEEEPS6_PKS6_NS0_5tupleIJSF_S6_EEENSJ_IJSG_SG_EEENS0_18inequality_wrapperI22is_equal_div_10_uniqueIfEEEPmJS6_EEE10hipError_tPvRmT3_T4_T5_T6_T7_T9_mT8_P12ihipStream_tbDpT10_ENKUlT_T0_E_clISt17integral_constantIbLb1EES1A_EEDaS15_S16_EUlS15_E_NS1_11comp_targetILNS1_3genE10ELNS1_11target_archE1200ELNS1_3gpuE4ELNS1_3repE0EEENS1_30default_config_static_selectorELNS0_4arch9wavefront6targetE1EEEvT1_.num_named_barrier, 0
	.set _ZN7rocprim17ROCPRIM_400000_NS6detail17trampoline_kernelINS0_14default_configENS1_25partition_config_selectorILNS1_17partition_subalgoE8EfNS0_10empty_typeEbEEZZNS1_14partition_implILS5_8ELb0ES3_jN6thrust23THRUST_200600_302600_NS6detail15normal_iteratorINSA_10device_ptrIfEEEEPS6_PKS6_NS0_5tupleIJSF_S6_EEENSJ_IJSG_SG_EEENS0_18inequality_wrapperI22is_equal_div_10_uniqueIfEEEPmJS6_EEE10hipError_tPvRmT3_T4_T5_T6_T7_T9_mT8_P12ihipStream_tbDpT10_ENKUlT_T0_E_clISt17integral_constantIbLb1EES1A_EEDaS15_S16_EUlS15_E_NS1_11comp_targetILNS1_3genE10ELNS1_11target_archE1200ELNS1_3gpuE4ELNS1_3repE0EEENS1_30default_config_static_selectorELNS0_4arch9wavefront6targetE1EEEvT1_.private_seg_size, 0
	.set _ZN7rocprim17ROCPRIM_400000_NS6detail17trampoline_kernelINS0_14default_configENS1_25partition_config_selectorILNS1_17partition_subalgoE8EfNS0_10empty_typeEbEEZZNS1_14partition_implILS5_8ELb0ES3_jN6thrust23THRUST_200600_302600_NS6detail15normal_iteratorINSA_10device_ptrIfEEEEPS6_PKS6_NS0_5tupleIJSF_S6_EEENSJ_IJSG_SG_EEENS0_18inequality_wrapperI22is_equal_div_10_uniqueIfEEEPmJS6_EEE10hipError_tPvRmT3_T4_T5_T6_T7_T9_mT8_P12ihipStream_tbDpT10_ENKUlT_T0_E_clISt17integral_constantIbLb1EES1A_EEDaS15_S16_EUlS15_E_NS1_11comp_targetILNS1_3genE10ELNS1_11target_archE1200ELNS1_3gpuE4ELNS1_3repE0EEENS1_30default_config_static_selectorELNS0_4arch9wavefront6targetE1EEEvT1_.uses_vcc, 0
	.set _ZN7rocprim17ROCPRIM_400000_NS6detail17trampoline_kernelINS0_14default_configENS1_25partition_config_selectorILNS1_17partition_subalgoE8EfNS0_10empty_typeEbEEZZNS1_14partition_implILS5_8ELb0ES3_jN6thrust23THRUST_200600_302600_NS6detail15normal_iteratorINSA_10device_ptrIfEEEEPS6_PKS6_NS0_5tupleIJSF_S6_EEENSJ_IJSG_SG_EEENS0_18inequality_wrapperI22is_equal_div_10_uniqueIfEEEPmJS6_EEE10hipError_tPvRmT3_T4_T5_T6_T7_T9_mT8_P12ihipStream_tbDpT10_ENKUlT_T0_E_clISt17integral_constantIbLb1EES1A_EEDaS15_S16_EUlS15_E_NS1_11comp_targetILNS1_3genE10ELNS1_11target_archE1200ELNS1_3gpuE4ELNS1_3repE0EEENS1_30default_config_static_selectorELNS0_4arch9wavefront6targetE1EEEvT1_.uses_flat_scratch, 0
	.set _ZN7rocprim17ROCPRIM_400000_NS6detail17trampoline_kernelINS0_14default_configENS1_25partition_config_selectorILNS1_17partition_subalgoE8EfNS0_10empty_typeEbEEZZNS1_14partition_implILS5_8ELb0ES3_jN6thrust23THRUST_200600_302600_NS6detail15normal_iteratorINSA_10device_ptrIfEEEEPS6_PKS6_NS0_5tupleIJSF_S6_EEENSJ_IJSG_SG_EEENS0_18inequality_wrapperI22is_equal_div_10_uniqueIfEEEPmJS6_EEE10hipError_tPvRmT3_T4_T5_T6_T7_T9_mT8_P12ihipStream_tbDpT10_ENKUlT_T0_E_clISt17integral_constantIbLb1EES1A_EEDaS15_S16_EUlS15_E_NS1_11comp_targetILNS1_3genE10ELNS1_11target_archE1200ELNS1_3gpuE4ELNS1_3repE0EEENS1_30default_config_static_selectorELNS0_4arch9wavefront6targetE1EEEvT1_.has_dyn_sized_stack, 0
	.set _ZN7rocprim17ROCPRIM_400000_NS6detail17trampoline_kernelINS0_14default_configENS1_25partition_config_selectorILNS1_17partition_subalgoE8EfNS0_10empty_typeEbEEZZNS1_14partition_implILS5_8ELb0ES3_jN6thrust23THRUST_200600_302600_NS6detail15normal_iteratorINSA_10device_ptrIfEEEEPS6_PKS6_NS0_5tupleIJSF_S6_EEENSJ_IJSG_SG_EEENS0_18inequality_wrapperI22is_equal_div_10_uniqueIfEEEPmJS6_EEE10hipError_tPvRmT3_T4_T5_T6_T7_T9_mT8_P12ihipStream_tbDpT10_ENKUlT_T0_E_clISt17integral_constantIbLb1EES1A_EEDaS15_S16_EUlS15_E_NS1_11comp_targetILNS1_3genE10ELNS1_11target_archE1200ELNS1_3gpuE4ELNS1_3repE0EEENS1_30default_config_static_selectorELNS0_4arch9wavefront6targetE1EEEvT1_.has_recursion, 0
	.set _ZN7rocprim17ROCPRIM_400000_NS6detail17trampoline_kernelINS0_14default_configENS1_25partition_config_selectorILNS1_17partition_subalgoE8EfNS0_10empty_typeEbEEZZNS1_14partition_implILS5_8ELb0ES3_jN6thrust23THRUST_200600_302600_NS6detail15normal_iteratorINSA_10device_ptrIfEEEEPS6_PKS6_NS0_5tupleIJSF_S6_EEENSJ_IJSG_SG_EEENS0_18inequality_wrapperI22is_equal_div_10_uniqueIfEEEPmJS6_EEE10hipError_tPvRmT3_T4_T5_T6_T7_T9_mT8_P12ihipStream_tbDpT10_ENKUlT_T0_E_clISt17integral_constantIbLb1EES1A_EEDaS15_S16_EUlS15_E_NS1_11comp_targetILNS1_3genE10ELNS1_11target_archE1200ELNS1_3gpuE4ELNS1_3repE0EEENS1_30default_config_static_selectorELNS0_4arch9wavefront6targetE1EEEvT1_.has_indirect_call, 0
	.section	.AMDGPU.csdata,"",@progbits
; Kernel info:
; codeLenInByte = 0
; TotalNumSgprs: 4
; NumVgprs: 0
; ScratchSize: 0
; MemoryBound: 0
; FloatMode: 240
; IeeeMode: 1
; LDSByteSize: 0 bytes/workgroup (compile time only)
; SGPRBlocks: 0
; VGPRBlocks: 0
; NumSGPRsForWavesPerEU: 4
; NumVGPRsForWavesPerEU: 1
; Occupancy: 10
; WaveLimiterHint : 0
; COMPUTE_PGM_RSRC2:SCRATCH_EN: 0
; COMPUTE_PGM_RSRC2:USER_SGPR: 6
; COMPUTE_PGM_RSRC2:TRAP_HANDLER: 0
; COMPUTE_PGM_RSRC2:TGID_X_EN: 1
; COMPUTE_PGM_RSRC2:TGID_Y_EN: 0
; COMPUTE_PGM_RSRC2:TGID_Z_EN: 0
; COMPUTE_PGM_RSRC2:TIDIG_COMP_CNT: 0
	.section	.text._ZN7rocprim17ROCPRIM_400000_NS6detail17trampoline_kernelINS0_14default_configENS1_25partition_config_selectorILNS1_17partition_subalgoE8EfNS0_10empty_typeEbEEZZNS1_14partition_implILS5_8ELb0ES3_jN6thrust23THRUST_200600_302600_NS6detail15normal_iteratorINSA_10device_ptrIfEEEEPS6_PKS6_NS0_5tupleIJSF_S6_EEENSJ_IJSG_SG_EEENS0_18inequality_wrapperI22is_equal_div_10_uniqueIfEEEPmJS6_EEE10hipError_tPvRmT3_T4_T5_T6_T7_T9_mT8_P12ihipStream_tbDpT10_ENKUlT_T0_E_clISt17integral_constantIbLb1EES1A_EEDaS15_S16_EUlS15_E_NS1_11comp_targetILNS1_3genE9ELNS1_11target_archE1100ELNS1_3gpuE3ELNS1_3repE0EEENS1_30default_config_static_selectorELNS0_4arch9wavefront6targetE1EEEvT1_,"axG",@progbits,_ZN7rocprim17ROCPRIM_400000_NS6detail17trampoline_kernelINS0_14default_configENS1_25partition_config_selectorILNS1_17partition_subalgoE8EfNS0_10empty_typeEbEEZZNS1_14partition_implILS5_8ELb0ES3_jN6thrust23THRUST_200600_302600_NS6detail15normal_iteratorINSA_10device_ptrIfEEEEPS6_PKS6_NS0_5tupleIJSF_S6_EEENSJ_IJSG_SG_EEENS0_18inequality_wrapperI22is_equal_div_10_uniqueIfEEEPmJS6_EEE10hipError_tPvRmT3_T4_T5_T6_T7_T9_mT8_P12ihipStream_tbDpT10_ENKUlT_T0_E_clISt17integral_constantIbLb1EES1A_EEDaS15_S16_EUlS15_E_NS1_11comp_targetILNS1_3genE9ELNS1_11target_archE1100ELNS1_3gpuE3ELNS1_3repE0EEENS1_30default_config_static_selectorELNS0_4arch9wavefront6targetE1EEEvT1_,comdat
	.protected	_ZN7rocprim17ROCPRIM_400000_NS6detail17trampoline_kernelINS0_14default_configENS1_25partition_config_selectorILNS1_17partition_subalgoE8EfNS0_10empty_typeEbEEZZNS1_14partition_implILS5_8ELb0ES3_jN6thrust23THRUST_200600_302600_NS6detail15normal_iteratorINSA_10device_ptrIfEEEEPS6_PKS6_NS0_5tupleIJSF_S6_EEENSJ_IJSG_SG_EEENS0_18inequality_wrapperI22is_equal_div_10_uniqueIfEEEPmJS6_EEE10hipError_tPvRmT3_T4_T5_T6_T7_T9_mT8_P12ihipStream_tbDpT10_ENKUlT_T0_E_clISt17integral_constantIbLb1EES1A_EEDaS15_S16_EUlS15_E_NS1_11comp_targetILNS1_3genE9ELNS1_11target_archE1100ELNS1_3gpuE3ELNS1_3repE0EEENS1_30default_config_static_selectorELNS0_4arch9wavefront6targetE1EEEvT1_ ; -- Begin function _ZN7rocprim17ROCPRIM_400000_NS6detail17trampoline_kernelINS0_14default_configENS1_25partition_config_selectorILNS1_17partition_subalgoE8EfNS0_10empty_typeEbEEZZNS1_14partition_implILS5_8ELb0ES3_jN6thrust23THRUST_200600_302600_NS6detail15normal_iteratorINSA_10device_ptrIfEEEEPS6_PKS6_NS0_5tupleIJSF_S6_EEENSJ_IJSG_SG_EEENS0_18inequality_wrapperI22is_equal_div_10_uniqueIfEEEPmJS6_EEE10hipError_tPvRmT3_T4_T5_T6_T7_T9_mT8_P12ihipStream_tbDpT10_ENKUlT_T0_E_clISt17integral_constantIbLb1EES1A_EEDaS15_S16_EUlS15_E_NS1_11comp_targetILNS1_3genE9ELNS1_11target_archE1100ELNS1_3gpuE3ELNS1_3repE0EEENS1_30default_config_static_selectorELNS0_4arch9wavefront6targetE1EEEvT1_
	.globl	_ZN7rocprim17ROCPRIM_400000_NS6detail17trampoline_kernelINS0_14default_configENS1_25partition_config_selectorILNS1_17partition_subalgoE8EfNS0_10empty_typeEbEEZZNS1_14partition_implILS5_8ELb0ES3_jN6thrust23THRUST_200600_302600_NS6detail15normal_iteratorINSA_10device_ptrIfEEEEPS6_PKS6_NS0_5tupleIJSF_S6_EEENSJ_IJSG_SG_EEENS0_18inequality_wrapperI22is_equal_div_10_uniqueIfEEEPmJS6_EEE10hipError_tPvRmT3_T4_T5_T6_T7_T9_mT8_P12ihipStream_tbDpT10_ENKUlT_T0_E_clISt17integral_constantIbLb1EES1A_EEDaS15_S16_EUlS15_E_NS1_11comp_targetILNS1_3genE9ELNS1_11target_archE1100ELNS1_3gpuE3ELNS1_3repE0EEENS1_30default_config_static_selectorELNS0_4arch9wavefront6targetE1EEEvT1_
	.p2align	8
	.type	_ZN7rocprim17ROCPRIM_400000_NS6detail17trampoline_kernelINS0_14default_configENS1_25partition_config_selectorILNS1_17partition_subalgoE8EfNS0_10empty_typeEbEEZZNS1_14partition_implILS5_8ELb0ES3_jN6thrust23THRUST_200600_302600_NS6detail15normal_iteratorINSA_10device_ptrIfEEEEPS6_PKS6_NS0_5tupleIJSF_S6_EEENSJ_IJSG_SG_EEENS0_18inequality_wrapperI22is_equal_div_10_uniqueIfEEEPmJS6_EEE10hipError_tPvRmT3_T4_T5_T6_T7_T9_mT8_P12ihipStream_tbDpT10_ENKUlT_T0_E_clISt17integral_constantIbLb1EES1A_EEDaS15_S16_EUlS15_E_NS1_11comp_targetILNS1_3genE9ELNS1_11target_archE1100ELNS1_3gpuE3ELNS1_3repE0EEENS1_30default_config_static_selectorELNS0_4arch9wavefront6targetE1EEEvT1_,@function
_ZN7rocprim17ROCPRIM_400000_NS6detail17trampoline_kernelINS0_14default_configENS1_25partition_config_selectorILNS1_17partition_subalgoE8EfNS0_10empty_typeEbEEZZNS1_14partition_implILS5_8ELb0ES3_jN6thrust23THRUST_200600_302600_NS6detail15normal_iteratorINSA_10device_ptrIfEEEEPS6_PKS6_NS0_5tupleIJSF_S6_EEENSJ_IJSG_SG_EEENS0_18inequality_wrapperI22is_equal_div_10_uniqueIfEEEPmJS6_EEE10hipError_tPvRmT3_T4_T5_T6_T7_T9_mT8_P12ihipStream_tbDpT10_ENKUlT_T0_E_clISt17integral_constantIbLb1EES1A_EEDaS15_S16_EUlS15_E_NS1_11comp_targetILNS1_3genE9ELNS1_11target_archE1100ELNS1_3gpuE3ELNS1_3repE0EEENS1_30default_config_static_selectorELNS0_4arch9wavefront6targetE1EEEvT1_: ; @_ZN7rocprim17ROCPRIM_400000_NS6detail17trampoline_kernelINS0_14default_configENS1_25partition_config_selectorILNS1_17partition_subalgoE8EfNS0_10empty_typeEbEEZZNS1_14partition_implILS5_8ELb0ES3_jN6thrust23THRUST_200600_302600_NS6detail15normal_iteratorINSA_10device_ptrIfEEEEPS6_PKS6_NS0_5tupleIJSF_S6_EEENSJ_IJSG_SG_EEENS0_18inequality_wrapperI22is_equal_div_10_uniqueIfEEEPmJS6_EEE10hipError_tPvRmT3_T4_T5_T6_T7_T9_mT8_P12ihipStream_tbDpT10_ENKUlT_T0_E_clISt17integral_constantIbLb1EES1A_EEDaS15_S16_EUlS15_E_NS1_11comp_targetILNS1_3genE9ELNS1_11target_archE1100ELNS1_3gpuE3ELNS1_3repE0EEENS1_30default_config_static_selectorELNS0_4arch9wavefront6targetE1EEEvT1_
; %bb.0:
	.section	.rodata,"a",@progbits
	.p2align	6, 0x0
	.amdhsa_kernel _ZN7rocprim17ROCPRIM_400000_NS6detail17trampoline_kernelINS0_14default_configENS1_25partition_config_selectorILNS1_17partition_subalgoE8EfNS0_10empty_typeEbEEZZNS1_14partition_implILS5_8ELb0ES3_jN6thrust23THRUST_200600_302600_NS6detail15normal_iteratorINSA_10device_ptrIfEEEEPS6_PKS6_NS0_5tupleIJSF_S6_EEENSJ_IJSG_SG_EEENS0_18inequality_wrapperI22is_equal_div_10_uniqueIfEEEPmJS6_EEE10hipError_tPvRmT3_T4_T5_T6_T7_T9_mT8_P12ihipStream_tbDpT10_ENKUlT_T0_E_clISt17integral_constantIbLb1EES1A_EEDaS15_S16_EUlS15_E_NS1_11comp_targetILNS1_3genE9ELNS1_11target_archE1100ELNS1_3gpuE3ELNS1_3repE0EEENS1_30default_config_static_selectorELNS0_4arch9wavefront6targetE1EEEvT1_
		.amdhsa_group_segment_fixed_size 0
		.amdhsa_private_segment_fixed_size 0
		.amdhsa_kernarg_size 128
		.amdhsa_user_sgpr_count 6
		.amdhsa_user_sgpr_private_segment_buffer 1
		.amdhsa_user_sgpr_dispatch_ptr 0
		.amdhsa_user_sgpr_queue_ptr 0
		.amdhsa_user_sgpr_kernarg_segment_ptr 1
		.amdhsa_user_sgpr_dispatch_id 0
		.amdhsa_user_sgpr_flat_scratch_init 0
		.amdhsa_user_sgpr_private_segment_size 0
		.amdhsa_uses_dynamic_stack 0
		.amdhsa_system_sgpr_private_segment_wavefront_offset 0
		.amdhsa_system_sgpr_workgroup_id_x 1
		.amdhsa_system_sgpr_workgroup_id_y 0
		.amdhsa_system_sgpr_workgroup_id_z 0
		.amdhsa_system_sgpr_workgroup_info 0
		.amdhsa_system_vgpr_workitem_id 0
		.amdhsa_next_free_vgpr 1
		.amdhsa_next_free_sgpr 0
		.amdhsa_reserve_vcc 0
		.amdhsa_reserve_flat_scratch 0
		.amdhsa_float_round_mode_32 0
		.amdhsa_float_round_mode_16_64 0
		.amdhsa_float_denorm_mode_32 3
		.amdhsa_float_denorm_mode_16_64 3
		.amdhsa_dx10_clamp 1
		.amdhsa_ieee_mode 1
		.amdhsa_fp16_overflow 0
		.amdhsa_exception_fp_ieee_invalid_op 0
		.amdhsa_exception_fp_denorm_src 0
		.amdhsa_exception_fp_ieee_div_zero 0
		.amdhsa_exception_fp_ieee_overflow 0
		.amdhsa_exception_fp_ieee_underflow 0
		.amdhsa_exception_fp_ieee_inexact 0
		.amdhsa_exception_int_div_zero 0
	.end_amdhsa_kernel
	.section	.text._ZN7rocprim17ROCPRIM_400000_NS6detail17trampoline_kernelINS0_14default_configENS1_25partition_config_selectorILNS1_17partition_subalgoE8EfNS0_10empty_typeEbEEZZNS1_14partition_implILS5_8ELb0ES3_jN6thrust23THRUST_200600_302600_NS6detail15normal_iteratorINSA_10device_ptrIfEEEEPS6_PKS6_NS0_5tupleIJSF_S6_EEENSJ_IJSG_SG_EEENS0_18inequality_wrapperI22is_equal_div_10_uniqueIfEEEPmJS6_EEE10hipError_tPvRmT3_T4_T5_T6_T7_T9_mT8_P12ihipStream_tbDpT10_ENKUlT_T0_E_clISt17integral_constantIbLb1EES1A_EEDaS15_S16_EUlS15_E_NS1_11comp_targetILNS1_3genE9ELNS1_11target_archE1100ELNS1_3gpuE3ELNS1_3repE0EEENS1_30default_config_static_selectorELNS0_4arch9wavefront6targetE1EEEvT1_,"axG",@progbits,_ZN7rocprim17ROCPRIM_400000_NS6detail17trampoline_kernelINS0_14default_configENS1_25partition_config_selectorILNS1_17partition_subalgoE8EfNS0_10empty_typeEbEEZZNS1_14partition_implILS5_8ELb0ES3_jN6thrust23THRUST_200600_302600_NS6detail15normal_iteratorINSA_10device_ptrIfEEEEPS6_PKS6_NS0_5tupleIJSF_S6_EEENSJ_IJSG_SG_EEENS0_18inequality_wrapperI22is_equal_div_10_uniqueIfEEEPmJS6_EEE10hipError_tPvRmT3_T4_T5_T6_T7_T9_mT8_P12ihipStream_tbDpT10_ENKUlT_T0_E_clISt17integral_constantIbLb1EES1A_EEDaS15_S16_EUlS15_E_NS1_11comp_targetILNS1_3genE9ELNS1_11target_archE1100ELNS1_3gpuE3ELNS1_3repE0EEENS1_30default_config_static_selectorELNS0_4arch9wavefront6targetE1EEEvT1_,comdat
.Lfunc_end126:
	.size	_ZN7rocprim17ROCPRIM_400000_NS6detail17trampoline_kernelINS0_14default_configENS1_25partition_config_selectorILNS1_17partition_subalgoE8EfNS0_10empty_typeEbEEZZNS1_14partition_implILS5_8ELb0ES3_jN6thrust23THRUST_200600_302600_NS6detail15normal_iteratorINSA_10device_ptrIfEEEEPS6_PKS6_NS0_5tupleIJSF_S6_EEENSJ_IJSG_SG_EEENS0_18inequality_wrapperI22is_equal_div_10_uniqueIfEEEPmJS6_EEE10hipError_tPvRmT3_T4_T5_T6_T7_T9_mT8_P12ihipStream_tbDpT10_ENKUlT_T0_E_clISt17integral_constantIbLb1EES1A_EEDaS15_S16_EUlS15_E_NS1_11comp_targetILNS1_3genE9ELNS1_11target_archE1100ELNS1_3gpuE3ELNS1_3repE0EEENS1_30default_config_static_selectorELNS0_4arch9wavefront6targetE1EEEvT1_, .Lfunc_end126-_ZN7rocprim17ROCPRIM_400000_NS6detail17trampoline_kernelINS0_14default_configENS1_25partition_config_selectorILNS1_17partition_subalgoE8EfNS0_10empty_typeEbEEZZNS1_14partition_implILS5_8ELb0ES3_jN6thrust23THRUST_200600_302600_NS6detail15normal_iteratorINSA_10device_ptrIfEEEEPS6_PKS6_NS0_5tupleIJSF_S6_EEENSJ_IJSG_SG_EEENS0_18inequality_wrapperI22is_equal_div_10_uniqueIfEEEPmJS6_EEE10hipError_tPvRmT3_T4_T5_T6_T7_T9_mT8_P12ihipStream_tbDpT10_ENKUlT_T0_E_clISt17integral_constantIbLb1EES1A_EEDaS15_S16_EUlS15_E_NS1_11comp_targetILNS1_3genE9ELNS1_11target_archE1100ELNS1_3gpuE3ELNS1_3repE0EEENS1_30default_config_static_selectorELNS0_4arch9wavefront6targetE1EEEvT1_
                                        ; -- End function
	.set _ZN7rocprim17ROCPRIM_400000_NS6detail17trampoline_kernelINS0_14default_configENS1_25partition_config_selectorILNS1_17partition_subalgoE8EfNS0_10empty_typeEbEEZZNS1_14partition_implILS5_8ELb0ES3_jN6thrust23THRUST_200600_302600_NS6detail15normal_iteratorINSA_10device_ptrIfEEEEPS6_PKS6_NS0_5tupleIJSF_S6_EEENSJ_IJSG_SG_EEENS0_18inequality_wrapperI22is_equal_div_10_uniqueIfEEEPmJS6_EEE10hipError_tPvRmT3_T4_T5_T6_T7_T9_mT8_P12ihipStream_tbDpT10_ENKUlT_T0_E_clISt17integral_constantIbLb1EES1A_EEDaS15_S16_EUlS15_E_NS1_11comp_targetILNS1_3genE9ELNS1_11target_archE1100ELNS1_3gpuE3ELNS1_3repE0EEENS1_30default_config_static_selectorELNS0_4arch9wavefront6targetE1EEEvT1_.num_vgpr, 0
	.set _ZN7rocprim17ROCPRIM_400000_NS6detail17trampoline_kernelINS0_14default_configENS1_25partition_config_selectorILNS1_17partition_subalgoE8EfNS0_10empty_typeEbEEZZNS1_14partition_implILS5_8ELb0ES3_jN6thrust23THRUST_200600_302600_NS6detail15normal_iteratorINSA_10device_ptrIfEEEEPS6_PKS6_NS0_5tupleIJSF_S6_EEENSJ_IJSG_SG_EEENS0_18inequality_wrapperI22is_equal_div_10_uniqueIfEEEPmJS6_EEE10hipError_tPvRmT3_T4_T5_T6_T7_T9_mT8_P12ihipStream_tbDpT10_ENKUlT_T0_E_clISt17integral_constantIbLb1EES1A_EEDaS15_S16_EUlS15_E_NS1_11comp_targetILNS1_3genE9ELNS1_11target_archE1100ELNS1_3gpuE3ELNS1_3repE0EEENS1_30default_config_static_selectorELNS0_4arch9wavefront6targetE1EEEvT1_.num_agpr, 0
	.set _ZN7rocprim17ROCPRIM_400000_NS6detail17trampoline_kernelINS0_14default_configENS1_25partition_config_selectorILNS1_17partition_subalgoE8EfNS0_10empty_typeEbEEZZNS1_14partition_implILS5_8ELb0ES3_jN6thrust23THRUST_200600_302600_NS6detail15normal_iteratorINSA_10device_ptrIfEEEEPS6_PKS6_NS0_5tupleIJSF_S6_EEENSJ_IJSG_SG_EEENS0_18inequality_wrapperI22is_equal_div_10_uniqueIfEEEPmJS6_EEE10hipError_tPvRmT3_T4_T5_T6_T7_T9_mT8_P12ihipStream_tbDpT10_ENKUlT_T0_E_clISt17integral_constantIbLb1EES1A_EEDaS15_S16_EUlS15_E_NS1_11comp_targetILNS1_3genE9ELNS1_11target_archE1100ELNS1_3gpuE3ELNS1_3repE0EEENS1_30default_config_static_selectorELNS0_4arch9wavefront6targetE1EEEvT1_.numbered_sgpr, 0
	.set _ZN7rocprim17ROCPRIM_400000_NS6detail17trampoline_kernelINS0_14default_configENS1_25partition_config_selectorILNS1_17partition_subalgoE8EfNS0_10empty_typeEbEEZZNS1_14partition_implILS5_8ELb0ES3_jN6thrust23THRUST_200600_302600_NS6detail15normal_iteratorINSA_10device_ptrIfEEEEPS6_PKS6_NS0_5tupleIJSF_S6_EEENSJ_IJSG_SG_EEENS0_18inequality_wrapperI22is_equal_div_10_uniqueIfEEEPmJS6_EEE10hipError_tPvRmT3_T4_T5_T6_T7_T9_mT8_P12ihipStream_tbDpT10_ENKUlT_T0_E_clISt17integral_constantIbLb1EES1A_EEDaS15_S16_EUlS15_E_NS1_11comp_targetILNS1_3genE9ELNS1_11target_archE1100ELNS1_3gpuE3ELNS1_3repE0EEENS1_30default_config_static_selectorELNS0_4arch9wavefront6targetE1EEEvT1_.num_named_barrier, 0
	.set _ZN7rocprim17ROCPRIM_400000_NS6detail17trampoline_kernelINS0_14default_configENS1_25partition_config_selectorILNS1_17partition_subalgoE8EfNS0_10empty_typeEbEEZZNS1_14partition_implILS5_8ELb0ES3_jN6thrust23THRUST_200600_302600_NS6detail15normal_iteratorINSA_10device_ptrIfEEEEPS6_PKS6_NS0_5tupleIJSF_S6_EEENSJ_IJSG_SG_EEENS0_18inequality_wrapperI22is_equal_div_10_uniqueIfEEEPmJS6_EEE10hipError_tPvRmT3_T4_T5_T6_T7_T9_mT8_P12ihipStream_tbDpT10_ENKUlT_T0_E_clISt17integral_constantIbLb1EES1A_EEDaS15_S16_EUlS15_E_NS1_11comp_targetILNS1_3genE9ELNS1_11target_archE1100ELNS1_3gpuE3ELNS1_3repE0EEENS1_30default_config_static_selectorELNS0_4arch9wavefront6targetE1EEEvT1_.private_seg_size, 0
	.set _ZN7rocprim17ROCPRIM_400000_NS6detail17trampoline_kernelINS0_14default_configENS1_25partition_config_selectorILNS1_17partition_subalgoE8EfNS0_10empty_typeEbEEZZNS1_14partition_implILS5_8ELb0ES3_jN6thrust23THRUST_200600_302600_NS6detail15normal_iteratorINSA_10device_ptrIfEEEEPS6_PKS6_NS0_5tupleIJSF_S6_EEENSJ_IJSG_SG_EEENS0_18inequality_wrapperI22is_equal_div_10_uniqueIfEEEPmJS6_EEE10hipError_tPvRmT3_T4_T5_T6_T7_T9_mT8_P12ihipStream_tbDpT10_ENKUlT_T0_E_clISt17integral_constantIbLb1EES1A_EEDaS15_S16_EUlS15_E_NS1_11comp_targetILNS1_3genE9ELNS1_11target_archE1100ELNS1_3gpuE3ELNS1_3repE0EEENS1_30default_config_static_selectorELNS0_4arch9wavefront6targetE1EEEvT1_.uses_vcc, 0
	.set _ZN7rocprim17ROCPRIM_400000_NS6detail17trampoline_kernelINS0_14default_configENS1_25partition_config_selectorILNS1_17partition_subalgoE8EfNS0_10empty_typeEbEEZZNS1_14partition_implILS5_8ELb0ES3_jN6thrust23THRUST_200600_302600_NS6detail15normal_iteratorINSA_10device_ptrIfEEEEPS6_PKS6_NS0_5tupleIJSF_S6_EEENSJ_IJSG_SG_EEENS0_18inequality_wrapperI22is_equal_div_10_uniqueIfEEEPmJS6_EEE10hipError_tPvRmT3_T4_T5_T6_T7_T9_mT8_P12ihipStream_tbDpT10_ENKUlT_T0_E_clISt17integral_constantIbLb1EES1A_EEDaS15_S16_EUlS15_E_NS1_11comp_targetILNS1_3genE9ELNS1_11target_archE1100ELNS1_3gpuE3ELNS1_3repE0EEENS1_30default_config_static_selectorELNS0_4arch9wavefront6targetE1EEEvT1_.uses_flat_scratch, 0
	.set _ZN7rocprim17ROCPRIM_400000_NS6detail17trampoline_kernelINS0_14default_configENS1_25partition_config_selectorILNS1_17partition_subalgoE8EfNS0_10empty_typeEbEEZZNS1_14partition_implILS5_8ELb0ES3_jN6thrust23THRUST_200600_302600_NS6detail15normal_iteratorINSA_10device_ptrIfEEEEPS6_PKS6_NS0_5tupleIJSF_S6_EEENSJ_IJSG_SG_EEENS0_18inequality_wrapperI22is_equal_div_10_uniqueIfEEEPmJS6_EEE10hipError_tPvRmT3_T4_T5_T6_T7_T9_mT8_P12ihipStream_tbDpT10_ENKUlT_T0_E_clISt17integral_constantIbLb1EES1A_EEDaS15_S16_EUlS15_E_NS1_11comp_targetILNS1_3genE9ELNS1_11target_archE1100ELNS1_3gpuE3ELNS1_3repE0EEENS1_30default_config_static_selectorELNS0_4arch9wavefront6targetE1EEEvT1_.has_dyn_sized_stack, 0
	.set _ZN7rocprim17ROCPRIM_400000_NS6detail17trampoline_kernelINS0_14default_configENS1_25partition_config_selectorILNS1_17partition_subalgoE8EfNS0_10empty_typeEbEEZZNS1_14partition_implILS5_8ELb0ES3_jN6thrust23THRUST_200600_302600_NS6detail15normal_iteratorINSA_10device_ptrIfEEEEPS6_PKS6_NS0_5tupleIJSF_S6_EEENSJ_IJSG_SG_EEENS0_18inequality_wrapperI22is_equal_div_10_uniqueIfEEEPmJS6_EEE10hipError_tPvRmT3_T4_T5_T6_T7_T9_mT8_P12ihipStream_tbDpT10_ENKUlT_T0_E_clISt17integral_constantIbLb1EES1A_EEDaS15_S16_EUlS15_E_NS1_11comp_targetILNS1_3genE9ELNS1_11target_archE1100ELNS1_3gpuE3ELNS1_3repE0EEENS1_30default_config_static_selectorELNS0_4arch9wavefront6targetE1EEEvT1_.has_recursion, 0
	.set _ZN7rocprim17ROCPRIM_400000_NS6detail17trampoline_kernelINS0_14default_configENS1_25partition_config_selectorILNS1_17partition_subalgoE8EfNS0_10empty_typeEbEEZZNS1_14partition_implILS5_8ELb0ES3_jN6thrust23THRUST_200600_302600_NS6detail15normal_iteratorINSA_10device_ptrIfEEEEPS6_PKS6_NS0_5tupleIJSF_S6_EEENSJ_IJSG_SG_EEENS0_18inequality_wrapperI22is_equal_div_10_uniqueIfEEEPmJS6_EEE10hipError_tPvRmT3_T4_T5_T6_T7_T9_mT8_P12ihipStream_tbDpT10_ENKUlT_T0_E_clISt17integral_constantIbLb1EES1A_EEDaS15_S16_EUlS15_E_NS1_11comp_targetILNS1_3genE9ELNS1_11target_archE1100ELNS1_3gpuE3ELNS1_3repE0EEENS1_30default_config_static_selectorELNS0_4arch9wavefront6targetE1EEEvT1_.has_indirect_call, 0
	.section	.AMDGPU.csdata,"",@progbits
; Kernel info:
; codeLenInByte = 0
; TotalNumSgprs: 4
; NumVgprs: 0
; ScratchSize: 0
; MemoryBound: 0
; FloatMode: 240
; IeeeMode: 1
; LDSByteSize: 0 bytes/workgroup (compile time only)
; SGPRBlocks: 0
; VGPRBlocks: 0
; NumSGPRsForWavesPerEU: 4
; NumVGPRsForWavesPerEU: 1
; Occupancy: 10
; WaveLimiterHint : 0
; COMPUTE_PGM_RSRC2:SCRATCH_EN: 0
; COMPUTE_PGM_RSRC2:USER_SGPR: 6
; COMPUTE_PGM_RSRC2:TRAP_HANDLER: 0
; COMPUTE_PGM_RSRC2:TGID_X_EN: 1
; COMPUTE_PGM_RSRC2:TGID_Y_EN: 0
; COMPUTE_PGM_RSRC2:TGID_Z_EN: 0
; COMPUTE_PGM_RSRC2:TIDIG_COMP_CNT: 0
	.section	.text._ZN7rocprim17ROCPRIM_400000_NS6detail17trampoline_kernelINS0_14default_configENS1_25partition_config_selectorILNS1_17partition_subalgoE8EfNS0_10empty_typeEbEEZZNS1_14partition_implILS5_8ELb0ES3_jN6thrust23THRUST_200600_302600_NS6detail15normal_iteratorINSA_10device_ptrIfEEEEPS6_PKS6_NS0_5tupleIJSF_S6_EEENSJ_IJSG_SG_EEENS0_18inequality_wrapperI22is_equal_div_10_uniqueIfEEEPmJS6_EEE10hipError_tPvRmT3_T4_T5_T6_T7_T9_mT8_P12ihipStream_tbDpT10_ENKUlT_T0_E_clISt17integral_constantIbLb1EES1A_EEDaS15_S16_EUlS15_E_NS1_11comp_targetILNS1_3genE8ELNS1_11target_archE1030ELNS1_3gpuE2ELNS1_3repE0EEENS1_30default_config_static_selectorELNS0_4arch9wavefront6targetE1EEEvT1_,"axG",@progbits,_ZN7rocprim17ROCPRIM_400000_NS6detail17trampoline_kernelINS0_14default_configENS1_25partition_config_selectorILNS1_17partition_subalgoE8EfNS0_10empty_typeEbEEZZNS1_14partition_implILS5_8ELb0ES3_jN6thrust23THRUST_200600_302600_NS6detail15normal_iteratorINSA_10device_ptrIfEEEEPS6_PKS6_NS0_5tupleIJSF_S6_EEENSJ_IJSG_SG_EEENS0_18inequality_wrapperI22is_equal_div_10_uniqueIfEEEPmJS6_EEE10hipError_tPvRmT3_T4_T5_T6_T7_T9_mT8_P12ihipStream_tbDpT10_ENKUlT_T0_E_clISt17integral_constantIbLb1EES1A_EEDaS15_S16_EUlS15_E_NS1_11comp_targetILNS1_3genE8ELNS1_11target_archE1030ELNS1_3gpuE2ELNS1_3repE0EEENS1_30default_config_static_selectorELNS0_4arch9wavefront6targetE1EEEvT1_,comdat
	.protected	_ZN7rocprim17ROCPRIM_400000_NS6detail17trampoline_kernelINS0_14default_configENS1_25partition_config_selectorILNS1_17partition_subalgoE8EfNS0_10empty_typeEbEEZZNS1_14partition_implILS5_8ELb0ES3_jN6thrust23THRUST_200600_302600_NS6detail15normal_iteratorINSA_10device_ptrIfEEEEPS6_PKS6_NS0_5tupleIJSF_S6_EEENSJ_IJSG_SG_EEENS0_18inequality_wrapperI22is_equal_div_10_uniqueIfEEEPmJS6_EEE10hipError_tPvRmT3_T4_T5_T6_T7_T9_mT8_P12ihipStream_tbDpT10_ENKUlT_T0_E_clISt17integral_constantIbLb1EES1A_EEDaS15_S16_EUlS15_E_NS1_11comp_targetILNS1_3genE8ELNS1_11target_archE1030ELNS1_3gpuE2ELNS1_3repE0EEENS1_30default_config_static_selectorELNS0_4arch9wavefront6targetE1EEEvT1_ ; -- Begin function _ZN7rocprim17ROCPRIM_400000_NS6detail17trampoline_kernelINS0_14default_configENS1_25partition_config_selectorILNS1_17partition_subalgoE8EfNS0_10empty_typeEbEEZZNS1_14partition_implILS5_8ELb0ES3_jN6thrust23THRUST_200600_302600_NS6detail15normal_iteratorINSA_10device_ptrIfEEEEPS6_PKS6_NS0_5tupleIJSF_S6_EEENSJ_IJSG_SG_EEENS0_18inequality_wrapperI22is_equal_div_10_uniqueIfEEEPmJS6_EEE10hipError_tPvRmT3_T4_T5_T6_T7_T9_mT8_P12ihipStream_tbDpT10_ENKUlT_T0_E_clISt17integral_constantIbLb1EES1A_EEDaS15_S16_EUlS15_E_NS1_11comp_targetILNS1_3genE8ELNS1_11target_archE1030ELNS1_3gpuE2ELNS1_3repE0EEENS1_30default_config_static_selectorELNS0_4arch9wavefront6targetE1EEEvT1_
	.globl	_ZN7rocprim17ROCPRIM_400000_NS6detail17trampoline_kernelINS0_14default_configENS1_25partition_config_selectorILNS1_17partition_subalgoE8EfNS0_10empty_typeEbEEZZNS1_14partition_implILS5_8ELb0ES3_jN6thrust23THRUST_200600_302600_NS6detail15normal_iteratorINSA_10device_ptrIfEEEEPS6_PKS6_NS0_5tupleIJSF_S6_EEENSJ_IJSG_SG_EEENS0_18inequality_wrapperI22is_equal_div_10_uniqueIfEEEPmJS6_EEE10hipError_tPvRmT3_T4_T5_T6_T7_T9_mT8_P12ihipStream_tbDpT10_ENKUlT_T0_E_clISt17integral_constantIbLb1EES1A_EEDaS15_S16_EUlS15_E_NS1_11comp_targetILNS1_3genE8ELNS1_11target_archE1030ELNS1_3gpuE2ELNS1_3repE0EEENS1_30default_config_static_selectorELNS0_4arch9wavefront6targetE1EEEvT1_
	.p2align	8
	.type	_ZN7rocprim17ROCPRIM_400000_NS6detail17trampoline_kernelINS0_14default_configENS1_25partition_config_selectorILNS1_17partition_subalgoE8EfNS0_10empty_typeEbEEZZNS1_14partition_implILS5_8ELb0ES3_jN6thrust23THRUST_200600_302600_NS6detail15normal_iteratorINSA_10device_ptrIfEEEEPS6_PKS6_NS0_5tupleIJSF_S6_EEENSJ_IJSG_SG_EEENS0_18inequality_wrapperI22is_equal_div_10_uniqueIfEEEPmJS6_EEE10hipError_tPvRmT3_T4_T5_T6_T7_T9_mT8_P12ihipStream_tbDpT10_ENKUlT_T0_E_clISt17integral_constantIbLb1EES1A_EEDaS15_S16_EUlS15_E_NS1_11comp_targetILNS1_3genE8ELNS1_11target_archE1030ELNS1_3gpuE2ELNS1_3repE0EEENS1_30default_config_static_selectorELNS0_4arch9wavefront6targetE1EEEvT1_,@function
_ZN7rocprim17ROCPRIM_400000_NS6detail17trampoline_kernelINS0_14default_configENS1_25partition_config_selectorILNS1_17partition_subalgoE8EfNS0_10empty_typeEbEEZZNS1_14partition_implILS5_8ELb0ES3_jN6thrust23THRUST_200600_302600_NS6detail15normal_iteratorINSA_10device_ptrIfEEEEPS6_PKS6_NS0_5tupleIJSF_S6_EEENSJ_IJSG_SG_EEENS0_18inequality_wrapperI22is_equal_div_10_uniqueIfEEEPmJS6_EEE10hipError_tPvRmT3_T4_T5_T6_T7_T9_mT8_P12ihipStream_tbDpT10_ENKUlT_T0_E_clISt17integral_constantIbLb1EES1A_EEDaS15_S16_EUlS15_E_NS1_11comp_targetILNS1_3genE8ELNS1_11target_archE1030ELNS1_3gpuE2ELNS1_3repE0EEENS1_30default_config_static_selectorELNS0_4arch9wavefront6targetE1EEEvT1_: ; @_ZN7rocprim17ROCPRIM_400000_NS6detail17trampoline_kernelINS0_14default_configENS1_25partition_config_selectorILNS1_17partition_subalgoE8EfNS0_10empty_typeEbEEZZNS1_14partition_implILS5_8ELb0ES3_jN6thrust23THRUST_200600_302600_NS6detail15normal_iteratorINSA_10device_ptrIfEEEEPS6_PKS6_NS0_5tupleIJSF_S6_EEENSJ_IJSG_SG_EEENS0_18inequality_wrapperI22is_equal_div_10_uniqueIfEEEPmJS6_EEE10hipError_tPvRmT3_T4_T5_T6_T7_T9_mT8_P12ihipStream_tbDpT10_ENKUlT_T0_E_clISt17integral_constantIbLb1EES1A_EEDaS15_S16_EUlS15_E_NS1_11comp_targetILNS1_3genE8ELNS1_11target_archE1030ELNS1_3gpuE2ELNS1_3repE0EEENS1_30default_config_static_selectorELNS0_4arch9wavefront6targetE1EEEvT1_
; %bb.0:
	.section	.rodata,"a",@progbits
	.p2align	6, 0x0
	.amdhsa_kernel _ZN7rocprim17ROCPRIM_400000_NS6detail17trampoline_kernelINS0_14default_configENS1_25partition_config_selectorILNS1_17partition_subalgoE8EfNS0_10empty_typeEbEEZZNS1_14partition_implILS5_8ELb0ES3_jN6thrust23THRUST_200600_302600_NS6detail15normal_iteratorINSA_10device_ptrIfEEEEPS6_PKS6_NS0_5tupleIJSF_S6_EEENSJ_IJSG_SG_EEENS0_18inequality_wrapperI22is_equal_div_10_uniqueIfEEEPmJS6_EEE10hipError_tPvRmT3_T4_T5_T6_T7_T9_mT8_P12ihipStream_tbDpT10_ENKUlT_T0_E_clISt17integral_constantIbLb1EES1A_EEDaS15_S16_EUlS15_E_NS1_11comp_targetILNS1_3genE8ELNS1_11target_archE1030ELNS1_3gpuE2ELNS1_3repE0EEENS1_30default_config_static_selectorELNS0_4arch9wavefront6targetE1EEEvT1_
		.amdhsa_group_segment_fixed_size 0
		.amdhsa_private_segment_fixed_size 0
		.amdhsa_kernarg_size 128
		.amdhsa_user_sgpr_count 6
		.amdhsa_user_sgpr_private_segment_buffer 1
		.amdhsa_user_sgpr_dispatch_ptr 0
		.amdhsa_user_sgpr_queue_ptr 0
		.amdhsa_user_sgpr_kernarg_segment_ptr 1
		.amdhsa_user_sgpr_dispatch_id 0
		.amdhsa_user_sgpr_flat_scratch_init 0
		.amdhsa_user_sgpr_private_segment_size 0
		.amdhsa_uses_dynamic_stack 0
		.amdhsa_system_sgpr_private_segment_wavefront_offset 0
		.amdhsa_system_sgpr_workgroup_id_x 1
		.amdhsa_system_sgpr_workgroup_id_y 0
		.amdhsa_system_sgpr_workgroup_id_z 0
		.amdhsa_system_sgpr_workgroup_info 0
		.amdhsa_system_vgpr_workitem_id 0
		.amdhsa_next_free_vgpr 1
		.amdhsa_next_free_sgpr 0
		.amdhsa_reserve_vcc 0
		.amdhsa_reserve_flat_scratch 0
		.amdhsa_float_round_mode_32 0
		.amdhsa_float_round_mode_16_64 0
		.amdhsa_float_denorm_mode_32 3
		.amdhsa_float_denorm_mode_16_64 3
		.amdhsa_dx10_clamp 1
		.amdhsa_ieee_mode 1
		.amdhsa_fp16_overflow 0
		.amdhsa_exception_fp_ieee_invalid_op 0
		.amdhsa_exception_fp_denorm_src 0
		.amdhsa_exception_fp_ieee_div_zero 0
		.amdhsa_exception_fp_ieee_overflow 0
		.amdhsa_exception_fp_ieee_underflow 0
		.amdhsa_exception_fp_ieee_inexact 0
		.amdhsa_exception_int_div_zero 0
	.end_amdhsa_kernel
	.section	.text._ZN7rocprim17ROCPRIM_400000_NS6detail17trampoline_kernelINS0_14default_configENS1_25partition_config_selectorILNS1_17partition_subalgoE8EfNS0_10empty_typeEbEEZZNS1_14partition_implILS5_8ELb0ES3_jN6thrust23THRUST_200600_302600_NS6detail15normal_iteratorINSA_10device_ptrIfEEEEPS6_PKS6_NS0_5tupleIJSF_S6_EEENSJ_IJSG_SG_EEENS0_18inequality_wrapperI22is_equal_div_10_uniqueIfEEEPmJS6_EEE10hipError_tPvRmT3_T4_T5_T6_T7_T9_mT8_P12ihipStream_tbDpT10_ENKUlT_T0_E_clISt17integral_constantIbLb1EES1A_EEDaS15_S16_EUlS15_E_NS1_11comp_targetILNS1_3genE8ELNS1_11target_archE1030ELNS1_3gpuE2ELNS1_3repE0EEENS1_30default_config_static_selectorELNS0_4arch9wavefront6targetE1EEEvT1_,"axG",@progbits,_ZN7rocprim17ROCPRIM_400000_NS6detail17trampoline_kernelINS0_14default_configENS1_25partition_config_selectorILNS1_17partition_subalgoE8EfNS0_10empty_typeEbEEZZNS1_14partition_implILS5_8ELb0ES3_jN6thrust23THRUST_200600_302600_NS6detail15normal_iteratorINSA_10device_ptrIfEEEEPS6_PKS6_NS0_5tupleIJSF_S6_EEENSJ_IJSG_SG_EEENS0_18inequality_wrapperI22is_equal_div_10_uniqueIfEEEPmJS6_EEE10hipError_tPvRmT3_T4_T5_T6_T7_T9_mT8_P12ihipStream_tbDpT10_ENKUlT_T0_E_clISt17integral_constantIbLb1EES1A_EEDaS15_S16_EUlS15_E_NS1_11comp_targetILNS1_3genE8ELNS1_11target_archE1030ELNS1_3gpuE2ELNS1_3repE0EEENS1_30default_config_static_selectorELNS0_4arch9wavefront6targetE1EEEvT1_,comdat
.Lfunc_end127:
	.size	_ZN7rocprim17ROCPRIM_400000_NS6detail17trampoline_kernelINS0_14default_configENS1_25partition_config_selectorILNS1_17partition_subalgoE8EfNS0_10empty_typeEbEEZZNS1_14partition_implILS5_8ELb0ES3_jN6thrust23THRUST_200600_302600_NS6detail15normal_iteratorINSA_10device_ptrIfEEEEPS6_PKS6_NS0_5tupleIJSF_S6_EEENSJ_IJSG_SG_EEENS0_18inequality_wrapperI22is_equal_div_10_uniqueIfEEEPmJS6_EEE10hipError_tPvRmT3_T4_T5_T6_T7_T9_mT8_P12ihipStream_tbDpT10_ENKUlT_T0_E_clISt17integral_constantIbLb1EES1A_EEDaS15_S16_EUlS15_E_NS1_11comp_targetILNS1_3genE8ELNS1_11target_archE1030ELNS1_3gpuE2ELNS1_3repE0EEENS1_30default_config_static_selectorELNS0_4arch9wavefront6targetE1EEEvT1_, .Lfunc_end127-_ZN7rocprim17ROCPRIM_400000_NS6detail17trampoline_kernelINS0_14default_configENS1_25partition_config_selectorILNS1_17partition_subalgoE8EfNS0_10empty_typeEbEEZZNS1_14partition_implILS5_8ELb0ES3_jN6thrust23THRUST_200600_302600_NS6detail15normal_iteratorINSA_10device_ptrIfEEEEPS6_PKS6_NS0_5tupleIJSF_S6_EEENSJ_IJSG_SG_EEENS0_18inequality_wrapperI22is_equal_div_10_uniqueIfEEEPmJS6_EEE10hipError_tPvRmT3_T4_T5_T6_T7_T9_mT8_P12ihipStream_tbDpT10_ENKUlT_T0_E_clISt17integral_constantIbLb1EES1A_EEDaS15_S16_EUlS15_E_NS1_11comp_targetILNS1_3genE8ELNS1_11target_archE1030ELNS1_3gpuE2ELNS1_3repE0EEENS1_30default_config_static_selectorELNS0_4arch9wavefront6targetE1EEEvT1_
                                        ; -- End function
	.set _ZN7rocprim17ROCPRIM_400000_NS6detail17trampoline_kernelINS0_14default_configENS1_25partition_config_selectorILNS1_17partition_subalgoE8EfNS0_10empty_typeEbEEZZNS1_14partition_implILS5_8ELb0ES3_jN6thrust23THRUST_200600_302600_NS6detail15normal_iteratorINSA_10device_ptrIfEEEEPS6_PKS6_NS0_5tupleIJSF_S6_EEENSJ_IJSG_SG_EEENS0_18inequality_wrapperI22is_equal_div_10_uniqueIfEEEPmJS6_EEE10hipError_tPvRmT3_T4_T5_T6_T7_T9_mT8_P12ihipStream_tbDpT10_ENKUlT_T0_E_clISt17integral_constantIbLb1EES1A_EEDaS15_S16_EUlS15_E_NS1_11comp_targetILNS1_3genE8ELNS1_11target_archE1030ELNS1_3gpuE2ELNS1_3repE0EEENS1_30default_config_static_selectorELNS0_4arch9wavefront6targetE1EEEvT1_.num_vgpr, 0
	.set _ZN7rocprim17ROCPRIM_400000_NS6detail17trampoline_kernelINS0_14default_configENS1_25partition_config_selectorILNS1_17partition_subalgoE8EfNS0_10empty_typeEbEEZZNS1_14partition_implILS5_8ELb0ES3_jN6thrust23THRUST_200600_302600_NS6detail15normal_iteratorINSA_10device_ptrIfEEEEPS6_PKS6_NS0_5tupleIJSF_S6_EEENSJ_IJSG_SG_EEENS0_18inequality_wrapperI22is_equal_div_10_uniqueIfEEEPmJS6_EEE10hipError_tPvRmT3_T4_T5_T6_T7_T9_mT8_P12ihipStream_tbDpT10_ENKUlT_T0_E_clISt17integral_constantIbLb1EES1A_EEDaS15_S16_EUlS15_E_NS1_11comp_targetILNS1_3genE8ELNS1_11target_archE1030ELNS1_3gpuE2ELNS1_3repE0EEENS1_30default_config_static_selectorELNS0_4arch9wavefront6targetE1EEEvT1_.num_agpr, 0
	.set _ZN7rocprim17ROCPRIM_400000_NS6detail17trampoline_kernelINS0_14default_configENS1_25partition_config_selectorILNS1_17partition_subalgoE8EfNS0_10empty_typeEbEEZZNS1_14partition_implILS5_8ELb0ES3_jN6thrust23THRUST_200600_302600_NS6detail15normal_iteratorINSA_10device_ptrIfEEEEPS6_PKS6_NS0_5tupleIJSF_S6_EEENSJ_IJSG_SG_EEENS0_18inequality_wrapperI22is_equal_div_10_uniqueIfEEEPmJS6_EEE10hipError_tPvRmT3_T4_T5_T6_T7_T9_mT8_P12ihipStream_tbDpT10_ENKUlT_T0_E_clISt17integral_constantIbLb1EES1A_EEDaS15_S16_EUlS15_E_NS1_11comp_targetILNS1_3genE8ELNS1_11target_archE1030ELNS1_3gpuE2ELNS1_3repE0EEENS1_30default_config_static_selectorELNS0_4arch9wavefront6targetE1EEEvT1_.numbered_sgpr, 0
	.set _ZN7rocprim17ROCPRIM_400000_NS6detail17trampoline_kernelINS0_14default_configENS1_25partition_config_selectorILNS1_17partition_subalgoE8EfNS0_10empty_typeEbEEZZNS1_14partition_implILS5_8ELb0ES3_jN6thrust23THRUST_200600_302600_NS6detail15normal_iteratorINSA_10device_ptrIfEEEEPS6_PKS6_NS0_5tupleIJSF_S6_EEENSJ_IJSG_SG_EEENS0_18inequality_wrapperI22is_equal_div_10_uniqueIfEEEPmJS6_EEE10hipError_tPvRmT3_T4_T5_T6_T7_T9_mT8_P12ihipStream_tbDpT10_ENKUlT_T0_E_clISt17integral_constantIbLb1EES1A_EEDaS15_S16_EUlS15_E_NS1_11comp_targetILNS1_3genE8ELNS1_11target_archE1030ELNS1_3gpuE2ELNS1_3repE0EEENS1_30default_config_static_selectorELNS0_4arch9wavefront6targetE1EEEvT1_.num_named_barrier, 0
	.set _ZN7rocprim17ROCPRIM_400000_NS6detail17trampoline_kernelINS0_14default_configENS1_25partition_config_selectorILNS1_17partition_subalgoE8EfNS0_10empty_typeEbEEZZNS1_14partition_implILS5_8ELb0ES3_jN6thrust23THRUST_200600_302600_NS6detail15normal_iteratorINSA_10device_ptrIfEEEEPS6_PKS6_NS0_5tupleIJSF_S6_EEENSJ_IJSG_SG_EEENS0_18inequality_wrapperI22is_equal_div_10_uniqueIfEEEPmJS6_EEE10hipError_tPvRmT3_T4_T5_T6_T7_T9_mT8_P12ihipStream_tbDpT10_ENKUlT_T0_E_clISt17integral_constantIbLb1EES1A_EEDaS15_S16_EUlS15_E_NS1_11comp_targetILNS1_3genE8ELNS1_11target_archE1030ELNS1_3gpuE2ELNS1_3repE0EEENS1_30default_config_static_selectorELNS0_4arch9wavefront6targetE1EEEvT1_.private_seg_size, 0
	.set _ZN7rocprim17ROCPRIM_400000_NS6detail17trampoline_kernelINS0_14default_configENS1_25partition_config_selectorILNS1_17partition_subalgoE8EfNS0_10empty_typeEbEEZZNS1_14partition_implILS5_8ELb0ES3_jN6thrust23THRUST_200600_302600_NS6detail15normal_iteratorINSA_10device_ptrIfEEEEPS6_PKS6_NS0_5tupleIJSF_S6_EEENSJ_IJSG_SG_EEENS0_18inequality_wrapperI22is_equal_div_10_uniqueIfEEEPmJS6_EEE10hipError_tPvRmT3_T4_T5_T6_T7_T9_mT8_P12ihipStream_tbDpT10_ENKUlT_T0_E_clISt17integral_constantIbLb1EES1A_EEDaS15_S16_EUlS15_E_NS1_11comp_targetILNS1_3genE8ELNS1_11target_archE1030ELNS1_3gpuE2ELNS1_3repE0EEENS1_30default_config_static_selectorELNS0_4arch9wavefront6targetE1EEEvT1_.uses_vcc, 0
	.set _ZN7rocprim17ROCPRIM_400000_NS6detail17trampoline_kernelINS0_14default_configENS1_25partition_config_selectorILNS1_17partition_subalgoE8EfNS0_10empty_typeEbEEZZNS1_14partition_implILS5_8ELb0ES3_jN6thrust23THRUST_200600_302600_NS6detail15normal_iteratorINSA_10device_ptrIfEEEEPS6_PKS6_NS0_5tupleIJSF_S6_EEENSJ_IJSG_SG_EEENS0_18inequality_wrapperI22is_equal_div_10_uniqueIfEEEPmJS6_EEE10hipError_tPvRmT3_T4_T5_T6_T7_T9_mT8_P12ihipStream_tbDpT10_ENKUlT_T0_E_clISt17integral_constantIbLb1EES1A_EEDaS15_S16_EUlS15_E_NS1_11comp_targetILNS1_3genE8ELNS1_11target_archE1030ELNS1_3gpuE2ELNS1_3repE0EEENS1_30default_config_static_selectorELNS0_4arch9wavefront6targetE1EEEvT1_.uses_flat_scratch, 0
	.set _ZN7rocprim17ROCPRIM_400000_NS6detail17trampoline_kernelINS0_14default_configENS1_25partition_config_selectorILNS1_17partition_subalgoE8EfNS0_10empty_typeEbEEZZNS1_14partition_implILS5_8ELb0ES3_jN6thrust23THRUST_200600_302600_NS6detail15normal_iteratorINSA_10device_ptrIfEEEEPS6_PKS6_NS0_5tupleIJSF_S6_EEENSJ_IJSG_SG_EEENS0_18inequality_wrapperI22is_equal_div_10_uniqueIfEEEPmJS6_EEE10hipError_tPvRmT3_T4_T5_T6_T7_T9_mT8_P12ihipStream_tbDpT10_ENKUlT_T0_E_clISt17integral_constantIbLb1EES1A_EEDaS15_S16_EUlS15_E_NS1_11comp_targetILNS1_3genE8ELNS1_11target_archE1030ELNS1_3gpuE2ELNS1_3repE0EEENS1_30default_config_static_selectorELNS0_4arch9wavefront6targetE1EEEvT1_.has_dyn_sized_stack, 0
	.set _ZN7rocprim17ROCPRIM_400000_NS6detail17trampoline_kernelINS0_14default_configENS1_25partition_config_selectorILNS1_17partition_subalgoE8EfNS0_10empty_typeEbEEZZNS1_14partition_implILS5_8ELb0ES3_jN6thrust23THRUST_200600_302600_NS6detail15normal_iteratorINSA_10device_ptrIfEEEEPS6_PKS6_NS0_5tupleIJSF_S6_EEENSJ_IJSG_SG_EEENS0_18inequality_wrapperI22is_equal_div_10_uniqueIfEEEPmJS6_EEE10hipError_tPvRmT3_T4_T5_T6_T7_T9_mT8_P12ihipStream_tbDpT10_ENKUlT_T0_E_clISt17integral_constantIbLb1EES1A_EEDaS15_S16_EUlS15_E_NS1_11comp_targetILNS1_3genE8ELNS1_11target_archE1030ELNS1_3gpuE2ELNS1_3repE0EEENS1_30default_config_static_selectorELNS0_4arch9wavefront6targetE1EEEvT1_.has_recursion, 0
	.set _ZN7rocprim17ROCPRIM_400000_NS6detail17trampoline_kernelINS0_14default_configENS1_25partition_config_selectorILNS1_17partition_subalgoE8EfNS0_10empty_typeEbEEZZNS1_14partition_implILS5_8ELb0ES3_jN6thrust23THRUST_200600_302600_NS6detail15normal_iteratorINSA_10device_ptrIfEEEEPS6_PKS6_NS0_5tupleIJSF_S6_EEENSJ_IJSG_SG_EEENS0_18inequality_wrapperI22is_equal_div_10_uniqueIfEEEPmJS6_EEE10hipError_tPvRmT3_T4_T5_T6_T7_T9_mT8_P12ihipStream_tbDpT10_ENKUlT_T0_E_clISt17integral_constantIbLb1EES1A_EEDaS15_S16_EUlS15_E_NS1_11comp_targetILNS1_3genE8ELNS1_11target_archE1030ELNS1_3gpuE2ELNS1_3repE0EEENS1_30default_config_static_selectorELNS0_4arch9wavefront6targetE1EEEvT1_.has_indirect_call, 0
	.section	.AMDGPU.csdata,"",@progbits
; Kernel info:
; codeLenInByte = 0
; TotalNumSgprs: 4
; NumVgprs: 0
; ScratchSize: 0
; MemoryBound: 0
; FloatMode: 240
; IeeeMode: 1
; LDSByteSize: 0 bytes/workgroup (compile time only)
; SGPRBlocks: 0
; VGPRBlocks: 0
; NumSGPRsForWavesPerEU: 4
; NumVGPRsForWavesPerEU: 1
; Occupancy: 10
; WaveLimiterHint : 0
; COMPUTE_PGM_RSRC2:SCRATCH_EN: 0
; COMPUTE_PGM_RSRC2:USER_SGPR: 6
; COMPUTE_PGM_RSRC2:TRAP_HANDLER: 0
; COMPUTE_PGM_RSRC2:TGID_X_EN: 1
; COMPUTE_PGM_RSRC2:TGID_Y_EN: 0
; COMPUTE_PGM_RSRC2:TGID_Z_EN: 0
; COMPUTE_PGM_RSRC2:TIDIG_COMP_CNT: 0
	.section	.text._ZN7rocprim17ROCPRIM_400000_NS6detail17trampoline_kernelINS0_14default_configENS1_25partition_config_selectorILNS1_17partition_subalgoE8EfNS0_10empty_typeEbEEZZNS1_14partition_implILS5_8ELb0ES3_jN6thrust23THRUST_200600_302600_NS6detail15normal_iteratorINSA_10device_ptrIfEEEEPS6_PKS6_NS0_5tupleIJSF_S6_EEENSJ_IJSG_SG_EEENS0_18inequality_wrapperI22is_equal_div_10_uniqueIfEEEPmJS6_EEE10hipError_tPvRmT3_T4_T5_T6_T7_T9_mT8_P12ihipStream_tbDpT10_ENKUlT_T0_E_clISt17integral_constantIbLb1EES19_IbLb0EEEEDaS15_S16_EUlS15_E_NS1_11comp_targetILNS1_3genE0ELNS1_11target_archE4294967295ELNS1_3gpuE0ELNS1_3repE0EEENS1_30default_config_static_selectorELNS0_4arch9wavefront6targetE1EEEvT1_,"axG",@progbits,_ZN7rocprim17ROCPRIM_400000_NS6detail17trampoline_kernelINS0_14default_configENS1_25partition_config_selectorILNS1_17partition_subalgoE8EfNS0_10empty_typeEbEEZZNS1_14partition_implILS5_8ELb0ES3_jN6thrust23THRUST_200600_302600_NS6detail15normal_iteratorINSA_10device_ptrIfEEEEPS6_PKS6_NS0_5tupleIJSF_S6_EEENSJ_IJSG_SG_EEENS0_18inequality_wrapperI22is_equal_div_10_uniqueIfEEEPmJS6_EEE10hipError_tPvRmT3_T4_T5_T6_T7_T9_mT8_P12ihipStream_tbDpT10_ENKUlT_T0_E_clISt17integral_constantIbLb1EES19_IbLb0EEEEDaS15_S16_EUlS15_E_NS1_11comp_targetILNS1_3genE0ELNS1_11target_archE4294967295ELNS1_3gpuE0ELNS1_3repE0EEENS1_30default_config_static_selectorELNS0_4arch9wavefront6targetE1EEEvT1_,comdat
	.protected	_ZN7rocprim17ROCPRIM_400000_NS6detail17trampoline_kernelINS0_14default_configENS1_25partition_config_selectorILNS1_17partition_subalgoE8EfNS0_10empty_typeEbEEZZNS1_14partition_implILS5_8ELb0ES3_jN6thrust23THRUST_200600_302600_NS6detail15normal_iteratorINSA_10device_ptrIfEEEEPS6_PKS6_NS0_5tupleIJSF_S6_EEENSJ_IJSG_SG_EEENS0_18inequality_wrapperI22is_equal_div_10_uniqueIfEEEPmJS6_EEE10hipError_tPvRmT3_T4_T5_T6_T7_T9_mT8_P12ihipStream_tbDpT10_ENKUlT_T0_E_clISt17integral_constantIbLb1EES19_IbLb0EEEEDaS15_S16_EUlS15_E_NS1_11comp_targetILNS1_3genE0ELNS1_11target_archE4294967295ELNS1_3gpuE0ELNS1_3repE0EEENS1_30default_config_static_selectorELNS0_4arch9wavefront6targetE1EEEvT1_ ; -- Begin function _ZN7rocprim17ROCPRIM_400000_NS6detail17trampoline_kernelINS0_14default_configENS1_25partition_config_selectorILNS1_17partition_subalgoE8EfNS0_10empty_typeEbEEZZNS1_14partition_implILS5_8ELb0ES3_jN6thrust23THRUST_200600_302600_NS6detail15normal_iteratorINSA_10device_ptrIfEEEEPS6_PKS6_NS0_5tupleIJSF_S6_EEENSJ_IJSG_SG_EEENS0_18inequality_wrapperI22is_equal_div_10_uniqueIfEEEPmJS6_EEE10hipError_tPvRmT3_T4_T5_T6_T7_T9_mT8_P12ihipStream_tbDpT10_ENKUlT_T0_E_clISt17integral_constantIbLb1EES19_IbLb0EEEEDaS15_S16_EUlS15_E_NS1_11comp_targetILNS1_3genE0ELNS1_11target_archE4294967295ELNS1_3gpuE0ELNS1_3repE0EEENS1_30default_config_static_selectorELNS0_4arch9wavefront6targetE1EEEvT1_
	.globl	_ZN7rocprim17ROCPRIM_400000_NS6detail17trampoline_kernelINS0_14default_configENS1_25partition_config_selectorILNS1_17partition_subalgoE8EfNS0_10empty_typeEbEEZZNS1_14partition_implILS5_8ELb0ES3_jN6thrust23THRUST_200600_302600_NS6detail15normal_iteratorINSA_10device_ptrIfEEEEPS6_PKS6_NS0_5tupleIJSF_S6_EEENSJ_IJSG_SG_EEENS0_18inequality_wrapperI22is_equal_div_10_uniqueIfEEEPmJS6_EEE10hipError_tPvRmT3_T4_T5_T6_T7_T9_mT8_P12ihipStream_tbDpT10_ENKUlT_T0_E_clISt17integral_constantIbLb1EES19_IbLb0EEEEDaS15_S16_EUlS15_E_NS1_11comp_targetILNS1_3genE0ELNS1_11target_archE4294967295ELNS1_3gpuE0ELNS1_3repE0EEENS1_30default_config_static_selectorELNS0_4arch9wavefront6targetE1EEEvT1_
	.p2align	8
	.type	_ZN7rocprim17ROCPRIM_400000_NS6detail17trampoline_kernelINS0_14default_configENS1_25partition_config_selectorILNS1_17partition_subalgoE8EfNS0_10empty_typeEbEEZZNS1_14partition_implILS5_8ELb0ES3_jN6thrust23THRUST_200600_302600_NS6detail15normal_iteratorINSA_10device_ptrIfEEEEPS6_PKS6_NS0_5tupleIJSF_S6_EEENSJ_IJSG_SG_EEENS0_18inequality_wrapperI22is_equal_div_10_uniqueIfEEEPmJS6_EEE10hipError_tPvRmT3_T4_T5_T6_T7_T9_mT8_P12ihipStream_tbDpT10_ENKUlT_T0_E_clISt17integral_constantIbLb1EES19_IbLb0EEEEDaS15_S16_EUlS15_E_NS1_11comp_targetILNS1_3genE0ELNS1_11target_archE4294967295ELNS1_3gpuE0ELNS1_3repE0EEENS1_30default_config_static_selectorELNS0_4arch9wavefront6targetE1EEEvT1_,@function
_ZN7rocprim17ROCPRIM_400000_NS6detail17trampoline_kernelINS0_14default_configENS1_25partition_config_selectorILNS1_17partition_subalgoE8EfNS0_10empty_typeEbEEZZNS1_14partition_implILS5_8ELb0ES3_jN6thrust23THRUST_200600_302600_NS6detail15normal_iteratorINSA_10device_ptrIfEEEEPS6_PKS6_NS0_5tupleIJSF_S6_EEENSJ_IJSG_SG_EEENS0_18inequality_wrapperI22is_equal_div_10_uniqueIfEEEPmJS6_EEE10hipError_tPvRmT3_T4_T5_T6_T7_T9_mT8_P12ihipStream_tbDpT10_ENKUlT_T0_E_clISt17integral_constantIbLb1EES19_IbLb0EEEEDaS15_S16_EUlS15_E_NS1_11comp_targetILNS1_3genE0ELNS1_11target_archE4294967295ELNS1_3gpuE0ELNS1_3repE0EEENS1_30default_config_static_selectorELNS0_4arch9wavefront6targetE1EEEvT1_: ; @_ZN7rocprim17ROCPRIM_400000_NS6detail17trampoline_kernelINS0_14default_configENS1_25partition_config_selectorILNS1_17partition_subalgoE8EfNS0_10empty_typeEbEEZZNS1_14partition_implILS5_8ELb0ES3_jN6thrust23THRUST_200600_302600_NS6detail15normal_iteratorINSA_10device_ptrIfEEEEPS6_PKS6_NS0_5tupleIJSF_S6_EEENSJ_IJSG_SG_EEENS0_18inequality_wrapperI22is_equal_div_10_uniqueIfEEEPmJS6_EEE10hipError_tPvRmT3_T4_T5_T6_T7_T9_mT8_P12ihipStream_tbDpT10_ENKUlT_T0_E_clISt17integral_constantIbLb1EES19_IbLb0EEEEDaS15_S16_EUlS15_E_NS1_11comp_targetILNS1_3genE0ELNS1_11target_archE4294967295ELNS1_3gpuE0ELNS1_3repE0EEENS1_30default_config_static_selectorELNS0_4arch9wavefront6targetE1EEEvT1_
; %bb.0:
	.section	.rodata,"a",@progbits
	.p2align	6, 0x0
	.amdhsa_kernel _ZN7rocprim17ROCPRIM_400000_NS6detail17trampoline_kernelINS0_14default_configENS1_25partition_config_selectorILNS1_17partition_subalgoE8EfNS0_10empty_typeEbEEZZNS1_14partition_implILS5_8ELb0ES3_jN6thrust23THRUST_200600_302600_NS6detail15normal_iteratorINSA_10device_ptrIfEEEEPS6_PKS6_NS0_5tupleIJSF_S6_EEENSJ_IJSG_SG_EEENS0_18inequality_wrapperI22is_equal_div_10_uniqueIfEEEPmJS6_EEE10hipError_tPvRmT3_T4_T5_T6_T7_T9_mT8_P12ihipStream_tbDpT10_ENKUlT_T0_E_clISt17integral_constantIbLb1EES19_IbLb0EEEEDaS15_S16_EUlS15_E_NS1_11comp_targetILNS1_3genE0ELNS1_11target_archE4294967295ELNS1_3gpuE0ELNS1_3repE0EEENS1_30default_config_static_selectorELNS0_4arch9wavefront6targetE1EEEvT1_
		.amdhsa_group_segment_fixed_size 0
		.amdhsa_private_segment_fixed_size 0
		.amdhsa_kernarg_size 112
		.amdhsa_user_sgpr_count 6
		.amdhsa_user_sgpr_private_segment_buffer 1
		.amdhsa_user_sgpr_dispatch_ptr 0
		.amdhsa_user_sgpr_queue_ptr 0
		.amdhsa_user_sgpr_kernarg_segment_ptr 1
		.amdhsa_user_sgpr_dispatch_id 0
		.amdhsa_user_sgpr_flat_scratch_init 0
		.amdhsa_user_sgpr_private_segment_size 0
		.amdhsa_uses_dynamic_stack 0
		.amdhsa_system_sgpr_private_segment_wavefront_offset 0
		.amdhsa_system_sgpr_workgroup_id_x 1
		.amdhsa_system_sgpr_workgroup_id_y 0
		.amdhsa_system_sgpr_workgroup_id_z 0
		.amdhsa_system_sgpr_workgroup_info 0
		.amdhsa_system_vgpr_workitem_id 0
		.amdhsa_next_free_vgpr 1
		.amdhsa_next_free_sgpr 0
		.amdhsa_reserve_vcc 0
		.amdhsa_reserve_flat_scratch 0
		.amdhsa_float_round_mode_32 0
		.amdhsa_float_round_mode_16_64 0
		.amdhsa_float_denorm_mode_32 3
		.amdhsa_float_denorm_mode_16_64 3
		.amdhsa_dx10_clamp 1
		.amdhsa_ieee_mode 1
		.amdhsa_fp16_overflow 0
		.amdhsa_exception_fp_ieee_invalid_op 0
		.amdhsa_exception_fp_denorm_src 0
		.amdhsa_exception_fp_ieee_div_zero 0
		.amdhsa_exception_fp_ieee_overflow 0
		.amdhsa_exception_fp_ieee_underflow 0
		.amdhsa_exception_fp_ieee_inexact 0
		.amdhsa_exception_int_div_zero 0
	.end_amdhsa_kernel
	.section	.text._ZN7rocprim17ROCPRIM_400000_NS6detail17trampoline_kernelINS0_14default_configENS1_25partition_config_selectorILNS1_17partition_subalgoE8EfNS0_10empty_typeEbEEZZNS1_14partition_implILS5_8ELb0ES3_jN6thrust23THRUST_200600_302600_NS6detail15normal_iteratorINSA_10device_ptrIfEEEEPS6_PKS6_NS0_5tupleIJSF_S6_EEENSJ_IJSG_SG_EEENS0_18inequality_wrapperI22is_equal_div_10_uniqueIfEEEPmJS6_EEE10hipError_tPvRmT3_T4_T5_T6_T7_T9_mT8_P12ihipStream_tbDpT10_ENKUlT_T0_E_clISt17integral_constantIbLb1EES19_IbLb0EEEEDaS15_S16_EUlS15_E_NS1_11comp_targetILNS1_3genE0ELNS1_11target_archE4294967295ELNS1_3gpuE0ELNS1_3repE0EEENS1_30default_config_static_selectorELNS0_4arch9wavefront6targetE1EEEvT1_,"axG",@progbits,_ZN7rocprim17ROCPRIM_400000_NS6detail17trampoline_kernelINS0_14default_configENS1_25partition_config_selectorILNS1_17partition_subalgoE8EfNS0_10empty_typeEbEEZZNS1_14partition_implILS5_8ELb0ES3_jN6thrust23THRUST_200600_302600_NS6detail15normal_iteratorINSA_10device_ptrIfEEEEPS6_PKS6_NS0_5tupleIJSF_S6_EEENSJ_IJSG_SG_EEENS0_18inequality_wrapperI22is_equal_div_10_uniqueIfEEEPmJS6_EEE10hipError_tPvRmT3_T4_T5_T6_T7_T9_mT8_P12ihipStream_tbDpT10_ENKUlT_T0_E_clISt17integral_constantIbLb1EES19_IbLb0EEEEDaS15_S16_EUlS15_E_NS1_11comp_targetILNS1_3genE0ELNS1_11target_archE4294967295ELNS1_3gpuE0ELNS1_3repE0EEENS1_30default_config_static_selectorELNS0_4arch9wavefront6targetE1EEEvT1_,comdat
.Lfunc_end128:
	.size	_ZN7rocprim17ROCPRIM_400000_NS6detail17trampoline_kernelINS0_14default_configENS1_25partition_config_selectorILNS1_17partition_subalgoE8EfNS0_10empty_typeEbEEZZNS1_14partition_implILS5_8ELb0ES3_jN6thrust23THRUST_200600_302600_NS6detail15normal_iteratorINSA_10device_ptrIfEEEEPS6_PKS6_NS0_5tupleIJSF_S6_EEENSJ_IJSG_SG_EEENS0_18inequality_wrapperI22is_equal_div_10_uniqueIfEEEPmJS6_EEE10hipError_tPvRmT3_T4_T5_T6_T7_T9_mT8_P12ihipStream_tbDpT10_ENKUlT_T0_E_clISt17integral_constantIbLb1EES19_IbLb0EEEEDaS15_S16_EUlS15_E_NS1_11comp_targetILNS1_3genE0ELNS1_11target_archE4294967295ELNS1_3gpuE0ELNS1_3repE0EEENS1_30default_config_static_selectorELNS0_4arch9wavefront6targetE1EEEvT1_, .Lfunc_end128-_ZN7rocprim17ROCPRIM_400000_NS6detail17trampoline_kernelINS0_14default_configENS1_25partition_config_selectorILNS1_17partition_subalgoE8EfNS0_10empty_typeEbEEZZNS1_14partition_implILS5_8ELb0ES3_jN6thrust23THRUST_200600_302600_NS6detail15normal_iteratorINSA_10device_ptrIfEEEEPS6_PKS6_NS0_5tupleIJSF_S6_EEENSJ_IJSG_SG_EEENS0_18inequality_wrapperI22is_equal_div_10_uniqueIfEEEPmJS6_EEE10hipError_tPvRmT3_T4_T5_T6_T7_T9_mT8_P12ihipStream_tbDpT10_ENKUlT_T0_E_clISt17integral_constantIbLb1EES19_IbLb0EEEEDaS15_S16_EUlS15_E_NS1_11comp_targetILNS1_3genE0ELNS1_11target_archE4294967295ELNS1_3gpuE0ELNS1_3repE0EEENS1_30default_config_static_selectorELNS0_4arch9wavefront6targetE1EEEvT1_
                                        ; -- End function
	.set _ZN7rocprim17ROCPRIM_400000_NS6detail17trampoline_kernelINS0_14default_configENS1_25partition_config_selectorILNS1_17partition_subalgoE8EfNS0_10empty_typeEbEEZZNS1_14partition_implILS5_8ELb0ES3_jN6thrust23THRUST_200600_302600_NS6detail15normal_iteratorINSA_10device_ptrIfEEEEPS6_PKS6_NS0_5tupleIJSF_S6_EEENSJ_IJSG_SG_EEENS0_18inequality_wrapperI22is_equal_div_10_uniqueIfEEEPmJS6_EEE10hipError_tPvRmT3_T4_T5_T6_T7_T9_mT8_P12ihipStream_tbDpT10_ENKUlT_T0_E_clISt17integral_constantIbLb1EES19_IbLb0EEEEDaS15_S16_EUlS15_E_NS1_11comp_targetILNS1_3genE0ELNS1_11target_archE4294967295ELNS1_3gpuE0ELNS1_3repE0EEENS1_30default_config_static_selectorELNS0_4arch9wavefront6targetE1EEEvT1_.num_vgpr, 0
	.set _ZN7rocprim17ROCPRIM_400000_NS6detail17trampoline_kernelINS0_14default_configENS1_25partition_config_selectorILNS1_17partition_subalgoE8EfNS0_10empty_typeEbEEZZNS1_14partition_implILS5_8ELb0ES3_jN6thrust23THRUST_200600_302600_NS6detail15normal_iteratorINSA_10device_ptrIfEEEEPS6_PKS6_NS0_5tupleIJSF_S6_EEENSJ_IJSG_SG_EEENS0_18inequality_wrapperI22is_equal_div_10_uniqueIfEEEPmJS6_EEE10hipError_tPvRmT3_T4_T5_T6_T7_T9_mT8_P12ihipStream_tbDpT10_ENKUlT_T0_E_clISt17integral_constantIbLb1EES19_IbLb0EEEEDaS15_S16_EUlS15_E_NS1_11comp_targetILNS1_3genE0ELNS1_11target_archE4294967295ELNS1_3gpuE0ELNS1_3repE0EEENS1_30default_config_static_selectorELNS0_4arch9wavefront6targetE1EEEvT1_.num_agpr, 0
	.set _ZN7rocprim17ROCPRIM_400000_NS6detail17trampoline_kernelINS0_14default_configENS1_25partition_config_selectorILNS1_17partition_subalgoE8EfNS0_10empty_typeEbEEZZNS1_14partition_implILS5_8ELb0ES3_jN6thrust23THRUST_200600_302600_NS6detail15normal_iteratorINSA_10device_ptrIfEEEEPS6_PKS6_NS0_5tupleIJSF_S6_EEENSJ_IJSG_SG_EEENS0_18inequality_wrapperI22is_equal_div_10_uniqueIfEEEPmJS6_EEE10hipError_tPvRmT3_T4_T5_T6_T7_T9_mT8_P12ihipStream_tbDpT10_ENKUlT_T0_E_clISt17integral_constantIbLb1EES19_IbLb0EEEEDaS15_S16_EUlS15_E_NS1_11comp_targetILNS1_3genE0ELNS1_11target_archE4294967295ELNS1_3gpuE0ELNS1_3repE0EEENS1_30default_config_static_selectorELNS0_4arch9wavefront6targetE1EEEvT1_.numbered_sgpr, 0
	.set _ZN7rocprim17ROCPRIM_400000_NS6detail17trampoline_kernelINS0_14default_configENS1_25partition_config_selectorILNS1_17partition_subalgoE8EfNS0_10empty_typeEbEEZZNS1_14partition_implILS5_8ELb0ES3_jN6thrust23THRUST_200600_302600_NS6detail15normal_iteratorINSA_10device_ptrIfEEEEPS6_PKS6_NS0_5tupleIJSF_S6_EEENSJ_IJSG_SG_EEENS0_18inequality_wrapperI22is_equal_div_10_uniqueIfEEEPmJS6_EEE10hipError_tPvRmT3_T4_T5_T6_T7_T9_mT8_P12ihipStream_tbDpT10_ENKUlT_T0_E_clISt17integral_constantIbLb1EES19_IbLb0EEEEDaS15_S16_EUlS15_E_NS1_11comp_targetILNS1_3genE0ELNS1_11target_archE4294967295ELNS1_3gpuE0ELNS1_3repE0EEENS1_30default_config_static_selectorELNS0_4arch9wavefront6targetE1EEEvT1_.num_named_barrier, 0
	.set _ZN7rocprim17ROCPRIM_400000_NS6detail17trampoline_kernelINS0_14default_configENS1_25partition_config_selectorILNS1_17partition_subalgoE8EfNS0_10empty_typeEbEEZZNS1_14partition_implILS5_8ELb0ES3_jN6thrust23THRUST_200600_302600_NS6detail15normal_iteratorINSA_10device_ptrIfEEEEPS6_PKS6_NS0_5tupleIJSF_S6_EEENSJ_IJSG_SG_EEENS0_18inequality_wrapperI22is_equal_div_10_uniqueIfEEEPmJS6_EEE10hipError_tPvRmT3_T4_T5_T6_T7_T9_mT8_P12ihipStream_tbDpT10_ENKUlT_T0_E_clISt17integral_constantIbLb1EES19_IbLb0EEEEDaS15_S16_EUlS15_E_NS1_11comp_targetILNS1_3genE0ELNS1_11target_archE4294967295ELNS1_3gpuE0ELNS1_3repE0EEENS1_30default_config_static_selectorELNS0_4arch9wavefront6targetE1EEEvT1_.private_seg_size, 0
	.set _ZN7rocprim17ROCPRIM_400000_NS6detail17trampoline_kernelINS0_14default_configENS1_25partition_config_selectorILNS1_17partition_subalgoE8EfNS0_10empty_typeEbEEZZNS1_14partition_implILS5_8ELb0ES3_jN6thrust23THRUST_200600_302600_NS6detail15normal_iteratorINSA_10device_ptrIfEEEEPS6_PKS6_NS0_5tupleIJSF_S6_EEENSJ_IJSG_SG_EEENS0_18inequality_wrapperI22is_equal_div_10_uniqueIfEEEPmJS6_EEE10hipError_tPvRmT3_T4_T5_T6_T7_T9_mT8_P12ihipStream_tbDpT10_ENKUlT_T0_E_clISt17integral_constantIbLb1EES19_IbLb0EEEEDaS15_S16_EUlS15_E_NS1_11comp_targetILNS1_3genE0ELNS1_11target_archE4294967295ELNS1_3gpuE0ELNS1_3repE0EEENS1_30default_config_static_selectorELNS0_4arch9wavefront6targetE1EEEvT1_.uses_vcc, 0
	.set _ZN7rocprim17ROCPRIM_400000_NS6detail17trampoline_kernelINS0_14default_configENS1_25partition_config_selectorILNS1_17partition_subalgoE8EfNS0_10empty_typeEbEEZZNS1_14partition_implILS5_8ELb0ES3_jN6thrust23THRUST_200600_302600_NS6detail15normal_iteratorINSA_10device_ptrIfEEEEPS6_PKS6_NS0_5tupleIJSF_S6_EEENSJ_IJSG_SG_EEENS0_18inequality_wrapperI22is_equal_div_10_uniqueIfEEEPmJS6_EEE10hipError_tPvRmT3_T4_T5_T6_T7_T9_mT8_P12ihipStream_tbDpT10_ENKUlT_T0_E_clISt17integral_constantIbLb1EES19_IbLb0EEEEDaS15_S16_EUlS15_E_NS1_11comp_targetILNS1_3genE0ELNS1_11target_archE4294967295ELNS1_3gpuE0ELNS1_3repE0EEENS1_30default_config_static_selectorELNS0_4arch9wavefront6targetE1EEEvT1_.uses_flat_scratch, 0
	.set _ZN7rocprim17ROCPRIM_400000_NS6detail17trampoline_kernelINS0_14default_configENS1_25partition_config_selectorILNS1_17partition_subalgoE8EfNS0_10empty_typeEbEEZZNS1_14partition_implILS5_8ELb0ES3_jN6thrust23THRUST_200600_302600_NS6detail15normal_iteratorINSA_10device_ptrIfEEEEPS6_PKS6_NS0_5tupleIJSF_S6_EEENSJ_IJSG_SG_EEENS0_18inequality_wrapperI22is_equal_div_10_uniqueIfEEEPmJS6_EEE10hipError_tPvRmT3_T4_T5_T6_T7_T9_mT8_P12ihipStream_tbDpT10_ENKUlT_T0_E_clISt17integral_constantIbLb1EES19_IbLb0EEEEDaS15_S16_EUlS15_E_NS1_11comp_targetILNS1_3genE0ELNS1_11target_archE4294967295ELNS1_3gpuE0ELNS1_3repE0EEENS1_30default_config_static_selectorELNS0_4arch9wavefront6targetE1EEEvT1_.has_dyn_sized_stack, 0
	.set _ZN7rocprim17ROCPRIM_400000_NS6detail17trampoline_kernelINS0_14default_configENS1_25partition_config_selectorILNS1_17partition_subalgoE8EfNS0_10empty_typeEbEEZZNS1_14partition_implILS5_8ELb0ES3_jN6thrust23THRUST_200600_302600_NS6detail15normal_iteratorINSA_10device_ptrIfEEEEPS6_PKS6_NS0_5tupleIJSF_S6_EEENSJ_IJSG_SG_EEENS0_18inequality_wrapperI22is_equal_div_10_uniqueIfEEEPmJS6_EEE10hipError_tPvRmT3_T4_T5_T6_T7_T9_mT8_P12ihipStream_tbDpT10_ENKUlT_T0_E_clISt17integral_constantIbLb1EES19_IbLb0EEEEDaS15_S16_EUlS15_E_NS1_11comp_targetILNS1_3genE0ELNS1_11target_archE4294967295ELNS1_3gpuE0ELNS1_3repE0EEENS1_30default_config_static_selectorELNS0_4arch9wavefront6targetE1EEEvT1_.has_recursion, 0
	.set _ZN7rocprim17ROCPRIM_400000_NS6detail17trampoline_kernelINS0_14default_configENS1_25partition_config_selectorILNS1_17partition_subalgoE8EfNS0_10empty_typeEbEEZZNS1_14partition_implILS5_8ELb0ES3_jN6thrust23THRUST_200600_302600_NS6detail15normal_iteratorINSA_10device_ptrIfEEEEPS6_PKS6_NS0_5tupleIJSF_S6_EEENSJ_IJSG_SG_EEENS0_18inequality_wrapperI22is_equal_div_10_uniqueIfEEEPmJS6_EEE10hipError_tPvRmT3_T4_T5_T6_T7_T9_mT8_P12ihipStream_tbDpT10_ENKUlT_T0_E_clISt17integral_constantIbLb1EES19_IbLb0EEEEDaS15_S16_EUlS15_E_NS1_11comp_targetILNS1_3genE0ELNS1_11target_archE4294967295ELNS1_3gpuE0ELNS1_3repE0EEENS1_30default_config_static_selectorELNS0_4arch9wavefront6targetE1EEEvT1_.has_indirect_call, 0
	.section	.AMDGPU.csdata,"",@progbits
; Kernel info:
; codeLenInByte = 0
; TotalNumSgprs: 4
; NumVgprs: 0
; ScratchSize: 0
; MemoryBound: 0
; FloatMode: 240
; IeeeMode: 1
; LDSByteSize: 0 bytes/workgroup (compile time only)
; SGPRBlocks: 0
; VGPRBlocks: 0
; NumSGPRsForWavesPerEU: 4
; NumVGPRsForWavesPerEU: 1
; Occupancy: 10
; WaveLimiterHint : 0
; COMPUTE_PGM_RSRC2:SCRATCH_EN: 0
; COMPUTE_PGM_RSRC2:USER_SGPR: 6
; COMPUTE_PGM_RSRC2:TRAP_HANDLER: 0
; COMPUTE_PGM_RSRC2:TGID_X_EN: 1
; COMPUTE_PGM_RSRC2:TGID_Y_EN: 0
; COMPUTE_PGM_RSRC2:TGID_Z_EN: 0
; COMPUTE_PGM_RSRC2:TIDIG_COMP_CNT: 0
	.section	.text._ZN7rocprim17ROCPRIM_400000_NS6detail17trampoline_kernelINS0_14default_configENS1_25partition_config_selectorILNS1_17partition_subalgoE8EfNS0_10empty_typeEbEEZZNS1_14partition_implILS5_8ELb0ES3_jN6thrust23THRUST_200600_302600_NS6detail15normal_iteratorINSA_10device_ptrIfEEEEPS6_PKS6_NS0_5tupleIJSF_S6_EEENSJ_IJSG_SG_EEENS0_18inequality_wrapperI22is_equal_div_10_uniqueIfEEEPmJS6_EEE10hipError_tPvRmT3_T4_T5_T6_T7_T9_mT8_P12ihipStream_tbDpT10_ENKUlT_T0_E_clISt17integral_constantIbLb1EES19_IbLb0EEEEDaS15_S16_EUlS15_E_NS1_11comp_targetILNS1_3genE5ELNS1_11target_archE942ELNS1_3gpuE9ELNS1_3repE0EEENS1_30default_config_static_selectorELNS0_4arch9wavefront6targetE1EEEvT1_,"axG",@progbits,_ZN7rocprim17ROCPRIM_400000_NS6detail17trampoline_kernelINS0_14default_configENS1_25partition_config_selectorILNS1_17partition_subalgoE8EfNS0_10empty_typeEbEEZZNS1_14partition_implILS5_8ELb0ES3_jN6thrust23THRUST_200600_302600_NS6detail15normal_iteratorINSA_10device_ptrIfEEEEPS6_PKS6_NS0_5tupleIJSF_S6_EEENSJ_IJSG_SG_EEENS0_18inequality_wrapperI22is_equal_div_10_uniqueIfEEEPmJS6_EEE10hipError_tPvRmT3_T4_T5_T6_T7_T9_mT8_P12ihipStream_tbDpT10_ENKUlT_T0_E_clISt17integral_constantIbLb1EES19_IbLb0EEEEDaS15_S16_EUlS15_E_NS1_11comp_targetILNS1_3genE5ELNS1_11target_archE942ELNS1_3gpuE9ELNS1_3repE0EEENS1_30default_config_static_selectorELNS0_4arch9wavefront6targetE1EEEvT1_,comdat
	.protected	_ZN7rocprim17ROCPRIM_400000_NS6detail17trampoline_kernelINS0_14default_configENS1_25partition_config_selectorILNS1_17partition_subalgoE8EfNS0_10empty_typeEbEEZZNS1_14partition_implILS5_8ELb0ES3_jN6thrust23THRUST_200600_302600_NS6detail15normal_iteratorINSA_10device_ptrIfEEEEPS6_PKS6_NS0_5tupleIJSF_S6_EEENSJ_IJSG_SG_EEENS0_18inequality_wrapperI22is_equal_div_10_uniqueIfEEEPmJS6_EEE10hipError_tPvRmT3_T4_T5_T6_T7_T9_mT8_P12ihipStream_tbDpT10_ENKUlT_T0_E_clISt17integral_constantIbLb1EES19_IbLb0EEEEDaS15_S16_EUlS15_E_NS1_11comp_targetILNS1_3genE5ELNS1_11target_archE942ELNS1_3gpuE9ELNS1_3repE0EEENS1_30default_config_static_selectorELNS0_4arch9wavefront6targetE1EEEvT1_ ; -- Begin function _ZN7rocprim17ROCPRIM_400000_NS6detail17trampoline_kernelINS0_14default_configENS1_25partition_config_selectorILNS1_17partition_subalgoE8EfNS0_10empty_typeEbEEZZNS1_14partition_implILS5_8ELb0ES3_jN6thrust23THRUST_200600_302600_NS6detail15normal_iteratorINSA_10device_ptrIfEEEEPS6_PKS6_NS0_5tupleIJSF_S6_EEENSJ_IJSG_SG_EEENS0_18inequality_wrapperI22is_equal_div_10_uniqueIfEEEPmJS6_EEE10hipError_tPvRmT3_T4_T5_T6_T7_T9_mT8_P12ihipStream_tbDpT10_ENKUlT_T0_E_clISt17integral_constantIbLb1EES19_IbLb0EEEEDaS15_S16_EUlS15_E_NS1_11comp_targetILNS1_3genE5ELNS1_11target_archE942ELNS1_3gpuE9ELNS1_3repE0EEENS1_30default_config_static_selectorELNS0_4arch9wavefront6targetE1EEEvT1_
	.globl	_ZN7rocprim17ROCPRIM_400000_NS6detail17trampoline_kernelINS0_14default_configENS1_25partition_config_selectorILNS1_17partition_subalgoE8EfNS0_10empty_typeEbEEZZNS1_14partition_implILS5_8ELb0ES3_jN6thrust23THRUST_200600_302600_NS6detail15normal_iteratorINSA_10device_ptrIfEEEEPS6_PKS6_NS0_5tupleIJSF_S6_EEENSJ_IJSG_SG_EEENS0_18inequality_wrapperI22is_equal_div_10_uniqueIfEEEPmJS6_EEE10hipError_tPvRmT3_T4_T5_T6_T7_T9_mT8_P12ihipStream_tbDpT10_ENKUlT_T0_E_clISt17integral_constantIbLb1EES19_IbLb0EEEEDaS15_S16_EUlS15_E_NS1_11comp_targetILNS1_3genE5ELNS1_11target_archE942ELNS1_3gpuE9ELNS1_3repE0EEENS1_30default_config_static_selectorELNS0_4arch9wavefront6targetE1EEEvT1_
	.p2align	8
	.type	_ZN7rocprim17ROCPRIM_400000_NS6detail17trampoline_kernelINS0_14default_configENS1_25partition_config_selectorILNS1_17partition_subalgoE8EfNS0_10empty_typeEbEEZZNS1_14partition_implILS5_8ELb0ES3_jN6thrust23THRUST_200600_302600_NS6detail15normal_iteratorINSA_10device_ptrIfEEEEPS6_PKS6_NS0_5tupleIJSF_S6_EEENSJ_IJSG_SG_EEENS0_18inequality_wrapperI22is_equal_div_10_uniqueIfEEEPmJS6_EEE10hipError_tPvRmT3_T4_T5_T6_T7_T9_mT8_P12ihipStream_tbDpT10_ENKUlT_T0_E_clISt17integral_constantIbLb1EES19_IbLb0EEEEDaS15_S16_EUlS15_E_NS1_11comp_targetILNS1_3genE5ELNS1_11target_archE942ELNS1_3gpuE9ELNS1_3repE0EEENS1_30default_config_static_selectorELNS0_4arch9wavefront6targetE1EEEvT1_,@function
_ZN7rocprim17ROCPRIM_400000_NS6detail17trampoline_kernelINS0_14default_configENS1_25partition_config_selectorILNS1_17partition_subalgoE8EfNS0_10empty_typeEbEEZZNS1_14partition_implILS5_8ELb0ES3_jN6thrust23THRUST_200600_302600_NS6detail15normal_iteratorINSA_10device_ptrIfEEEEPS6_PKS6_NS0_5tupleIJSF_S6_EEENSJ_IJSG_SG_EEENS0_18inequality_wrapperI22is_equal_div_10_uniqueIfEEEPmJS6_EEE10hipError_tPvRmT3_T4_T5_T6_T7_T9_mT8_P12ihipStream_tbDpT10_ENKUlT_T0_E_clISt17integral_constantIbLb1EES19_IbLb0EEEEDaS15_S16_EUlS15_E_NS1_11comp_targetILNS1_3genE5ELNS1_11target_archE942ELNS1_3gpuE9ELNS1_3repE0EEENS1_30default_config_static_selectorELNS0_4arch9wavefront6targetE1EEEvT1_: ; @_ZN7rocprim17ROCPRIM_400000_NS6detail17trampoline_kernelINS0_14default_configENS1_25partition_config_selectorILNS1_17partition_subalgoE8EfNS0_10empty_typeEbEEZZNS1_14partition_implILS5_8ELb0ES3_jN6thrust23THRUST_200600_302600_NS6detail15normal_iteratorINSA_10device_ptrIfEEEEPS6_PKS6_NS0_5tupleIJSF_S6_EEENSJ_IJSG_SG_EEENS0_18inequality_wrapperI22is_equal_div_10_uniqueIfEEEPmJS6_EEE10hipError_tPvRmT3_T4_T5_T6_T7_T9_mT8_P12ihipStream_tbDpT10_ENKUlT_T0_E_clISt17integral_constantIbLb1EES19_IbLb0EEEEDaS15_S16_EUlS15_E_NS1_11comp_targetILNS1_3genE5ELNS1_11target_archE942ELNS1_3gpuE9ELNS1_3repE0EEENS1_30default_config_static_selectorELNS0_4arch9wavefront6targetE1EEEvT1_
; %bb.0:
	.section	.rodata,"a",@progbits
	.p2align	6, 0x0
	.amdhsa_kernel _ZN7rocprim17ROCPRIM_400000_NS6detail17trampoline_kernelINS0_14default_configENS1_25partition_config_selectorILNS1_17partition_subalgoE8EfNS0_10empty_typeEbEEZZNS1_14partition_implILS5_8ELb0ES3_jN6thrust23THRUST_200600_302600_NS6detail15normal_iteratorINSA_10device_ptrIfEEEEPS6_PKS6_NS0_5tupleIJSF_S6_EEENSJ_IJSG_SG_EEENS0_18inequality_wrapperI22is_equal_div_10_uniqueIfEEEPmJS6_EEE10hipError_tPvRmT3_T4_T5_T6_T7_T9_mT8_P12ihipStream_tbDpT10_ENKUlT_T0_E_clISt17integral_constantIbLb1EES19_IbLb0EEEEDaS15_S16_EUlS15_E_NS1_11comp_targetILNS1_3genE5ELNS1_11target_archE942ELNS1_3gpuE9ELNS1_3repE0EEENS1_30default_config_static_selectorELNS0_4arch9wavefront6targetE1EEEvT1_
		.amdhsa_group_segment_fixed_size 0
		.amdhsa_private_segment_fixed_size 0
		.amdhsa_kernarg_size 112
		.amdhsa_user_sgpr_count 6
		.amdhsa_user_sgpr_private_segment_buffer 1
		.amdhsa_user_sgpr_dispatch_ptr 0
		.amdhsa_user_sgpr_queue_ptr 0
		.amdhsa_user_sgpr_kernarg_segment_ptr 1
		.amdhsa_user_sgpr_dispatch_id 0
		.amdhsa_user_sgpr_flat_scratch_init 0
		.amdhsa_user_sgpr_private_segment_size 0
		.amdhsa_uses_dynamic_stack 0
		.amdhsa_system_sgpr_private_segment_wavefront_offset 0
		.amdhsa_system_sgpr_workgroup_id_x 1
		.amdhsa_system_sgpr_workgroup_id_y 0
		.amdhsa_system_sgpr_workgroup_id_z 0
		.amdhsa_system_sgpr_workgroup_info 0
		.amdhsa_system_vgpr_workitem_id 0
		.amdhsa_next_free_vgpr 1
		.amdhsa_next_free_sgpr 0
		.amdhsa_reserve_vcc 0
		.amdhsa_reserve_flat_scratch 0
		.amdhsa_float_round_mode_32 0
		.amdhsa_float_round_mode_16_64 0
		.amdhsa_float_denorm_mode_32 3
		.amdhsa_float_denorm_mode_16_64 3
		.amdhsa_dx10_clamp 1
		.amdhsa_ieee_mode 1
		.amdhsa_fp16_overflow 0
		.amdhsa_exception_fp_ieee_invalid_op 0
		.amdhsa_exception_fp_denorm_src 0
		.amdhsa_exception_fp_ieee_div_zero 0
		.amdhsa_exception_fp_ieee_overflow 0
		.amdhsa_exception_fp_ieee_underflow 0
		.amdhsa_exception_fp_ieee_inexact 0
		.amdhsa_exception_int_div_zero 0
	.end_amdhsa_kernel
	.section	.text._ZN7rocprim17ROCPRIM_400000_NS6detail17trampoline_kernelINS0_14default_configENS1_25partition_config_selectorILNS1_17partition_subalgoE8EfNS0_10empty_typeEbEEZZNS1_14partition_implILS5_8ELb0ES3_jN6thrust23THRUST_200600_302600_NS6detail15normal_iteratorINSA_10device_ptrIfEEEEPS6_PKS6_NS0_5tupleIJSF_S6_EEENSJ_IJSG_SG_EEENS0_18inequality_wrapperI22is_equal_div_10_uniqueIfEEEPmJS6_EEE10hipError_tPvRmT3_T4_T5_T6_T7_T9_mT8_P12ihipStream_tbDpT10_ENKUlT_T0_E_clISt17integral_constantIbLb1EES19_IbLb0EEEEDaS15_S16_EUlS15_E_NS1_11comp_targetILNS1_3genE5ELNS1_11target_archE942ELNS1_3gpuE9ELNS1_3repE0EEENS1_30default_config_static_selectorELNS0_4arch9wavefront6targetE1EEEvT1_,"axG",@progbits,_ZN7rocprim17ROCPRIM_400000_NS6detail17trampoline_kernelINS0_14default_configENS1_25partition_config_selectorILNS1_17partition_subalgoE8EfNS0_10empty_typeEbEEZZNS1_14partition_implILS5_8ELb0ES3_jN6thrust23THRUST_200600_302600_NS6detail15normal_iteratorINSA_10device_ptrIfEEEEPS6_PKS6_NS0_5tupleIJSF_S6_EEENSJ_IJSG_SG_EEENS0_18inequality_wrapperI22is_equal_div_10_uniqueIfEEEPmJS6_EEE10hipError_tPvRmT3_T4_T5_T6_T7_T9_mT8_P12ihipStream_tbDpT10_ENKUlT_T0_E_clISt17integral_constantIbLb1EES19_IbLb0EEEEDaS15_S16_EUlS15_E_NS1_11comp_targetILNS1_3genE5ELNS1_11target_archE942ELNS1_3gpuE9ELNS1_3repE0EEENS1_30default_config_static_selectorELNS0_4arch9wavefront6targetE1EEEvT1_,comdat
.Lfunc_end129:
	.size	_ZN7rocprim17ROCPRIM_400000_NS6detail17trampoline_kernelINS0_14default_configENS1_25partition_config_selectorILNS1_17partition_subalgoE8EfNS0_10empty_typeEbEEZZNS1_14partition_implILS5_8ELb0ES3_jN6thrust23THRUST_200600_302600_NS6detail15normal_iteratorINSA_10device_ptrIfEEEEPS6_PKS6_NS0_5tupleIJSF_S6_EEENSJ_IJSG_SG_EEENS0_18inequality_wrapperI22is_equal_div_10_uniqueIfEEEPmJS6_EEE10hipError_tPvRmT3_T4_T5_T6_T7_T9_mT8_P12ihipStream_tbDpT10_ENKUlT_T0_E_clISt17integral_constantIbLb1EES19_IbLb0EEEEDaS15_S16_EUlS15_E_NS1_11comp_targetILNS1_3genE5ELNS1_11target_archE942ELNS1_3gpuE9ELNS1_3repE0EEENS1_30default_config_static_selectorELNS0_4arch9wavefront6targetE1EEEvT1_, .Lfunc_end129-_ZN7rocprim17ROCPRIM_400000_NS6detail17trampoline_kernelINS0_14default_configENS1_25partition_config_selectorILNS1_17partition_subalgoE8EfNS0_10empty_typeEbEEZZNS1_14partition_implILS5_8ELb0ES3_jN6thrust23THRUST_200600_302600_NS6detail15normal_iteratorINSA_10device_ptrIfEEEEPS6_PKS6_NS0_5tupleIJSF_S6_EEENSJ_IJSG_SG_EEENS0_18inequality_wrapperI22is_equal_div_10_uniqueIfEEEPmJS6_EEE10hipError_tPvRmT3_T4_T5_T6_T7_T9_mT8_P12ihipStream_tbDpT10_ENKUlT_T0_E_clISt17integral_constantIbLb1EES19_IbLb0EEEEDaS15_S16_EUlS15_E_NS1_11comp_targetILNS1_3genE5ELNS1_11target_archE942ELNS1_3gpuE9ELNS1_3repE0EEENS1_30default_config_static_selectorELNS0_4arch9wavefront6targetE1EEEvT1_
                                        ; -- End function
	.set _ZN7rocprim17ROCPRIM_400000_NS6detail17trampoline_kernelINS0_14default_configENS1_25partition_config_selectorILNS1_17partition_subalgoE8EfNS0_10empty_typeEbEEZZNS1_14partition_implILS5_8ELb0ES3_jN6thrust23THRUST_200600_302600_NS6detail15normal_iteratorINSA_10device_ptrIfEEEEPS6_PKS6_NS0_5tupleIJSF_S6_EEENSJ_IJSG_SG_EEENS0_18inequality_wrapperI22is_equal_div_10_uniqueIfEEEPmJS6_EEE10hipError_tPvRmT3_T4_T5_T6_T7_T9_mT8_P12ihipStream_tbDpT10_ENKUlT_T0_E_clISt17integral_constantIbLb1EES19_IbLb0EEEEDaS15_S16_EUlS15_E_NS1_11comp_targetILNS1_3genE5ELNS1_11target_archE942ELNS1_3gpuE9ELNS1_3repE0EEENS1_30default_config_static_selectorELNS0_4arch9wavefront6targetE1EEEvT1_.num_vgpr, 0
	.set _ZN7rocprim17ROCPRIM_400000_NS6detail17trampoline_kernelINS0_14default_configENS1_25partition_config_selectorILNS1_17partition_subalgoE8EfNS0_10empty_typeEbEEZZNS1_14partition_implILS5_8ELb0ES3_jN6thrust23THRUST_200600_302600_NS6detail15normal_iteratorINSA_10device_ptrIfEEEEPS6_PKS6_NS0_5tupleIJSF_S6_EEENSJ_IJSG_SG_EEENS0_18inequality_wrapperI22is_equal_div_10_uniqueIfEEEPmJS6_EEE10hipError_tPvRmT3_T4_T5_T6_T7_T9_mT8_P12ihipStream_tbDpT10_ENKUlT_T0_E_clISt17integral_constantIbLb1EES19_IbLb0EEEEDaS15_S16_EUlS15_E_NS1_11comp_targetILNS1_3genE5ELNS1_11target_archE942ELNS1_3gpuE9ELNS1_3repE0EEENS1_30default_config_static_selectorELNS0_4arch9wavefront6targetE1EEEvT1_.num_agpr, 0
	.set _ZN7rocprim17ROCPRIM_400000_NS6detail17trampoline_kernelINS0_14default_configENS1_25partition_config_selectorILNS1_17partition_subalgoE8EfNS0_10empty_typeEbEEZZNS1_14partition_implILS5_8ELb0ES3_jN6thrust23THRUST_200600_302600_NS6detail15normal_iteratorINSA_10device_ptrIfEEEEPS6_PKS6_NS0_5tupleIJSF_S6_EEENSJ_IJSG_SG_EEENS0_18inequality_wrapperI22is_equal_div_10_uniqueIfEEEPmJS6_EEE10hipError_tPvRmT3_T4_T5_T6_T7_T9_mT8_P12ihipStream_tbDpT10_ENKUlT_T0_E_clISt17integral_constantIbLb1EES19_IbLb0EEEEDaS15_S16_EUlS15_E_NS1_11comp_targetILNS1_3genE5ELNS1_11target_archE942ELNS1_3gpuE9ELNS1_3repE0EEENS1_30default_config_static_selectorELNS0_4arch9wavefront6targetE1EEEvT1_.numbered_sgpr, 0
	.set _ZN7rocprim17ROCPRIM_400000_NS6detail17trampoline_kernelINS0_14default_configENS1_25partition_config_selectorILNS1_17partition_subalgoE8EfNS0_10empty_typeEbEEZZNS1_14partition_implILS5_8ELb0ES3_jN6thrust23THRUST_200600_302600_NS6detail15normal_iteratorINSA_10device_ptrIfEEEEPS6_PKS6_NS0_5tupleIJSF_S6_EEENSJ_IJSG_SG_EEENS0_18inequality_wrapperI22is_equal_div_10_uniqueIfEEEPmJS6_EEE10hipError_tPvRmT3_T4_T5_T6_T7_T9_mT8_P12ihipStream_tbDpT10_ENKUlT_T0_E_clISt17integral_constantIbLb1EES19_IbLb0EEEEDaS15_S16_EUlS15_E_NS1_11comp_targetILNS1_3genE5ELNS1_11target_archE942ELNS1_3gpuE9ELNS1_3repE0EEENS1_30default_config_static_selectorELNS0_4arch9wavefront6targetE1EEEvT1_.num_named_barrier, 0
	.set _ZN7rocprim17ROCPRIM_400000_NS6detail17trampoline_kernelINS0_14default_configENS1_25partition_config_selectorILNS1_17partition_subalgoE8EfNS0_10empty_typeEbEEZZNS1_14partition_implILS5_8ELb0ES3_jN6thrust23THRUST_200600_302600_NS6detail15normal_iteratorINSA_10device_ptrIfEEEEPS6_PKS6_NS0_5tupleIJSF_S6_EEENSJ_IJSG_SG_EEENS0_18inequality_wrapperI22is_equal_div_10_uniqueIfEEEPmJS6_EEE10hipError_tPvRmT3_T4_T5_T6_T7_T9_mT8_P12ihipStream_tbDpT10_ENKUlT_T0_E_clISt17integral_constantIbLb1EES19_IbLb0EEEEDaS15_S16_EUlS15_E_NS1_11comp_targetILNS1_3genE5ELNS1_11target_archE942ELNS1_3gpuE9ELNS1_3repE0EEENS1_30default_config_static_selectorELNS0_4arch9wavefront6targetE1EEEvT1_.private_seg_size, 0
	.set _ZN7rocprim17ROCPRIM_400000_NS6detail17trampoline_kernelINS0_14default_configENS1_25partition_config_selectorILNS1_17partition_subalgoE8EfNS0_10empty_typeEbEEZZNS1_14partition_implILS5_8ELb0ES3_jN6thrust23THRUST_200600_302600_NS6detail15normal_iteratorINSA_10device_ptrIfEEEEPS6_PKS6_NS0_5tupleIJSF_S6_EEENSJ_IJSG_SG_EEENS0_18inequality_wrapperI22is_equal_div_10_uniqueIfEEEPmJS6_EEE10hipError_tPvRmT3_T4_T5_T6_T7_T9_mT8_P12ihipStream_tbDpT10_ENKUlT_T0_E_clISt17integral_constantIbLb1EES19_IbLb0EEEEDaS15_S16_EUlS15_E_NS1_11comp_targetILNS1_3genE5ELNS1_11target_archE942ELNS1_3gpuE9ELNS1_3repE0EEENS1_30default_config_static_selectorELNS0_4arch9wavefront6targetE1EEEvT1_.uses_vcc, 0
	.set _ZN7rocprim17ROCPRIM_400000_NS6detail17trampoline_kernelINS0_14default_configENS1_25partition_config_selectorILNS1_17partition_subalgoE8EfNS0_10empty_typeEbEEZZNS1_14partition_implILS5_8ELb0ES3_jN6thrust23THRUST_200600_302600_NS6detail15normal_iteratorINSA_10device_ptrIfEEEEPS6_PKS6_NS0_5tupleIJSF_S6_EEENSJ_IJSG_SG_EEENS0_18inequality_wrapperI22is_equal_div_10_uniqueIfEEEPmJS6_EEE10hipError_tPvRmT3_T4_T5_T6_T7_T9_mT8_P12ihipStream_tbDpT10_ENKUlT_T0_E_clISt17integral_constantIbLb1EES19_IbLb0EEEEDaS15_S16_EUlS15_E_NS1_11comp_targetILNS1_3genE5ELNS1_11target_archE942ELNS1_3gpuE9ELNS1_3repE0EEENS1_30default_config_static_selectorELNS0_4arch9wavefront6targetE1EEEvT1_.uses_flat_scratch, 0
	.set _ZN7rocprim17ROCPRIM_400000_NS6detail17trampoline_kernelINS0_14default_configENS1_25partition_config_selectorILNS1_17partition_subalgoE8EfNS0_10empty_typeEbEEZZNS1_14partition_implILS5_8ELb0ES3_jN6thrust23THRUST_200600_302600_NS6detail15normal_iteratorINSA_10device_ptrIfEEEEPS6_PKS6_NS0_5tupleIJSF_S6_EEENSJ_IJSG_SG_EEENS0_18inequality_wrapperI22is_equal_div_10_uniqueIfEEEPmJS6_EEE10hipError_tPvRmT3_T4_T5_T6_T7_T9_mT8_P12ihipStream_tbDpT10_ENKUlT_T0_E_clISt17integral_constantIbLb1EES19_IbLb0EEEEDaS15_S16_EUlS15_E_NS1_11comp_targetILNS1_3genE5ELNS1_11target_archE942ELNS1_3gpuE9ELNS1_3repE0EEENS1_30default_config_static_selectorELNS0_4arch9wavefront6targetE1EEEvT1_.has_dyn_sized_stack, 0
	.set _ZN7rocprim17ROCPRIM_400000_NS6detail17trampoline_kernelINS0_14default_configENS1_25partition_config_selectorILNS1_17partition_subalgoE8EfNS0_10empty_typeEbEEZZNS1_14partition_implILS5_8ELb0ES3_jN6thrust23THRUST_200600_302600_NS6detail15normal_iteratorINSA_10device_ptrIfEEEEPS6_PKS6_NS0_5tupleIJSF_S6_EEENSJ_IJSG_SG_EEENS0_18inequality_wrapperI22is_equal_div_10_uniqueIfEEEPmJS6_EEE10hipError_tPvRmT3_T4_T5_T6_T7_T9_mT8_P12ihipStream_tbDpT10_ENKUlT_T0_E_clISt17integral_constantIbLb1EES19_IbLb0EEEEDaS15_S16_EUlS15_E_NS1_11comp_targetILNS1_3genE5ELNS1_11target_archE942ELNS1_3gpuE9ELNS1_3repE0EEENS1_30default_config_static_selectorELNS0_4arch9wavefront6targetE1EEEvT1_.has_recursion, 0
	.set _ZN7rocprim17ROCPRIM_400000_NS6detail17trampoline_kernelINS0_14default_configENS1_25partition_config_selectorILNS1_17partition_subalgoE8EfNS0_10empty_typeEbEEZZNS1_14partition_implILS5_8ELb0ES3_jN6thrust23THRUST_200600_302600_NS6detail15normal_iteratorINSA_10device_ptrIfEEEEPS6_PKS6_NS0_5tupleIJSF_S6_EEENSJ_IJSG_SG_EEENS0_18inequality_wrapperI22is_equal_div_10_uniqueIfEEEPmJS6_EEE10hipError_tPvRmT3_T4_T5_T6_T7_T9_mT8_P12ihipStream_tbDpT10_ENKUlT_T0_E_clISt17integral_constantIbLb1EES19_IbLb0EEEEDaS15_S16_EUlS15_E_NS1_11comp_targetILNS1_3genE5ELNS1_11target_archE942ELNS1_3gpuE9ELNS1_3repE0EEENS1_30default_config_static_selectorELNS0_4arch9wavefront6targetE1EEEvT1_.has_indirect_call, 0
	.section	.AMDGPU.csdata,"",@progbits
; Kernel info:
; codeLenInByte = 0
; TotalNumSgprs: 4
; NumVgprs: 0
; ScratchSize: 0
; MemoryBound: 0
; FloatMode: 240
; IeeeMode: 1
; LDSByteSize: 0 bytes/workgroup (compile time only)
; SGPRBlocks: 0
; VGPRBlocks: 0
; NumSGPRsForWavesPerEU: 4
; NumVGPRsForWavesPerEU: 1
; Occupancy: 10
; WaveLimiterHint : 0
; COMPUTE_PGM_RSRC2:SCRATCH_EN: 0
; COMPUTE_PGM_RSRC2:USER_SGPR: 6
; COMPUTE_PGM_RSRC2:TRAP_HANDLER: 0
; COMPUTE_PGM_RSRC2:TGID_X_EN: 1
; COMPUTE_PGM_RSRC2:TGID_Y_EN: 0
; COMPUTE_PGM_RSRC2:TGID_Z_EN: 0
; COMPUTE_PGM_RSRC2:TIDIG_COMP_CNT: 0
	.section	.text._ZN7rocprim17ROCPRIM_400000_NS6detail17trampoline_kernelINS0_14default_configENS1_25partition_config_selectorILNS1_17partition_subalgoE8EfNS0_10empty_typeEbEEZZNS1_14partition_implILS5_8ELb0ES3_jN6thrust23THRUST_200600_302600_NS6detail15normal_iteratorINSA_10device_ptrIfEEEEPS6_PKS6_NS0_5tupleIJSF_S6_EEENSJ_IJSG_SG_EEENS0_18inequality_wrapperI22is_equal_div_10_uniqueIfEEEPmJS6_EEE10hipError_tPvRmT3_T4_T5_T6_T7_T9_mT8_P12ihipStream_tbDpT10_ENKUlT_T0_E_clISt17integral_constantIbLb1EES19_IbLb0EEEEDaS15_S16_EUlS15_E_NS1_11comp_targetILNS1_3genE4ELNS1_11target_archE910ELNS1_3gpuE8ELNS1_3repE0EEENS1_30default_config_static_selectorELNS0_4arch9wavefront6targetE1EEEvT1_,"axG",@progbits,_ZN7rocprim17ROCPRIM_400000_NS6detail17trampoline_kernelINS0_14default_configENS1_25partition_config_selectorILNS1_17partition_subalgoE8EfNS0_10empty_typeEbEEZZNS1_14partition_implILS5_8ELb0ES3_jN6thrust23THRUST_200600_302600_NS6detail15normal_iteratorINSA_10device_ptrIfEEEEPS6_PKS6_NS0_5tupleIJSF_S6_EEENSJ_IJSG_SG_EEENS0_18inequality_wrapperI22is_equal_div_10_uniqueIfEEEPmJS6_EEE10hipError_tPvRmT3_T4_T5_T6_T7_T9_mT8_P12ihipStream_tbDpT10_ENKUlT_T0_E_clISt17integral_constantIbLb1EES19_IbLb0EEEEDaS15_S16_EUlS15_E_NS1_11comp_targetILNS1_3genE4ELNS1_11target_archE910ELNS1_3gpuE8ELNS1_3repE0EEENS1_30default_config_static_selectorELNS0_4arch9wavefront6targetE1EEEvT1_,comdat
	.protected	_ZN7rocprim17ROCPRIM_400000_NS6detail17trampoline_kernelINS0_14default_configENS1_25partition_config_selectorILNS1_17partition_subalgoE8EfNS0_10empty_typeEbEEZZNS1_14partition_implILS5_8ELb0ES3_jN6thrust23THRUST_200600_302600_NS6detail15normal_iteratorINSA_10device_ptrIfEEEEPS6_PKS6_NS0_5tupleIJSF_S6_EEENSJ_IJSG_SG_EEENS0_18inequality_wrapperI22is_equal_div_10_uniqueIfEEEPmJS6_EEE10hipError_tPvRmT3_T4_T5_T6_T7_T9_mT8_P12ihipStream_tbDpT10_ENKUlT_T0_E_clISt17integral_constantIbLb1EES19_IbLb0EEEEDaS15_S16_EUlS15_E_NS1_11comp_targetILNS1_3genE4ELNS1_11target_archE910ELNS1_3gpuE8ELNS1_3repE0EEENS1_30default_config_static_selectorELNS0_4arch9wavefront6targetE1EEEvT1_ ; -- Begin function _ZN7rocprim17ROCPRIM_400000_NS6detail17trampoline_kernelINS0_14default_configENS1_25partition_config_selectorILNS1_17partition_subalgoE8EfNS0_10empty_typeEbEEZZNS1_14partition_implILS5_8ELb0ES3_jN6thrust23THRUST_200600_302600_NS6detail15normal_iteratorINSA_10device_ptrIfEEEEPS6_PKS6_NS0_5tupleIJSF_S6_EEENSJ_IJSG_SG_EEENS0_18inequality_wrapperI22is_equal_div_10_uniqueIfEEEPmJS6_EEE10hipError_tPvRmT3_T4_T5_T6_T7_T9_mT8_P12ihipStream_tbDpT10_ENKUlT_T0_E_clISt17integral_constantIbLb1EES19_IbLb0EEEEDaS15_S16_EUlS15_E_NS1_11comp_targetILNS1_3genE4ELNS1_11target_archE910ELNS1_3gpuE8ELNS1_3repE0EEENS1_30default_config_static_selectorELNS0_4arch9wavefront6targetE1EEEvT1_
	.globl	_ZN7rocprim17ROCPRIM_400000_NS6detail17trampoline_kernelINS0_14default_configENS1_25partition_config_selectorILNS1_17partition_subalgoE8EfNS0_10empty_typeEbEEZZNS1_14partition_implILS5_8ELb0ES3_jN6thrust23THRUST_200600_302600_NS6detail15normal_iteratorINSA_10device_ptrIfEEEEPS6_PKS6_NS0_5tupleIJSF_S6_EEENSJ_IJSG_SG_EEENS0_18inequality_wrapperI22is_equal_div_10_uniqueIfEEEPmJS6_EEE10hipError_tPvRmT3_T4_T5_T6_T7_T9_mT8_P12ihipStream_tbDpT10_ENKUlT_T0_E_clISt17integral_constantIbLb1EES19_IbLb0EEEEDaS15_S16_EUlS15_E_NS1_11comp_targetILNS1_3genE4ELNS1_11target_archE910ELNS1_3gpuE8ELNS1_3repE0EEENS1_30default_config_static_selectorELNS0_4arch9wavefront6targetE1EEEvT1_
	.p2align	8
	.type	_ZN7rocprim17ROCPRIM_400000_NS6detail17trampoline_kernelINS0_14default_configENS1_25partition_config_selectorILNS1_17partition_subalgoE8EfNS0_10empty_typeEbEEZZNS1_14partition_implILS5_8ELb0ES3_jN6thrust23THRUST_200600_302600_NS6detail15normal_iteratorINSA_10device_ptrIfEEEEPS6_PKS6_NS0_5tupleIJSF_S6_EEENSJ_IJSG_SG_EEENS0_18inequality_wrapperI22is_equal_div_10_uniqueIfEEEPmJS6_EEE10hipError_tPvRmT3_T4_T5_T6_T7_T9_mT8_P12ihipStream_tbDpT10_ENKUlT_T0_E_clISt17integral_constantIbLb1EES19_IbLb0EEEEDaS15_S16_EUlS15_E_NS1_11comp_targetILNS1_3genE4ELNS1_11target_archE910ELNS1_3gpuE8ELNS1_3repE0EEENS1_30default_config_static_selectorELNS0_4arch9wavefront6targetE1EEEvT1_,@function
_ZN7rocprim17ROCPRIM_400000_NS6detail17trampoline_kernelINS0_14default_configENS1_25partition_config_selectorILNS1_17partition_subalgoE8EfNS0_10empty_typeEbEEZZNS1_14partition_implILS5_8ELb0ES3_jN6thrust23THRUST_200600_302600_NS6detail15normal_iteratorINSA_10device_ptrIfEEEEPS6_PKS6_NS0_5tupleIJSF_S6_EEENSJ_IJSG_SG_EEENS0_18inequality_wrapperI22is_equal_div_10_uniqueIfEEEPmJS6_EEE10hipError_tPvRmT3_T4_T5_T6_T7_T9_mT8_P12ihipStream_tbDpT10_ENKUlT_T0_E_clISt17integral_constantIbLb1EES19_IbLb0EEEEDaS15_S16_EUlS15_E_NS1_11comp_targetILNS1_3genE4ELNS1_11target_archE910ELNS1_3gpuE8ELNS1_3repE0EEENS1_30default_config_static_selectorELNS0_4arch9wavefront6targetE1EEEvT1_: ; @_ZN7rocprim17ROCPRIM_400000_NS6detail17trampoline_kernelINS0_14default_configENS1_25partition_config_selectorILNS1_17partition_subalgoE8EfNS0_10empty_typeEbEEZZNS1_14partition_implILS5_8ELb0ES3_jN6thrust23THRUST_200600_302600_NS6detail15normal_iteratorINSA_10device_ptrIfEEEEPS6_PKS6_NS0_5tupleIJSF_S6_EEENSJ_IJSG_SG_EEENS0_18inequality_wrapperI22is_equal_div_10_uniqueIfEEEPmJS6_EEE10hipError_tPvRmT3_T4_T5_T6_T7_T9_mT8_P12ihipStream_tbDpT10_ENKUlT_T0_E_clISt17integral_constantIbLb1EES19_IbLb0EEEEDaS15_S16_EUlS15_E_NS1_11comp_targetILNS1_3genE4ELNS1_11target_archE910ELNS1_3gpuE8ELNS1_3repE0EEENS1_30default_config_static_selectorELNS0_4arch9wavefront6targetE1EEEvT1_
; %bb.0:
	.section	.rodata,"a",@progbits
	.p2align	6, 0x0
	.amdhsa_kernel _ZN7rocprim17ROCPRIM_400000_NS6detail17trampoline_kernelINS0_14default_configENS1_25partition_config_selectorILNS1_17partition_subalgoE8EfNS0_10empty_typeEbEEZZNS1_14partition_implILS5_8ELb0ES3_jN6thrust23THRUST_200600_302600_NS6detail15normal_iteratorINSA_10device_ptrIfEEEEPS6_PKS6_NS0_5tupleIJSF_S6_EEENSJ_IJSG_SG_EEENS0_18inequality_wrapperI22is_equal_div_10_uniqueIfEEEPmJS6_EEE10hipError_tPvRmT3_T4_T5_T6_T7_T9_mT8_P12ihipStream_tbDpT10_ENKUlT_T0_E_clISt17integral_constantIbLb1EES19_IbLb0EEEEDaS15_S16_EUlS15_E_NS1_11comp_targetILNS1_3genE4ELNS1_11target_archE910ELNS1_3gpuE8ELNS1_3repE0EEENS1_30default_config_static_selectorELNS0_4arch9wavefront6targetE1EEEvT1_
		.amdhsa_group_segment_fixed_size 0
		.amdhsa_private_segment_fixed_size 0
		.amdhsa_kernarg_size 112
		.amdhsa_user_sgpr_count 6
		.amdhsa_user_sgpr_private_segment_buffer 1
		.amdhsa_user_sgpr_dispatch_ptr 0
		.amdhsa_user_sgpr_queue_ptr 0
		.amdhsa_user_sgpr_kernarg_segment_ptr 1
		.amdhsa_user_sgpr_dispatch_id 0
		.amdhsa_user_sgpr_flat_scratch_init 0
		.amdhsa_user_sgpr_private_segment_size 0
		.amdhsa_uses_dynamic_stack 0
		.amdhsa_system_sgpr_private_segment_wavefront_offset 0
		.amdhsa_system_sgpr_workgroup_id_x 1
		.amdhsa_system_sgpr_workgroup_id_y 0
		.amdhsa_system_sgpr_workgroup_id_z 0
		.amdhsa_system_sgpr_workgroup_info 0
		.amdhsa_system_vgpr_workitem_id 0
		.amdhsa_next_free_vgpr 1
		.amdhsa_next_free_sgpr 0
		.amdhsa_reserve_vcc 0
		.amdhsa_reserve_flat_scratch 0
		.amdhsa_float_round_mode_32 0
		.amdhsa_float_round_mode_16_64 0
		.amdhsa_float_denorm_mode_32 3
		.amdhsa_float_denorm_mode_16_64 3
		.amdhsa_dx10_clamp 1
		.amdhsa_ieee_mode 1
		.amdhsa_fp16_overflow 0
		.amdhsa_exception_fp_ieee_invalid_op 0
		.amdhsa_exception_fp_denorm_src 0
		.amdhsa_exception_fp_ieee_div_zero 0
		.amdhsa_exception_fp_ieee_overflow 0
		.amdhsa_exception_fp_ieee_underflow 0
		.amdhsa_exception_fp_ieee_inexact 0
		.amdhsa_exception_int_div_zero 0
	.end_amdhsa_kernel
	.section	.text._ZN7rocprim17ROCPRIM_400000_NS6detail17trampoline_kernelINS0_14default_configENS1_25partition_config_selectorILNS1_17partition_subalgoE8EfNS0_10empty_typeEbEEZZNS1_14partition_implILS5_8ELb0ES3_jN6thrust23THRUST_200600_302600_NS6detail15normal_iteratorINSA_10device_ptrIfEEEEPS6_PKS6_NS0_5tupleIJSF_S6_EEENSJ_IJSG_SG_EEENS0_18inequality_wrapperI22is_equal_div_10_uniqueIfEEEPmJS6_EEE10hipError_tPvRmT3_T4_T5_T6_T7_T9_mT8_P12ihipStream_tbDpT10_ENKUlT_T0_E_clISt17integral_constantIbLb1EES19_IbLb0EEEEDaS15_S16_EUlS15_E_NS1_11comp_targetILNS1_3genE4ELNS1_11target_archE910ELNS1_3gpuE8ELNS1_3repE0EEENS1_30default_config_static_selectorELNS0_4arch9wavefront6targetE1EEEvT1_,"axG",@progbits,_ZN7rocprim17ROCPRIM_400000_NS6detail17trampoline_kernelINS0_14default_configENS1_25partition_config_selectorILNS1_17partition_subalgoE8EfNS0_10empty_typeEbEEZZNS1_14partition_implILS5_8ELb0ES3_jN6thrust23THRUST_200600_302600_NS6detail15normal_iteratorINSA_10device_ptrIfEEEEPS6_PKS6_NS0_5tupleIJSF_S6_EEENSJ_IJSG_SG_EEENS0_18inequality_wrapperI22is_equal_div_10_uniqueIfEEEPmJS6_EEE10hipError_tPvRmT3_T4_T5_T6_T7_T9_mT8_P12ihipStream_tbDpT10_ENKUlT_T0_E_clISt17integral_constantIbLb1EES19_IbLb0EEEEDaS15_S16_EUlS15_E_NS1_11comp_targetILNS1_3genE4ELNS1_11target_archE910ELNS1_3gpuE8ELNS1_3repE0EEENS1_30default_config_static_selectorELNS0_4arch9wavefront6targetE1EEEvT1_,comdat
.Lfunc_end130:
	.size	_ZN7rocprim17ROCPRIM_400000_NS6detail17trampoline_kernelINS0_14default_configENS1_25partition_config_selectorILNS1_17partition_subalgoE8EfNS0_10empty_typeEbEEZZNS1_14partition_implILS5_8ELb0ES3_jN6thrust23THRUST_200600_302600_NS6detail15normal_iteratorINSA_10device_ptrIfEEEEPS6_PKS6_NS0_5tupleIJSF_S6_EEENSJ_IJSG_SG_EEENS0_18inequality_wrapperI22is_equal_div_10_uniqueIfEEEPmJS6_EEE10hipError_tPvRmT3_T4_T5_T6_T7_T9_mT8_P12ihipStream_tbDpT10_ENKUlT_T0_E_clISt17integral_constantIbLb1EES19_IbLb0EEEEDaS15_S16_EUlS15_E_NS1_11comp_targetILNS1_3genE4ELNS1_11target_archE910ELNS1_3gpuE8ELNS1_3repE0EEENS1_30default_config_static_selectorELNS0_4arch9wavefront6targetE1EEEvT1_, .Lfunc_end130-_ZN7rocprim17ROCPRIM_400000_NS6detail17trampoline_kernelINS0_14default_configENS1_25partition_config_selectorILNS1_17partition_subalgoE8EfNS0_10empty_typeEbEEZZNS1_14partition_implILS5_8ELb0ES3_jN6thrust23THRUST_200600_302600_NS6detail15normal_iteratorINSA_10device_ptrIfEEEEPS6_PKS6_NS0_5tupleIJSF_S6_EEENSJ_IJSG_SG_EEENS0_18inequality_wrapperI22is_equal_div_10_uniqueIfEEEPmJS6_EEE10hipError_tPvRmT3_T4_T5_T6_T7_T9_mT8_P12ihipStream_tbDpT10_ENKUlT_T0_E_clISt17integral_constantIbLb1EES19_IbLb0EEEEDaS15_S16_EUlS15_E_NS1_11comp_targetILNS1_3genE4ELNS1_11target_archE910ELNS1_3gpuE8ELNS1_3repE0EEENS1_30default_config_static_selectorELNS0_4arch9wavefront6targetE1EEEvT1_
                                        ; -- End function
	.set _ZN7rocprim17ROCPRIM_400000_NS6detail17trampoline_kernelINS0_14default_configENS1_25partition_config_selectorILNS1_17partition_subalgoE8EfNS0_10empty_typeEbEEZZNS1_14partition_implILS5_8ELb0ES3_jN6thrust23THRUST_200600_302600_NS6detail15normal_iteratorINSA_10device_ptrIfEEEEPS6_PKS6_NS0_5tupleIJSF_S6_EEENSJ_IJSG_SG_EEENS0_18inequality_wrapperI22is_equal_div_10_uniqueIfEEEPmJS6_EEE10hipError_tPvRmT3_T4_T5_T6_T7_T9_mT8_P12ihipStream_tbDpT10_ENKUlT_T0_E_clISt17integral_constantIbLb1EES19_IbLb0EEEEDaS15_S16_EUlS15_E_NS1_11comp_targetILNS1_3genE4ELNS1_11target_archE910ELNS1_3gpuE8ELNS1_3repE0EEENS1_30default_config_static_selectorELNS0_4arch9wavefront6targetE1EEEvT1_.num_vgpr, 0
	.set _ZN7rocprim17ROCPRIM_400000_NS6detail17trampoline_kernelINS0_14default_configENS1_25partition_config_selectorILNS1_17partition_subalgoE8EfNS0_10empty_typeEbEEZZNS1_14partition_implILS5_8ELb0ES3_jN6thrust23THRUST_200600_302600_NS6detail15normal_iteratorINSA_10device_ptrIfEEEEPS6_PKS6_NS0_5tupleIJSF_S6_EEENSJ_IJSG_SG_EEENS0_18inequality_wrapperI22is_equal_div_10_uniqueIfEEEPmJS6_EEE10hipError_tPvRmT3_T4_T5_T6_T7_T9_mT8_P12ihipStream_tbDpT10_ENKUlT_T0_E_clISt17integral_constantIbLb1EES19_IbLb0EEEEDaS15_S16_EUlS15_E_NS1_11comp_targetILNS1_3genE4ELNS1_11target_archE910ELNS1_3gpuE8ELNS1_3repE0EEENS1_30default_config_static_selectorELNS0_4arch9wavefront6targetE1EEEvT1_.num_agpr, 0
	.set _ZN7rocprim17ROCPRIM_400000_NS6detail17trampoline_kernelINS0_14default_configENS1_25partition_config_selectorILNS1_17partition_subalgoE8EfNS0_10empty_typeEbEEZZNS1_14partition_implILS5_8ELb0ES3_jN6thrust23THRUST_200600_302600_NS6detail15normal_iteratorINSA_10device_ptrIfEEEEPS6_PKS6_NS0_5tupleIJSF_S6_EEENSJ_IJSG_SG_EEENS0_18inequality_wrapperI22is_equal_div_10_uniqueIfEEEPmJS6_EEE10hipError_tPvRmT3_T4_T5_T6_T7_T9_mT8_P12ihipStream_tbDpT10_ENKUlT_T0_E_clISt17integral_constantIbLb1EES19_IbLb0EEEEDaS15_S16_EUlS15_E_NS1_11comp_targetILNS1_3genE4ELNS1_11target_archE910ELNS1_3gpuE8ELNS1_3repE0EEENS1_30default_config_static_selectorELNS0_4arch9wavefront6targetE1EEEvT1_.numbered_sgpr, 0
	.set _ZN7rocprim17ROCPRIM_400000_NS6detail17trampoline_kernelINS0_14default_configENS1_25partition_config_selectorILNS1_17partition_subalgoE8EfNS0_10empty_typeEbEEZZNS1_14partition_implILS5_8ELb0ES3_jN6thrust23THRUST_200600_302600_NS6detail15normal_iteratorINSA_10device_ptrIfEEEEPS6_PKS6_NS0_5tupleIJSF_S6_EEENSJ_IJSG_SG_EEENS0_18inequality_wrapperI22is_equal_div_10_uniqueIfEEEPmJS6_EEE10hipError_tPvRmT3_T4_T5_T6_T7_T9_mT8_P12ihipStream_tbDpT10_ENKUlT_T0_E_clISt17integral_constantIbLb1EES19_IbLb0EEEEDaS15_S16_EUlS15_E_NS1_11comp_targetILNS1_3genE4ELNS1_11target_archE910ELNS1_3gpuE8ELNS1_3repE0EEENS1_30default_config_static_selectorELNS0_4arch9wavefront6targetE1EEEvT1_.num_named_barrier, 0
	.set _ZN7rocprim17ROCPRIM_400000_NS6detail17trampoline_kernelINS0_14default_configENS1_25partition_config_selectorILNS1_17partition_subalgoE8EfNS0_10empty_typeEbEEZZNS1_14partition_implILS5_8ELb0ES3_jN6thrust23THRUST_200600_302600_NS6detail15normal_iteratorINSA_10device_ptrIfEEEEPS6_PKS6_NS0_5tupleIJSF_S6_EEENSJ_IJSG_SG_EEENS0_18inequality_wrapperI22is_equal_div_10_uniqueIfEEEPmJS6_EEE10hipError_tPvRmT3_T4_T5_T6_T7_T9_mT8_P12ihipStream_tbDpT10_ENKUlT_T0_E_clISt17integral_constantIbLb1EES19_IbLb0EEEEDaS15_S16_EUlS15_E_NS1_11comp_targetILNS1_3genE4ELNS1_11target_archE910ELNS1_3gpuE8ELNS1_3repE0EEENS1_30default_config_static_selectorELNS0_4arch9wavefront6targetE1EEEvT1_.private_seg_size, 0
	.set _ZN7rocprim17ROCPRIM_400000_NS6detail17trampoline_kernelINS0_14default_configENS1_25partition_config_selectorILNS1_17partition_subalgoE8EfNS0_10empty_typeEbEEZZNS1_14partition_implILS5_8ELb0ES3_jN6thrust23THRUST_200600_302600_NS6detail15normal_iteratorINSA_10device_ptrIfEEEEPS6_PKS6_NS0_5tupleIJSF_S6_EEENSJ_IJSG_SG_EEENS0_18inequality_wrapperI22is_equal_div_10_uniqueIfEEEPmJS6_EEE10hipError_tPvRmT3_T4_T5_T6_T7_T9_mT8_P12ihipStream_tbDpT10_ENKUlT_T0_E_clISt17integral_constantIbLb1EES19_IbLb0EEEEDaS15_S16_EUlS15_E_NS1_11comp_targetILNS1_3genE4ELNS1_11target_archE910ELNS1_3gpuE8ELNS1_3repE0EEENS1_30default_config_static_selectorELNS0_4arch9wavefront6targetE1EEEvT1_.uses_vcc, 0
	.set _ZN7rocprim17ROCPRIM_400000_NS6detail17trampoline_kernelINS0_14default_configENS1_25partition_config_selectorILNS1_17partition_subalgoE8EfNS0_10empty_typeEbEEZZNS1_14partition_implILS5_8ELb0ES3_jN6thrust23THRUST_200600_302600_NS6detail15normal_iteratorINSA_10device_ptrIfEEEEPS6_PKS6_NS0_5tupleIJSF_S6_EEENSJ_IJSG_SG_EEENS0_18inequality_wrapperI22is_equal_div_10_uniqueIfEEEPmJS6_EEE10hipError_tPvRmT3_T4_T5_T6_T7_T9_mT8_P12ihipStream_tbDpT10_ENKUlT_T0_E_clISt17integral_constantIbLb1EES19_IbLb0EEEEDaS15_S16_EUlS15_E_NS1_11comp_targetILNS1_3genE4ELNS1_11target_archE910ELNS1_3gpuE8ELNS1_3repE0EEENS1_30default_config_static_selectorELNS0_4arch9wavefront6targetE1EEEvT1_.uses_flat_scratch, 0
	.set _ZN7rocprim17ROCPRIM_400000_NS6detail17trampoline_kernelINS0_14default_configENS1_25partition_config_selectorILNS1_17partition_subalgoE8EfNS0_10empty_typeEbEEZZNS1_14partition_implILS5_8ELb0ES3_jN6thrust23THRUST_200600_302600_NS6detail15normal_iteratorINSA_10device_ptrIfEEEEPS6_PKS6_NS0_5tupleIJSF_S6_EEENSJ_IJSG_SG_EEENS0_18inequality_wrapperI22is_equal_div_10_uniqueIfEEEPmJS6_EEE10hipError_tPvRmT3_T4_T5_T6_T7_T9_mT8_P12ihipStream_tbDpT10_ENKUlT_T0_E_clISt17integral_constantIbLb1EES19_IbLb0EEEEDaS15_S16_EUlS15_E_NS1_11comp_targetILNS1_3genE4ELNS1_11target_archE910ELNS1_3gpuE8ELNS1_3repE0EEENS1_30default_config_static_selectorELNS0_4arch9wavefront6targetE1EEEvT1_.has_dyn_sized_stack, 0
	.set _ZN7rocprim17ROCPRIM_400000_NS6detail17trampoline_kernelINS0_14default_configENS1_25partition_config_selectorILNS1_17partition_subalgoE8EfNS0_10empty_typeEbEEZZNS1_14partition_implILS5_8ELb0ES3_jN6thrust23THRUST_200600_302600_NS6detail15normal_iteratorINSA_10device_ptrIfEEEEPS6_PKS6_NS0_5tupleIJSF_S6_EEENSJ_IJSG_SG_EEENS0_18inequality_wrapperI22is_equal_div_10_uniqueIfEEEPmJS6_EEE10hipError_tPvRmT3_T4_T5_T6_T7_T9_mT8_P12ihipStream_tbDpT10_ENKUlT_T0_E_clISt17integral_constantIbLb1EES19_IbLb0EEEEDaS15_S16_EUlS15_E_NS1_11comp_targetILNS1_3genE4ELNS1_11target_archE910ELNS1_3gpuE8ELNS1_3repE0EEENS1_30default_config_static_selectorELNS0_4arch9wavefront6targetE1EEEvT1_.has_recursion, 0
	.set _ZN7rocprim17ROCPRIM_400000_NS6detail17trampoline_kernelINS0_14default_configENS1_25partition_config_selectorILNS1_17partition_subalgoE8EfNS0_10empty_typeEbEEZZNS1_14partition_implILS5_8ELb0ES3_jN6thrust23THRUST_200600_302600_NS6detail15normal_iteratorINSA_10device_ptrIfEEEEPS6_PKS6_NS0_5tupleIJSF_S6_EEENSJ_IJSG_SG_EEENS0_18inequality_wrapperI22is_equal_div_10_uniqueIfEEEPmJS6_EEE10hipError_tPvRmT3_T4_T5_T6_T7_T9_mT8_P12ihipStream_tbDpT10_ENKUlT_T0_E_clISt17integral_constantIbLb1EES19_IbLb0EEEEDaS15_S16_EUlS15_E_NS1_11comp_targetILNS1_3genE4ELNS1_11target_archE910ELNS1_3gpuE8ELNS1_3repE0EEENS1_30default_config_static_selectorELNS0_4arch9wavefront6targetE1EEEvT1_.has_indirect_call, 0
	.section	.AMDGPU.csdata,"",@progbits
; Kernel info:
; codeLenInByte = 0
; TotalNumSgprs: 4
; NumVgprs: 0
; ScratchSize: 0
; MemoryBound: 0
; FloatMode: 240
; IeeeMode: 1
; LDSByteSize: 0 bytes/workgroup (compile time only)
; SGPRBlocks: 0
; VGPRBlocks: 0
; NumSGPRsForWavesPerEU: 4
; NumVGPRsForWavesPerEU: 1
; Occupancy: 10
; WaveLimiterHint : 0
; COMPUTE_PGM_RSRC2:SCRATCH_EN: 0
; COMPUTE_PGM_RSRC2:USER_SGPR: 6
; COMPUTE_PGM_RSRC2:TRAP_HANDLER: 0
; COMPUTE_PGM_RSRC2:TGID_X_EN: 1
; COMPUTE_PGM_RSRC2:TGID_Y_EN: 0
; COMPUTE_PGM_RSRC2:TGID_Z_EN: 0
; COMPUTE_PGM_RSRC2:TIDIG_COMP_CNT: 0
	.section	.text._ZN7rocprim17ROCPRIM_400000_NS6detail17trampoline_kernelINS0_14default_configENS1_25partition_config_selectorILNS1_17partition_subalgoE8EfNS0_10empty_typeEbEEZZNS1_14partition_implILS5_8ELb0ES3_jN6thrust23THRUST_200600_302600_NS6detail15normal_iteratorINSA_10device_ptrIfEEEEPS6_PKS6_NS0_5tupleIJSF_S6_EEENSJ_IJSG_SG_EEENS0_18inequality_wrapperI22is_equal_div_10_uniqueIfEEEPmJS6_EEE10hipError_tPvRmT3_T4_T5_T6_T7_T9_mT8_P12ihipStream_tbDpT10_ENKUlT_T0_E_clISt17integral_constantIbLb1EES19_IbLb0EEEEDaS15_S16_EUlS15_E_NS1_11comp_targetILNS1_3genE3ELNS1_11target_archE908ELNS1_3gpuE7ELNS1_3repE0EEENS1_30default_config_static_selectorELNS0_4arch9wavefront6targetE1EEEvT1_,"axG",@progbits,_ZN7rocprim17ROCPRIM_400000_NS6detail17trampoline_kernelINS0_14default_configENS1_25partition_config_selectorILNS1_17partition_subalgoE8EfNS0_10empty_typeEbEEZZNS1_14partition_implILS5_8ELb0ES3_jN6thrust23THRUST_200600_302600_NS6detail15normal_iteratorINSA_10device_ptrIfEEEEPS6_PKS6_NS0_5tupleIJSF_S6_EEENSJ_IJSG_SG_EEENS0_18inequality_wrapperI22is_equal_div_10_uniqueIfEEEPmJS6_EEE10hipError_tPvRmT3_T4_T5_T6_T7_T9_mT8_P12ihipStream_tbDpT10_ENKUlT_T0_E_clISt17integral_constantIbLb1EES19_IbLb0EEEEDaS15_S16_EUlS15_E_NS1_11comp_targetILNS1_3genE3ELNS1_11target_archE908ELNS1_3gpuE7ELNS1_3repE0EEENS1_30default_config_static_selectorELNS0_4arch9wavefront6targetE1EEEvT1_,comdat
	.protected	_ZN7rocprim17ROCPRIM_400000_NS6detail17trampoline_kernelINS0_14default_configENS1_25partition_config_selectorILNS1_17partition_subalgoE8EfNS0_10empty_typeEbEEZZNS1_14partition_implILS5_8ELb0ES3_jN6thrust23THRUST_200600_302600_NS6detail15normal_iteratorINSA_10device_ptrIfEEEEPS6_PKS6_NS0_5tupleIJSF_S6_EEENSJ_IJSG_SG_EEENS0_18inequality_wrapperI22is_equal_div_10_uniqueIfEEEPmJS6_EEE10hipError_tPvRmT3_T4_T5_T6_T7_T9_mT8_P12ihipStream_tbDpT10_ENKUlT_T0_E_clISt17integral_constantIbLb1EES19_IbLb0EEEEDaS15_S16_EUlS15_E_NS1_11comp_targetILNS1_3genE3ELNS1_11target_archE908ELNS1_3gpuE7ELNS1_3repE0EEENS1_30default_config_static_selectorELNS0_4arch9wavefront6targetE1EEEvT1_ ; -- Begin function _ZN7rocprim17ROCPRIM_400000_NS6detail17trampoline_kernelINS0_14default_configENS1_25partition_config_selectorILNS1_17partition_subalgoE8EfNS0_10empty_typeEbEEZZNS1_14partition_implILS5_8ELb0ES3_jN6thrust23THRUST_200600_302600_NS6detail15normal_iteratorINSA_10device_ptrIfEEEEPS6_PKS6_NS0_5tupleIJSF_S6_EEENSJ_IJSG_SG_EEENS0_18inequality_wrapperI22is_equal_div_10_uniqueIfEEEPmJS6_EEE10hipError_tPvRmT3_T4_T5_T6_T7_T9_mT8_P12ihipStream_tbDpT10_ENKUlT_T0_E_clISt17integral_constantIbLb1EES19_IbLb0EEEEDaS15_S16_EUlS15_E_NS1_11comp_targetILNS1_3genE3ELNS1_11target_archE908ELNS1_3gpuE7ELNS1_3repE0EEENS1_30default_config_static_selectorELNS0_4arch9wavefront6targetE1EEEvT1_
	.globl	_ZN7rocprim17ROCPRIM_400000_NS6detail17trampoline_kernelINS0_14default_configENS1_25partition_config_selectorILNS1_17partition_subalgoE8EfNS0_10empty_typeEbEEZZNS1_14partition_implILS5_8ELb0ES3_jN6thrust23THRUST_200600_302600_NS6detail15normal_iteratorINSA_10device_ptrIfEEEEPS6_PKS6_NS0_5tupleIJSF_S6_EEENSJ_IJSG_SG_EEENS0_18inequality_wrapperI22is_equal_div_10_uniqueIfEEEPmJS6_EEE10hipError_tPvRmT3_T4_T5_T6_T7_T9_mT8_P12ihipStream_tbDpT10_ENKUlT_T0_E_clISt17integral_constantIbLb1EES19_IbLb0EEEEDaS15_S16_EUlS15_E_NS1_11comp_targetILNS1_3genE3ELNS1_11target_archE908ELNS1_3gpuE7ELNS1_3repE0EEENS1_30default_config_static_selectorELNS0_4arch9wavefront6targetE1EEEvT1_
	.p2align	8
	.type	_ZN7rocprim17ROCPRIM_400000_NS6detail17trampoline_kernelINS0_14default_configENS1_25partition_config_selectorILNS1_17partition_subalgoE8EfNS0_10empty_typeEbEEZZNS1_14partition_implILS5_8ELb0ES3_jN6thrust23THRUST_200600_302600_NS6detail15normal_iteratorINSA_10device_ptrIfEEEEPS6_PKS6_NS0_5tupleIJSF_S6_EEENSJ_IJSG_SG_EEENS0_18inequality_wrapperI22is_equal_div_10_uniqueIfEEEPmJS6_EEE10hipError_tPvRmT3_T4_T5_T6_T7_T9_mT8_P12ihipStream_tbDpT10_ENKUlT_T0_E_clISt17integral_constantIbLb1EES19_IbLb0EEEEDaS15_S16_EUlS15_E_NS1_11comp_targetILNS1_3genE3ELNS1_11target_archE908ELNS1_3gpuE7ELNS1_3repE0EEENS1_30default_config_static_selectorELNS0_4arch9wavefront6targetE1EEEvT1_,@function
_ZN7rocprim17ROCPRIM_400000_NS6detail17trampoline_kernelINS0_14default_configENS1_25partition_config_selectorILNS1_17partition_subalgoE8EfNS0_10empty_typeEbEEZZNS1_14partition_implILS5_8ELb0ES3_jN6thrust23THRUST_200600_302600_NS6detail15normal_iteratorINSA_10device_ptrIfEEEEPS6_PKS6_NS0_5tupleIJSF_S6_EEENSJ_IJSG_SG_EEENS0_18inequality_wrapperI22is_equal_div_10_uniqueIfEEEPmJS6_EEE10hipError_tPvRmT3_T4_T5_T6_T7_T9_mT8_P12ihipStream_tbDpT10_ENKUlT_T0_E_clISt17integral_constantIbLb1EES19_IbLb0EEEEDaS15_S16_EUlS15_E_NS1_11comp_targetILNS1_3genE3ELNS1_11target_archE908ELNS1_3gpuE7ELNS1_3repE0EEENS1_30default_config_static_selectorELNS0_4arch9wavefront6targetE1EEEvT1_: ; @_ZN7rocprim17ROCPRIM_400000_NS6detail17trampoline_kernelINS0_14default_configENS1_25partition_config_selectorILNS1_17partition_subalgoE8EfNS0_10empty_typeEbEEZZNS1_14partition_implILS5_8ELb0ES3_jN6thrust23THRUST_200600_302600_NS6detail15normal_iteratorINSA_10device_ptrIfEEEEPS6_PKS6_NS0_5tupleIJSF_S6_EEENSJ_IJSG_SG_EEENS0_18inequality_wrapperI22is_equal_div_10_uniqueIfEEEPmJS6_EEE10hipError_tPvRmT3_T4_T5_T6_T7_T9_mT8_P12ihipStream_tbDpT10_ENKUlT_T0_E_clISt17integral_constantIbLb1EES19_IbLb0EEEEDaS15_S16_EUlS15_E_NS1_11comp_targetILNS1_3genE3ELNS1_11target_archE908ELNS1_3gpuE7ELNS1_3repE0EEENS1_30default_config_static_selectorELNS0_4arch9wavefront6targetE1EEEvT1_
; %bb.0:
	.section	.rodata,"a",@progbits
	.p2align	6, 0x0
	.amdhsa_kernel _ZN7rocprim17ROCPRIM_400000_NS6detail17trampoline_kernelINS0_14default_configENS1_25partition_config_selectorILNS1_17partition_subalgoE8EfNS0_10empty_typeEbEEZZNS1_14partition_implILS5_8ELb0ES3_jN6thrust23THRUST_200600_302600_NS6detail15normal_iteratorINSA_10device_ptrIfEEEEPS6_PKS6_NS0_5tupleIJSF_S6_EEENSJ_IJSG_SG_EEENS0_18inequality_wrapperI22is_equal_div_10_uniqueIfEEEPmJS6_EEE10hipError_tPvRmT3_T4_T5_T6_T7_T9_mT8_P12ihipStream_tbDpT10_ENKUlT_T0_E_clISt17integral_constantIbLb1EES19_IbLb0EEEEDaS15_S16_EUlS15_E_NS1_11comp_targetILNS1_3genE3ELNS1_11target_archE908ELNS1_3gpuE7ELNS1_3repE0EEENS1_30default_config_static_selectorELNS0_4arch9wavefront6targetE1EEEvT1_
		.amdhsa_group_segment_fixed_size 0
		.amdhsa_private_segment_fixed_size 0
		.amdhsa_kernarg_size 112
		.amdhsa_user_sgpr_count 6
		.amdhsa_user_sgpr_private_segment_buffer 1
		.amdhsa_user_sgpr_dispatch_ptr 0
		.amdhsa_user_sgpr_queue_ptr 0
		.amdhsa_user_sgpr_kernarg_segment_ptr 1
		.amdhsa_user_sgpr_dispatch_id 0
		.amdhsa_user_sgpr_flat_scratch_init 0
		.amdhsa_user_sgpr_private_segment_size 0
		.amdhsa_uses_dynamic_stack 0
		.amdhsa_system_sgpr_private_segment_wavefront_offset 0
		.amdhsa_system_sgpr_workgroup_id_x 1
		.amdhsa_system_sgpr_workgroup_id_y 0
		.amdhsa_system_sgpr_workgroup_id_z 0
		.amdhsa_system_sgpr_workgroup_info 0
		.amdhsa_system_vgpr_workitem_id 0
		.amdhsa_next_free_vgpr 1
		.amdhsa_next_free_sgpr 0
		.amdhsa_reserve_vcc 0
		.amdhsa_reserve_flat_scratch 0
		.amdhsa_float_round_mode_32 0
		.amdhsa_float_round_mode_16_64 0
		.amdhsa_float_denorm_mode_32 3
		.amdhsa_float_denorm_mode_16_64 3
		.amdhsa_dx10_clamp 1
		.amdhsa_ieee_mode 1
		.amdhsa_fp16_overflow 0
		.amdhsa_exception_fp_ieee_invalid_op 0
		.amdhsa_exception_fp_denorm_src 0
		.amdhsa_exception_fp_ieee_div_zero 0
		.amdhsa_exception_fp_ieee_overflow 0
		.amdhsa_exception_fp_ieee_underflow 0
		.amdhsa_exception_fp_ieee_inexact 0
		.amdhsa_exception_int_div_zero 0
	.end_amdhsa_kernel
	.section	.text._ZN7rocprim17ROCPRIM_400000_NS6detail17trampoline_kernelINS0_14default_configENS1_25partition_config_selectorILNS1_17partition_subalgoE8EfNS0_10empty_typeEbEEZZNS1_14partition_implILS5_8ELb0ES3_jN6thrust23THRUST_200600_302600_NS6detail15normal_iteratorINSA_10device_ptrIfEEEEPS6_PKS6_NS0_5tupleIJSF_S6_EEENSJ_IJSG_SG_EEENS0_18inequality_wrapperI22is_equal_div_10_uniqueIfEEEPmJS6_EEE10hipError_tPvRmT3_T4_T5_T6_T7_T9_mT8_P12ihipStream_tbDpT10_ENKUlT_T0_E_clISt17integral_constantIbLb1EES19_IbLb0EEEEDaS15_S16_EUlS15_E_NS1_11comp_targetILNS1_3genE3ELNS1_11target_archE908ELNS1_3gpuE7ELNS1_3repE0EEENS1_30default_config_static_selectorELNS0_4arch9wavefront6targetE1EEEvT1_,"axG",@progbits,_ZN7rocprim17ROCPRIM_400000_NS6detail17trampoline_kernelINS0_14default_configENS1_25partition_config_selectorILNS1_17partition_subalgoE8EfNS0_10empty_typeEbEEZZNS1_14partition_implILS5_8ELb0ES3_jN6thrust23THRUST_200600_302600_NS6detail15normal_iteratorINSA_10device_ptrIfEEEEPS6_PKS6_NS0_5tupleIJSF_S6_EEENSJ_IJSG_SG_EEENS0_18inequality_wrapperI22is_equal_div_10_uniqueIfEEEPmJS6_EEE10hipError_tPvRmT3_T4_T5_T6_T7_T9_mT8_P12ihipStream_tbDpT10_ENKUlT_T0_E_clISt17integral_constantIbLb1EES19_IbLb0EEEEDaS15_S16_EUlS15_E_NS1_11comp_targetILNS1_3genE3ELNS1_11target_archE908ELNS1_3gpuE7ELNS1_3repE0EEENS1_30default_config_static_selectorELNS0_4arch9wavefront6targetE1EEEvT1_,comdat
.Lfunc_end131:
	.size	_ZN7rocprim17ROCPRIM_400000_NS6detail17trampoline_kernelINS0_14default_configENS1_25partition_config_selectorILNS1_17partition_subalgoE8EfNS0_10empty_typeEbEEZZNS1_14partition_implILS5_8ELb0ES3_jN6thrust23THRUST_200600_302600_NS6detail15normal_iteratorINSA_10device_ptrIfEEEEPS6_PKS6_NS0_5tupleIJSF_S6_EEENSJ_IJSG_SG_EEENS0_18inequality_wrapperI22is_equal_div_10_uniqueIfEEEPmJS6_EEE10hipError_tPvRmT3_T4_T5_T6_T7_T9_mT8_P12ihipStream_tbDpT10_ENKUlT_T0_E_clISt17integral_constantIbLb1EES19_IbLb0EEEEDaS15_S16_EUlS15_E_NS1_11comp_targetILNS1_3genE3ELNS1_11target_archE908ELNS1_3gpuE7ELNS1_3repE0EEENS1_30default_config_static_selectorELNS0_4arch9wavefront6targetE1EEEvT1_, .Lfunc_end131-_ZN7rocprim17ROCPRIM_400000_NS6detail17trampoline_kernelINS0_14default_configENS1_25partition_config_selectorILNS1_17partition_subalgoE8EfNS0_10empty_typeEbEEZZNS1_14partition_implILS5_8ELb0ES3_jN6thrust23THRUST_200600_302600_NS6detail15normal_iteratorINSA_10device_ptrIfEEEEPS6_PKS6_NS0_5tupleIJSF_S6_EEENSJ_IJSG_SG_EEENS0_18inequality_wrapperI22is_equal_div_10_uniqueIfEEEPmJS6_EEE10hipError_tPvRmT3_T4_T5_T6_T7_T9_mT8_P12ihipStream_tbDpT10_ENKUlT_T0_E_clISt17integral_constantIbLb1EES19_IbLb0EEEEDaS15_S16_EUlS15_E_NS1_11comp_targetILNS1_3genE3ELNS1_11target_archE908ELNS1_3gpuE7ELNS1_3repE0EEENS1_30default_config_static_selectorELNS0_4arch9wavefront6targetE1EEEvT1_
                                        ; -- End function
	.set _ZN7rocprim17ROCPRIM_400000_NS6detail17trampoline_kernelINS0_14default_configENS1_25partition_config_selectorILNS1_17partition_subalgoE8EfNS0_10empty_typeEbEEZZNS1_14partition_implILS5_8ELb0ES3_jN6thrust23THRUST_200600_302600_NS6detail15normal_iteratorINSA_10device_ptrIfEEEEPS6_PKS6_NS0_5tupleIJSF_S6_EEENSJ_IJSG_SG_EEENS0_18inequality_wrapperI22is_equal_div_10_uniqueIfEEEPmJS6_EEE10hipError_tPvRmT3_T4_T5_T6_T7_T9_mT8_P12ihipStream_tbDpT10_ENKUlT_T0_E_clISt17integral_constantIbLb1EES19_IbLb0EEEEDaS15_S16_EUlS15_E_NS1_11comp_targetILNS1_3genE3ELNS1_11target_archE908ELNS1_3gpuE7ELNS1_3repE0EEENS1_30default_config_static_selectorELNS0_4arch9wavefront6targetE1EEEvT1_.num_vgpr, 0
	.set _ZN7rocprim17ROCPRIM_400000_NS6detail17trampoline_kernelINS0_14default_configENS1_25partition_config_selectorILNS1_17partition_subalgoE8EfNS0_10empty_typeEbEEZZNS1_14partition_implILS5_8ELb0ES3_jN6thrust23THRUST_200600_302600_NS6detail15normal_iteratorINSA_10device_ptrIfEEEEPS6_PKS6_NS0_5tupleIJSF_S6_EEENSJ_IJSG_SG_EEENS0_18inequality_wrapperI22is_equal_div_10_uniqueIfEEEPmJS6_EEE10hipError_tPvRmT3_T4_T5_T6_T7_T9_mT8_P12ihipStream_tbDpT10_ENKUlT_T0_E_clISt17integral_constantIbLb1EES19_IbLb0EEEEDaS15_S16_EUlS15_E_NS1_11comp_targetILNS1_3genE3ELNS1_11target_archE908ELNS1_3gpuE7ELNS1_3repE0EEENS1_30default_config_static_selectorELNS0_4arch9wavefront6targetE1EEEvT1_.num_agpr, 0
	.set _ZN7rocprim17ROCPRIM_400000_NS6detail17trampoline_kernelINS0_14default_configENS1_25partition_config_selectorILNS1_17partition_subalgoE8EfNS0_10empty_typeEbEEZZNS1_14partition_implILS5_8ELb0ES3_jN6thrust23THRUST_200600_302600_NS6detail15normal_iteratorINSA_10device_ptrIfEEEEPS6_PKS6_NS0_5tupleIJSF_S6_EEENSJ_IJSG_SG_EEENS0_18inequality_wrapperI22is_equal_div_10_uniqueIfEEEPmJS6_EEE10hipError_tPvRmT3_T4_T5_T6_T7_T9_mT8_P12ihipStream_tbDpT10_ENKUlT_T0_E_clISt17integral_constantIbLb1EES19_IbLb0EEEEDaS15_S16_EUlS15_E_NS1_11comp_targetILNS1_3genE3ELNS1_11target_archE908ELNS1_3gpuE7ELNS1_3repE0EEENS1_30default_config_static_selectorELNS0_4arch9wavefront6targetE1EEEvT1_.numbered_sgpr, 0
	.set _ZN7rocprim17ROCPRIM_400000_NS6detail17trampoline_kernelINS0_14default_configENS1_25partition_config_selectorILNS1_17partition_subalgoE8EfNS0_10empty_typeEbEEZZNS1_14partition_implILS5_8ELb0ES3_jN6thrust23THRUST_200600_302600_NS6detail15normal_iteratorINSA_10device_ptrIfEEEEPS6_PKS6_NS0_5tupleIJSF_S6_EEENSJ_IJSG_SG_EEENS0_18inequality_wrapperI22is_equal_div_10_uniqueIfEEEPmJS6_EEE10hipError_tPvRmT3_T4_T5_T6_T7_T9_mT8_P12ihipStream_tbDpT10_ENKUlT_T0_E_clISt17integral_constantIbLb1EES19_IbLb0EEEEDaS15_S16_EUlS15_E_NS1_11comp_targetILNS1_3genE3ELNS1_11target_archE908ELNS1_3gpuE7ELNS1_3repE0EEENS1_30default_config_static_selectorELNS0_4arch9wavefront6targetE1EEEvT1_.num_named_barrier, 0
	.set _ZN7rocprim17ROCPRIM_400000_NS6detail17trampoline_kernelINS0_14default_configENS1_25partition_config_selectorILNS1_17partition_subalgoE8EfNS0_10empty_typeEbEEZZNS1_14partition_implILS5_8ELb0ES3_jN6thrust23THRUST_200600_302600_NS6detail15normal_iteratorINSA_10device_ptrIfEEEEPS6_PKS6_NS0_5tupleIJSF_S6_EEENSJ_IJSG_SG_EEENS0_18inequality_wrapperI22is_equal_div_10_uniqueIfEEEPmJS6_EEE10hipError_tPvRmT3_T4_T5_T6_T7_T9_mT8_P12ihipStream_tbDpT10_ENKUlT_T0_E_clISt17integral_constantIbLb1EES19_IbLb0EEEEDaS15_S16_EUlS15_E_NS1_11comp_targetILNS1_3genE3ELNS1_11target_archE908ELNS1_3gpuE7ELNS1_3repE0EEENS1_30default_config_static_selectorELNS0_4arch9wavefront6targetE1EEEvT1_.private_seg_size, 0
	.set _ZN7rocprim17ROCPRIM_400000_NS6detail17trampoline_kernelINS0_14default_configENS1_25partition_config_selectorILNS1_17partition_subalgoE8EfNS0_10empty_typeEbEEZZNS1_14partition_implILS5_8ELb0ES3_jN6thrust23THRUST_200600_302600_NS6detail15normal_iteratorINSA_10device_ptrIfEEEEPS6_PKS6_NS0_5tupleIJSF_S6_EEENSJ_IJSG_SG_EEENS0_18inequality_wrapperI22is_equal_div_10_uniqueIfEEEPmJS6_EEE10hipError_tPvRmT3_T4_T5_T6_T7_T9_mT8_P12ihipStream_tbDpT10_ENKUlT_T0_E_clISt17integral_constantIbLb1EES19_IbLb0EEEEDaS15_S16_EUlS15_E_NS1_11comp_targetILNS1_3genE3ELNS1_11target_archE908ELNS1_3gpuE7ELNS1_3repE0EEENS1_30default_config_static_selectorELNS0_4arch9wavefront6targetE1EEEvT1_.uses_vcc, 0
	.set _ZN7rocprim17ROCPRIM_400000_NS6detail17trampoline_kernelINS0_14default_configENS1_25partition_config_selectorILNS1_17partition_subalgoE8EfNS0_10empty_typeEbEEZZNS1_14partition_implILS5_8ELb0ES3_jN6thrust23THRUST_200600_302600_NS6detail15normal_iteratorINSA_10device_ptrIfEEEEPS6_PKS6_NS0_5tupleIJSF_S6_EEENSJ_IJSG_SG_EEENS0_18inequality_wrapperI22is_equal_div_10_uniqueIfEEEPmJS6_EEE10hipError_tPvRmT3_T4_T5_T6_T7_T9_mT8_P12ihipStream_tbDpT10_ENKUlT_T0_E_clISt17integral_constantIbLb1EES19_IbLb0EEEEDaS15_S16_EUlS15_E_NS1_11comp_targetILNS1_3genE3ELNS1_11target_archE908ELNS1_3gpuE7ELNS1_3repE0EEENS1_30default_config_static_selectorELNS0_4arch9wavefront6targetE1EEEvT1_.uses_flat_scratch, 0
	.set _ZN7rocprim17ROCPRIM_400000_NS6detail17trampoline_kernelINS0_14default_configENS1_25partition_config_selectorILNS1_17partition_subalgoE8EfNS0_10empty_typeEbEEZZNS1_14partition_implILS5_8ELb0ES3_jN6thrust23THRUST_200600_302600_NS6detail15normal_iteratorINSA_10device_ptrIfEEEEPS6_PKS6_NS0_5tupleIJSF_S6_EEENSJ_IJSG_SG_EEENS0_18inequality_wrapperI22is_equal_div_10_uniqueIfEEEPmJS6_EEE10hipError_tPvRmT3_T4_T5_T6_T7_T9_mT8_P12ihipStream_tbDpT10_ENKUlT_T0_E_clISt17integral_constantIbLb1EES19_IbLb0EEEEDaS15_S16_EUlS15_E_NS1_11comp_targetILNS1_3genE3ELNS1_11target_archE908ELNS1_3gpuE7ELNS1_3repE0EEENS1_30default_config_static_selectorELNS0_4arch9wavefront6targetE1EEEvT1_.has_dyn_sized_stack, 0
	.set _ZN7rocprim17ROCPRIM_400000_NS6detail17trampoline_kernelINS0_14default_configENS1_25partition_config_selectorILNS1_17partition_subalgoE8EfNS0_10empty_typeEbEEZZNS1_14partition_implILS5_8ELb0ES3_jN6thrust23THRUST_200600_302600_NS6detail15normal_iteratorINSA_10device_ptrIfEEEEPS6_PKS6_NS0_5tupleIJSF_S6_EEENSJ_IJSG_SG_EEENS0_18inequality_wrapperI22is_equal_div_10_uniqueIfEEEPmJS6_EEE10hipError_tPvRmT3_T4_T5_T6_T7_T9_mT8_P12ihipStream_tbDpT10_ENKUlT_T0_E_clISt17integral_constantIbLb1EES19_IbLb0EEEEDaS15_S16_EUlS15_E_NS1_11comp_targetILNS1_3genE3ELNS1_11target_archE908ELNS1_3gpuE7ELNS1_3repE0EEENS1_30default_config_static_selectorELNS0_4arch9wavefront6targetE1EEEvT1_.has_recursion, 0
	.set _ZN7rocprim17ROCPRIM_400000_NS6detail17trampoline_kernelINS0_14default_configENS1_25partition_config_selectorILNS1_17partition_subalgoE8EfNS0_10empty_typeEbEEZZNS1_14partition_implILS5_8ELb0ES3_jN6thrust23THRUST_200600_302600_NS6detail15normal_iteratorINSA_10device_ptrIfEEEEPS6_PKS6_NS0_5tupleIJSF_S6_EEENSJ_IJSG_SG_EEENS0_18inequality_wrapperI22is_equal_div_10_uniqueIfEEEPmJS6_EEE10hipError_tPvRmT3_T4_T5_T6_T7_T9_mT8_P12ihipStream_tbDpT10_ENKUlT_T0_E_clISt17integral_constantIbLb1EES19_IbLb0EEEEDaS15_S16_EUlS15_E_NS1_11comp_targetILNS1_3genE3ELNS1_11target_archE908ELNS1_3gpuE7ELNS1_3repE0EEENS1_30default_config_static_selectorELNS0_4arch9wavefront6targetE1EEEvT1_.has_indirect_call, 0
	.section	.AMDGPU.csdata,"",@progbits
; Kernel info:
; codeLenInByte = 0
; TotalNumSgprs: 4
; NumVgprs: 0
; ScratchSize: 0
; MemoryBound: 0
; FloatMode: 240
; IeeeMode: 1
; LDSByteSize: 0 bytes/workgroup (compile time only)
; SGPRBlocks: 0
; VGPRBlocks: 0
; NumSGPRsForWavesPerEU: 4
; NumVGPRsForWavesPerEU: 1
; Occupancy: 10
; WaveLimiterHint : 0
; COMPUTE_PGM_RSRC2:SCRATCH_EN: 0
; COMPUTE_PGM_RSRC2:USER_SGPR: 6
; COMPUTE_PGM_RSRC2:TRAP_HANDLER: 0
; COMPUTE_PGM_RSRC2:TGID_X_EN: 1
; COMPUTE_PGM_RSRC2:TGID_Y_EN: 0
; COMPUTE_PGM_RSRC2:TGID_Z_EN: 0
; COMPUTE_PGM_RSRC2:TIDIG_COMP_CNT: 0
	.section	.text._ZN7rocprim17ROCPRIM_400000_NS6detail17trampoline_kernelINS0_14default_configENS1_25partition_config_selectorILNS1_17partition_subalgoE8EfNS0_10empty_typeEbEEZZNS1_14partition_implILS5_8ELb0ES3_jN6thrust23THRUST_200600_302600_NS6detail15normal_iteratorINSA_10device_ptrIfEEEEPS6_PKS6_NS0_5tupleIJSF_S6_EEENSJ_IJSG_SG_EEENS0_18inequality_wrapperI22is_equal_div_10_uniqueIfEEEPmJS6_EEE10hipError_tPvRmT3_T4_T5_T6_T7_T9_mT8_P12ihipStream_tbDpT10_ENKUlT_T0_E_clISt17integral_constantIbLb1EES19_IbLb0EEEEDaS15_S16_EUlS15_E_NS1_11comp_targetILNS1_3genE2ELNS1_11target_archE906ELNS1_3gpuE6ELNS1_3repE0EEENS1_30default_config_static_selectorELNS0_4arch9wavefront6targetE1EEEvT1_,"axG",@progbits,_ZN7rocprim17ROCPRIM_400000_NS6detail17trampoline_kernelINS0_14default_configENS1_25partition_config_selectorILNS1_17partition_subalgoE8EfNS0_10empty_typeEbEEZZNS1_14partition_implILS5_8ELb0ES3_jN6thrust23THRUST_200600_302600_NS6detail15normal_iteratorINSA_10device_ptrIfEEEEPS6_PKS6_NS0_5tupleIJSF_S6_EEENSJ_IJSG_SG_EEENS0_18inequality_wrapperI22is_equal_div_10_uniqueIfEEEPmJS6_EEE10hipError_tPvRmT3_T4_T5_T6_T7_T9_mT8_P12ihipStream_tbDpT10_ENKUlT_T0_E_clISt17integral_constantIbLb1EES19_IbLb0EEEEDaS15_S16_EUlS15_E_NS1_11comp_targetILNS1_3genE2ELNS1_11target_archE906ELNS1_3gpuE6ELNS1_3repE0EEENS1_30default_config_static_selectorELNS0_4arch9wavefront6targetE1EEEvT1_,comdat
	.protected	_ZN7rocprim17ROCPRIM_400000_NS6detail17trampoline_kernelINS0_14default_configENS1_25partition_config_selectorILNS1_17partition_subalgoE8EfNS0_10empty_typeEbEEZZNS1_14partition_implILS5_8ELb0ES3_jN6thrust23THRUST_200600_302600_NS6detail15normal_iteratorINSA_10device_ptrIfEEEEPS6_PKS6_NS0_5tupleIJSF_S6_EEENSJ_IJSG_SG_EEENS0_18inequality_wrapperI22is_equal_div_10_uniqueIfEEEPmJS6_EEE10hipError_tPvRmT3_T4_T5_T6_T7_T9_mT8_P12ihipStream_tbDpT10_ENKUlT_T0_E_clISt17integral_constantIbLb1EES19_IbLb0EEEEDaS15_S16_EUlS15_E_NS1_11comp_targetILNS1_3genE2ELNS1_11target_archE906ELNS1_3gpuE6ELNS1_3repE0EEENS1_30default_config_static_selectorELNS0_4arch9wavefront6targetE1EEEvT1_ ; -- Begin function _ZN7rocprim17ROCPRIM_400000_NS6detail17trampoline_kernelINS0_14default_configENS1_25partition_config_selectorILNS1_17partition_subalgoE8EfNS0_10empty_typeEbEEZZNS1_14partition_implILS5_8ELb0ES3_jN6thrust23THRUST_200600_302600_NS6detail15normal_iteratorINSA_10device_ptrIfEEEEPS6_PKS6_NS0_5tupleIJSF_S6_EEENSJ_IJSG_SG_EEENS0_18inequality_wrapperI22is_equal_div_10_uniqueIfEEEPmJS6_EEE10hipError_tPvRmT3_T4_T5_T6_T7_T9_mT8_P12ihipStream_tbDpT10_ENKUlT_T0_E_clISt17integral_constantIbLb1EES19_IbLb0EEEEDaS15_S16_EUlS15_E_NS1_11comp_targetILNS1_3genE2ELNS1_11target_archE906ELNS1_3gpuE6ELNS1_3repE0EEENS1_30default_config_static_selectorELNS0_4arch9wavefront6targetE1EEEvT1_
	.globl	_ZN7rocprim17ROCPRIM_400000_NS6detail17trampoline_kernelINS0_14default_configENS1_25partition_config_selectorILNS1_17partition_subalgoE8EfNS0_10empty_typeEbEEZZNS1_14partition_implILS5_8ELb0ES3_jN6thrust23THRUST_200600_302600_NS6detail15normal_iteratorINSA_10device_ptrIfEEEEPS6_PKS6_NS0_5tupleIJSF_S6_EEENSJ_IJSG_SG_EEENS0_18inequality_wrapperI22is_equal_div_10_uniqueIfEEEPmJS6_EEE10hipError_tPvRmT3_T4_T5_T6_T7_T9_mT8_P12ihipStream_tbDpT10_ENKUlT_T0_E_clISt17integral_constantIbLb1EES19_IbLb0EEEEDaS15_S16_EUlS15_E_NS1_11comp_targetILNS1_3genE2ELNS1_11target_archE906ELNS1_3gpuE6ELNS1_3repE0EEENS1_30default_config_static_selectorELNS0_4arch9wavefront6targetE1EEEvT1_
	.p2align	8
	.type	_ZN7rocprim17ROCPRIM_400000_NS6detail17trampoline_kernelINS0_14default_configENS1_25partition_config_selectorILNS1_17partition_subalgoE8EfNS0_10empty_typeEbEEZZNS1_14partition_implILS5_8ELb0ES3_jN6thrust23THRUST_200600_302600_NS6detail15normal_iteratorINSA_10device_ptrIfEEEEPS6_PKS6_NS0_5tupleIJSF_S6_EEENSJ_IJSG_SG_EEENS0_18inequality_wrapperI22is_equal_div_10_uniqueIfEEEPmJS6_EEE10hipError_tPvRmT3_T4_T5_T6_T7_T9_mT8_P12ihipStream_tbDpT10_ENKUlT_T0_E_clISt17integral_constantIbLb1EES19_IbLb0EEEEDaS15_S16_EUlS15_E_NS1_11comp_targetILNS1_3genE2ELNS1_11target_archE906ELNS1_3gpuE6ELNS1_3repE0EEENS1_30default_config_static_selectorELNS0_4arch9wavefront6targetE1EEEvT1_,@function
_ZN7rocprim17ROCPRIM_400000_NS6detail17trampoline_kernelINS0_14default_configENS1_25partition_config_selectorILNS1_17partition_subalgoE8EfNS0_10empty_typeEbEEZZNS1_14partition_implILS5_8ELb0ES3_jN6thrust23THRUST_200600_302600_NS6detail15normal_iteratorINSA_10device_ptrIfEEEEPS6_PKS6_NS0_5tupleIJSF_S6_EEENSJ_IJSG_SG_EEENS0_18inequality_wrapperI22is_equal_div_10_uniqueIfEEEPmJS6_EEE10hipError_tPvRmT3_T4_T5_T6_T7_T9_mT8_P12ihipStream_tbDpT10_ENKUlT_T0_E_clISt17integral_constantIbLb1EES19_IbLb0EEEEDaS15_S16_EUlS15_E_NS1_11comp_targetILNS1_3genE2ELNS1_11target_archE906ELNS1_3gpuE6ELNS1_3repE0EEENS1_30default_config_static_selectorELNS0_4arch9wavefront6targetE1EEEvT1_: ; @_ZN7rocprim17ROCPRIM_400000_NS6detail17trampoline_kernelINS0_14default_configENS1_25partition_config_selectorILNS1_17partition_subalgoE8EfNS0_10empty_typeEbEEZZNS1_14partition_implILS5_8ELb0ES3_jN6thrust23THRUST_200600_302600_NS6detail15normal_iteratorINSA_10device_ptrIfEEEEPS6_PKS6_NS0_5tupleIJSF_S6_EEENSJ_IJSG_SG_EEENS0_18inequality_wrapperI22is_equal_div_10_uniqueIfEEEPmJS6_EEE10hipError_tPvRmT3_T4_T5_T6_T7_T9_mT8_P12ihipStream_tbDpT10_ENKUlT_T0_E_clISt17integral_constantIbLb1EES19_IbLb0EEEEDaS15_S16_EUlS15_E_NS1_11comp_targetILNS1_3genE2ELNS1_11target_archE906ELNS1_3gpuE6ELNS1_3repE0EEENS1_30default_config_static_selectorELNS0_4arch9wavefront6targetE1EEEvT1_
; %bb.0:
	s_endpgm
	.section	.rodata,"a",@progbits
	.p2align	6, 0x0
	.amdhsa_kernel _ZN7rocprim17ROCPRIM_400000_NS6detail17trampoline_kernelINS0_14default_configENS1_25partition_config_selectorILNS1_17partition_subalgoE8EfNS0_10empty_typeEbEEZZNS1_14partition_implILS5_8ELb0ES3_jN6thrust23THRUST_200600_302600_NS6detail15normal_iteratorINSA_10device_ptrIfEEEEPS6_PKS6_NS0_5tupleIJSF_S6_EEENSJ_IJSG_SG_EEENS0_18inequality_wrapperI22is_equal_div_10_uniqueIfEEEPmJS6_EEE10hipError_tPvRmT3_T4_T5_T6_T7_T9_mT8_P12ihipStream_tbDpT10_ENKUlT_T0_E_clISt17integral_constantIbLb1EES19_IbLb0EEEEDaS15_S16_EUlS15_E_NS1_11comp_targetILNS1_3genE2ELNS1_11target_archE906ELNS1_3gpuE6ELNS1_3repE0EEENS1_30default_config_static_selectorELNS0_4arch9wavefront6targetE1EEEvT1_
		.amdhsa_group_segment_fixed_size 0
		.amdhsa_private_segment_fixed_size 0
		.amdhsa_kernarg_size 112
		.amdhsa_user_sgpr_count 6
		.amdhsa_user_sgpr_private_segment_buffer 1
		.amdhsa_user_sgpr_dispatch_ptr 0
		.amdhsa_user_sgpr_queue_ptr 0
		.amdhsa_user_sgpr_kernarg_segment_ptr 1
		.amdhsa_user_sgpr_dispatch_id 0
		.amdhsa_user_sgpr_flat_scratch_init 0
		.amdhsa_user_sgpr_private_segment_size 0
		.amdhsa_uses_dynamic_stack 0
		.amdhsa_system_sgpr_private_segment_wavefront_offset 0
		.amdhsa_system_sgpr_workgroup_id_x 1
		.amdhsa_system_sgpr_workgroup_id_y 0
		.amdhsa_system_sgpr_workgroup_id_z 0
		.amdhsa_system_sgpr_workgroup_info 0
		.amdhsa_system_vgpr_workitem_id 0
		.amdhsa_next_free_vgpr 1
		.amdhsa_next_free_sgpr 0
		.amdhsa_reserve_vcc 0
		.amdhsa_reserve_flat_scratch 0
		.amdhsa_float_round_mode_32 0
		.amdhsa_float_round_mode_16_64 0
		.amdhsa_float_denorm_mode_32 3
		.amdhsa_float_denorm_mode_16_64 3
		.amdhsa_dx10_clamp 1
		.amdhsa_ieee_mode 1
		.amdhsa_fp16_overflow 0
		.amdhsa_exception_fp_ieee_invalid_op 0
		.amdhsa_exception_fp_denorm_src 0
		.amdhsa_exception_fp_ieee_div_zero 0
		.amdhsa_exception_fp_ieee_overflow 0
		.amdhsa_exception_fp_ieee_underflow 0
		.amdhsa_exception_fp_ieee_inexact 0
		.amdhsa_exception_int_div_zero 0
	.end_amdhsa_kernel
	.section	.text._ZN7rocprim17ROCPRIM_400000_NS6detail17trampoline_kernelINS0_14default_configENS1_25partition_config_selectorILNS1_17partition_subalgoE8EfNS0_10empty_typeEbEEZZNS1_14partition_implILS5_8ELb0ES3_jN6thrust23THRUST_200600_302600_NS6detail15normal_iteratorINSA_10device_ptrIfEEEEPS6_PKS6_NS0_5tupleIJSF_S6_EEENSJ_IJSG_SG_EEENS0_18inequality_wrapperI22is_equal_div_10_uniqueIfEEEPmJS6_EEE10hipError_tPvRmT3_T4_T5_T6_T7_T9_mT8_P12ihipStream_tbDpT10_ENKUlT_T0_E_clISt17integral_constantIbLb1EES19_IbLb0EEEEDaS15_S16_EUlS15_E_NS1_11comp_targetILNS1_3genE2ELNS1_11target_archE906ELNS1_3gpuE6ELNS1_3repE0EEENS1_30default_config_static_selectorELNS0_4arch9wavefront6targetE1EEEvT1_,"axG",@progbits,_ZN7rocprim17ROCPRIM_400000_NS6detail17trampoline_kernelINS0_14default_configENS1_25partition_config_selectorILNS1_17partition_subalgoE8EfNS0_10empty_typeEbEEZZNS1_14partition_implILS5_8ELb0ES3_jN6thrust23THRUST_200600_302600_NS6detail15normal_iteratorINSA_10device_ptrIfEEEEPS6_PKS6_NS0_5tupleIJSF_S6_EEENSJ_IJSG_SG_EEENS0_18inequality_wrapperI22is_equal_div_10_uniqueIfEEEPmJS6_EEE10hipError_tPvRmT3_T4_T5_T6_T7_T9_mT8_P12ihipStream_tbDpT10_ENKUlT_T0_E_clISt17integral_constantIbLb1EES19_IbLb0EEEEDaS15_S16_EUlS15_E_NS1_11comp_targetILNS1_3genE2ELNS1_11target_archE906ELNS1_3gpuE6ELNS1_3repE0EEENS1_30default_config_static_selectorELNS0_4arch9wavefront6targetE1EEEvT1_,comdat
.Lfunc_end132:
	.size	_ZN7rocprim17ROCPRIM_400000_NS6detail17trampoline_kernelINS0_14default_configENS1_25partition_config_selectorILNS1_17partition_subalgoE8EfNS0_10empty_typeEbEEZZNS1_14partition_implILS5_8ELb0ES3_jN6thrust23THRUST_200600_302600_NS6detail15normal_iteratorINSA_10device_ptrIfEEEEPS6_PKS6_NS0_5tupleIJSF_S6_EEENSJ_IJSG_SG_EEENS0_18inequality_wrapperI22is_equal_div_10_uniqueIfEEEPmJS6_EEE10hipError_tPvRmT3_T4_T5_T6_T7_T9_mT8_P12ihipStream_tbDpT10_ENKUlT_T0_E_clISt17integral_constantIbLb1EES19_IbLb0EEEEDaS15_S16_EUlS15_E_NS1_11comp_targetILNS1_3genE2ELNS1_11target_archE906ELNS1_3gpuE6ELNS1_3repE0EEENS1_30default_config_static_selectorELNS0_4arch9wavefront6targetE1EEEvT1_, .Lfunc_end132-_ZN7rocprim17ROCPRIM_400000_NS6detail17trampoline_kernelINS0_14default_configENS1_25partition_config_selectorILNS1_17partition_subalgoE8EfNS0_10empty_typeEbEEZZNS1_14partition_implILS5_8ELb0ES3_jN6thrust23THRUST_200600_302600_NS6detail15normal_iteratorINSA_10device_ptrIfEEEEPS6_PKS6_NS0_5tupleIJSF_S6_EEENSJ_IJSG_SG_EEENS0_18inequality_wrapperI22is_equal_div_10_uniqueIfEEEPmJS6_EEE10hipError_tPvRmT3_T4_T5_T6_T7_T9_mT8_P12ihipStream_tbDpT10_ENKUlT_T0_E_clISt17integral_constantIbLb1EES19_IbLb0EEEEDaS15_S16_EUlS15_E_NS1_11comp_targetILNS1_3genE2ELNS1_11target_archE906ELNS1_3gpuE6ELNS1_3repE0EEENS1_30default_config_static_selectorELNS0_4arch9wavefront6targetE1EEEvT1_
                                        ; -- End function
	.set _ZN7rocprim17ROCPRIM_400000_NS6detail17trampoline_kernelINS0_14default_configENS1_25partition_config_selectorILNS1_17partition_subalgoE8EfNS0_10empty_typeEbEEZZNS1_14partition_implILS5_8ELb0ES3_jN6thrust23THRUST_200600_302600_NS6detail15normal_iteratorINSA_10device_ptrIfEEEEPS6_PKS6_NS0_5tupleIJSF_S6_EEENSJ_IJSG_SG_EEENS0_18inequality_wrapperI22is_equal_div_10_uniqueIfEEEPmJS6_EEE10hipError_tPvRmT3_T4_T5_T6_T7_T9_mT8_P12ihipStream_tbDpT10_ENKUlT_T0_E_clISt17integral_constantIbLb1EES19_IbLb0EEEEDaS15_S16_EUlS15_E_NS1_11comp_targetILNS1_3genE2ELNS1_11target_archE906ELNS1_3gpuE6ELNS1_3repE0EEENS1_30default_config_static_selectorELNS0_4arch9wavefront6targetE1EEEvT1_.num_vgpr, 0
	.set _ZN7rocprim17ROCPRIM_400000_NS6detail17trampoline_kernelINS0_14default_configENS1_25partition_config_selectorILNS1_17partition_subalgoE8EfNS0_10empty_typeEbEEZZNS1_14partition_implILS5_8ELb0ES3_jN6thrust23THRUST_200600_302600_NS6detail15normal_iteratorINSA_10device_ptrIfEEEEPS6_PKS6_NS0_5tupleIJSF_S6_EEENSJ_IJSG_SG_EEENS0_18inequality_wrapperI22is_equal_div_10_uniqueIfEEEPmJS6_EEE10hipError_tPvRmT3_T4_T5_T6_T7_T9_mT8_P12ihipStream_tbDpT10_ENKUlT_T0_E_clISt17integral_constantIbLb1EES19_IbLb0EEEEDaS15_S16_EUlS15_E_NS1_11comp_targetILNS1_3genE2ELNS1_11target_archE906ELNS1_3gpuE6ELNS1_3repE0EEENS1_30default_config_static_selectorELNS0_4arch9wavefront6targetE1EEEvT1_.num_agpr, 0
	.set _ZN7rocprim17ROCPRIM_400000_NS6detail17trampoline_kernelINS0_14default_configENS1_25partition_config_selectorILNS1_17partition_subalgoE8EfNS0_10empty_typeEbEEZZNS1_14partition_implILS5_8ELb0ES3_jN6thrust23THRUST_200600_302600_NS6detail15normal_iteratorINSA_10device_ptrIfEEEEPS6_PKS6_NS0_5tupleIJSF_S6_EEENSJ_IJSG_SG_EEENS0_18inequality_wrapperI22is_equal_div_10_uniqueIfEEEPmJS6_EEE10hipError_tPvRmT3_T4_T5_T6_T7_T9_mT8_P12ihipStream_tbDpT10_ENKUlT_T0_E_clISt17integral_constantIbLb1EES19_IbLb0EEEEDaS15_S16_EUlS15_E_NS1_11comp_targetILNS1_3genE2ELNS1_11target_archE906ELNS1_3gpuE6ELNS1_3repE0EEENS1_30default_config_static_selectorELNS0_4arch9wavefront6targetE1EEEvT1_.numbered_sgpr, 0
	.set _ZN7rocprim17ROCPRIM_400000_NS6detail17trampoline_kernelINS0_14default_configENS1_25partition_config_selectorILNS1_17partition_subalgoE8EfNS0_10empty_typeEbEEZZNS1_14partition_implILS5_8ELb0ES3_jN6thrust23THRUST_200600_302600_NS6detail15normal_iteratorINSA_10device_ptrIfEEEEPS6_PKS6_NS0_5tupleIJSF_S6_EEENSJ_IJSG_SG_EEENS0_18inequality_wrapperI22is_equal_div_10_uniqueIfEEEPmJS6_EEE10hipError_tPvRmT3_T4_T5_T6_T7_T9_mT8_P12ihipStream_tbDpT10_ENKUlT_T0_E_clISt17integral_constantIbLb1EES19_IbLb0EEEEDaS15_S16_EUlS15_E_NS1_11comp_targetILNS1_3genE2ELNS1_11target_archE906ELNS1_3gpuE6ELNS1_3repE0EEENS1_30default_config_static_selectorELNS0_4arch9wavefront6targetE1EEEvT1_.num_named_barrier, 0
	.set _ZN7rocprim17ROCPRIM_400000_NS6detail17trampoline_kernelINS0_14default_configENS1_25partition_config_selectorILNS1_17partition_subalgoE8EfNS0_10empty_typeEbEEZZNS1_14partition_implILS5_8ELb0ES3_jN6thrust23THRUST_200600_302600_NS6detail15normal_iteratorINSA_10device_ptrIfEEEEPS6_PKS6_NS0_5tupleIJSF_S6_EEENSJ_IJSG_SG_EEENS0_18inequality_wrapperI22is_equal_div_10_uniqueIfEEEPmJS6_EEE10hipError_tPvRmT3_T4_T5_T6_T7_T9_mT8_P12ihipStream_tbDpT10_ENKUlT_T0_E_clISt17integral_constantIbLb1EES19_IbLb0EEEEDaS15_S16_EUlS15_E_NS1_11comp_targetILNS1_3genE2ELNS1_11target_archE906ELNS1_3gpuE6ELNS1_3repE0EEENS1_30default_config_static_selectorELNS0_4arch9wavefront6targetE1EEEvT1_.private_seg_size, 0
	.set _ZN7rocprim17ROCPRIM_400000_NS6detail17trampoline_kernelINS0_14default_configENS1_25partition_config_selectorILNS1_17partition_subalgoE8EfNS0_10empty_typeEbEEZZNS1_14partition_implILS5_8ELb0ES3_jN6thrust23THRUST_200600_302600_NS6detail15normal_iteratorINSA_10device_ptrIfEEEEPS6_PKS6_NS0_5tupleIJSF_S6_EEENSJ_IJSG_SG_EEENS0_18inequality_wrapperI22is_equal_div_10_uniqueIfEEEPmJS6_EEE10hipError_tPvRmT3_T4_T5_T6_T7_T9_mT8_P12ihipStream_tbDpT10_ENKUlT_T0_E_clISt17integral_constantIbLb1EES19_IbLb0EEEEDaS15_S16_EUlS15_E_NS1_11comp_targetILNS1_3genE2ELNS1_11target_archE906ELNS1_3gpuE6ELNS1_3repE0EEENS1_30default_config_static_selectorELNS0_4arch9wavefront6targetE1EEEvT1_.uses_vcc, 0
	.set _ZN7rocprim17ROCPRIM_400000_NS6detail17trampoline_kernelINS0_14default_configENS1_25partition_config_selectorILNS1_17partition_subalgoE8EfNS0_10empty_typeEbEEZZNS1_14partition_implILS5_8ELb0ES3_jN6thrust23THRUST_200600_302600_NS6detail15normal_iteratorINSA_10device_ptrIfEEEEPS6_PKS6_NS0_5tupleIJSF_S6_EEENSJ_IJSG_SG_EEENS0_18inequality_wrapperI22is_equal_div_10_uniqueIfEEEPmJS6_EEE10hipError_tPvRmT3_T4_T5_T6_T7_T9_mT8_P12ihipStream_tbDpT10_ENKUlT_T0_E_clISt17integral_constantIbLb1EES19_IbLb0EEEEDaS15_S16_EUlS15_E_NS1_11comp_targetILNS1_3genE2ELNS1_11target_archE906ELNS1_3gpuE6ELNS1_3repE0EEENS1_30default_config_static_selectorELNS0_4arch9wavefront6targetE1EEEvT1_.uses_flat_scratch, 0
	.set _ZN7rocprim17ROCPRIM_400000_NS6detail17trampoline_kernelINS0_14default_configENS1_25partition_config_selectorILNS1_17partition_subalgoE8EfNS0_10empty_typeEbEEZZNS1_14partition_implILS5_8ELb0ES3_jN6thrust23THRUST_200600_302600_NS6detail15normal_iteratorINSA_10device_ptrIfEEEEPS6_PKS6_NS0_5tupleIJSF_S6_EEENSJ_IJSG_SG_EEENS0_18inequality_wrapperI22is_equal_div_10_uniqueIfEEEPmJS6_EEE10hipError_tPvRmT3_T4_T5_T6_T7_T9_mT8_P12ihipStream_tbDpT10_ENKUlT_T0_E_clISt17integral_constantIbLb1EES19_IbLb0EEEEDaS15_S16_EUlS15_E_NS1_11comp_targetILNS1_3genE2ELNS1_11target_archE906ELNS1_3gpuE6ELNS1_3repE0EEENS1_30default_config_static_selectorELNS0_4arch9wavefront6targetE1EEEvT1_.has_dyn_sized_stack, 0
	.set _ZN7rocprim17ROCPRIM_400000_NS6detail17trampoline_kernelINS0_14default_configENS1_25partition_config_selectorILNS1_17partition_subalgoE8EfNS0_10empty_typeEbEEZZNS1_14partition_implILS5_8ELb0ES3_jN6thrust23THRUST_200600_302600_NS6detail15normal_iteratorINSA_10device_ptrIfEEEEPS6_PKS6_NS0_5tupleIJSF_S6_EEENSJ_IJSG_SG_EEENS0_18inequality_wrapperI22is_equal_div_10_uniqueIfEEEPmJS6_EEE10hipError_tPvRmT3_T4_T5_T6_T7_T9_mT8_P12ihipStream_tbDpT10_ENKUlT_T0_E_clISt17integral_constantIbLb1EES19_IbLb0EEEEDaS15_S16_EUlS15_E_NS1_11comp_targetILNS1_3genE2ELNS1_11target_archE906ELNS1_3gpuE6ELNS1_3repE0EEENS1_30default_config_static_selectorELNS0_4arch9wavefront6targetE1EEEvT1_.has_recursion, 0
	.set _ZN7rocprim17ROCPRIM_400000_NS6detail17trampoline_kernelINS0_14default_configENS1_25partition_config_selectorILNS1_17partition_subalgoE8EfNS0_10empty_typeEbEEZZNS1_14partition_implILS5_8ELb0ES3_jN6thrust23THRUST_200600_302600_NS6detail15normal_iteratorINSA_10device_ptrIfEEEEPS6_PKS6_NS0_5tupleIJSF_S6_EEENSJ_IJSG_SG_EEENS0_18inequality_wrapperI22is_equal_div_10_uniqueIfEEEPmJS6_EEE10hipError_tPvRmT3_T4_T5_T6_T7_T9_mT8_P12ihipStream_tbDpT10_ENKUlT_T0_E_clISt17integral_constantIbLb1EES19_IbLb0EEEEDaS15_S16_EUlS15_E_NS1_11comp_targetILNS1_3genE2ELNS1_11target_archE906ELNS1_3gpuE6ELNS1_3repE0EEENS1_30default_config_static_selectorELNS0_4arch9wavefront6targetE1EEEvT1_.has_indirect_call, 0
	.section	.AMDGPU.csdata,"",@progbits
; Kernel info:
; codeLenInByte = 4
; TotalNumSgprs: 4
; NumVgprs: 0
; ScratchSize: 0
; MemoryBound: 0
; FloatMode: 240
; IeeeMode: 1
; LDSByteSize: 0 bytes/workgroup (compile time only)
; SGPRBlocks: 0
; VGPRBlocks: 0
; NumSGPRsForWavesPerEU: 4
; NumVGPRsForWavesPerEU: 1
; Occupancy: 10
; WaveLimiterHint : 0
; COMPUTE_PGM_RSRC2:SCRATCH_EN: 0
; COMPUTE_PGM_RSRC2:USER_SGPR: 6
; COMPUTE_PGM_RSRC2:TRAP_HANDLER: 0
; COMPUTE_PGM_RSRC2:TGID_X_EN: 1
; COMPUTE_PGM_RSRC2:TGID_Y_EN: 0
; COMPUTE_PGM_RSRC2:TGID_Z_EN: 0
; COMPUTE_PGM_RSRC2:TIDIG_COMP_CNT: 0
	.section	.text._ZN7rocprim17ROCPRIM_400000_NS6detail17trampoline_kernelINS0_14default_configENS1_25partition_config_selectorILNS1_17partition_subalgoE8EfNS0_10empty_typeEbEEZZNS1_14partition_implILS5_8ELb0ES3_jN6thrust23THRUST_200600_302600_NS6detail15normal_iteratorINSA_10device_ptrIfEEEEPS6_PKS6_NS0_5tupleIJSF_S6_EEENSJ_IJSG_SG_EEENS0_18inequality_wrapperI22is_equal_div_10_uniqueIfEEEPmJS6_EEE10hipError_tPvRmT3_T4_T5_T6_T7_T9_mT8_P12ihipStream_tbDpT10_ENKUlT_T0_E_clISt17integral_constantIbLb1EES19_IbLb0EEEEDaS15_S16_EUlS15_E_NS1_11comp_targetILNS1_3genE10ELNS1_11target_archE1200ELNS1_3gpuE4ELNS1_3repE0EEENS1_30default_config_static_selectorELNS0_4arch9wavefront6targetE1EEEvT1_,"axG",@progbits,_ZN7rocprim17ROCPRIM_400000_NS6detail17trampoline_kernelINS0_14default_configENS1_25partition_config_selectorILNS1_17partition_subalgoE8EfNS0_10empty_typeEbEEZZNS1_14partition_implILS5_8ELb0ES3_jN6thrust23THRUST_200600_302600_NS6detail15normal_iteratorINSA_10device_ptrIfEEEEPS6_PKS6_NS0_5tupleIJSF_S6_EEENSJ_IJSG_SG_EEENS0_18inequality_wrapperI22is_equal_div_10_uniqueIfEEEPmJS6_EEE10hipError_tPvRmT3_T4_T5_T6_T7_T9_mT8_P12ihipStream_tbDpT10_ENKUlT_T0_E_clISt17integral_constantIbLb1EES19_IbLb0EEEEDaS15_S16_EUlS15_E_NS1_11comp_targetILNS1_3genE10ELNS1_11target_archE1200ELNS1_3gpuE4ELNS1_3repE0EEENS1_30default_config_static_selectorELNS0_4arch9wavefront6targetE1EEEvT1_,comdat
	.protected	_ZN7rocprim17ROCPRIM_400000_NS6detail17trampoline_kernelINS0_14default_configENS1_25partition_config_selectorILNS1_17partition_subalgoE8EfNS0_10empty_typeEbEEZZNS1_14partition_implILS5_8ELb0ES3_jN6thrust23THRUST_200600_302600_NS6detail15normal_iteratorINSA_10device_ptrIfEEEEPS6_PKS6_NS0_5tupleIJSF_S6_EEENSJ_IJSG_SG_EEENS0_18inequality_wrapperI22is_equal_div_10_uniqueIfEEEPmJS6_EEE10hipError_tPvRmT3_T4_T5_T6_T7_T9_mT8_P12ihipStream_tbDpT10_ENKUlT_T0_E_clISt17integral_constantIbLb1EES19_IbLb0EEEEDaS15_S16_EUlS15_E_NS1_11comp_targetILNS1_3genE10ELNS1_11target_archE1200ELNS1_3gpuE4ELNS1_3repE0EEENS1_30default_config_static_selectorELNS0_4arch9wavefront6targetE1EEEvT1_ ; -- Begin function _ZN7rocprim17ROCPRIM_400000_NS6detail17trampoline_kernelINS0_14default_configENS1_25partition_config_selectorILNS1_17partition_subalgoE8EfNS0_10empty_typeEbEEZZNS1_14partition_implILS5_8ELb0ES3_jN6thrust23THRUST_200600_302600_NS6detail15normal_iteratorINSA_10device_ptrIfEEEEPS6_PKS6_NS0_5tupleIJSF_S6_EEENSJ_IJSG_SG_EEENS0_18inequality_wrapperI22is_equal_div_10_uniqueIfEEEPmJS6_EEE10hipError_tPvRmT3_T4_T5_T6_T7_T9_mT8_P12ihipStream_tbDpT10_ENKUlT_T0_E_clISt17integral_constantIbLb1EES19_IbLb0EEEEDaS15_S16_EUlS15_E_NS1_11comp_targetILNS1_3genE10ELNS1_11target_archE1200ELNS1_3gpuE4ELNS1_3repE0EEENS1_30default_config_static_selectorELNS0_4arch9wavefront6targetE1EEEvT1_
	.globl	_ZN7rocprim17ROCPRIM_400000_NS6detail17trampoline_kernelINS0_14default_configENS1_25partition_config_selectorILNS1_17partition_subalgoE8EfNS0_10empty_typeEbEEZZNS1_14partition_implILS5_8ELb0ES3_jN6thrust23THRUST_200600_302600_NS6detail15normal_iteratorINSA_10device_ptrIfEEEEPS6_PKS6_NS0_5tupleIJSF_S6_EEENSJ_IJSG_SG_EEENS0_18inequality_wrapperI22is_equal_div_10_uniqueIfEEEPmJS6_EEE10hipError_tPvRmT3_T4_T5_T6_T7_T9_mT8_P12ihipStream_tbDpT10_ENKUlT_T0_E_clISt17integral_constantIbLb1EES19_IbLb0EEEEDaS15_S16_EUlS15_E_NS1_11comp_targetILNS1_3genE10ELNS1_11target_archE1200ELNS1_3gpuE4ELNS1_3repE0EEENS1_30default_config_static_selectorELNS0_4arch9wavefront6targetE1EEEvT1_
	.p2align	8
	.type	_ZN7rocprim17ROCPRIM_400000_NS6detail17trampoline_kernelINS0_14default_configENS1_25partition_config_selectorILNS1_17partition_subalgoE8EfNS0_10empty_typeEbEEZZNS1_14partition_implILS5_8ELb0ES3_jN6thrust23THRUST_200600_302600_NS6detail15normal_iteratorINSA_10device_ptrIfEEEEPS6_PKS6_NS0_5tupleIJSF_S6_EEENSJ_IJSG_SG_EEENS0_18inequality_wrapperI22is_equal_div_10_uniqueIfEEEPmJS6_EEE10hipError_tPvRmT3_T4_T5_T6_T7_T9_mT8_P12ihipStream_tbDpT10_ENKUlT_T0_E_clISt17integral_constantIbLb1EES19_IbLb0EEEEDaS15_S16_EUlS15_E_NS1_11comp_targetILNS1_3genE10ELNS1_11target_archE1200ELNS1_3gpuE4ELNS1_3repE0EEENS1_30default_config_static_selectorELNS0_4arch9wavefront6targetE1EEEvT1_,@function
_ZN7rocprim17ROCPRIM_400000_NS6detail17trampoline_kernelINS0_14default_configENS1_25partition_config_selectorILNS1_17partition_subalgoE8EfNS0_10empty_typeEbEEZZNS1_14partition_implILS5_8ELb0ES3_jN6thrust23THRUST_200600_302600_NS6detail15normal_iteratorINSA_10device_ptrIfEEEEPS6_PKS6_NS0_5tupleIJSF_S6_EEENSJ_IJSG_SG_EEENS0_18inequality_wrapperI22is_equal_div_10_uniqueIfEEEPmJS6_EEE10hipError_tPvRmT3_T4_T5_T6_T7_T9_mT8_P12ihipStream_tbDpT10_ENKUlT_T0_E_clISt17integral_constantIbLb1EES19_IbLb0EEEEDaS15_S16_EUlS15_E_NS1_11comp_targetILNS1_3genE10ELNS1_11target_archE1200ELNS1_3gpuE4ELNS1_3repE0EEENS1_30default_config_static_selectorELNS0_4arch9wavefront6targetE1EEEvT1_: ; @_ZN7rocprim17ROCPRIM_400000_NS6detail17trampoline_kernelINS0_14default_configENS1_25partition_config_selectorILNS1_17partition_subalgoE8EfNS0_10empty_typeEbEEZZNS1_14partition_implILS5_8ELb0ES3_jN6thrust23THRUST_200600_302600_NS6detail15normal_iteratorINSA_10device_ptrIfEEEEPS6_PKS6_NS0_5tupleIJSF_S6_EEENSJ_IJSG_SG_EEENS0_18inequality_wrapperI22is_equal_div_10_uniqueIfEEEPmJS6_EEE10hipError_tPvRmT3_T4_T5_T6_T7_T9_mT8_P12ihipStream_tbDpT10_ENKUlT_T0_E_clISt17integral_constantIbLb1EES19_IbLb0EEEEDaS15_S16_EUlS15_E_NS1_11comp_targetILNS1_3genE10ELNS1_11target_archE1200ELNS1_3gpuE4ELNS1_3repE0EEENS1_30default_config_static_selectorELNS0_4arch9wavefront6targetE1EEEvT1_
; %bb.0:
	.section	.rodata,"a",@progbits
	.p2align	6, 0x0
	.amdhsa_kernel _ZN7rocprim17ROCPRIM_400000_NS6detail17trampoline_kernelINS0_14default_configENS1_25partition_config_selectorILNS1_17partition_subalgoE8EfNS0_10empty_typeEbEEZZNS1_14partition_implILS5_8ELb0ES3_jN6thrust23THRUST_200600_302600_NS6detail15normal_iteratorINSA_10device_ptrIfEEEEPS6_PKS6_NS0_5tupleIJSF_S6_EEENSJ_IJSG_SG_EEENS0_18inequality_wrapperI22is_equal_div_10_uniqueIfEEEPmJS6_EEE10hipError_tPvRmT3_T4_T5_T6_T7_T9_mT8_P12ihipStream_tbDpT10_ENKUlT_T0_E_clISt17integral_constantIbLb1EES19_IbLb0EEEEDaS15_S16_EUlS15_E_NS1_11comp_targetILNS1_3genE10ELNS1_11target_archE1200ELNS1_3gpuE4ELNS1_3repE0EEENS1_30default_config_static_selectorELNS0_4arch9wavefront6targetE1EEEvT1_
		.amdhsa_group_segment_fixed_size 0
		.amdhsa_private_segment_fixed_size 0
		.amdhsa_kernarg_size 112
		.amdhsa_user_sgpr_count 6
		.amdhsa_user_sgpr_private_segment_buffer 1
		.amdhsa_user_sgpr_dispatch_ptr 0
		.amdhsa_user_sgpr_queue_ptr 0
		.amdhsa_user_sgpr_kernarg_segment_ptr 1
		.amdhsa_user_sgpr_dispatch_id 0
		.amdhsa_user_sgpr_flat_scratch_init 0
		.amdhsa_user_sgpr_private_segment_size 0
		.amdhsa_uses_dynamic_stack 0
		.amdhsa_system_sgpr_private_segment_wavefront_offset 0
		.amdhsa_system_sgpr_workgroup_id_x 1
		.amdhsa_system_sgpr_workgroup_id_y 0
		.amdhsa_system_sgpr_workgroup_id_z 0
		.amdhsa_system_sgpr_workgroup_info 0
		.amdhsa_system_vgpr_workitem_id 0
		.amdhsa_next_free_vgpr 1
		.amdhsa_next_free_sgpr 0
		.amdhsa_reserve_vcc 0
		.amdhsa_reserve_flat_scratch 0
		.amdhsa_float_round_mode_32 0
		.amdhsa_float_round_mode_16_64 0
		.amdhsa_float_denorm_mode_32 3
		.amdhsa_float_denorm_mode_16_64 3
		.amdhsa_dx10_clamp 1
		.amdhsa_ieee_mode 1
		.amdhsa_fp16_overflow 0
		.amdhsa_exception_fp_ieee_invalid_op 0
		.amdhsa_exception_fp_denorm_src 0
		.amdhsa_exception_fp_ieee_div_zero 0
		.amdhsa_exception_fp_ieee_overflow 0
		.amdhsa_exception_fp_ieee_underflow 0
		.amdhsa_exception_fp_ieee_inexact 0
		.amdhsa_exception_int_div_zero 0
	.end_amdhsa_kernel
	.section	.text._ZN7rocprim17ROCPRIM_400000_NS6detail17trampoline_kernelINS0_14default_configENS1_25partition_config_selectorILNS1_17partition_subalgoE8EfNS0_10empty_typeEbEEZZNS1_14partition_implILS5_8ELb0ES3_jN6thrust23THRUST_200600_302600_NS6detail15normal_iteratorINSA_10device_ptrIfEEEEPS6_PKS6_NS0_5tupleIJSF_S6_EEENSJ_IJSG_SG_EEENS0_18inequality_wrapperI22is_equal_div_10_uniqueIfEEEPmJS6_EEE10hipError_tPvRmT3_T4_T5_T6_T7_T9_mT8_P12ihipStream_tbDpT10_ENKUlT_T0_E_clISt17integral_constantIbLb1EES19_IbLb0EEEEDaS15_S16_EUlS15_E_NS1_11comp_targetILNS1_3genE10ELNS1_11target_archE1200ELNS1_3gpuE4ELNS1_3repE0EEENS1_30default_config_static_selectorELNS0_4arch9wavefront6targetE1EEEvT1_,"axG",@progbits,_ZN7rocprim17ROCPRIM_400000_NS6detail17trampoline_kernelINS0_14default_configENS1_25partition_config_selectorILNS1_17partition_subalgoE8EfNS0_10empty_typeEbEEZZNS1_14partition_implILS5_8ELb0ES3_jN6thrust23THRUST_200600_302600_NS6detail15normal_iteratorINSA_10device_ptrIfEEEEPS6_PKS6_NS0_5tupleIJSF_S6_EEENSJ_IJSG_SG_EEENS0_18inequality_wrapperI22is_equal_div_10_uniqueIfEEEPmJS6_EEE10hipError_tPvRmT3_T4_T5_T6_T7_T9_mT8_P12ihipStream_tbDpT10_ENKUlT_T0_E_clISt17integral_constantIbLb1EES19_IbLb0EEEEDaS15_S16_EUlS15_E_NS1_11comp_targetILNS1_3genE10ELNS1_11target_archE1200ELNS1_3gpuE4ELNS1_3repE0EEENS1_30default_config_static_selectorELNS0_4arch9wavefront6targetE1EEEvT1_,comdat
.Lfunc_end133:
	.size	_ZN7rocprim17ROCPRIM_400000_NS6detail17trampoline_kernelINS0_14default_configENS1_25partition_config_selectorILNS1_17partition_subalgoE8EfNS0_10empty_typeEbEEZZNS1_14partition_implILS5_8ELb0ES3_jN6thrust23THRUST_200600_302600_NS6detail15normal_iteratorINSA_10device_ptrIfEEEEPS6_PKS6_NS0_5tupleIJSF_S6_EEENSJ_IJSG_SG_EEENS0_18inequality_wrapperI22is_equal_div_10_uniqueIfEEEPmJS6_EEE10hipError_tPvRmT3_T4_T5_T6_T7_T9_mT8_P12ihipStream_tbDpT10_ENKUlT_T0_E_clISt17integral_constantIbLb1EES19_IbLb0EEEEDaS15_S16_EUlS15_E_NS1_11comp_targetILNS1_3genE10ELNS1_11target_archE1200ELNS1_3gpuE4ELNS1_3repE0EEENS1_30default_config_static_selectorELNS0_4arch9wavefront6targetE1EEEvT1_, .Lfunc_end133-_ZN7rocprim17ROCPRIM_400000_NS6detail17trampoline_kernelINS0_14default_configENS1_25partition_config_selectorILNS1_17partition_subalgoE8EfNS0_10empty_typeEbEEZZNS1_14partition_implILS5_8ELb0ES3_jN6thrust23THRUST_200600_302600_NS6detail15normal_iteratorINSA_10device_ptrIfEEEEPS6_PKS6_NS0_5tupleIJSF_S6_EEENSJ_IJSG_SG_EEENS0_18inequality_wrapperI22is_equal_div_10_uniqueIfEEEPmJS6_EEE10hipError_tPvRmT3_T4_T5_T6_T7_T9_mT8_P12ihipStream_tbDpT10_ENKUlT_T0_E_clISt17integral_constantIbLb1EES19_IbLb0EEEEDaS15_S16_EUlS15_E_NS1_11comp_targetILNS1_3genE10ELNS1_11target_archE1200ELNS1_3gpuE4ELNS1_3repE0EEENS1_30default_config_static_selectorELNS0_4arch9wavefront6targetE1EEEvT1_
                                        ; -- End function
	.set _ZN7rocprim17ROCPRIM_400000_NS6detail17trampoline_kernelINS0_14default_configENS1_25partition_config_selectorILNS1_17partition_subalgoE8EfNS0_10empty_typeEbEEZZNS1_14partition_implILS5_8ELb0ES3_jN6thrust23THRUST_200600_302600_NS6detail15normal_iteratorINSA_10device_ptrIfEEEEPS6_PKS6_NS0_5tupleIJSF_S6_EEENSJ_IJSG_SG_EEENS0_18inequality_wrapperI22is_equal_div_10_uniqueIfEEEPmJS6_EEE10hipError_tPvRmT3_T4_T5_T6_T7_T9_mT8_P12ihipStream_tbDpT10_ENKUlT_T0_E_clISt17integral_constantIbLb1EES19_IbLb0EEEEDaS15_S16_EUlS15_E_NS1_11comp_targetILNS1_3genE10ELNS1_11target_archE1200ELNS1_3gpuE4ELNS1_3repE0EEENS1_30default_config_static_selectorELNS0_4arch9wavefront6targetE1EEEvT1_.num_vgpr, 0
	.set _ZN7rocprim17ROCPRIM_400000_NS6detail17trampoline_kernelINS0_14default_configENS1_25partition_config_selectorILNS1_17partition_subalgoE8EfNS0_10empty_typeEbEEZZNS1_14partition_implILS5_8ELb0ES3_jN6thrust23THRUST_200600_302600_NS6detail15normal_iteratorINSA_10device_ptrIfEEEEPS6_PKS6_NS0_5tupleIJSF_S6_EEENSJ_IJSG_SG_EEENS0_18inequality_wrapperI22is_equal_div_10_uniqueIfEEEPmJS6_EEE10hipError_tPvRmT3_T4_T5_T6_T7_T9_mT8_P12ihipStream_tbDpT10_ENKUlT_T0_E_clISt17integral_constantIbLb1EES19_IbLb0EEEEDaS15_S16_EUlS15_E_NS1_11comp_targetILNS1_3genE10ELNS1_11target_archE1200ELNS1_3gpuE4ELNS1_3repE0EEENS1_30default_config_static_selectorELNS0_4arch9wavefront6targetE1EEEvT1_.num_agpr, 0
	.set _ZN7rocprim17ROCPRIM_400000_NS6detail17trampoline_kernelINS0_14default_configENS1_25partition_config_selectorILNS1_17partition_subalgoE8EfNS0_10empty_typeEbEEZZNS1_14partition_implILS5_8ELb0ES3_jN6thrust23THRUST_200600_302600_NS6detail15normal_iteratorINSA_10device_ptrIfEEEEPS6_PKS6_NS0_5tupleIJSF_S6_EEENSJ_IJSG_SG_EEENS0_18inequality_wrapperI22is_equal_div_10_uniqueIfEEEPmJS6_EEE10hipError_tPvRmT3_T4_T5_T6_T7_T9_mT8_P12ihipStream_tbDpT10_ENKUlT_T0_E_clISt17integral_constantIbLb1EES19_IbLb0EEEEDaS15_S16_EUlS15_E_NS1_11comp_targetILNS1_3genE10ELNS1_11target_archE1200ELNS1_3gpuE4ELNS1_3repE0EEENS1_30default_config_static_selectorELNS0_4arch9wavefront6targetE1EEEvT1_.numbered_sgpr, 0
	.set _ZN7rocprim17ROCPRIM_400000_NS6detail17trampoline_kernelINS0_14default_configENS1_25partition_config_selectorILNS1_17partition_subalgoE8EfNS0_10empty_typeEbEEZZNS1_14partition_implILS5_8ELb0ES3_jN6thrust23THRUST_200600_302600_NS6detail15normal_iteratorINSA_10device_ptrIfEEEEPS6_PKS6_NS0_5tupleIJSF_S6_EEENSJ_IJSG_SG_EEENS0_18inequality_wrapperI22is_equal_div_10_uniqueIfEEEPmJS6_EEE10hipError_tPvRmT3_T4_T5_T6_T7_T9_mT8_P12ihipStream_tbDpT10_ENKUlT_T0_E_clISt17integral_constantIbLb1EES19_IbLb0EEEEDaS15_S16_EUlS15_E_NS1_11comp_targetILNS1_3genE10ELNS1_11target_archE1200ELNS1_3gpuE4ELNS1_3repE0EEENS1_30default_config_static_selectorELNS0_4arch9wavefront6targetE1EEEvT1_.num_named_barrier, 0
	.set _ZN7rocprim17ROCPRIM_400000_NS6detail17trampoline_kernelINS0_14default_configENS1_25partition_config_selectorILNS1_17partition_subalgoE8EfNS0_10empty_typeEbEEZZNS1_14partition_implILS5_8ELb0ES3_jN6thrust23THRUST_200600_302600_NS6detail15normal_iteratorINSA_10device_ptrIfEEEEPS6_PKS6_NS0_5tupleIJSF_S6_EEENSJ_IJSG_SG_EEENS0_18inequality_wrapperI22is_equal_div_10_uniqueIfEEEPmJS6_EEE10hipError_tPvRmT3_T4_T5_T6_T7_T9_mT8_P12ihipStream_tbDpT10_ENKUlT_T0_E_clISt17integral_constantIbLb1EES19_IbLb0EEEEDaS15_S16_EUlS15_E_NS1_11comp_targetILNS1_3genE10ELNS1_11target_archE1200ELNS1_3gpuE4ELNS1_3repE0EEENS1_30default_config_static_selectorELNS0_4arch9wavefront6targetE1EEEvT1_.private_seg_size, 0
	.set _ZN7rocprim17ROCPRIM_400000_NS6detail17trampoline_kernelINS0_14default_configENS1_25partition_config_selectorILNS1_17partition_subalgoE8EfNS0_10empty_typeEbEEZZNS1_14partition_implILS5_8ELb0ES3_jN6thrust23THRUST_200600_302600_NS6detail15normal_iteratorINSA_10device_ptrIfEEEEPS6_PKS6_NS0_5tupleIJSF_S6_EEENSJ_IJSG_SG_EEENS0_18inequality_wrapperI22is_equal_div_10_uniqueIfEEEPmJS6_EEE10hipError_tPvRmT3_T4_T5_T6_T7_T9_mT8_P12ihipStream_tbDpT10_ENKUlT_T0_E_clISt17integral_constantIbLb1EES19_IbLb0EEEEDaS15_S16_EUlS15_E_NS1_11comp_targetILNS1_3genE10ELNS1_11target_archE1200ELNS1_3gpuE4ELNS1_3repE0EEENS1_30default_config_static_selectorELNS0_4arch9wavefront6targetE1EEEvT1_.uses_vcc, 0
	.set _ZN7rocprim17ROCPRIM_400000_NS6detail17trampoline_kernelINS0_14default_configENS1_25partition_config_selectorILNS1_17partition_subalgoE8EfNS0_10empty_typeEbEEZZNS1_14partition_implILS5_8ELb0ES3_jN6thrust23THRUST_200600_302600_NS6detail15normal_iteratorINSA_10device_ptrIfEEEEPS6_PKS6_NS0_5tupleIJSF_S6_EEENSJ_IJSG_SG_EEENS0_18inequality_wrapperI22is_equal_div_10_uniqueIfEEEPmJS6_EEE10hipError_tPvRmT3_T4_T5_T6_T7_T9_mT8_P12ihipStream_tbDpT10_ENKUlT_T0_E_clISt17integral_constantIbLb1EES19_IbLb0EEEEDaS15_S16_EUlS15_E_NS1_11comp_targetILNS1_3genE10ELNS1_11target_archE1200ELNS1_3gpuE4ELNS1_3repE0EEENS1_30default_config_static_selectorELNS0_4arch9wavefront6targetE1EEEvT1_.uses_flat_scratch, 0
	.set _ZN7rocprim17ROCPRIM_400000_NS6detail17trampoline_kernelINS0_14default_configENS1_25partition_config_selectorILNS1_17partition_subalgoE8EfNS0_10empty_typeEbEEZZNS1_14partition_implILS5_8ELb0ES3_jN6thrust23THRUST_200600_302600_NS6detail15normal_iteratorINSA_10device_ptrIfEEEEPS6_PKS6_NS0_5tupleIJSF_S6_EEENSJ_IJSG_SG_EEENS0_18inequality_wrapperI22is_equal_div_10_uniqueIfEEEPmJS6_EEE10hipError_tPvRmT3_T4_T5_T6_T7_T9_mT8_P12ihipStream_tbDpT10_ENKUlT_T0_E_clISt17integral_constantIbLb1EES19_IbLb0EEEEDaS15_S16_EUlS15_E_NS1_11comp_targetILNS1_3genE10ELNS1_11target_archE1200ELNS1_3gpuE4ELNS1_3repE0EEENS1_30default_config_static_selectorELNS0_4arch9wavefront6targetE1EEEvT1_.has_dyn_sized_stack, 0
	.set _ZN7rocprim17ROCPRIM_400000_NS6detail17trampoline_kernelINS0_14default_configENS1_25partition_config_selectorILNS1_17partition_subalgoE8EfNS0_10empty_typeEbEEZZNS1_14partition_implILS5_8ELb0ES3_jN6thrust23THRUST_200600_302600_NS6detail15normal_iteratorINSA_10device_ptrIfEEEEPS6_PKS6_NS0_5tupleIJSF_S6_EEENSJ_IJSG_SG_EEENS0_18inequality_wrapperI22is_equal_div_10_uniqueIfEEEPmJS6_EEE10hipError_tPvRmT3_T4_T5_T6_T7_T9_mT8_P12ihipStream_tbDpT10_ENKUlT_T0_E_clISt17integral_constantIbLb1EES19_IbLb0EEEEDaS15_S16_EUlS15_E_NS1_11comp_targetILNS1_3genE10ELNS1_11target_archE1200ELNS1_3gpuE4ELNS1_3repE0EEENS1_30default_config_static_selectorELNS0_4arch9wavefront6targetE1EEEvT1_.has_recursion, 0
	.set _ZN7rocprim17ROCPRIM_400000_NS6detail17trampoline_kernelINS0_14default_configENS1_25partition_config_selectorILNS1_17partition_subalgoE8EfNS0_10empty_typeEbEEZZNS1_14partition_implILS5_8ELb0ES3_jN6thrust23THRUST_200600_302600_NS6detail15normal_iteratorINSA_10device_ptrIfEEEEPS6_PKS6_NS0_5tupleIJSF_S6_EEENSJ_IJSG_SG_EEENS0_18inequality_wrapperI22is_equal_div_10_uniqueIfEEEPmJS6_EEE10hipError_tPvRmT3_T4_T5_T6_T7_T9_mT8_P12ihipStream_tbDpT10_ENKUlT_T0_E_clISt17integral_constantIbLb1EES19_IbLb0EEEEDaS15_S16_EUlS15_E_NS1_11comp_targetILNS1_3genE10ELNS1_11target_archE1200ELNS1_3gpuE4ELNS1_3repE0EEENS1_30default_config_static_selectorELNS0_4arch9wavefront6targetE1EEEvT1_.has_indirect_call, 0
	.section	.AMDGPU.csdata,"",@progbits
; Kernel info:
; codeLenInByte = 0
; TotalNumSgprs: 4
; NumVgprs: 0
; ScratchSize: 0
; MemoryBound: 0
; FloatMode: 240
; IeeeMode: 1
; LDSByteSize: 0 bytes/workgroup (compile time only)
; SGPRBlocks: 0
; VGPRBlocks: 0
; NumSGPRsForWavesPerEU: 4
; NumVGPRsForWavesPerEU: 1
; Occupancy: 10
; WaveLimiterHint : 0
; COMPUTE_PGM_RSRC2:SCRATCH_EN: 0
; COMPUTE_PGM_RSRC2:USER_SGPR: 6
; COMPUTE_PGM_RSRC2:TRAP_HANDLER: 0
; COMPUTE_PGM_RSRC2:TGID_X_EN: 1
; COMPUTE_PGM_RSRC2:TGID_Y_EN: 0
; COMPUTE_PGM_RSRC2:TGID_Z_EN: 0
; COMPUTE_PGM_RSRC2:TIDIG_COMP_CNT: 0
	.section	.text._ZN7rocprim17ROCPRIM_400000_NS6detail17trampoline_kernelINS0_14default_configENS1_25partition_config_selectorILNS1_17partition_subalgoE8EfNS0_10empty_typeEbEEZZNS1_14partition_implILS5_8ELb0ES3_jN6thrust23THRUST_200600_302600_NS6detail15normal_iteratorINSA_10device_ptrIfEEEEPS6_PKS6_NS0_5tupleIJSF_S6_EEENSJ_IJSG_SG_EEENS0_18inequality_wrapperI22is_equal_div_10_uniqueIfEEEPmJS6_EEE10hipError_tPvRmT3_T4_T5_T6_T7_T9_mT8_P12ihipStream_tbDpT10_ENKUlT_T0_E_clISt17integral_constantIbLb1EES19_IbLb0EEEEDaS15_S16_EUlS15_E_NS1_11comp_targetILNS1_3genE9ELNS1_11target_archE1100ELNS1_3gpuE3ELNS1_3repE0EEENS1_30default_config_static_selectorELNS0_4arch9wavefront6targetE1EEEvT1_,"axG",@progbits,_ZN7rocprim17ROCPRIM_400000_NS6detail17trampoline_kernelINS0_14default_configENS1_25partition_config_selectorILNS1_17partition_subalgoE8EfNS0_10empty_typeEbEEZZNS1_14partition_implILS5_8ELb0ES3_jN6thrust23THRUST_200600_302600_NS6detail15normal_iteratorINSA_10device_ptrIfEEEEPS6_PKS6_NS0_5tupleIJSF_S6_EEENSJ_IJSG_SG_EEENS0_18inequality_wrapperI22is_equal_div_10_uniqueIfEEEPmJS6_EEE10hipError_tPvRmT3_T4_T5_T6_T7_T9_mT8_P12ihipStream_tbDpT10_ENKUlT_T0_E_clISt17integral_constantIbLb1EES19_IbLb0EEEEDaS15_S16_EUlS15_E_NS1_11comp_targetILNS1_3genE9ELNS1_11target_archE1100ELNS1_3gpuE3ELNS1_3repE0EEENS1_30default_config_static_selectorELNS0_4arch9wavefront6targetE1EEEvT1_,comdat
	.protected	_ZN7rocprim17ROCPRIM_400000_NS6detail17trampoline_kernelINS0_14default_configENS1_25partition_config_selectorILNS1_17partition_subalgoE8EfNS0_10empty_typeEbEEZZNS1_14partition_implILS5_8ELb0ES3_jN6thrust23THRUST_200600_302600_NS6detail15normal_iteratorINSA_10device_ptrIfEEEEPS6_PKS6_NS0_5tupleIJSF_S6_EEENSJ_IJSG_SG_EEENS0_18inequality_wrapperI22is_equal_div_10_uniqueIfEEEPmJS6_EEE10hipError_tPvRmT3_T4_T5_T6_T7_T9_mT8_P12ihipStream_tbDpT10_ENKUlT_T0_E_clISt17integral_constantIbLb1EES19_IbLb0EEEEDaS15_S16_EUlS15_E_NS1_11comp_targetILNS1_3genE9ELNS1_11target_archE1100ELNS1_3gpuE3ELNS1_3repE0EEENS1_30default_config_static_selectorELNS0_4arch9wavefront6targetE1EEEvT1_ ; -- Begin function _ZN7rocprim17ROCPRIM_400000_NS6detail17trampoline_kernelINS0_14default_configENS1_25partition_config_selectorILNS1_17partition_subalgoE8EfNS0_10empty_typeEbEEZZNS1_14partition_implILS5_8ELb0ES3_jN6thrust23THRUST_200600_302600_NS6detail15normal_iteratorINSA_10device_ptrIfEEEEPS6_PKS6_NS0_5tupleIJSF_S6_EEENSJ_IJSG_SG_EEENS0_18inequality_wrapperI22is_equal_div_10_uniqueIfEEEPmJS6_EEE10hipError_tPvRmT3_T4_T5_T6_T7_T9_mT8_P12ihipStream_tbDpT10_ENKUlT_T0_E_clISt17integral_constantIbLb1EES19_IbLb0EEEEDaS15_S16_EUlS15_E_NS1_11comp_targetILNS1_3genE9ELNS1_11target_archE1100ELNS1_3gpuE3ELNS1_3repE0EEENS1_30default_config_static_selectorELNS0_4arch9wavefront6targetE1EEEvT1_
	.globl	_ZN7rocprim17ROCPRIM_400000_NS6detail17trampoline_kernelINS0_14default_configENS1_25partition_config_selectorILNS1_17partition_subalgoE8EfNS0_10empty_typeEbEEZZNS1_14partition_implILS5_8ELb0ES3_jN6thrust23THRUST_200600_302600_NS6detail15normal_iteratorINSA_10device_ptrIfEEEEPS6_PKS6_NS0_5tupleIJSF_S6_EEENSJ_IJSG_SG_EEENS0_18inequality_wrapperI22is_equal_div_10_uniqueIfEEEPmJS6_EEE10hipError_tPvRmT3_T4_T5_T6_T7_T9_mT8_P12ihipStream_tbDpT10_ENKUlT_T0_E_clISt17integral_constantIbLb1EES19_IbLb0EEEEDaS15_S16_EUlS15_E_NS1_11comp_targetILNS1_3genE9ELNS1_11target_archE1100ELNS1_3gpuE3ELNS1_3repE0EEENS1_30default_config_static_selectorELNS0_4arch9wavefront6targetE1EEEvT1_
	.p2align	8
	.type	_ZN7rocprim17ROCPRIM_400000_NS6detail17trampoline_kernelINS0_14default_configENS1_25partition_config_selectorILNS1_17partition_subalgoE8EfNS0_10empty_typeEbEEZZNS1_14partition_implILS5_8ELb0ES3_jN6thrust23THRUST_200600_302600_NS6detail15normal_iteratorINSA_10device_ptrIfEEEEPS6_PKS6_NS0_5tupleIJSF_S6_EEENSJ_IJSG_SG_EEENS0_18inequality_wrapperI22is_equal_div_10_uniqueIfEEEPmJS6_EEE10hipError_tPvRmT3_T4_T5_T6_T7_T9_mT8_P12ihipStream_tbDpT10_ENKUlT_T0_E_clISt17integral_constantIbLb1EES19_IbLb0EEEEDaS15_S16_EUlS15_E_NS1_11comp_targetILNS1_3genE9ELNS1_11target_archE1100ELNS1_3gpuE3ELNS1_3repE0EEENS1_30default_config_static_selectorELNS0_4arch9wavefront6targetE1EEEvT1_,@function
_ZN7rocprim17ROCPRIM_400000_NS6detail17trampoline_kernelINS0_14default_configENS1_25partition_config_selectorILNS1_17partition_subalgoE8EfNS0_10empty_typeEbEEZZNS1_14partition_implILS5_8ELb0ES3_jN6thrust23THRUST_200600_302600_NS6detail15normal_iteratorINSA_10device_ptrIfEEEEPS6_PKS6_NS0_5tupleIJSF_S6_EEENSJ_IJSG_SG_EEENS0_18inequality_wrapperI22is_equal_div_10_uniqueIfEEEPmJS6_EEE10hipError_tPvRmT3_T4_T5_T6_T7_T9_mT8_P12ihipStream_tbDpT10_ENKUlT_T0_E_clISt17integral_constantIbLb1EES19_IbLb0EEEEDaS15_S16_EUlS15_E_NS1_11comp_targetILNS1_3genE9ELNS1_11target_archE1100ELNS1_3gpuE3ELNS1_3repE0EEENS1_30default_config_static_selectorELNS0_4arch9wavefront6targetE1EEEvT1_: ; @_ZN7rocprim17ROCPRIM_400000_NS6detail17trampoline_kernelINS0_14default_configENS1_25partition_config_selectorILNS1_17partition_subalgoE8EfNS0_10empty_typeEbEEZZNS1_14partition_implILS5_8ELb0ES3_jN6thrust23THRUST_200600_302600_NS6detail15normal_iteratorINSA_10device_ptrIfEEEEPS6_PKS6_NS0_5tupleIJSF_S6_EEENSJ_IJSG_SG_EEENS0_18inequality_wrapperI22is_equal_div_10_uniqueIfEEEPmJS6_EEE10hipError_tPvRmT3_T4_T5_T6_T7_T9_mT8_P12ihipStream_tbDpT10_ENKUlT_T0_E_clISt17integral_constantIbLb1EES19_IbLb0EEEEDaS15_S16_EUlS15_E_NS1_11comp_targetILNS1_3genE9ELNS1_11target_archE1100ELNS1_3gpuE3ELNS1_3repE0EEENS1_30default_config_static_selectorELNS0_4arch9wavefront6targetE1EEEvT1_
; %bb.0:
	.section	.rodata,"a",@progbits
	.p2align	6, 0x0
	.amdhsa_kernel _ZN7rocprim17ROCPRIM_400000_NS6detail17trampoline_kernelINS0_14default_configENS1_25partition_config_selectorILNS1_17partition_subalgoE8EfNS0_10empty_typeEbEEZZNS1_14partition_implILS5_8ELb0ES3_jN6thrust23THRUST_200600_302600_NS6detail15normal_iteratorINSA_10device_ptrIfEEEEPS6_PKS6_NS0_5tupleIJSF_S6_EEENSJ_IJSG_SG_EEENS0_18inequality_wrapperI22is_equal_div_10_uniqueIfEEEPmJS6_EEE10hipError_tPvRmT3_T4_T5_T6_T7_T9_mT8_P12ihipStream_tbDpT10_ENKUlT_T0_E_clISt17integral_constantIbLb1EES19_IbLb0EEEEDaS15_S16_EUlS15_E_NS1_11comp_targetILNS1_3genE9ELNS1_11target_archE1100ELNS1_3gpuE3ELNS1_3repE0EEENS1_30default_config_static_selectorELNS0_4arch9wavefront6targetE1EEEvT1_
		.amdhsa_group_segment_fixed_size 0
		.amdhsa_private_segment_fixed_size 0
		.amdhsa_kernarg_size 112
		.amdhsa_user_sgpr_count 6
		.amdhsa_user_sgpr_private_segment_buffer 1
		.amdhsa_user_sgpr_dispatch_ptr 0
		.amdhsa_user_sgpr_queue_ptr 0
		.amdhsa_user_sgpr_kernarg_segment_ptr 1
		.amdhsa_user_sgpr_dispatch_id 0
		.amdhsa_user_sgpr_flat_scratch_init 0
		.amdhsa_user_sgpr_private_segment_size 0
		.amdhsa_uses_dynamic_stack 0
		.amdhsa_system_sgpr_private_segment_wavefront_offset 0
		.amdhsa_system_sgpr_workgroup_id_x 1
		.amdhsa_system_sgpr_workgroup_id_y 0
		.amdhsa_system_sgpr_workgroup_id_z 0
		.amdhsa_system_sgpr_workgroup_info 0
		.amdhsa_system_vgpr_workitem_id 0
		.amdhsa_next_free_vgpr 1
		.amdhsa_next_free_sgpr 0
		.amdhsa_reserve_vcc 0
		.amdhsa_reserve_flat_scratch 0
		.amdhsa_float_round_mode_32 0
		.amdhsa_float_round_mode_16_64 0
		.amdhsa_float_denorm_mode_32 3
		.amdhsa_float_denorm_mode_16_64 3
		.amdhsa_dx10_clamp 1
		.amdhsa_ieee_mode 1
		.amdhsa_fp16_overflow 0
		.amdhsa_exception_fp_ieee_invalid_op 0
		.amdhsa_exception_fp_denorm_src 0
		.amdhsa_exception_fp_ieee_div_zero 0
		.amdhsa_exception_fp_ieee_overflow 0
		.amdhsa_exception_fp_ieee_underflow 0
		.amdhsa_exception_fp_ieee_inexact 0
		.amdhsa_exception_int_div_zero 0
	.end_amdhsa_kernel
	.section	.text._ZN7rocprim17ROCPRIM_400000_NS6detail17trampoline_kernelINS0_14default_configENS1_25partition_config_selectorILNS1_17partition_subalgoE8EfNS0_10empty_typeEbEEZZNS1_14partition_implILS5_8ELb0ES3_jN6thrust23THRUST_200600_302600_NS6detail15normal_iteratorINSA_10device_ptrIfEEEEPS6_PKS6_NS0_5tupleIJSF_S6_EEENSJ_IJSG_SG_EEENS0_18inequality_wrapperI22is_equal_div_10_uniqueIfEEEPmJS6_EEE10hipError_tPvRmT3_T4_T5_T6_T7_T9_mT8_P12ihipStream_tbDpT10_ENKUlT_T0_E_clISt17integral_constantIbLb1EES19_IbLb0EEEEDaS15_S16_EUlS15_E_NS1_11comp_targetILNS1_3genE9ELNS1_11target_archE1100ELNS1_3gpuE3ELNS1_3repE0EEENS1_30default_config_static_selectorELNS0_4arch9wavefront6targetE1EEEvT1_,"axG",@progbits,_ZN7rocprim17ROCPRIM_400000_NS6detail17trampoline_kernelINS0_14default_configENS1_25partition_config_selectorILNS1_17partition_subalgoE8EfNS0_10empty_typeEbEEZZNS1_14partition_implILS5_8ELb0ES3_jN6thrust23THRUST_200600_302600_NS6detail15normal_iteratorINSA_10device_ptrIfEEEEPS6_PKS6_NS0_5tupleIJSF_S6_EEENSJ_IJSG_SG_EEENS0_18inequality_wrapperI22is_equal_div_10_uniqueIfEEEPmJS6_EEE10hipError_tPvRmT3_T4_T5_T6_T7_T9_mT8_P12ihipStream_tbDpT10_ENKUlT_T0_E_clISt17integral_constantIbLb1EES19_IbLb0EEEEDaS15_S16_EUlS15_E_NS1_11comp_targetILNS1_3genE9ELNS1_11target_archE1100ELNS1_3gpuE3ELNS1_3repE0EEENS1_30default_config_static_selectorELNS0_4arch9wavefront6targetE1EEEvT1_,comdat
.Lfunc_end134:
	.size	_ZN7rocprim17ROCPRIM_400000_NS6detail17trampoline_kernelINS0_14default_configENS1_25partition_config_selectorILNS1_17partition_subalgoE8EfNS0_10empty_typeEbEEZZNS1_14partition_implILS5_8ELb0ES3_jN6thrust23THRUST_200600_302600_NS6detail15normal_iteratorINSA_10device_ptrIfEEEEPS6_PKS6_NS0_5tupleIJSF_S6_EEENSJ_IJSG_SG_EEENS0_18inequality_wrapperI22is_equal_div_10_uniqueIfEEEPmJS6_EEE10hipError_tPvRmT3_T4_T5_T6_T7_T9_mT8_P12ihipStream_tbDpT10_ENKUlT_T0_E_clISt17integral_constantIbLb1EES19_IbLb0EEEEDaS15_S16_EUlS15_E_NS1_11comp_targetILNS1_3genE9ELNS1_11target_archE1100ELNS1_3gpuE3ELNS1_3repE0EEENS1_30default_config_static_selectorELNS0_4arch9wavefront6targetE1EEEvT1_, .Lfunc_end134-_ZN7rocprim17ROCPRIM_400000_NS6detail17trampoline_kernelINS0_14default_configENS1_25partition_config_selectorILNS1_17partition_subalgoE8EfNS0_10empty_typeEbEEZZNS1_14partition_implILS5_8ELb0ES3_jN6thrust23THRUST_200600_302600_NS6detail15normal_iteratorINSA_10device_ptrIfEEEEPS6_PKS6_NS0_5tupleIJSF_S6_EEENSJ_IJSG_SG_EEENS0_18inequality_wrapperI22is_equal_div_10_uniqueIfEEEPmJS6_EEE10hipError_tPvRmT3_T4_T5_T6_T7_T9_mT8_P12ihipStream_tbDpT10_ENKUlT_T0_E_clISt17integral_constantIbLb1EES19_IbLb0EEEEDaS15_S16_EUlS15_E_NS1_11comp_targetILNS1_3genE9ELNS1_11target_archE1100ELNS1_3gpuE3ELNS1_3repE0EEENS1_30default_config_static_selectorELNS0_4arch9wavefront6targetE1EEEvT1_
                                        ; -- End function
	.set _ZN7rocprim17ROCPRIM_400000_NS6detail17trampoline_kernelINS0_14default_configENS1_25partition_config_selectorILNS1_17partition_subalgoE8EfNS0_10empty_typeEbEEZZNS1_14partition_implILS5_8ELb0ES3_jN6thrust23THRUST_200600_302600_NS6detail15normal_iteratorINSA_10device_ptrIfEEEEPS6_PKS6_NS0_5tupleIJSF_S6_EEENSJ_IJSG_SG_EEENS0_18inequality_wrapperI22is_equal_div_10_uniqueIfEEEPmJS6_EEE10hipError_tPvRmT3_T4_T5_T6_T7_T9_mT8_P12ihipStream_tbDpT10_ENKUlT_T0_E_clISt17integral_constantIbLb1EES19_IbLb0EEEEDaS15_S16_EUlS15_E_NS1_11comp_targetILNS1_3genE9ELNS1_11target_archE1100ELNS1_3gpuE3ELNS1_3repE0EEENS1_30default_config_static_selectorELNS0_4arch9wavefront6targetE1EEEvT1_.num_vgpr, 0
	.set _ZN7rocprim17ROCPRIM_400000_NS6detail17trampoline_kernelINS0_14default_configENS1_25partition_config_selectorILNS1_17partition_subalgoE8EfNS0_10empty_typeEbEEZZNS1_14partition_implILS5_8ELb0ES3_jN6thrust23THRUST_200600_302600_NS6detail15normal_iteratorINSA_10device_ptrIfEEEEPS6_PKS6_NS0_5tupleIJSF_S6_EEENSJ_IJSG_SG_EEENS0_18inequality_wrapperI22is_equal_div_10_uniqueIfEEEPmJS6_EEE10hipError_tPvRmT3_T4_T5_T6_T7_T9_mT8_P12ihipStream_tbDpT10_ENKUlT_T0_E_clISt17integral_constantIbLb1EES19_IbLb0EEEEDaS15_S16_EUlS15_E_NS1_11comp_targetILNS1_3genE9ELNS1_11target_archE1100ELNS1_3gpuE3ELNS1_3repE0EEENS1_30default_config_static_selectorELNS0_4arch9wavefront6targetE1EEEvT1_.num_agpr, 0
	.set _ZN7rocprim17ROCPRIM_400000_NS6detail17trampoline_kernelINS0_14default_configENS1_25partition_config_selectorILNS1_17partition_subalgoE8EfNS0_10empty_typeEbEEZZNS1_14partition_implILS5_8ELb0ES3_jN6thrust23THRUST_200600_302600_NS6detail15normal_iteratorINSA_10device_ptrIfEEEEPS6_PKS6_NS0_5tupleIJSF_S6_EEENSJ_IJSG_SG_EEENS0_18inequality_wrapperI22is_equal_div_10_uniqueIfEEEPmJS6_EEE10hipError_tPvRmT3_T4_T5_T6_T7_T9_mT8_P12ihipStream_tbDpT10_ENKUlT_T0_E_clISt17integral_constantIbLb1EES19_IbLb0EEEEDaS15_S16_EUlS15_E_NS1_11comp_targetILNS1_3genE9ELNS1_11target_archE1100ELNS1_3gpuE3ELNS1_3repE0EEENS1_30default_config_static_selectorELNS0_4arch9wavefront6targetE1EEEvT1_.numbered_sgpr, 0
	.set _ZN7rocprim17ROCPRIM_400000_NS6detail17trampoline_kernelINS0_14default_configENS1_25partition_config_selectorILNS1_17partition_subalgoE8EfNS0_10empty_typeEbEEZZNS1_14partition_implILS5_8ELb0ES3_jN6thrust23THRUST_200600_302600_NS6detail15normal_iteratorINSA_10device_ptrIfEEEEPS6_PKS6_NS0_5tupleIJSF_S6_EEENSJ_IJSG_SG_EEENS0_18inequality_wrapperI22is_equal_div_10_uniqueIfEEEPmJS6_EEE10hipError_tPvRmT3_T4_T5_T6_T7_T9_mT8_P12ihipStream_tbDpT10_ENKUlT_T0_E_clISt17integral_constantIbLb1EES19_IbLb0EEEEDaS15_S16_EUlS15_E_NS1_11comp_targetILNS1_3genE9ELNS1_11target_archE1100ELNS1_3gpuE3ELNS1_3repE0EEENS1_30default_config_static_selectorELNS0_4arch9wavefront6targetE1EEEvT1_.num_named_barrier, 0
	.set _ZN7rocprim17ROCPRIM_400000_NS6detail17trampoline_kernelINS0_14default_configENS1_25partition_config_selectorILNS1_17partition_subalgoE8EfNS0_10empty_typeEbEEZZNS1_14partition_implILS5_8ELb0ES3_jN6thrust23THRUST_200600_302600_NS6detail15normal_iteratorINSA_10device_ptrIfEEEEPS6_PKS6_NS0_5tupleIJSF_S6_EEENSJ_IJSG_SG_EEENS0_18inequality_wrapperI22is_equal_div_10_uniqueIfEEEPmJS6_EEE10hipError_tPvRmT3_T4_T5_T6_T7_T9_mT8_P12ihipStream_tbDpT10_ENKUlT_T0_E_clISt17integral_constantIbLb1EES19_IbLb0EEEEDaS15_S16_EUlS15_E_NS1_11comp_targetILNS1_3genE9ELNS1_11target_archE1100ELNS1_3gpuE3ELNS1_3repE0EEENS1_30default_config_static_selectorELNS0_4arch9wavefront6targetE1EEEvT1_.private_seg_size, 0
	.set _ZN7rocprim17ROCPRIM_400000_NS6detail17trampoline_kernelINS0_14default_configENS1_25partition_config_selectorILNS1_17partition_subalgoE8EfNS0_10empty_typeEbEEZZNS1_14partition_implILS5_8ELb0ES3_jN6thrust23THRUST_200600_302600_NS6detail15normal_iteratorINSA_10device_ptrIfEEEEPS6_PKS6_NS0_5tupleIJSF_S6_EEENSJ_IJSG_SG_EEENS0_18inequality_wrapperI22is_equal_div_10_uniqueIfEEEPmJS6_EEE10hipError_tPvRmT3_T4_T5_T6_T7_T9_mT8_P12ihipStream_tbDpT10_ENKUlT_T0_E_clISt17integral_constantIbLb1EES19_IbLb0EEEEDaS15_S16_EUlS15_E_NS1_11comp_targetILNS1_3genE9ELNS1_11target_archE1100ELNS1_3gpuE3ELNS1_3repE0EEENS1_30default_config_static_selectorELNS0_4arch9wavefront6targetE1EEEvT1_.uses_vcc, 0
	.set _ZN7rocprim17ROCPRIM_400000_NS6detail17trampoline_kernelINS0_14default_configENS1_25partition_config_selectorILNS1_17partition_subalgoE8EfNS0_10empty_typeEbEEZZNS1_14partition_implILS5_8ELb0ES3_jN6thrust23THRUST_200600_302600_NS6detail15normal_iteratorINSA_10device_ptrIfEEEEPS6_PKS6_NS0_5tupleIJSF_S6_EEENSJ_IJSG_SG_EEENS0_18inequality_wrapperI22is_equal_div_10_uniqueIfEEEPmJS6_EEE10hipError_tPvRmT3_T4_T5_T6_T7_T9_mT8_P12ihipStream_tbDpT10_ENKUlT_T0_E_clISt17integral_constantIbLb1EES19_IbLb0EEEEDaS15_S16_EUlS15_E_NS1_11comp_targetILNS1_3genE9ELNS1_11target_archE1100ELNS1_3gpuE3ELNS1_3repE0EEENS1_30default_config_static_selectorELNS0_4arch9wavefront6targetE1EEEvT1_.uses_flat_scratch, 0
	.set _ZN7rocprim17ROCPRIM_400000_NS6detail17trampoline_kernelINS0_14default_configENS1_25partition_config_selectorILNS1_17partition_subalgoE8EfNS0_10empty_typeEbEEZZNS1_14partition_implILS5_8ELb0ES3_jN6thrust23THRUST_200600_302600_NS6detail15normal_iteratorINSA_10device_ptrIfEEEEPS6_PKS6_NS0_5tupleIJSF_S6_EEENSJ_IJSG_SG_EEENS0_18inequality_wrapperI22is_equal_div_10_uniqueIfEEEPmJS6_EEE10hipError_tPvRmT3_T4_T5_T6_T7_T9_mT8_P12ihipStream_tbDpT10_ENKUlT_T0_E_clISt17integral_constantIbLb1EES19_IbLb0EEEEDaS15_S16_EUlS15_E_NS1_11comp_targetILNS1_3genE9ELNS1_11target_archE1100ELNS1_3gpuE3ELNS1_3repE0EEENS1_30default_config_static_selectorELNS0_4arch9wavefront6targetE1EEEvT1_.has_dyn_sized_stack, 0
	.set _ZN7rocprim17ROCPRIM_400000_NS6detail17trampoline_kernelINS0_14default_configENS1_25partition_config_selectorILNS1_17partition_subalgoE8EfNS0_10empty_typeEbEEZZNS1_14partition_implILS5_8ELb0ES3_jN6thrust23THRUST_200600_302600_NS6detail15normal_iteratorINSA_10device_ptrIfEEEEPS6_PKS6_NS0_5tupleIJSF_S6_EEENSJ_IJSG_SG_EEENS0_18inequality_wrapperI22is_equal_div_10_uniqueIfEEEPmJS6_EEE10hipError_tPvRmT3_T4_T5_T6_T7_T9_mT8_P12ihipStream_tbDpT10_ENKUlT_T0_E_clISt17integral_constantIbLb1EES19_IbLb0EEEEDaS15_S16_EUlS15_E_NS1_11comp_targetILNS1_3genE9ELNS1_11target_archE1100ELNS1_3gpuE3ELNS1_3repE0EEENS1_30default_config_static_selectorELNS0_4arch9wavefront6targetE1EEEvT1_.has_recursion, 0
	.set _ZN7rocprim17ROCPRIM_400000_NS6detail17trampoline_kernelINS0_14default_configENS1_25partition_config_selectorILNS1_17partition_subalgoE8EfNS0_10empty_typeEbEEZZNS1_14partition_implILS5_8ELb0ES3_jN6thrust23THRUST_200600_302600_NS6detail15normal_iteratorINSA_10device_ptrIfEEEEPS6_PKS6_NS0_5tupleIJSF_S6_EEENSJ_IJSG_SG_EEENS0_18inequality_wrapperI22is_equal_div_10_uniqueIfEEEPmJS6_EEE10hipError_tPvRmT3_T4_T5_T6_T7_T9_mT8_P12ihipStream_tbDpT10_ENKUlT_T0_E_clISt17integral_constantIbLb1EES19_IbLb0EEEEDaS15_S16_EUlS15_E_NS1_11comp_targetILNS1_3genE9ELNS1_11target_archE1100ELNS1_3gpuE3ELNS1_3repE0EEENS1_30default_config_static_selectorELNS0_4arch9wavefront6targetE1EEEvT1_.has_indirect_call, 0
	.section	.AMDGPU.csdata,"",@progbits
; Kernel info:
; codeLenInByte = 0
; TotalNumSgprs: 4
; NumVgprs: 0
; ScratchSize: 0
; MemoryBound: 0
; FloatMode: 240
; IeeeMode: 1
; LDSByteSize: 0 bytes/workgroup (compile time only)
; SGPRBlocks: 0
; VGPRBlocks: 0
; NumSGPRsForWavesPerEU: 4
; NumVGPRsForWavesPerEU: 1
; Occupancy: 10
; WaveLimiterHint : 0
; COMPUTE_PGM_RSRC2:SCRATCH_EN: 0
; COMPUTE_PGM_RSRC2:USER_SGPR: 6
; COMPUTE_PGM_RSRC2:TRAP_HANDLER: 0
; COMPUTE_PGM_RSRC2:TGID_X_EN: 1
; COMPUTE_PGM_RSRC2:TGID_Y_EN: 0
; COMPUTE_PGM_RSRC2:TGID_Z_EN: 0
; COMPUTE_PGM_RSRC2:TIDIG_COMP_CNT: 0
	.section	.text._ZN7rocprim17ROCPRIM_400000_NS6detail17trampoline_kernelINS0_14default_configENS1_25partition_config_selectorILNS1_17partition_subalgoE8EfNS0_10empty_typeEbEEZZNS1_14partition_implILS5_8ELb0ES3_jN6thrust23THRUST_200600_302600_NS6detail15normal_iteratorINSA_10device_ptrIfEEEEPS6_PKS6_NS0_5tupleIJSF_S6_EEENSJ_IJSG_SG_EEENS0_18inequality_wrapperI22is_equal_div_10_uniqueIfEEEPmJS6_EEE10hipError_tPvRmT3_T4_T5_T6_T7_T9_mT8_P12ihipStream_tbDpT10_ENKUlT_T0_E_clISt17integral_constantIbLb1EES19_IbLb0EEEEDaS15_S16_EUlS15_E_NS1_11comp_targetILNS1_3genE8ELNS1_11target_archE1030ELNS1_3gpuE2ELNS1_3repE0EEENS1_30default_config_static_selectorELNS0_4arch9wavefront6targetE1EEEvT1_,"axG",@progbits,_ZN7rocprim17ROCPRIM_400000_NS6detail17trampoline_kernelINS0_14default_configENS1_25partition_config_selectorILNS1_17partition_subalgoE8EfNS0_10empty_typeEbEEZZNS1_14partition_implILS5_8ELb0ES3_jN6thrust23THRUST_200600_302600_NS6detail15normal_iteratorINSA_10device_ptrIfEEEEPS6_PKS6_NS0_5tupleIJSF_S6_EEENSJ_IJSG_SG_EEENS0_18inequality_wrapperI22is_equal_div_10_uniqueIfEEEPmJS6_EEE10hipError_tPvRmT3_T4_T5_T6_T7_T9_mT8_P12ihipStream_tbDpT10_ENKUlT_T0_E_clISt17integral_constantIbLb1EES19_IbLb0EEEEDaS15_S16_EUlS15_E_NS1_11comp_targetILNS1_3genE8ELNS1_11target_archE1030ELNS1_3gpuE2ELNS1_3repE0EEENS1_30default_config_static_selectorELNS0_4arch9wavefront6targetE1EEEvT1_,comdat
	.protected	_ZN7rocprim17ROCPRIM_400000_NS6detail17trampoline_kernelINS0_14default_configENS1_25partition_config_selectorILNS1_17partition_subalgoE8EfNS0_10empty_typeEbEEZZNS1_14partition_implILS5_8ELb0ES3_jN6thrust23THRUST_200600_302600_NS6detail15normal_iteratorINSA_10device_ptrIfEEEEPS6_PKS6_NS0_5tupleIJSF_S6_EEENSJ_IJSG_SG_EEENS0_18inequality_wrapperI22is_equal_div_10_uniqueIfEEEPmJS6_EEE10hipError_tPvRmT3_T4_T5_T6_T7_T9_mT8_P12ihipStream_tbDpT10_ENKUlT_T0_E_clISt17integral_constantIbLb1EES19_IbLb0EEEEDaS15_S16_EUlS15_E_NS1_11comp_targetILNS1_3genE8ELNS1_11target_archE1030ELNS1_3gpuE2ELNS1_3repE0EEENS1_30default_config_static_selectorELNS0_4arch9wavefront6targetE1EEEvT1_ ; -- Begin function _ZN7rocprim17ROCPRIM_400000_NS6detail17trampoline_kernelINS0_14default_configENS1_25partition_config_selectorILNS1_17partition_subalgoE8EfNS0_10empty_typeEbEEZZNS1_14partition_implILS5_8ELb0ES3_jN6thrust23THRUST_200600_302600_NS6detail15normal_iteratorINSA_10device_ptrIfEEEEPS6_PKS6_NS0_5tupleIJSF_S6_EEENSJ_IJSG_SG_EEENS0_18inequality_wrapperI22is_equal_div_10_uniqueIfEEEPmJS6_EEE10hipError_tPvRmT3_T4_T5_T6_T7_T9_mT8_P12ihipStream_tbDpT10_ENKUlT_T0_E_clISt17integral_constantIbLb1EES19_IbLb0EEEEDaS15_S16_EUlS15_E_NS1_11comp_targetILNS1_3genE8ELNS1_11target_archE1030ELNS1_3gpuE2ELNS1_3repE0EEENS1_30default_config_static_selectorELNS0_4arch9wavefront6targetE1EEEvT1_
	.globl	_ZN7rocprim17ROCPRIM_400000_NS6detail17trampoline_kernelINS0_14default_configENS1_25partition_config_selectorILNS1_17partition_subalgoE8EfNS0_10empty_typeEbEEZZNS1_14partition_implILS5_8ELb0ES3_jN6thrust23THRUST_200600_302600_NS6detail15normal_iteratorINSA_10device_ptrIfEEEEPS6_PKS6_NS0_5tupleIJSF_S6_EEENSJ_IJSG_SG_EEENS0_18inequality_wrapperI22is_equal_div_10_uniqueIfEEEPmJS6_EEE10hipError_tPvRmT3_T4_T5_T6_T7_T9_mT8_P12ihipStream_tbDpT10_ENKUlT_T0_E_clISt17integral_constantIbLb1EES19_IbLb0EEEEDaS15_S16_EUlS15_E_NS1_11comp_targetILNS1_3genE8ELNS1_11target_archE1030ELNS1_3gpuE2ELNS1_3repE0EEENS1_30default_config_static_selectorELNS0_4arch9wavefront6targetE1EEEvT1_
	.p2align	8
	.type	_ZN7rocprim17ROCPRIM_400000_NS6detail17trampoline_kernelINS0_14default_configENS1_25partition_config_selectorILNS1_17partition_subalgoE8EfNS0_10empty_typeEbEEZZNS1_14partition_implILS5_8ELb0ES3_jN6thrust23THRUST_200600_302600_NS6detail15normal_iteratorINSA_10device_ptrIfEEEEPS6_PKS6_NS0_5tupleIJSF_S6_EEENSJ_IJSG_SG_EEENS0_18inequality_wrapperI22is_equal_div_10_uniqueIfEEEPmJS6_EEE10hipError_tPvRmT3_T4_T5_T6_T7_T9_mT8_P12ihipStream_tbDpT10_ENKUlT_T0_E_clISt17integral_constantIbLb1EES19_IbLb0EEEEDaS15_S16_EUlS15_E_NS1_11comp_targetILNS1_3genE8ELNS1_11target_archE1030ELNS1_3gpuE2ELNS1_3repE0EEENS1_30default_config_static_selectorELNS0_4arch9wavefront6targetE1EEEvT1_,@function
_ZN7rocprim17ROCPRIM_400000_NS6detail17trampoline_kernelINS0_14default_configENS1_25partition_config_selectorILNS1_17partition_subalgoE8EfNS0_10empty_typeEbEEZZNS1_14partition_implILS5_8ELb0ES3_jN6thrust23THRUST_200600_302600_NS6detail15normal_iteratorINSA_10device_ptrIfEEEEPS6_PKS6_NS0_5tupleIJSF_S6_EEENSJ_IJSG_SG_EEENS0_18inequality_wrapperI22is_equal_div_10_uniqueIfEEEPmJS6_EEE10hipError_tPvRmT3_T4_T5_T6_T7_T9_mT8_P12ihipStream_tbDpT10_ENKUlT_T0_E_clISt17integral_constantIbLb1EES19_IbLb0EEEEDaS15_S16_EUlS15_E_NS1_11comp_targetILNS1_3genE8ELNS1_11target_archE1030ELNS1_3gpuE2ELNS1_3repE0EEENS1_30default_config_static_selectorELNS0_4arch9wavefront6targetE1EEEvT1_: ; @_ZN7rocprim17ROCPRIM_400000_NS6detail17trampoline_kernelINS0_14default_configENS1_25partition_config_selectorILNS1_17partition_subalgoE8EfNS0_10empty_typeEbEEZZNS1_14partition_implILS5_8ELb0ES3_jN6thrust23THRUST_200600_302600_NS6detail15normal_iteratorINSA_10device_ptrIfEEEEPS6_PKS6_NS0_5tupleIJSF_S6_EEENSJ_IJSG_SG_EEENS0_18inequality_wrapperI22is_equal_div_10_uniqueIfEEEPmJS6_EEE10hipError_tPvRmT3_T4_T5_T6_T7_T9_mT8_P12ihipStream_tbDpT10_ENKUlT_T0_E_clISt17integral_constantIbLb1EES19_IbLb0EEEEDaS15_S16_EUlS15_E_NS1_11comp_targetILNS1_3genE8ELNS1_11target_archE1030ELNS1_3gpuE2ELNS1_3repE0EEENS1_30default_config_static_selectorELNS0_4arch9wavefront6targetE1EEEvT1_
; %bb.0:
	.section	.rodata,"a",@progbits
	.p2align	6, 0x0
	.amdhsa_kernel _ZN7rocprim17ROCPRIM_400000_NS6detail17trampoline_kernelINS0_14default_configENS1_25partition_config_selectorILNS1_17partition_subalgoE8EfNS0_10empty_typeEbEEZZNS1_14partition_implILS5_8ELb0ES3_jN6thrust23THRUST_200600_302600_NS6detail15normal_iteratorINSA_10device_ptrIfEEEEPS6_PKS6_NS0_5tupleIJSF_S6_EEENSJ_IJSG_SG_EEENS0_18inequality_wrapperI22is_equal_div_10_uniqueIfEEEPmJS6_EEE10hipError_tPvRmT3_T4_T5_T6_T7_T9_mT8_P12ihipStream_tbDpT10_ENKUlT_T0_E_clISt17integral_constantIbLb1EES19_IbLb0EEEEDaS15_S16_EUlS15_E_NS1_11comp_targetILNS1_3genE8ELNS1_11target_archE1030ELNS1_3gpuE2ELNS1_3repE0EEENS1_30default_config_static_selectorELNS0_4arch9wavefront6targetE1EEEvT1_
		.amdhsa_group_segment_fixed_size 0
		.amdhsa_private_segment_fixed_size 0
		.amdhsa_kernarg_size 112
		.amdhsa_user_sgpr_count 6
		.amdhsa_user_sgpr_private_segment_buffer 1
		.amdhsa_user_sgpr_dispatch_ptr 0
		.amdhsa_user_sgpr_queue_ptr 0
		.amdhsa_user_sgpr_kernarg_segment_ptr 1
		.amdhsa_user_sgpr_dispatch_id 0
		.amdhsa_user_sgpr_flat_scratch_init 0
		.amdhsa_user_sgpr_private_segment_size 0
		.amdhsa_uses_dynamic_stack 0
		.amdhsa_system_sgpr_private_segment_wavefront_offset 0
		.amdhsa_system_sgpr_workgroup_id_x 1
		.amdhsa_system_sgpr_workgroup_id_y 0
		.amdhsa_system_sgpr_workgroup_id_z 0
		.amdhsa_system_sgpr_workgroup_info 0
		.amdhsa_system_vgpr_workitem_id 0
		.amdhsa_next_free_vgpr 1
		.amdhsa_next_free_sgpr 0
		.amdhsa_reserve_vcc 0
		.amdhsa_reserve_flat_scratch 0
		.amdhsa_float_round_mode_32 0
		.amdhsa_float_round_mode_16_64 0
		.amdhsa_float_denorm_mode_32 3
		.amdhsa_float_denorm_mode_16_64 3
		.amdhsa_dx10_clamp 1
		.amdhsa_ieee_mode 1
		.amdhsa_fp16_overflow 0
		.amdhsa_exception_fp_ieee_invalid_op 0
		.amdhsa_exception_fp_denorm_src 0
		.amdhsa_exception_fp_ieee_div_zero 0
		.amdhsa_exception_fp_ieee_overflow 0
		.amdhsa_exception_fp_ieee_underflow 0
		.amdhsa_exception_fp_ieee_inexact 0
		.amdhsa_exception_int_div_zero 0
	.end_amdhsa_kernel
	.section	.text._ZN7rocprim17ROCPRIM_400000_NS6detail17trampoline_kernelINS0_14default_configENS1_25partition_config_selectorILNS1_17partition_subalgoE8EfNS0_10empty_typeEbEEZZNS1_14partition_implILS5_8ELb0ES3_jN6thrust23THRUST_200600_302600_NS6detail15normal_iteratorINSA_10device_ptrIfEEEEPS6_PKS6_NS0_5tupleIJSF_S6_EEENSJ_IJSG_SG_EEENS0_18inequality_wrapperI22is_equal_div_10_uniqueIfEEEPmJS6_EEE10hipError_tPvRmT3_T4_T5_T6_T7_T9_mT8_P12ihipStream_tbDpT10_ENKUlT_T0_E_clISt17integral_constantIbLb1EES19_IbLb0EEEEDaS15_S16_EUlS15_E_NS1_11comp_targetILNS1_3genE8ELNS1_11target_archE1030ELNS1_3gpuE2ELNS1_3repE0EEENS1_30default_config_static_selectorELNS0_4arch9wavefront6targetE1EEEvT1_,"axG",@progbits,_ZN7rocprim17ROCPRIM_400000_NS6detail17trampoline_kernelINS0_14default_configENS1_25partition_config_selectorILNS1_17partition_subalgoE8EfNS0_10empty_typeEbEEZZNS1_14partition_implILS5_8ELb0ES3_jN6thrust23THRUST_200600_302600_NS6detail15normal_iteratorINSA_10device_ptrIfEEEEPS6_PKS6_NS0_5tupleIJSF_S6_EEENSJ_IJSG_SG_EEENS0_18inequality_wrapperI22is_equal_div_10_uniqueIfEEEPmJS6_EEE10hipError_tPvRmT3_T4_T5_T6_T7_T9_mT8_P12ihipStream_tbDpT10_ENKUlT_T0_E_clISt17integral_constantIbLb1EES19_IbLb0EEEEDaS15_S16_EUlS15_E_NS1_11comp_targetILNS1_3genE8ELNS1_11target_archE1030ELNS1_3gpuE2ELNS1_3repE0EEENS1_30default_config_static_selectorELNS0_4arch9wavefront6targetE1EEEvT1_,comdat
.Lfunc_end135:
	.size	_ZN7rocprim17ROCPRIM_400000_NS6detail17trampoline_kernelINS0_14default_configENS1_25partition_config_selectorILNS1_17partition_subalgoE8EfNS0_10empty_typeEbEEZZNS1_14partition_implILS5_8ELb0ES3_jN6thrust23THRUST_200600_302600_NS6detail15normal_iteratorINSA_10device_ptrIfEEEEPS6_PKS6_NS0_5tupleIJSF_S6_EEENSJ_IJSG_SG_EEENS0_18inequality_wrapperI22is_equal_div_10_uniqueIfEEEPmJS6_EEE10hipError_tPvRmT3_T4_T5_T6_T7_T9_mT8_P12ihipStream_tbDpT10_ENKUlT_T0_E_clISt17integral_constantIbLb1EES19_IbLb0EEEEDaS15_S16_EUlS15_E_NS1_11comp_targetILNS1_3genE8ELNS1_11target_archE1030ELNS1_3gpuE2ELNS1_3repE0EEENS1_30default_config_static_selectorELNS0_4arch9wavefront6targetE1EEEvT1_, .Lfunc_end135-_ZN7rocprim17ROCPRIM_400000_NS6detail17trampoline_kernelINS0_14default_configENS1_25partition_config_selectorILNS1_17partition_subalgoE8EfNS0_10empty_typeEbEEZZNS1_14partition_implILS5_8ELb0ES3_jN6thrust23THRUST_200600_302600_NS6detail15normal_iteratorINSA_10device_ptrIfEEEEPS6_PKS6_NS0_5tupleIJSF_S6_EEENSJ_IJSG_SG_EEENS0_18inequality_wrapperI22is_equal_div_10_uniqueIfEEEPmJS6_EEE10hipError_tPvRmT3_T4_T5_T6_T7_T9_mT8_P12ihipStream_tbDpT10_ENKUlT_T0_E_clISt17integral_constantIbLb1EES19_IbLb0EEEEDaS15_S16_EUlS15_E_NS1_11comp_targetILNS1_3genE8ELNS1_11target_archE1030ELNS1_3gpuE2ELNS1_3repE0EEENS1_30default_config_static_selectorELNS0_4arch9wavefront6targetE1EEEvT1_
                                        ; -- End function
	.set _ZN7rocprim17ROCPRIM_400000_NS6detail17trampoline_kernelINS0_14default_configENS1_25partition_config_selectorILNS1_17partition_subalgoE8EfNS0_10empty_typeEbEEZZNS1_14partition_implILS5_8ELb0ES3_jN6thrust23THRUST_200600_302600_NS6detail15normal_iteratorINSA_10device_ptrIfEEEEPS6_PKS6_NS0_5tupleIJSF_S6_EEENSJ_IJSG_SG_EEENS0_18inequality_wrapperI22is_equal_div_10_uniqueIfEEEPmJS6_EEE10hipError_tPvRmT3_T4_T5_T6_T7_T9_mT8_P12ihipStream_tbDpT10_ENKUlT_T0_E_clISt17integral_constantIbLb1EES19_IbLb0EEEEDaS15_S16_EUlS15_E_NS1_11comp_targetILNS1_3genE8ELNS1_11target_archE1030ELNS1_3gpuE2ELNS1_3repE0EEENS1_30default_config_static_selectorELNS0_4arch9wavefront6targetE1EEEvT1_.num_vgpr, 0
	.set _ZN7rocprim17ROCPRIM_400000_NS6detail17trampoline_kernelINS0_14default_configENS1_25partition_config_selectorILNS1_17partition_subalgoE8EfNS0_10empty_typeEbEEZZNS1_14partition_implILS5_8ELb0ES3_jN6thrust23THRUST_200600_302600_NS6detail15normal_iteratorINSA_10device_ptrIfEEEEPS6_PKS6_NS0_5tupleIJSF_S6_EEENSJ_IJSG_SG_EEENS0_18inequality_wrapperI22is_equal_div_10_uniqueIfEEEPmJS6_EEE10hipError_tPvRmT3_T4_T5_T6_T7_T9_mT8_P12ihipStream_tbDpT10_ENKUlT_T0_E_clISt17integral_constantIbLb1EES19_IbLb0EEEEDaS15_S16_EUlS15_E_NS1_11comp_targetILNS1_3genE8ELNS1_11target_archE1030ELNS1_3gpuE2ELNS1_3repE0EEENS1_30default_config_static_selectorELNS0_4arch9wavefront6targetE1EEEvT1_.num_agpr, 0
	.set _ZN7rocprim17ROCPRIM_400000_NS6detail17trampoline_kernelINS0_14default_configENS1_25partition_config_selectorILNS1_17partition_subalgoE8EfNS0_10empty_typeEbEEZZNS1_14partition_implILS5_8ELb0ES3_jN6thrust23THRUST_200600_302600_NS6detail15normal_iteratorINSA_10device_ptrIfEEEEPS6_PKS6_NS0_5tupleIJSF_S6_EEENSJ_IJSG_SG_EEENS0_18inequality_wrapperI22is_equal_div_10_uniqueIfEEEPmJS6_EEE10hipError_tPvRmT3_T4_T5_T6_T7_T9_mT8_P12ihipStream_tbDpT10_ENKUlT_T0_E_clISt17integral_constantIbLb1EES19_IbLb0EEEEDaS15_S16_EUlS15_E_NS1_11comp_targetILNS1_3genE8ELNS1_11target_archE1030ELNS1_3gpuE2ELNS1_3repE0EEENS1_30default_config_static_selectorELNS0_4arch9wavefront6targetE1EEEvT1_.numbered_sgpr, 0
	.set _ZN7rocprim17ROCPRIM_400000_NS6detail17trampoline_kernelINS0_14default_configENS1_25partition_config_selectorILNS1_17partition_subalgoE8EfNS0_10empty_typeEbEEZZNS1_14partition_implILS5_8ELb0ES3_jN6thrust23THRUST_200600_302600_NS6detail15normal_iteratorINSA_10device_ptrIfEEEEPS6_PKS6_NS0_5tupleIJSF_S6_EEENSJ_IJSG_SG_EEENS0_18inequality_wrapperI22is_equal_div_10_uniqueIfEEEPmJS6_EEE10hipError_tPvRmT3_T4_T5_T6_T7_T9_mT8_P12ihipStream_tbDpT10_ENKUlT_T0_E_clISt17integral_constantIbLb1EES19_IbLb0EEEEDaS15_S16_EUlS15_E_NS1_11comp_targetILNS1_3genE8ELNS1_11target_archE1030ELNS1_3gpuE2ELNS1_3repE0EEENS1_30default_config_static_selectorELNS0_4arch9wavefront6targetE1EEEvT1_.num_named_barrier, 0
	.set _ZN7rocprim17ROCPRIM_400000_NS6detail17trampoline_kernelINS0_14default_configENS1_25partition_config_selectorILNS1_17partition_subalgoE8EfNS0_10empty_typeEbEEZZNS1_14partition_implILS5_8ELb0ES3_jN6thrust23THRUST_200600_302600_NS6detail15normal_iteratorINSA_10device_ptrIfEEEEPS6_PKS6_NS0_5tupleIJSF_S6_EEENSJ_IJSG_SG_EEENS0_18inequality_wrapperI22is_equal_div_10_uniqueIfEEEPmJS6_EEE10hipError_tPvRmT3_T4_T5_T6_T7_T9_mT8_P12ihipStream_tbDpT10_ENKUlT_T0_E_clISt17integral_constantIbLb1EES19_IbLb0EEEEDaS15_S16_EUlS15_E_NS1_11comp_targetILNS1_3genE8ELNS1_11target_archE1030ELNS1_3gpuE2ELNS1_3repE0EEENS1_30default_config_static_selectorELNS0_4arch9wavefront6targetE1EEEvT1_.private_seg_size, 0
	.set _ZN7rocprim17ROCPRIM_400000_NS6detail17trampoline_kernelINS0_14default_configENS1_25partition_config_selectorILNS1_17partition_subalgoE8EfNS0_10empty_typeEbEEZZNS1_14partition_implILS5_8ELb0ES3_jN6thrust23THRUST_200600_302600_NS6detail15normal_iteratorINSA_10device_ptrIfEEEEPS6_PKS6_NS0_5tupleIJSF_S6_EEENSJ_IJSG_SG_EEENS0_18inequality_wrapperI22is_equal_div_10_uniqueIfEEEPmJS6_EEE10hipError_tPvRmT3_T4_T5_T6_T7_T9_mT8_P12ihipStream_tbDpT10_ENKUlT_T0_E_clISt17integral_constantIbLb1EES19_IbLb0EEEEDaS15_S16_EUlS15_E_NS1_11comp_targetILNS1_3genE8ELNS1_11target_archE1030ELNS1_3gpuE2ELNS1_3repE0EEENS1_30default_config_static_selectorELNS0_4arch9wavefront6targetE1EEEvT1_.uses_vcc, 0
	.set _ZN7rocprim17ROCPRIM_400000_NS6detail17trampoline_kernelINS0_14default_configENS1_25partition_config_selectorILNS1_17partition_subalgoE8EfNS0_10empty_typeEbEEZZNS1_14partition_implILS5_8ELb0ES3_jN6thrust23THRUST_200600_302600_NS6detail15normal_iteratorINSA_10device_ptrIfEEEEPS6_PKS6_NS0_5tupleIJSF_S6_EEENSJ_IJSG_SG_EEENS0_18inequality_wrapperI22is_equal_div_10_uniqueIfEEEPmJS6_EEE10hipError_tPvRmT3_T4_T5_T6_T7_T9_mT8_P12ihipStream_tbDpT10_ENKUlT_T0_E_clISt17integral_constantIbLb1EES19_IbLb0EEEEDaS15_S16_EUlS15_E_NS1_11comp_targetILNS1_3genE8ELNS1_11target_archE1030ELNS1_3gpuE2ELNS1_3repE0EEENS1_30default_config_static_selectorELNS0_4arch9wavefront6targetE1EEEvT1_.uses_flat_scratch, 0
	.set _ZN7rocprim17ROCPRIM_400000_NS6detail17trampoline_kernelINS0_14default_configENS1_25partition_config_selectorILNS1_17partition_subalgoE8EfNS0_10empty_typeEbEEZZNS1_14partition_implILS5_8ELb0ES3_jN6thrust23THRUST_200600_302600_NS6detail15normal_iteratorINSA_10device_ptrIfEEEEPS6_PKS6_NS0_5tupleIJSF_S6_EEENSJ_IJSG_SG_EEENS0_18inequality_wrapperI22is_equal_div_10_uniqueIfEEEPmJS6_EEE10hipError_tPvRmT3_T4_T5_T6_T7_T9_mT8_P12ihipStream_tbDpT10_ENKUlT_T0_E_clISt17integral_constantIbLb1EES19_IbLb0EEEEDaS15_S16_EUlS15_E_NS1_11comp_targetILNS1_3genE8ELNS1_11target_archE1030ELNS1_3gpuE2ELNS1_3repE0EEENS1_30default_config_static_selectorELNS0_4arch9wavefront6targetE1EEEvT1_.has_dyn_sized_stack, 0
	.set _ZN7rocprim17ROCPRIM_400000_NS6detail17trampoline_kernelINS0_14default_configENS1_25partition_config_selectorILNS1_17partition_subalgoE8EfNS0_10empty_typeEbEEZZNS1_14partition_implILS5_8ELb0ES3_jN6thrust23THRUST_200600_302600_NS6detail15normal_iteratorINSA_10device_ptrIfEEEEPS6_PKS6_NS0_5tupleIJSF_S6_EEENSJ_IJSG_SG_EEENS0_18inequality_wrapperI22is_equal_div_10_uniqueIfEEEPmJS6_EEE10hipError_tPvRmT3_T4_T5_T6_T7_T9_mT8_P12ihipStream_tbDpT10_ENKUlT_T0_E_clISt17integral_constantIbLb1EES19_IbLb0EEEEDaS15_S16_EUlS15_E_NS1_11comp_targetILNS1_3genE8ELNS1_11target_archE1030ELNS1_3gpuE2ELNS1_3repE0EEENS1_30default_config_static_selectorELNS0_4arch9wavefront6targetE1EEEvT1_.has_recursion, 0
	.set _ZN7rocprim17ROCPRIM_400000_NS6detail17trampoline_kernelINS0_14default_configENS1_25partition_config_selectorILNS1_17partition_subalgoE8EfNS0_10empty_typeEbEEZZNS1_14partition_implILS5_8ELb0ES3_jN6thrust23THRUST_200600_302600_NS6detail15normal_iteratorINSA_10device_ptrIfEEEEPS6_PKS6_NS0_5tupleIJSF_S6_EEENSJ_IJSG_SG_EEENS0_18inequality_wrapperI22is_equal_div_10_uniqueIfEEEPmJS6_EEE10hipError_tPvRmT3_T4_T5_T6_T7_T9_mT8_P12ihipStream_tbDpT10_ENKUlT_T0_E_clISt17integral_constantIbLb1EES19_IbLb0EEEEDaS15_S16_EUlS15_E_NS1_11comp_targetILNS1_3genE8ELNS1_11target_archE1030ELNS1_3gpuE2ELNS1_3repE0EEENS1_30default_config_static_selectorELNS0_4arch9wavefront6targetE1EEEvT1_.has_indirect_call, 0
	.section	.AMDGPU.csdata,"",@progbits
; Kernel info:
; codeLenInByte = 0
; TotalNumSgprs: 4
; NumVgprs: 0
; ScratchSize: 0
; MemoryBound: 0
; FloatMode: 240
; IeeeMode: 1
; LDSByteSize: 0 bytes/workgroup (compile time only)
; SGPRBlocks: 0
; VGPRBlocks: 0
; NumSGPRsForWavesPerEU: 4
; NumVGPRsForWavesPerEU: 1
; Occupancy: 10
; WaveLimiterHint : 0
; COMPUTE_PGM_RSRC2:SCRATCH_EN: 0
; COMPUTE_PGM_RSRC2:USER_SGPR: 6
; COMPUTE_PGM_RSRC2:TRAP_HANDLER: 0
; COMPUTE_PGM_RSRC2:TGID_X_EN: 1
; COMPUTE_PGM_RSRC2:TGID_Y_EN: 0
; COMPUTE_PGM_RSRC2:TGID_Z_EN: 0
; COMPUTE_PGM_RSRC2:TIDIG_COMP_CNT: 0
	.section	.text._ZN7rocprim17ROCPRIM_400000_NS6detail17trampoline_kernelINS0_14default_configENS1_25partition_config_selectorILNS1_17partition_subalgoE8EfNS0_10empty_typeEbEEZZNS1_14partition_implILS5_8ELb0ES3_jN6thrust23THRUST_200600_302600_NS6detail15normal_iteratorINSA_10device_ptrIfEEEEPS6_PKS6_NS0_5tupleIJSF_S6_EEENSJ_IJSG_SG_EEENS0_18inequality_wrapperI22is_equal_div_10_uniqueIfEEEPmJS6_EEE10hipError_tPvRmT3_T4_T5_T6_T7_T9_mT8_P12ihipStream_tbDpT10_ENKUlT_T0_E_clISt17integral_constantIbLb0EES19_IbLb1EEEEDaS15_S16_EUlS15_E_NS1_11comp_targetILNS1_3genE0ELNS1_11target_archE4294967295ELNS1_3gpuE0ELNS1_3repE0EEENS1_30default_config_static_selectorELNS0_4arch9wavefront6targetE1EEEvT1_,"axG",@progbits,_ZN7rocprim17ROCPRIM_400000_NS6detail17trampoline_kernelINS0_14default_configENS1_25partition_config_selectorILNS1_17partition_subalgoE8EfNS0_10empty_typeEbEEZZNS1_14partition_implILS5_8ELb0ES3_jN6thrust23THRUST_200600_302600_NS6detail15normal_iteratorINSA_10device_ptrIfEEEEPS6_PKS6_NS0_5tupleIJSF_S6_EEENSJ_IJSG_SG_EEENS0_18inequality_wrapperI22is_equal_div_10_uniqueIfEEEPmJS6_EEE10hipError_tPvRmT3_T4_T5_T6_T7_T9_mT8_P12ihipStream_tbDpT10_ENKUlT_T0_E_clISt17integral_constantIbLb0EES19_IbLb1EEEEDaS15_S16_EUlS15_E_NS1_11comp_targetILNS1_3genE0ELNS1_11target_archE4294967295ELNS1_3gpuE0ELNS1_3repE0EEENS1_30default_config_static_selectorELNS0_4arch9wavefront6targetE1EEEvT1_,comdat
	.protected	_ZN7rocprim17ROCPRIM_400000_NS6detail17trampoline_kernelINS0_14default_configENS1_25partition_config_selectorILNS1_17partition_subalgoE8EfNS0_10empty_typeEbEEZZNS1_14partition_implILS5_8ELb0ES3_jN6thrust23THRUST_200600_302600_NS6detail15normal_iteratorINSA_10device_ptrIfEEEEPS6_PKS6_NS0_5tupleIJSF_S6_EEENSJ_IJSG_SG_EEENS0_18inequality_wrapperI22is_equal_div_10_uniqueIfEEEPmJS6_EEE10hipError_tPvRmT3_T4_T5_T6_T7_T9_mT8_P12ihipStream_tbDpT10_ENKUlT_T0_E_clISt17integral_constantIbLb0EES19_IbLb1EEEEDaS15_S16_EUlS15_E_NS1_11comp_targetILNS1_3genE0ELNS1_11target_archE4294967295ELNS1_3gpuE0ELNS1_3repE0EEENS1_30default_config_static_selectorELNS0_4arch9wavefront6targetE1EEEvT1_ ; -- Begin function _ZN7rocprim17ROCPRIM_400000_NS6detail17trampoline_kernelINS0_14default_configENS1_25partition_config_selectorILNS1_17partition_subalgoE8EfNS0_10empty_typeEbEEZZNS1_14partition_implILS5_8ELb0ES3_jN6thrust23THRUST_200600_302600_NS6detail15normal_iteratorINSA_10device_ptrIfEEEEPS6_PKS6_NS0_5tupleIJSF_S6_EEENSJ_IJSG_SG_EEENS0_18inequality_wrapperI22is_equal_div_10_uniqueIfEEEPmJS6_EEE10hipError_tPvRmT3_T4_T5_T6_T7_T9_mT8_P12ihipStream_tbDpT10_ENKUlT_T0_E_clISt17integral_constantIbLb0EES19_IbLb1EEEEDaS15_S16_EUlS15_E_NS1_11comp_targetILNS1_3genE0ELNS1_11target_archE4294967295ELNS1_3gpuE0ELNS1_3repE0EEENS1_30default_config_static_selectorELNS0_4arch9wavefront6targetE1EEEvT1_
	.globl	_ZN7rocprim17ROCPRIM_400000_NS6detail17trampoline_kernelINS0_14default_configENS1_25partition_config_selectorILNS1_17partition_subalgoE8EfNS0_10empty_typeEbEEZZNS1_14partition_implILS5_8ELb0ES3_jN6thrust23THRUST_200600_302600_NS6detail15normal_iteratorINSA_10device_ptrIfEEEEPS6_PKS6_NS0_5tupleIJSF_S6_EEENSJ_IJSG_SG_EEENS0_18inequality_wrapperI22is_equal_div_10_uniqueIfEEEPmJS6_EEE10hipError_tPvRmT3_T4_T5_T6_T7_T9_mT8_P12ihipStream_tbDpT10_ENKUlT_T0_E_clISt17integral_constantIbLb0EES19_IbLb1EEEEDaS15_S16_EUlS15_E_NS1_11comp_targetILNS1_3genE0ELNS1_11target_archE4294967295ELNS1_3gpuE0ELNS1_3repE0EEENS1_30default_config_static_selectorELNS0_4arch9wavefront6targetE1EEEvT1_
	.p2align	8
	.type	_ZN7rocprim17ROCPRIM_400000_NS6detail17trampoline_kernelINS0_14default_configENS1_25partition_config_selectorILNS1_17partition_subalgoE8EfNS0_10empty_typeEbEEZZNS1_14partition_implILS5_8ELb0ES3_jN6thrust23THRUST_200600_302600_NS6detail15normal_iteratorINSA_10device_ptrIfEEEEPS6_PKS6_NS0_5tupleIJSF_S6_EEENSJ_IJSG_SG_EEENS0_18inequality_wrapperI22is_equal_div_10_uniqueIfEEEPmJS6_EEE10hipError_tPvRmT3_T4_T5_T6_T7_T9_mT8_P12ihipStream_tbDpT10_ENKUlT_T0_E_clISt17integral_constantIbLb0EES19_IbLb1EEEEDaS15_S16_EUlS15_E_NS1_11comp_targetILNS1_3genE0ELNS1_11target_archE4294967295ELNS1_3gpuE0ELNS1_3repE0EEENS1_30default_config_static_selectorELNS0_4arch9wavefront6targetE1EEEvT1_,@function
_ZN7rocprim17ROCPRIM_400000_NS6detail17trampoline_kernelINS0_14default_configENS1_25partition_config_selectorILNS1_17partition_subalgoE8EfNS0_10empty_typeEbEEZZNS1_14partition_implILS5_8ELb0ES3_jN6thrust23THRUST_200600_302600_NS6detail15normal_iteratorINSA_10device_ptrIfEEEEPS6_PKS6_NS0_5tupleIJSF_S6_EEENSJ_IJSG_SG_EEENS0_18inequality_wrapperI22is_equal_div_10_uniqueIfEEEPmJS6_EEE10hipError_tPvRmT3_T4_T5_T6_T7_T9_mT8_P12ihipStream_tbDpT10_ENKUlT_T0_E_clISt17integral_constantIbLb0EES19_IbLb1EEEEDaS15_S16_EUlS15_E_NS1_11comp_targetILNS1_3genE0ELNS1_11target_archE4294967295ELNS1_3gpuE0ELNS1_3repE0EEENS1_30default_config_static_selectorELNS0_4arch9wavefront6targetE1EEEvT1_: ; @_ZN7rocprim17ROCPRIM_400000_NS6detail17trampoline_kernelINS0_14default_configENS1_25partition_config_selectorILNS1_17partition_subalgoE8EfNS0_10empty_typeEbEEZZNS1_14partition_implILS5_8ELb0ES3_jN6thrust23THRUST_200600_302600_NS6detail15normal_iteratorINSA_10device_ptrIfEEEEPS6_PKS6_NS0_5tupleIJSF_S6_EEENSJ_IJSG_SG_EEENS0_18inequality_wrapperI22is_equal_div_10_uniqueIfEEEPmJS6_EEE10hipError_tPvRmT3_T4_T5_T6_T7_T9_mT8_P12ihipStream_tbDpT10_ENKUlT_T0_E_clISt17integral_constantIbLb0EES19_IbLb1EEEEDaS15_S16_EUlS15_E_NS1_11comp_targetILNS1_3genE0ELNS1_11target_archE4294967295ELNS1_3gpuE0ELNS1_3repE0EEENS1_30default_config_static_selectorELNS0_4arch9wavefront6targetE1EEEvT1_
; %bb.0:
	.section	.rodata,"a",@progbits
	.p2align	6, 0x0
	.amdhsa_kernel _ZN7rocprim17ROCPRIM_400000_NS6detail17trampoline_kernelINS0_14default_configENS1_25partition_config_selectorILNS1_17partition_subalgoE8EfNS0_10empty_typeEbEEZZNS1_14partition_implILS5_8ELb0ES3_jN6thrust23THRUST_200600_302600_NS6detail15normal_iteratorINSA_10device_ptrIfEEEEPS6_PKS6_NS0_5tupleIJSF_S6_EEENSJ_IJSG_SG_EEENS0_18inequality_wrapperI22is_equal_div_10_uniqueIfEEEPmJS6_EEE10hipError_tPvRmT3_T4_T5_T6_T7_T9_mT8_P12ihipStream_tbDpT10_ENKUlT_T0_E_clISt17integral_constantIbLb0EES19_IbLb1EEEEDaS15_S16_EUlS15_E_NS1_11comp_targetILNS1_3genE0ELNS1_11target_archE4294967295ELNS1_3gpuE0ELNS1_3repE0EEENS1_30default_config_static_selectorELNS0_4arch9wavefront6targetE1EEEvT1_
		.amdhsa_group_segment_fixed_size 0
		.amdhsa_private_segment_fixed_size 0
		.amdhsa_kernarg_size 128
		.amdhsa_user_sgpr_count 6
		.amdhsa_user_sgpr_private_segment_buffer 1
		.amdhsa_user_sgpr_dispatch_ptr 0
		.amdhsa_user_sgpr_queue_ptr 0
		.amdhsa_user_sgpr_kernarg_segment_ptr 1
		.amdhsa_user_sgpr_dispatch_id 0
		.amdhsa_user_sgpr_flat_scratch_init 0
		.amdhsa_user_sgpr_private_segment_size 0
		.amdhsa_uses_dynamic_stack 0
		.amdhsa_system_sgpr_private_segment_wavefront_offset 0
		.amdhsa_system_sgpr_workgroup_id_x 1
		.amdhsa_system_sgpr_workgroup_id_y 0
		.amdhsa_system_sgpr_workgroup_id_z 0
		.amdhsa_system_sgpr_workgroup_info 0
		.amdhsa_system_vgpr_workitem_id 0
		.amdhsa_next_free_vgpr 1
		.amdhsa_next_free_sgpr 0
		.amdhsa_reserve_vcc 0
		.amdhsa_reserve_flat_scratch 0
		.amdhsa_float_round_mode_32 0
		.amdhsa_float_round_mode_16_64 0
		.amdhsa_float_denorm_mode_32 3
		.amdhsa_float_denorm_mode_16_64 3
		.amdhsa_dx10_clamp 1
		.amdhsa_ieee_mode 1
		.amdhsa_fp16_overflow 0
		.amdhsa_exception_fp_ieee_invalid_op 0
		.amdhsa_exception_fp_denorm_src 0
		.amdhsa_exception_fp_ieee_div_zero 0
		.amdhsa_exception_fp_ieee_overflow 0
		.amdhsa_exception_fp_ieee_underflow 0
		.amdhsa_exception_fp_ieee_inexact 0
		.amdhsa_exception_int_div_zero 0
	.end_amdhsa_kernel
	.section	.text._ZN7rocprim17ROCPRIM_400000_NS6detail17trampoline_kernelINS0_14default_configENS1_25partition_config_selectorILNS1_17partition_subalgoE8EfNS0_10empty_typeEbEEZZNS1_14partition_implILS5_8ELb0ES3_jN6thrust23THRUST_200600_302600_NS6detail15normal_iteratorINSA_10device_ptrIfEEEEPS6_PKS6_NS0_5tupleIJSF_S6_EEENSJ_IJSG_SG_EEENS0_18inequality_wrapperI22is_equal_div_10_uniqueIfEEEPmJS6_EEE10hipError_tPvRmT3_T4_T5_T6_T7_T9_mT8_P12ihipStream_tbDpT10_ENKUlT_T0_E_clISt17integral_constantIbLb0EES19_IbLb1EEEEDaS15_S16_EUlS15_E_NS1_11comp_targetILNS1_3genE0ELNS1_11target_archE4294967295ELNS1_3gpuE0ELNS1_3repE0EEENS1_30default_config_static_selectorELNS0_4arch9wavefront6targetE1EEEvT1_,"axG",@progbits,_ZN7rocprim17ROCPRIM_400000_NS6detail17trampoline_kernelINS0_14default_configENS1_25partition_config_selectorILNS1_17partition_subalgoE8EfNS0_10empty_typeEbEEZZNS1_14partition_implILS5_8ELb0ES3_jN6thrust23THRUST_200600_302600_NS6detail15normal_iteratorINSA_10device_ptrIfEEEEPS6_PKS6_NS0_5tupleIJSF_S6_EEENSJ_IJSG_SG_EEENS0_18inequality_wrapperI22is_equal_div_10_uniqueIfEEEPmJS6_EEE10hipError_tPvRmT3_T4_T5_T6_T7_T9_mT8_P12ihipStream_tbDpT10_ENKUlT_T0_E_clISt17integral_constantIbLb0EES19_IbLb1EEEEDaS15_S16_EUlS15_E_NS1_11comp_targetILNS1_3genE0ELNS1_11target_archE4294967295ELNS1_3gpuE0ELNS1_3repE0EEENS1_30default_config_static_selectorELNS0_4arch9wavefront6targetE1EEEvT1_,comdat
.Lfunc_end136:
	.size	_ZN7rocprim17ROCPRIM_400000_NS6detail17trampoline_kernelINS0_14default_configENS1_25partition_config_selectorILNS1_17partition_subalgoE8EfNS0_10empty_typeEbEEZZNS1_14partition_implILS5_8ELb0ES3_jN6thrust23THRUST_200600_302600_NS6detail15normal_iteratorINSA_10device_ptrIfEEEEPS6_PKS6_NS0_5tupleIJSF_S6_EEENSJ_IJSG_SG_EEENS0_18inequality_wrapperI22is_equal_div_10_uniqueIfEEEPmJS6_EEE10hipError_tPvRmT3_T4_T5_T6_T7_T9_mT8_P12ihipStream_tbDpT10_ENKUlT_T0_E_clISt17integral_constantIbLb0EES19_IbLb1EEEEDaS15_S16_EUlS15_E_NS1_11comp_targetILNS1_3genE0ELNS1_11target_archE4294967295ELNS1_3gpuE0ELNS1_3repE0EEENS1_30default_config_static_selectorELNS0_4arch9wavefront6targetE1EEEvT1_, .Lfunc_end136-_ZN7rocprim17ROCPRIM_400000_NS6detail17trampoline_kernelINS0_14default_configENS1_25partition_config_selectorILNS1_17partition_subalgoE8EfNS0_10empty_typeEbEEZZNS1_14partition_implILS5_8ELb0ES3_jN6thrust23THRUST_200600_302600_NS6detail15normal_iteratorINSA_10device_ptrIfEEEEPS6_PKS6_NS0_5tupleIJSF_S6_EEENSJ_IJSG_SG_EEENS0_18inequality_wrapperI22is_equal_div_10_uniqueIfEEEPmJS6_EEE10hipError_tPvRmT3_T4_T5_T6_T7_T9_mT8_P12ihipStream_tbDpT10_ENKUlT_T0_E_clISt17integral_constantIbLb0EES19_IbLb1EEEEDaS15_S16_EUlS15_E_NS1_11comp_targetILNS1_3genE0ELNS1_11target_archE4294967295ELNS1_3gpuE0ELNS1_3repE0EEENS1_30default_config_static_selectorELNS0_4arch9wavefront6targetE1EEEvT1_
                                        ; -- End function
	.set _ZN7rocprim17ROCPRIM_400000_NS6detail17trampoline_kernelINS0_14default_configENS1_25partition_config_selectorILNS1_17partition_subalgoE8EfNS0_10empty_typeEbEEZZNS1_14partition_implILS5_8ELb0ES3_jN6thrust23THRUST_200600_302600_NS6detail15normal_iteratorINSA_10device_ptrIfEEEEPS6_PKS6_NS0_5tupleIJSF_S6_EEENSJ_IJSG_SG_EEENS0_18inequality_wrapperI22is_equal_div_10_uniqueIfEEEPmJS6_EEE10hipError_tPvRmT3_T4_T5_T6_T7_T9_mT8_P12ihipStream_tbDpT10_ENKUlT_T0_E_clISt17integral_constantIbLb0EES19_IbLb1EEEEDaS15_S16_EUlS15_E_NS1_11comp_targetILNS1_3genE0ELNS1_11target_archE4294967295ELNS1_3gpuE0ELNS1_3repE0EEENS1_30default_config_static_selectorELNS0_4arch9wavefront6targetE1EEEvT1_.num_vgpr, 0
	.set _ZN7rocprim17ROCPRIM_400000_NS6detail17trampoline_kernelINS0_14default_configENS1_25partition_config_selectorILNS1_17partition_subalgoE8EfNS0_10empty_typeEbEEZZNS1_14partition_implILS5_8ELb0ES3_jN6thrust23THRUST_200600_302600_NS6detail15normal_iteratorINSA_10device_ptrIfEEEEPS6_PKS6_NS0_5tupleIJSF_S6_EEENSJ_IJSG_SG_EEENS0_18inequality_wrapperI22is_equal_div_10_uniqueIfEEEPmJS6_EEE10hipError_tPvRmT3_T4_T5_T6_T7_T9_mT8_P12ihipStream_tbDpT10_ENKUlT_T0_E_clISt17integral_constantIbLb0EES19_IbLb1EEEEDaS15_S16_EUlS15_E_NS1_11comp_targetILNS1_3genE0ELNS1_11target_archE4294967295ELNS1_3gpuE0ELNS1_3repE0EEENS1_30default_config_static_selectorELNS0_4arch9wavefront6targetE1EEEvT1_.num_agpr, 0
	.set _ZN7rocprim17ROCPRIM_400000_NS6detail17trampoline_kernelINS0_14default_configENS1_25partition_config_selectorILNS1_17partition_subalgoE8EfNS0_10empty_typeEbEEZZNS1_14partition_implILS5_8ELb0ES3_jN6thrust23THRUST_200600_302600_NS6detail15normal_iteratorINSA_10device_ptrIfEEEEPS6_PKS6_NS0_5tupleIJSF_S6_EEENSJ_IJSG_SG_EEENS0_18inequality_wrapperI22is_equal_div_10_uniqueIfEEEPmJS6_EEE10hipError_tPvRmT3_T4_T5_T6_T7_T9_mT8_P12ihipStream_tbDpT10_ENKUlT_T0_E_clISt17integral_constantIbLb0EES19_IbLb1EEEEDaS15_S16_EUlS15_E_NS1_11comp_targetILNS1_3genE0ELNS1_11target_archE4294967295ELNS1_3gpuE0ELNS1_3repE0EEENS1_30default_config_static_selectorELNS0_4arch9wavefront6targetE1EEEvT1_.numbered_sgpr, 0
	.set _ZN7rocprim17ROCPRIM_400000_NS6detail17trampoline_kernelINS0_14default_configENS1_25partition_config_selectorILNS1_17partition_subalgoE8EfNS0_10empty_typeEbEEZZNS1_14partition_implILS5_8ELb0ES3_jN6thrust23THRUST_200600_302600_NS6detail15normal_iteratorINSA_10device_ptrIfEEEEPS6_PKS6_NS0_5tupleIJSF_S6_EEENSJ_IJSG_SG_EEENS0_18inequality_wrapperI22is_equal_div_10_uniqueIfEEEPmJS6_EEE10hipError_tPvRmT3_T4_T5_T6_T7_T9_mT8_P12ihipStream_tbDpT10_ENKUlT_T0_E_clISt17integral_constantIbLb0EES19_IbLb1EEEEDaS15_S16_EUlS15_E_NS1_11comp_targetILNS1_3genE0ELNS1_11target_archE4294967295ELNS1_3gpuE0ELNS1_3repE0EEENS1_30default_config_static_selectorELNS0_4arch9wavefront6targetE1EEEvT1_.num_named_barrier, 0
	.set _ZN7rocprim17ROCPRIM_400000_NS6detail17trampoline_kernelINS0_14default_configENS1_25partition_config_selectorILNS1_17partition_subalgoE8EfNS0_10empty_typeEbEEZZNS1_14partition_implILS5_8ELb0ES3_jN6thrust23THRUST_200600_302600_NS6detail15normal_iteratorINSA_10device_ptrIfEEEEPS6_PKS6_NS0_5tupleIJSF_S6_EEENSJ_IJSG_SG_EEENS0_18inequality_wrapperI22is_equal_div_10_uniqueIfEEEPmJS6_EEE10hipError_tPvRmT3_T4_T5_T6_T7_T9_mT8_P12ihipStream_tbDpT10_ENKUlT_T0_E_clISt17integral_constantIbLb0EES19_IbLb1EEEEDaS15_S16_EUlS15_E_NS1_11comp_targetILNS1_3genE0ELNS1_11target_archE4294967295ELNS1_3gpuE0ELNS1_3repE0EEENS1_30default_config_static_selectorELNS0_4arch9wavefront6targetE1EEEvT1_.private_seg_size, 0
	.set _ZN7rocprim17ROCPRIM_400000_NS6detail17trampoline_kernelINS0_14default_configENS1_25partition_config_selectorILNS1_17partition_subalgoE8EfNS0_10empty_typeEbEEZZNS1_14partition_implILS5_8ELb0ES3_jN6thrust23THRUST_200600_302600_NS6detail15normal_iteratorINSA_10device_ptrIfEEEEPS6_PKS6_NS0_5tupleIJSF_S6_EEENSJ_IJSG_SG_EEENS0_18inequality_wrapperI22is_equal_div_10_uniqueIfEEEPmJS6_EEE10hipError_tPvRmT3_T4_T5_T6_T7_T9_mT8_P12ihipStream_tbDpT10_ENKUlT_T0_E_clISt17integral_constantIbLb0EES19_IbLb1EEEEDaS15_S16_EUlS15_E_NS1_11comp_targetILNS1_3genE0ELNS1_11target_archE4294967295ELNS1_3gpuE0ELNS1_3repE0EEENS1_30default_config_static_selectorELNS0_4arch9wavefront6targetE1EEEvT1_.uses_vcc, 0
	.set _ZN7rocprim17ROCPRIM_400000_NS6detail17trampoline_kernelINS0_14default_configENS1_25partition_config_selectorILNS1_17partition_subalgoE8EfNS0_10empty_typeEbEEZZNS1_14partition_implILS5_8ELb0ES3_jN6thrust23THRUST_200600_302600_NS6detail15normal_iteratorINSA_10device_ptrIfEEEEPS6_PKS6_NS0_5tupleIJSF_S6_EEENSJ_IJSG_SG_EEENS0_18inequality_wrapperI22is_equal_div_10_uniqueIfEEEPmJS6_EEE10hipError_tPvRmT3_T4_T5_T6_T7_T9_mT8_P12ihipStream_tbDpT10_ENKUlT_T0_E_clISt17integral_constantIbLb0EES19_IbLb1EEEEDaS15_S16_EUlS15_E_NS1_11comp_targetILNS1_3genE0ELNS1_11target_archE4294967295ELNS1_3gpuE0ELNS1_3repE0EEENS1_30default_config_static_selectorELNS0_4arch9wavefront6targetE1EEEvT1_.uses_flat_scratch, 0
	.set _ZN7rocprim17ROCPRIM_400000_NS6detail17trampoline_kernelINS0_14default_configENS1_25partition_config_selectorILNS1_17partition_subalgoE8EfNS0_10empty_typeEbEEZZNS1_14partition_implILS5_8ELb0ES3_jN6thrust23THRUST_200600_302600_NS6detail15normal_iteratorINSA_10device_ptrIfEEEEPS6_PKS6_NS0_5tupleIJSF_S6_EEENSJ_IJSG_SG_EEENS0_18inequality_wrapperI22is_equal_div_10_uniqueIfEEEPmJS6_EEE10hipError_tPvRmT3_T4_T5_T6_T7_T9_mT8_P12ihipStream_tbDpT10_ENKUlT_T0_E_clISt17integral_constantIbLb0EES19_IbLb1EEEEDaS15_S16_EUlS15_E_NS1_11comp_targetILNS1_3genE0ELNS1_11target_archE4294967295ELNS1_3gpuE0ELNS1_3repE0EEENS1_30default_config_static_selectorELNS0_4arch9wavefront6targetE1EEEvT1_.has_dyn_sized_stack, 0
	.set _ZN7rocprim17ROCPRIM_400000_NS6detail17trampoline_kernelINS0_14default_configENS1_25partition_config_selectorILNS1_17partition_subalgoE8EfNS0_10empty_typeEbEEZZNS1_14partition_implILS5_8ELb0ES3_jN6thrust23THRUST_200600_302600_NS6detail15normal_iteratorINSA_10device_ptrIfEEEEPS6_PKS6_NS0_5tupleIJSF_S6_EEENSJ_IJSG_SG_EEENS0_18inequality_wrapperI22is_equal_div_10_uniqueIfEEEPmJS6_EEE10hipError_tPvRmT3_T4_T5_T6_T7_T9_mT8_P12ihipStream_tbDpT10_ENKUlT_T0_E_clISt17integral_constantIbLb0EES19_IbLb1EEEEDaS15_S16_EUlS15_E_NS1_11comp_targetILNS1_3genE0ELNS1_11target_archE4294967295ELNS1_3gpuE0ELNS1_3repE0EEENS1_30default_config_static_selectorELNS0_4arch9wavefront6targetE1EEEvT1_.has_recursion, 0
	.set _ZN7rocprim17ROCPRIM_400000_NS6detail17trampoline_kernelINS0_14default_configENS1_25partition_config_selectorILNS1_17partition_subalgoE8EfNS0_10empty_typeEbEEZZNS1_14partition_implILS5_8ELb0ES3_jN6thrust23THRUST_200600_302600_NS6detail15normal_iteratorINSA_10device_ptrIfEEEEPS6_PKS6_NS0_5tupleIJSF_S6_EEENSJ_IJSG_SG_EEENS0_18inequality_wrapperI22is_equal_div_10_uniqueIfEEEPmJS6_EEE10hipError_tPvRmT3_T4_T5_T6_T7_T9_mT8_P12ihipStream_tbDpT10_ENKUlT_T0_E_clISt17integral_constantIbLb0EES19_IbLb1EEEEDaS15_S16_EUlS15_E_NS1_11comp_targetILNS1_3genE0ELNS1_11target_archE4294967295ELNS1_3gpuE0ELNS1_3repE0EEENS1_30default_config_static_selectorELNS0_4arch9wavefront6targetE1EEEvT1_.has_indirect_call, 0
	.section	.AMDGPU.csdata,"",@progbits
; Kernel info:
; codeLenInByte = 0
; TotalNumSgprs: 4
; NumVgprs: 0
; ScratchSize: 0
; MemoryBound: 0
; FloatMode: 240
; IeeeMode: 1
; LDSByteSize: 0 bytes/workgroup (compile time only)
; SGPRBlocks: 0
; VGPRBlocks: 0
; NumSGPRsForWavesPerEU: 4
; NumVGPRsForWavesPerEU: 1
; Occupancy: 10
; WaveLimiterHint : 0
; COMPUTE_PGM_RSRC2:SCRATCH_EN: 0
; COMPUTE_PGM_RSRC2:USER_SGPR: 6
; COMPUTE_PGM_RSRC2:TRAP_HANDLER: 0
; COMPUTE_PGM_RSRC2:TGID_X_EN: 1
; COMPUTE_PGM_RSRC2:TGID_Y_EN: 0
; COMPUTE_PGM_RSRC2:TGID_Z_EN: 0
; COMPUTE_PGM_RSRC2:TIDIG_COMP_CNT: 0
	.section	.text._ZN7rocprim17ROCPRIM_400000_NS6detail17trampoline_kernelINS0_14default_configENS1_25partition_config_selectorILNS1_17partition_subalgoE8EfNS0_10empty_typeEbEEZZNS1_14partition_implILS5_8ELb0ES3_jN6thrust23THRUST_200600_302600_NS6detail15normal_iteratorINSA_10device_ptrIfEEEEPS6_PKS6_NS0_5tupleIJSF_S6_EEENSJ_IJSG_SG_EEENS0_18inequality_wrapperI22is_equal_div_10_uniqueIfEEEPmJS6_EEE10hipError_tPvRmT3_T4_T5_T6_T7_T9_mT8_P12ihipStream_tbDpT10_ENKUlT_T0_E_clISt17integral_constantIbLb0EES19_IbLb1EEEEDaS15_S16_EUlS15_E_NS1_11comp_targetILNS1_3genE5ELNS1_11target_archE942ELNS1_3gpuE9ELNS1_3repE0EEENS1_30default_config_static_selectorELNS0_4arch9wavefront6targetE1EEEvT1_,"axG",@progbits,_ZN7rocprim17ROCPRIM_400000_NS6detail17trampoline_kernelINS0_14default_configENS1_25partition_config_selectorILNS1_17partition_subalgoE8EfNS0_10empty_typeEbEEZZNS1_14partition_implILS5_8ELb0ES3_jN6thrust23THRUST_200600_302600_NS6detail15normal_iteratorINSA_10device_ptrIfEEEEPS6_PKS6_NS0_5tupleIJSF_S6_EEENSJ_IJSG_SG_EEENS0_18inequality_wrapperI22is_equal_div_10_uniqueIfEEEPmJS6_EEE10hipError_tPvRmT3_T4_T5_T6_T7_T9_mT8_P12ihipStream_tbDpT10_ENKUlT_T0_E_clISt17integral_constantIbLb0EES19_IbLb1EEEEDaS15_S16_EUlS15_E_NS1_11comp_targetILNS1_3genE5ELNS1_11target_archE942ELNS1_3gpuE9ELNS1_3repE0EEENS1_30default_config_static_selectorELNS0_4arch9wavefront6targetE1EEEvT1_,comdat
	.protected	_ZN7rocprim17ROCPRIM_400000_NS6detail17trampoline_kernelINS0_14default_configENS1_25partition_config_selectorILNS1_17partition_subalgoE8EfNS0_10empty_typeEbEEZZNS1_14partition_implILS5_8ELb0ES3_jN6thrust23THRUST_200600_302600_NS6detail15normal_iteratorINSA_10device_ptrIfEEEEPS6_PKS6_NS0_5tupleIJSF_S6_EEENSJ_IJSG_SG_EEENS0_18inequality_wrapperI22is_equal_div_10_uniqueIfEEEPmJS6_EEE10hipError_tPvRmT3_T4_T5_T6_T7_T9_mT8_P12ihipStream_tbDpT10_ENKUlT_T0_E_clISt17integral_constantIbLb0EES19_IbLb1EEEEDaS15_S16_EUlS15_E_NS1_11comp_targetILNS1_3genE5ELNS1_11target_archE942ELNS1_3gpuE9ELNS1_3repE0EEENS1_30default_config_static_selectorELNS0_4arch9wavefront6targetE1EEEvT1_ ; -- Begin function _ZN7rocprim17ROCPRIM_400000_NS6detail17trampoline_kernelINS0_14default_configENS1_25partition_config_selectorILNS1_17partition_subalgoE8EfNS0_10empty_typeEbEEZZNS1_14partition_implILS5_8ELb0ES3_jN6thrust23THRUST_200600_302600_NS6detail15normal_iteratorINSA_10device_ptrIfEEEEPS6_PKS6_NS0_5tupleIJSF_S6_EEENSJ_IJSG_SG_EEENS0_18inequality_wrapperI22is_equal_div_10_uniqueIfEEEPmJS6_EEE10hipError_tPvRmT3_T4_T5_T6_T7_T9_mT8_P12ihipStream_tbDpT10_ENKUlT_T0_E_clISt17integral_constantIbLb0EES19_IbLb1EEEEDaS15_S16_EUlS15_E_NS1_11comp_targetILNS1_3genE5ELNS1_11target_archE942ELNS1_3gpuE9ELNS1_3repE0EEENS1_30default_config_static_selectorELNS0_4arch9wavefront6targetE1EEEvT1_
	.globl	_ZN7rocprim17ROCPRIM_400000_NS6detail17trampoline_kernelINS0_14default_configENS1_25partition_config_selectorILNS1_17partition_subalgoE8EfNS0_10empty_typeEbEEZZNS1_14partition_implILS5_8ELb0ES3_jN6thrust23THRUST_200600_302600_NS6detail15normal_iteratorINSA_10device_ptrIfEEEEPS6_PKS6_NS0_5tupleIJSF_S6_EEENSJ_IJSG_SG_EEENS0_18inequality_wrapperI22is_equal_div_10_uniqueIfEEEPmJS6_EEE10hipError_tPvRmT3_T4_T5_T6_T7_T9_mT8_P12ihipStream_tbDpT10_ENKUlT_T0_E_clISt17integral_constantIbLb0EES19_IbLb1EEEEDaS15_S16_EUlS15_E_NS1_11comp_targetILNS1_3genE5ELNS1_11target_archE942ELNS1_3gpuE9ELNS1_3repE0EEENS1_30default_config_static_selectorELNS0_4arch9wavefront6targetE1EEEvT1_
	.p2align	8
	.type	_ZN7rocprim17ROCPRIM_400000_NS6detail17trampoline_kernelINS0_14default_configENS1_25partition_config_selectorILNS1_17partition_subalgoE8EfNS0_10empty_typeEbEEZZNS1_14partition_implILS5_8ELb0ES3_jN6thrust23THRUST_200600_302600_NS6detail15normal_iteratorINSA_10device_ptrIfEEEEPS6_PKS6_NS0_5tupleIJSF_S6_EEENSJ_IJSG_SG_EEENS0_18inequality_wrapperI22is_equal_div_10_uniqueIfEEEPmJS6_EEE10hipError_tPvRmT3_T4_T5_T6_T7_T9_mT8_P12ihipStream_tbDpT10_ENKUlT_T0_E_clISt17integral_constantIbLb0EES19_IbLb1EEEEDaS15_S16_EUlS15_E_NS1_11comp_targetILNS1_3genE5ELNS1_11target_archE942ELNS1_3gpuE9ELNS1_3repE0EEENS1_30default_config_static_selectorELNS0_4arch9wavefront6targetE1EEEvT1_,@function
_ZN7rocprim17ROCPRIM_400000_NS6detail17trampoline_kernelINS0_14default_configENS1_25partition_config_selectorILNS1_17partition_subalgoE8EfNS0_10empty_typeEbEEZZNS1_14partition_implILS5_8ELb0ES3_jN6thrust23THRUST_200600_302600_NS6detail15normal_iteratorINSA_10device_ptrIfEEEEPS6_PKS6_NS0_5tupleIJSF_S6_EEENSJ_IJSG_SG_EEENS0_18inequality_wrapperI22is_equal_div_10_uniqueIfEEEPmJS6_EEE10hipError_tPvRmT3_T4_T5_T6_T7_T9_mT8_P12ihipStream_tbDpT10_ENKUlT_T0_E_clISt17integral_constantIbLb0EES19_IbLb1EEEEDaS15_S16_EUlS15_E_NS1_11comp_targetILNS1_3genE5ELNS1_11target_archE942ELNS1_3gpuE9ELNS1_3repE0EEENS1_30default_config_static_selectorELNS0_4arch9wavefront6targetE1EEEvT1_: ; @_ZN7rocprim17ROCPRIM_400000_NS6detail17trampoline_kernelINS0_14default_configENS1_25partition_config_selectorILNS1_17partition_subalgoE8EfNS0_10empty_typeEbEEZZNS1_14partition_implILS5_8ELb0ES3_jN6thrust23THRUST_200600_302600_NS6detail15normal_iteratorINSA_10device_ptrIfEEEEPS6_PKS6_NS0_5tupleIJSF_S6_EEENSJ_IJSG_SG_EEENS0_18inequality_wrapperI22is_equal_div_10_uniqueIfEEEPmJS6_EEE10hipError_tPvRmT3_T4_T5_T6_T7_T9_mT8_P12ihipStream_tbDpT10_ENKUlT_T0_E_clISt17integral_constantIbLb0EES19_IbLb1EEEEDaS15_S16_EUlS15_E_NS1_11comp_targetILNS1_3genE5ELNS1_11target_archE942ELNS1_3gpuE9ELNS1_3repE0EEENS1_30default_config_static_selectorELNS0_4arch9wavefront6targetE1EEEvT1_
; %bb.0:
	.section	.rodata,"a",@progbits
	.p2align	6, 0x0
	.amdhsa_kernel _ZN7rocprim17ROCPRIM_400000_NS6detail17trampoline_kernelINS0_14default_configENS1_25partition_config_selectorILNS1_17partition_subalgoE8EfNS0_10empty_typeEbEEZZNS1_14partition_implILS5_8ELb0ES3_jN6thrust23THRUST_200600_302600_NS6detail15normal_iteratorINSA_10device_ptrIfEEEEPS6_PKS6_NS0_5tupleIJSF_S6_EEENSJ_IJSG_SG_EEENS0_18inequality_wrapperI22is_equal_div_10_uniqueIfEEEPmJS6_EEE10hipError_tPvRmT3_T4_T5_T6_T7_T9_mT8_P12ihipStream_tbDpT10_ENKUlT_T0_E_clISt17integral_constantIbLb0EES19_IbLb1EEEEDaS15_S16_EUlS15_E_NS1_11comp_targetILNS1_3genE5ELNS1_11target_archE942ELNS1_3gpuE9ELNS1_3repE0EEENS1_30default_config_static_selectorELNS0_4arch9wavefront6targetE1EEEvT1_
		.amdhsa_group_segment_fixed_size 0
		.amdhsa_private_segment_fixed_size 0
		.amdhsa_kernarg_size 128
		.amdhsa_user_sgpr_count 6
		.amdhsa_user_sgpr_private_segment_buffer 1
		.amdhsa_user_sgpr_dispatch_ptr 0
		.amdhsa_user_sgpr_queue_ptr 0
		.amdhsa_user_sgpr_kernarg_segment_ptr 1
		.amdhsa_user_sgpr_dispatch_id 0
		.amdhsa_user_sgpr_flat_scratch_init 0
		.amdhsa_user_sgpr_private_segment_size 0
		.amdhsa_uses_dynamic_stack 0
		.amdhsa_system_sgpr_private_segment_wavefront_offset 0
		.amdhsa_system_sgpr_workgroup_id_x 1
		.amdhsa_system_sgpr_workgroup_id_y 0
		.amdhsa_system_sgpr_workgroup_id_z 0
		.amdhsa_system_sgpr_workgroup_info 0
		.amdhsa_system_vgpr_workitem_id 0
		.amdhsa_next_free_vgpr 1
		.amdhsa_next_free_sgpr 0
		.amdhsa_reserve_vcc 0
		.amdhsa_reserve_flat_scratch 0
		.amdhsa_float_round_mode_32 0
		.amdhsa_float_round_mode_16_64 0
		.amdhsa_float_denorm_mode_32 3
		.amdhsa_float_denorm_mode_16_64 3
		.amdhsa_dx10_clamp 1
		.amdhsa_ieee_mode 1
		.amdhsa_fp16_overflow 0
		.amdhsa_exception_fp_ieee_invalid_op 0
		.amdhsa_exception_fp_denorm_src 0
		.amdhsa_exception_fp_ieee_div_zero 0
		.amdhsa_exception_fp_ieee_overflow 0
		.amdhsa_exception_fp_ieee_underflow 0
		.amdhsa_exception_fp_ieee_inexact 0
		.amdhsa_exception_int_div_zero 0
	.end_amdhsa_kernel
	.section	.text._ZN7rocprim17ROCPRIM_400000_NS6detail17trampoline_kernelINS0_14default_configENS1_25partition_config_selectorILNS1_17partition_subalgoE8EfNS0_10empty_typeEbEEZZNS1_14partition_implILS5_8ELb0ES3_jN6thrust23THRUST_200600_302600_NS6detail15normal_iteratorINSA_10device_ptrIfEEEEPS6_PKS6_NS0_5tupleIJSF_S6_EEENSJ_IJSG_SG_EEENS0_18inequality_wrapperI22is_equal_div_10_uniqueIfEEEPmJS6_EEE10hipError_tPvRmT3_T4_T5_T6_T7_T9_mT8_P12ihipStream_tbDpT10_ENKUlT_T0_E_clISt17integral_constantIbLb0EES19_IbLb1EEEEDaS15_S16_EUlS15_E_NS1_11comp_targetILNS1_3genE5ELNS1_11target_archE942ELNS1_3gpuE9ELNS1_3repE0EEENS1_30default_config_static_selectorELNS0_4arch9wavefront6targetE1EEEvT1_,"axG",@progbits,_ZN7rocprim17ROCPRIM_400000_NS6detail17trampoline_kernelINS0_14default_configENS1_25partition_config_selectorILNS1_17partition_subalgoE8EfNS0_10empty_typeEbEEZZNS1_14partition_implILS5_8ELb0ES3_jN6thrust23THRUST_200600_302600_NS6detail15normal_iteratorINSA_10device_ptrIfEEEEPS6_PKS6_NS0_5tupleIJSF_S6_EEENSJ_IJSG_SG_EEENS0_18inequality_wrapperI22is_equal_div_10_uniqueIfEEEPmJS6_EEE10hipError_tPvRmT3_T4_T5_T6_T7_T9_mT8_P12ihipStream_tbDpT10_ENKUlT_T0_E_clISt17integral_constantIbLb0EES19_IbLb1EEEEDaS15_S16_EUlS15_E_NS1_11comp_targetILNS1_3genE5ELNS1_11target_archE942ELNS1_3gpuE9ELNS1_3repE0EEENS1_30default_config_static_selectorELNS0_4arch9wavefront6targetE1EEEvT1_,comdat
.Lfunc_end137:
	.size	_ZN7rocprim17ROCPRIM_400000_NS6detail17trampoline_kernelINS0_14default_configENS1_25partition_config_selectorILNS1_17partition_subalgoE8EfNS0_10empty_typeEbEEZZNS1_14partition_implILS5_8ELb0ES3_jN6thrust23THRUST_200600_302600_NS6detail15normal_iteratorINSA_10device_ptrIfEEEEPS6_PKS6_NS0_5tupleIJSF_S6_EEENSJ_IJSG_SG_EEENS0_18inequality_wrapperI22is_equal_div_10_uniqueIfEEEPmJS6_EEE10hipError_tPvRmT3_T4_T5_T6_T7_T9_mT8_P12ihipStream_tbDpT10_ENKUlT_T0_E_clISt17integral_constantIbLb0EES19_IbLb1EEEEDaS15_S16_EUlS15_E_NS1_11comp_targetILNS1_3genE5ELNS1_11target_archE942ELNS1_3gpuE9ELNS1_3repE0EEENS1_30default_config_static_selectorELNS0_4arch9wavefront6targetE1EEEvT1_, .Lfunc_end137-_ZN7rocprim17ROCPRIM_400000_NS6detail17trampoline_kernelINS0_14default_configENS1_25partition_config_selectorILNS1_17partition_subalgoE8EfNS0_10empty_typeEbEEZZNS1_14partition_implILS5_8ELb0ES3_jN6thrust23THRUST_200600_302600_NS6detail15normal_iteratorINSA_10device_ptrIfEEEEPS6_PKS6_NS0_5tupleIJSF_S6_EEENSJ_IJSG_SG_EEENS0_18inequality_wrapperI22is_equal_div_10_uniqueIfEEEPmJS6_EEE10hipError_tPvRmT3_T4_T5_T6_T7_T9_mT8_P12ihipStream_tbDpT10_ENKUlT_T0_E_clISt17integral_constantIbLb0EES19_IbLb1EEEEDaS15_S16_EUlS15_E_NS1_11comp_targetILNS1_3genE5ELNS1_11target_archE942ELNS1_3gpuE9ELNS1_3repE0EEENS1_30default_config_static_selectorELNS0_4arch9wavefront6targetE1EEEvT1_
                                        ; -- End function
	.set _ZN7rocprim17ROCPRIM_400000_NS6detail17trampoline_kernelINS0_14default_configENS1_25partition_config_selectorILNS1_17partition_subalgoE8EfNS0_10empty_typeEbEEZZNS1_14partition_implILS5_8ELb0ES3_jN6thrust23THRUST_200600_302600_NS6detail15normal_iteratorINSA_10device_ptrIfEEEEPS6_PKS6_NS0_5tupleIJSF_S6_EEENSJ_IJSG_SG_EEENS0_18inequality_wrapperI22is_equal_div_10_uniqueIfEEEPmJS6_EEE10hipError_tPvRmT3_T4_T5_T6_T7_T9_mT8_P12ihipStream_tbDpT10_ENKUlT_T0_E_clISt17integral_constantIbLb0EES19_IbLb1EEEEDaS15_S16_EUlS15_E_NS1_11comp_targetILNS1_3genE5ELNS1_11target_archE942ELNS1_3gpuE9ELNS1_3repE0EEENS1_30default_config_static_selectorELNS0_4arch9wavefront6targetE1EEEvT1_.num_vgpr, 0
	.set _ZN7rocprim17ROCPRIM_400000_NS6detail17trampoline_kernelINS0_14default_configENS1_25partition_config_selectorILNS1_17partition_subalgoE8EfNS0_10empty_typeEbEEZZNS1_14partition_implILS5_8ELb0ES3_jN6thrust23THRUST_200600_302600_NS6detail15normal_iteratorINSA_10device_ptrIfEEEEPS6_PKS6_NS0_5tupleIJSF_S6_EEENSJ_IJSG_SG_EEENS0_18inequality_wrapperI22is_equal_div_10_uniqueIfEEEPmJS6_EEE10hipError_tPvRmT3_T4_T5_T6_T7_T9_mT8_P12ihipStream_tbDpT10_ENKUlT_T0_E_clISt17integral_constantIbLb0EES19_IbLb1EEEEDaS15_S16_EUlS15_E_NS1_11comp_targetILNS1_3genE5ELNS1_11target_archE942ELNS1_3gpuE9ELNS1_3repE0EEENS1_30default_config_static_selectorELNS0_4arch9wavefront6targetE1EEEvT1_.num_agpr, 0
	.set _ZN7rocprim17ROCPRIM_400000_NS6detail17trampoline_kernelINS0_14default_configENS1_25partition_config_selectorILNS1_17partition_subalgoE8EfNS0_10empty_typeEbEEZZNS1_14partition_implILS5_8ELb0ES3_jN6thrust23THRUST_200600_302600_NS6detail15normal_iteratorINSA_10device_ptrIfEEEEPS6_PKS6_NS0_5tupleIJSF_S6_EEENSJ_IJSG_SG_EEENS0_18inequality_wrapperI22is_equal_div_10_uniqueIfEEEPmJS6_EEE10hipError_tPvRmT3_T4_T5_T6_T7_T9_mT8_P12ihipStream_tbDpT10_ENKUlT_T0_E_clISt17integral_constantIbLb0EES19_IbLb1EEEEDaS15_S16_EUlS15_E_NS1_11comp_targetILNS1_3genE5ELNS1_11target_archE942ELNS1_3gpuE9ELNS1_3repE0EEENS1_30default_config_static_selectorELNS0_4arch9wavefront6targetE1EEEvT1_.numbered_sgpr, 0
	.set _ZN7rocprim17ROCPRIM_400000_NS6detail17trampoline_kernelINS0_14default_configENS1_25partition_config_selectorILNS1_17partition_subalgoE8EfNS0_10empty_typeEbEEZZNS1_14partition_implILS5_8ELb0ES3_jN6thrust23THRUST_200600_302600_NS6detail15normal_iteratorINSA_10device_ptrIfEEEEPS6_PKS6_NS0_5tupleIJSF_S6_EEENSJ_IJSG_SG_EEENS0_18inequality_wrapperI22is_equal_div_10_uniqueIfEEEPmJS6_EEE10hipError_tPvRmT3_T4_T5_T6_T7_T9_mT8_P12ihipStream_tbDpT10_ENKUlT_T0_E_clISt17integral_constantIbLb0EES19_IbLb1EEEEDaS15_S16_EUlS15_E_NS1_11comp_targetILNS1_3genE5ELNS1_11target_archE942ELNS1_3gpuE9ELNS1_3repE0EEENS1_30default_config_static_selectorELNS0_4arch9wavefront6targetE1EEEvT1_.num_named_barrier, 0
	.set _ZN7rocprim17ROCPRIM_400000_NS6detail17trampoline_kernelINS0_14default_configENS1_25partition_config_selectorILNS1_17partition_subalgoE8EfNS0_10empty_typeEbEEZZNS1_14partition_implILS5_8ELb0ES3_jN6thrust23THRUST_200600_302600_NS6detail15normal_iteratorINSA_10device_ptrIfEEEEPS6_PKS6_NS0_5tupleIJSF_S6_EEENSJ_IJSG_SG_EEENS0_18inequality_wrapperI22is_equal_div_10_uniqueIfEEEPmJS6_EEE10hipError_tPvRmT3_T4_T5_T6_T7_T9_mT8_P12ihipStream_tbDpT10_ENKUlT_T0_E_clISt17integral_constantIbLb0EES19_IbLb1EEEEDaS15_S16_EUlS15_E_NS1_11comp_targetILNS1_3genE5ELNS1_11target_archE942ELNS1_3gpuE9ELNS1_3repE0EEENS1_30default_config_static_selectorELNS0_4arch9wavefront6targetE1EEEvT1_.private_seg_size, 0
	.set _ZN7rocprim17ROCPRIM_400000_NS6detail17trampoline_kernelINS0_14default_configENS1_25partition_config_selectorILNS1_17partition_subalgoE8EfNS0_10empty_typeEbEEZZNS1_14partition_implILS5_8ELb0ES3_jN6thrust23THRUST_200600_302600_NS6detail15normal_iteratorINSA_10device_ptrIfEEEEPS6_PKS6_NS0_5tupleIJSF_S6_EEENSJ_IJSG_SG_EEENS0_18inequality_wrapperI22is_equal_div_10_uniqueIfEEEPmJS6_EEE10hipError_tPvRmT3_T4_T5_T6_T7_T9_mT8_P12ihipStream_tbDpT10_ENKUlT_T0_E_clISt17integral_constantIbLb0EES19_IbLb1EEEEDaS15_S16_EUlS15_E_NS1_11comp_targetILNS1_3genE5ELNS1_11target_archE942ELNS1_3gpuE9ELNS1_3repE0EEENS1_30default_config_static_selectorELNS0_4arch9wavefront6targetE1EEEvT1_.uses_vcc, 0
	.set _ZN7rocprim17ROCPRIM_400000_NS6detail17trampoline_kernelINS0_14default_configENS1_25partition_config_selectorILNS1_17partition_subalgoE8EfNS0_10empty_typeEbEEZZNS1_14partition_implILS5_8ELb0ES3_jN6thrust23THRUST_200600_302600_NS6detail15normal_iteratorINSA_10device_ptrIfEEEEPS6_PKS6_NS0_5tupleIJSF_S6_EEENSJ_IJSG_SG_EEENS0_18inequality_wrapperI22is_equal_div_10_uniqueIfEEEPmJS6_EEE10hipError_tPvRmT3_T4_T5_T6_T7_T9_mT8_P12ihipStream_tbDpT10_ENKUlT_T0_E_clISt17integral_constantIbLb0EES19_IbLb1EEEEDaS15_S16_EUlS15_E_NS1_11comp_targetILNS1_3genE5ELNS1_11target_archE942ELNS1_3gpuE9ELNS1_3repE0EEENS1_30default_config_static_selectorELNS0_4arch9wavefront6targetE1EEEvT1_.uses_flat_scratch, 0
	.set _ZN7rocprim17ROCPRIM_400000_NS6detail17trampoline_kernelINS0_14default_configENS1_25partition_config_selectorILNS1_17partition_subalgoE8EfNS0_10empty_typeEbEEZZNS1_14partition_implILS5_8ELb0ES3_jN6thrust23THRUST_200600_302600_NS6detail15normal_iteratorINSA_10device_ptrIfEEEEPS6_PKS6_NS0_5tupleIJSF_S6_EEENSJ_IJSG_SG_EEENS0_18inequality_wrapperI22is_equal_div_10_uniqueIfEEEPmJS6_EEE10hipError_tPvRmT3_T4_T5_T6_T7_T9_mT8_P12ihipStream_tbDpT10_ENKUlT_T0_E_clISt17integral_constantIbLb0EES19_IbLb1EEEEDaS15_S16_EUlS15_E_NS1_11comp_targetILNS1_3genE5ELNS1_11target_archE942ELNS1_3gpuE9ELNS1_3repE0EEENS1_30default_config_static_selectorELNS0_4arch9wavefront6targetE1EEEvT1_.has_dyn_sized_stack, 0
	.set _ZN7rocprim17ROCPRIM_400000_NS6detail17trampoline_kernelINS0_14default_configENS1_25partition_config_selectorILNS1_17partition_subalgoE8EfNS0_10empty_typeEbEEZZNS1_14partition_implILS5_8ELb0ES3_jN6thrust23THRUST_200600_302600_NS6detail15normal_iteratorINSA_10device_ptrIfEEEEPS6_PKS6_NS0_5tupleIJSF_S6_EEENSJ_IJSG_SG_EEENS0_18inequality_wrapperI22is_equal_div_10_uniqueIfEEEPmJS6_EEE10hipError_tPvRmT3_T4_T5_T6_T7_T9_mT8_P12ihipStream_tbDpT10_ENKUlT_T0_E_clISt17integral_constantIbLb0EES19_IbLb1EEEEDaS15_S16_EUlS15_E_NS1_11comp_targetILNS1_3genE5ELNS1_11target_archE942ELNS1_3gpuE9ELNS1_3repE0EEENS1_30default_config_static_selectorELNS0_4arch9wavefront6targetE1EEEvT1_.has_recursion, 0
	.set _ZN7rocprim17ROCPRIM_400000_NS6detail17trampoline_kernelINS0_14default_configENS1_25partition_config_selectorILNS1_17partition_subalgoE8EfNS0_10empty_typeEbEEZZNS1_14partition_implILS5_8ELb0ES3_jN6thrust23THRUST_200600_302600_NS6detail15normal_iteratorINSA_10device_ptrIfEEEEPS6_PKS6_NS0_5tupleIJSF_S6_EEENSJ_IJSG_SG_EEENS0_18inequality_wrapperI22is_equal_div_10_uniqueIfEEEPmJS6_EEE10hipError_tPvRmT3_T4_T5_T6_T7_T9_mT8_P12ihipStream_tbDpT10_ENKUlT_T0_E_clISt17integral_constantIbLb0EES19_IbLb1EEEEDaS15_S16_EUlS15_E_NS1_11comp_targetILNS1_3genE5ELNS1_11target_archE942ELNS1_3gpuE9ELNS1_3repE0EEENS1_30default_config_static_selectorELNS0_4arch9wavefront6targetE1EEEvT1_.has_indirect_call, 0
	.section	.AMDGPU.csdata,"",@progbits
; Kernel info:
; codeLenInByte = 0
; TotalNumSgprs: 4
; NumVgprs: 0
; ScratchSize: 0
; MemoryBound: 0
; FloatMode: 240
; IeeeMode: 1
; LDSByteSize: 0 bytes/workgroup (compile time only)
; SGPRBlocks: 0
; VGPRBlocks: 0
; NumSGPRsForWavesPerEU: 4
; NumVGPRsForWavesPerEU: 1
; Occupancy: 10
; WaveLimiterHint : 0
; COMPUTE_PGM_RSRC2:SCRATCH_EN: 0
; COMPUTE_PGM_RSRC2:USER_SGPR: 6
; COMPUTE_PGM_RSRC2:TRAP_HANDLER: 0
; COMPUTE_PGM_RSRC2:TGID_X_EN: 1
; COMPUTE_PGM_RSRC2:TGID_Y_EN: 0
; COMPUTE_PGM_RSRC2:TGID_Z_EN: 0
; COMPUTE_PGM_RSRC2:TIDIG_COMP_CNT: 0
	.section	.text._ZN7rocprim17ROCPRIM_400000_NS6detail17trampoline_kernelINS0_14default_configENS1_25partition_config_selectorILNS1_17partition_subalgoE8EfNS0_10empty_typeEbEEZZNS1_14partition_implILS5_8ELb0ES3_jN6thrust23THRUST_200600_302600_NS6detail15normal_iteratorINSA_10device_ptrIfEEEEPS6_PKS6_NS0_5tupleIJSF_S6_EEENSJ_IJSG_SG_EEENS0_18inequality_wrapperI22is_equal_div_10_uniqueIfEEEPmJS6_EEE10hipError_tPvRmT3_T4_T5_T6_T7_T9_mT8_P12ihipStream_tbDpT10_ENKUlT_T0_E_clISt17integral_constantIbLb0EES19_IbLb1EEEEDaS15_S16_EUlS15_E_NS1_11comp_targetILNS1_3genE4ELNS1_11target_archE910ELNS1_3gpuE8ELNS1_3repE0EEENS1_30default_config_static_selectorELNS0_4arch9wavefront6targetE1EEEvT1_,"axG",@progbits,_ZN7rocprim17ROCPRIM_400000_NS6detail17trampoline_kernelINS0_14default_configENS1_25partition_config_selectorILNS1_17partition_subalgoE8EfNS0_10empty_typeEbEEZZNS1_14partition_implILS5_8ELb0ES3_jN6thrust23THRUST_200600_302600_NS6detail15normal_iteratorINSA_10device_ptrIfEEEEPS6_PKS6_NS0_5tupleIJSF_S6_EEENSJ_IJSG_SG_EEENS0_18inequality_wrapperI22is_equal_div_10_uniqueIfEEEPmJS6_EEE10hipError_tPvRmT3_T4_T5_T6_T7_T9_mT8_P12ihipStream_tbDpT10_ENKUlT_T0_E_clISt17integral_constantIbLb0EES19_IbLb1EEEEDaS15_S16_EUlS15_E_NS1_11comp_targetILNS1_3genE4ELNS1_11target_archE910ELNS1_3gpuE8ELNS1_3repE0EEENS1_30default_config_static_selectorELNS0_4arch9wavefront6targetE1EEEvT1_,comdat
	.protected	_ZN7rocprim17ROCPRIM_400000_NS6detail17trampoline_kernelINS0_14default_configENS1_25partition_config_selectorILNS1_17partition_subalgoE8EfNS0_10empty_typeEbEEZZNS1_14partition_implILS5_8ELb0ES3_jN6thrust23THRUST_200600_302600_NS6detail15normal_iteratorINSA_10device_ptrIfEEEEPS6_PKS6_NS0_5tupleIJSF_S6_EEENSJ_IJSG_SG_EEENS0_18inequality_wrapperI22is_equal_div_10_uniqueIfEEEPmJS6_EEE10hipError_tPvRmT3_T4_T5_T6_T7_T9_mT8_P12ihipStream_tbDpT10_ENKUlT_T0_E_clISt17integral_constantIbLb0EES19_IbLb1EEEEDaS15_S16_EUlS15_E_NS1_11comp_targetILNS1_3genE4ELNS1_11target_archE910ELNS1_3gpuE8ELNS1_3repE0EEENS1_30default_config_static_selectorELNS0_4arch9wavefront6targetE1EEEvT1_ ; -- Begin function _ZN7rocprim17ROCPRIM_400000_NS6detail17trampoline_kernelINS0_14default_configENS1_25partition_config_selectorILNS1_17partition_subalgoE8EfNS0_10empty_typeEbEEZZNS1_14partition_implILS5_8ELb0ES3_jN6thrust23THRUST_200600_302600_NS6detail15normal_iteratorINSA_10device_ptrIfEEEEPS6_PKS6_NS0_5tupleIJSF_S6_EEENSJ_IJSG_SG_EEENS0_18inequality_wrapperI22is_equal_div_10_uniqueIfEEEPmJS6_EEE10hipError_tPvRmT3_T4_T5_T6_T7_T9_mT8_P12ihipStream_tbDpT10_ENKUlT_T0_E_clISt17integral_constantIbLb0EES19_IbLb1EEEEDaS15_S16_EUlS15_E_NS1_11comp_targetILNS1_3genE4ELNS1_11target_archE910ELNS1_3gpuE8ELNS1_3repE0EEENS1_30default_config_static_selectorELNS0_4arch9wavefront6targetE1EEEvT1_
	.globl	_ZN7rocprim17ROCPRIM_400000_NS6detail17trampoline_kernelINS0_14default_configENS1_25partition_config_selectorILNS1_17partition_subalgoE8EfNS0_10empty_typeEbEEZZNS1_14partition_implILS5_8ELb0ES3_jN6thrust23THRUST_200600_302600_NS6detail15normal_iteratorINSA_10device_ptrIfEEEEPS6_PKS6_NS0_5tupleIJSF_S6_EEENSJ_IJSG_SG_EEENS0_18inequality_wrapperI22is_equal_div_10_uniqueIfEEEPmJS6_EEE10hipError_tPvRmT3_T4_T5_T6_T7_T9_mT8_P12ihipStream_tbDpT10_ENKUlT_T0_E_clISt17integral_constantIbLb0EES19_IbLb1EEEEDaS15_S16_EUlS15_E_NS1_11comp_targetILNS1_3genE4ELNS1_11target_archE910ELNS1_3gpuE8ELNS1_3repE0EEENS1_30default_config_static_selectorELNS0_4arch9wavefront6targetE1EEEvT1_
	.p2align	8
	.type	_ZN7rocprim17ROCPRIM_400000_NS6detail17trampoline_kernelINS0_14default_configENS1_25partition_config_selectorILNS1_17partition_subalgoE8EfNS0_10empty_typeEbEEZZNS1_14partition_implILS5_8ELb0ES3_jN6thrust23THRUST_200600_302600_NS6detail15normal_iteratorINSA_10device_ptrIfEEEEPS6_PKS6_NS0_5tupleIJSF_S6_EEENSJ_IJSG_SG_EEENS0_18inequality_wrapperI22is_equal_div_10_uniqueIfEEEPmJS6_EEE10hipError_tPvRmT3_T4_T5_T6_T7_T9_mT8_P12ihipStream_tbDpT10_ENKUlT_T0_E_clISt17integral_constantIbLb0EES19_IbLb1EEEEDaS15_S16_EUlS15_E_NS1_11comp_targetILNS1_3genE4ELNS1_11target_archE910ELNS1_3gpuE8ELNS1_3repE0EEENS1_30default_config_static_selectorELNS0_4arch9wavefront6targetE1EEEvT1_,@function
_ZN7rocprim17ROCPRIM_400000_NS6detail17trampoline_kernelINS0_14default_configENS1_25partition_config_selectorILNS1_17partition_subalgoE8EfNS0_10empty_typeEbEEZZNS1_14partition_implILS5_8ELb0ES3_jN6thrust23THRUST_200600_302600_NS6detail15normal_iteratorINSA_10device_ptrIfEEEEPS6_PKS6_NS0_5tupleIJSF_S6_EEENSJ_IJSG_SG_EEENS0_18inequality_wrapperI22is_equal_div_10_uniqueIfEEEPmJS6_EEE10hipError_tPvRmT3_T4_T5_T6_T7_T9_mT8_P12ihipStream_tbDpT10_ENKUlT_T0_E_clISt17integral_constantIbLb0EES19_IbLb1EEEEDaS15_S16_EUlS15_E_NS1_11comp_targetILNS1_3genE4ELNS1_11target_archE910ELNS1_3gpuE8ELNS1_3repE0EEENS1_30default_config_static_selectorELNS0_4arch9wavefront6targetE1EEEvT1_: ; @_ZN7rocprim17ROCPRIM_400000_NS6detail17trampoline_kernelINS0_14default_configENS1_25partition_config_selectorILNS1_17partition_subalgoE8EfNS0_10empty_typeEbEEZZNS1_14partition_implILS5_8ELb0ES3_jN6thrust23THRUST_200600_302600_NS6detail15normal_iteratorINSA_10device_ptrIfEEEEPS6_PKS6_NS0_5tupleIJSF_S6_EEENSJ_IJSG_SG_EEENS0_18inequality_wrapperI22is_equal_div_10_uniqueIfEEEPmJS6_EEE10hipError_tPvRmT3_T4_T5_T6_T7_T9_mT8_P12ihipStream_tbDpT10_ENKUlT_T0_E_clISt17integral_constantIbLb0EES19_IbLb1EEEEDaS15_S16_EUlS15_E_NS1_11comp_targetILNS1_3genE4ELNS1_11target_archE910ELNS1_3gpuE8ELNS1_3repE0EEENS1_30default_config_static_selectorELNS0_4arch9wavefront6targetE1EEEvT1_
; %bb.0:
	.section	.rodata,"a",@progbits
	.p2align	6, 0x0
	.amdhsa_kernel _ZN7rocprim17ROCPRIM_400000_NS6detail17trampoline_kernelINS0_14default_configENS1_25partition_config_selectorILNS1_17partition_subalgoE8EfNS0_10empty_typeEbEEZZNS1_14partition_implILS5_8ELb0ES3_jN6thrust23THRUST_200600_302600_NS6detail15normal_iteratorINSA_10device_ptrIfEEEEPS6_PKS6_NS0_5tupleIJSF_S6_EEENSJ_IJSG_SG_EEENS0_18inequality_wrapperI22is_equal_div_10_uniqueIfEEEPmJS6_EEE10hipError_tPvRmT3_T4_T5_T6_T7_T9_mT8_P12ihipStream_tbDpT10_ENKUlT_T0_E_clISt17integral_constantIbLb0EES19_IbLb1EEEEDaS15_S16_EUlS15_E_NS1_11comp_targetILNS1_3genE4ELNS1_11target_archE910ELNS1_3gpuE8ELNS1_3repE0EEENS1_30default_config_static_selectorELNS0_4arch9wavefront6targetE1EEEvT1_
		.amdhsa_group_segment_fixed_size 0
		.amdhsa_private_segment_fixed_size 0
		.amdhsa_kernarg_size 128
		.amdhsa_user_sgpr_count 6
		.amdhsa_user_sgpr_private_segment_buffer 1
		.amdhsa_user_sgpr_dispatch_ptr 0
		.amdhsa_user_sgpr_queue_ptr 0
		.amdhsa_user_sgpr_kernarg_segment_ptr 1
		.amdhsa_user_sgpr_dispatch_id 0
		.amdhsa_user_sgpr_flat_scratch_init 0
		.amdhsa_user_sgpr_private_segment_size 0
		.amdhsa_uses_dynamic_stack 0
		.amdhsa_system_sgpr_private_segment_wavefront_offset 0
		.amdhsa_system_sgpr_workgroup_id_x 1
		.amdhsa_system_sgpr_workgroup_id_y 0
		.amdhsa_system_sgpr_workgroup_id_z 0
		.amdhsa_system_sgpr_workgroup_info 0
		.amdhsa_system_vgpr_workitem_id 0
		.amdhsa_next_free_vgpr 1
		.amdhsa_next_free_sgpr 0
		.amdhsa_reserve_vcc 0
		.amdhsa_reserve_flat_scratch 0
		.amdhsa_float_round_mode_32 0
		.amdhsa_float_round_mode_16_64 0
		.amdhsa_float_denorm_mode_32 3
		.amdhsa_float_denorm_mode_16_64 3
		.amdhsa_dx10_clamp 1
		.amdhsa_ieee_mode 1
		.amdhsa_fp16_overflow 0
		.amdhsa_exception_fp_ieee_invalid_op 0
		.amdhsa_exception_fp_denorm_src 0
		.amdhsa_exception_fp_ieee_div_zero 0
		.amdhsa_exception_fp_ieee_overflow 0
		.amdhsa_exception_fp_ieee_underflow 0
		.amdhsa_exception_fp_ieee_inexact 0
		.amdhsa_exception_int_div_zero 0
	.end_amdhsa_kernel
	.section	.text._ZN7rocprim17ROCPRIM_400000_NS6detail17trampoline_kernelINS0_14default_configENS1_25partition_config_selectorILNS1_17partition_subalgoE8EfNS0_10empty_typeEbEEZZNS1_14partition_implILS5_8ELb0ES3_jN6thrust23THRUST_200600_302600_NS6detail15normal_iteratorINSA_10device_ptrIfEEEEPS6_PKS6_NS0_5tupleIJSF_S6_EEENSJ_IJSG_SG_EEENS0_18inequality_wrapperI22is_equal_div_10_uniqueIfEEEPmJS6_EEE10hipError_tPvRmT3_T4_T5_T6_T7_T9_mT8_P12ihipStream_tbDpT10_ENKUlT_T0_E_clISt17integral_constantIbLb0EES19_IbLb1EEEEDaS15_S16_EUlS15_E_NS1_11comp_targetILNS1_3genE4ELNS1_11target_archE910ELNS1_3gpuE8ELNS1_3repE0EEENS1_30default_config_static_selectorELNS0_4arch9wavefront6targetE1EEEvT1_,"axG",@progbits,_ZN7rocprim17ROCPRIM_400000_NS6detail17trampoline_kernelINS0_14default_configENS1_25partition_config_selectorILNS1_17partition_subalgoE8EfNS0_10empty_typeEbEEZZNS1_14partition_implILS5_8ELb0ES3_jN6thrust23THRUST_200600_302600_NS6detail15normal_iteratorINSA_10device_ptrIfEEEEPS6_PKS6_NS0_5tupleIJSF_S6_EEENSJ_IJSG_SG_EEENS0_18inequality_wrapperI22is_equal_div_10_uniqueIfEEEPmJS6_EEE10hipError_tPvRmT3_T4_T5_T6_T7_T9_mT8_P12ihipStream_tbDpT10_ENKUlT_T0_E_clISt17integral_constantIbLb0EES19_IbLb1EEEEDaS15_S16_EUlS15_E_NS1_11comp_targetILNS1_3genE4ELNS1_11target_archE910ELNS1_3gpuE8ELNS1_3repE0EEENS1_30default_config_static_selectorELNS0_4arch9wavefront6targetE1EEEvT1_,comdat
.Lfunc_end138:
	.size	_ZN7rocprim17ROCPRIM_400000_NS6detail17trampoline_kernelINS0_14default_configENS1_25partition_config_selectorILNS1_17partition_subalgoE8EfNS0_10empty_typeEbEEZZNS1_14partition_implILS5_8ELb0ES3_jN6thrust23THRUST_200600_302600_NS6detail15normal_iteratorINSA_10device_ptrIfEEEEPS6_PKS6_NS0_5tupleIJSF_S6_EEENSJ_IJSG_SG_EEENS0_18inequality_wrapperI22is_equal_div_10_uniqueIfEEEPmJS6_EEE10hipError_tPvRmT3_T4_T5_T6_T7_T9_mT8_P12ihipStream_tbDpT10_ENKUlT_T0_E_clISt17integral_constantIbLb0EES19_IbLb1EEEEDaS15_S16_EUlS15_E_NS1_11comp_targetILNS1_3genE4ELNS1_11target_archE910ELNS1_3gpuE8ELNS1_3repE0EEENS1_30default_config_static_selectorELNS0_4arch9wavefront6targetE1EEEvT1_, .Lfunc_end138-_ZN7rocprim17ROCPRIM_400000_NS6detail17trampoline_kernelINS0_14default_configENS1_25partition_config_selectorILNS1_17partition_subalgoE8EfNS0_10empty_typeEbEEZZNS1_14partition_implILS5_8ELb0ES3_jN6thrust23THRUST_200600_302600_NS6detail15normal_iteratorINSA_10device_ptrIfEEEEPS6_PKS6_NS0_5tupleIJSF_S6_EEENSJ_IJSG_SG_EEENS0_18inequality_wrapperI22is_equal_div_10_uniqueIfEEEPmJS6_EEE10hipError_tPvRmT3_T4_T5_T6_T7_T9_mT8_P12ihipStream_tbDpT10_ENKUlT_T0_E_clISt17integral_constantIbLb0EES19_IbLb1EEEEDaS15_S16_EUlS15_E_NS1_11comp_targetILNS1_3genE4ELNS1_11target_archE910ELNS1_3gpuE8ELNS1_3repE0EEENS1_30default_config_static_selectorELNS0_4arch9wavefront6targetE1EEEvT1_
                                        ; -- End function
	.set _ZN7rocprim17ROCPRIM_400000_NS6detail17trampoline_kernelINS0_14default_configENS1_25partition_config_selectorILNS1_17partition_subalgoE8EfNS0_10empty_typeEbEEZZNS1_14partition_implILS5_8ELb0ES3_jN6thrust23THRUST_200600_302600_NS6detail15normal_iteratorINSA_10device_ptrIfEEEEPS6_PKS6_NS0_5tupleIJSF_S6_EEENSJ_IJSG_SG_EEENS0_18inequality_wrapperI22is_equal_div_10_uniqueIfEEEPmJS6_EEE10hipError_tPvRmT3_T4_T5_T6_T7_T9_mT8_P12ihipStream_tbDpT10_ENKUlT_T0_E_clISt17integral_constantIbLb0EES19_IbLb1EEEEDaS15_S16_EUlS15_E_NS1_11comp_targetILNS1_3genE4ELNS1_11target_archE910ELNS1_3gpuE8ELNS1_3repE0EEENS1_30default_config_static_selectorELNS0_4arch9wavefront6targetE1EEEvT1_.num_vgpr, 0
	.set _ZN7rocprim17ROCPRIM_400000_NS6detail17trampoline_kernelINS0_14default_configENS1_25partition_config_selectorILNS1_17partition_subalgoE8EfNS0_10empty_typeEbEEZZNS1_14partition_implILS5_8ELb0ES3_jN6thrust23THRUST_200600_302600_NS6detail15normal_iteratorINSA_10device_ptrIfEEEEPS6_PKS6_NS0_5tupleIJSF_S6_EEENSJ_IJSG_SG_EEENS0_18inequality_wrapperI22is_equal_div_10_uniqueIfEEEPmJS6_EEE10hipError_tPvRmT3_T4_T5_T6_T7_T9_mT8_P12ihipStream_tbDpT10_ENKUlT_T0_E_clISt17integral_constantIbLb0EES19_IbLb1EEEEDaS15_S16_EUlS15_E_NS1_11comp_targetILNS1_3genE4ELNS1_11target_archE910ELNS1_3gpuE8ELNS1_3repE0EEENS1_30default_config_static_selectorELNS0_4arch9wavefront6targetE1EEEvT1_.num_agpr, 0
	.set _ZN7rocprim17ROCPRIM_400000_NS6detail17trampoline_kernelINS0_14default_configENS1_25partition_config_selectorILNS1_17partition_subalgoE8EfNS0_10empty_typeEbEEZZNS1_14partition_implILS5_8ELb0ES3_jN6thrust23THRUST_200600_302600_NS6detail15normal_iteratorINSA_10device_ptrIfEEEEPS6_PKS6_NS0_5tupleIJSF_S6_EEENSJ_IJSG_SG_EEENS0_18inequality_wrapperI22is_equal_div_10_uniqueIfEEEPmJS6_EEE10hipError_tPvRmT3_T4_T5_T6_T7_T9_mT8_P12ihipStream_tbDpT10_ENKUlT_T0_E_clISt17integral_constantIbLb0EES19_IbLb1EEEEDaS15_S16_EUlS15_E_NS1_11comp_targetILNS1_3genE4ELNS1_11target_archE910ELNS1_3gpuE8ELNS1_3repE0EEENS1_30default_config_static_selectorELNS0_4arch9wavefront6targetE1EEEvT1_.numbered_sgpr, 0
	.set _ZN7rocprim17ROCPRIM_400000_NS6detail17trampoline_kernelINS0_14default_configENS1_25partition_config_selectorILNS1_17partition_subalgoE8EfNS0_10empty_typeEbEEZZNS1_14partition_implILS5_8ELb0ES3_jN6thrust23THRUST_200600_302600_NS6detail15normal_iteratorINSA_10device_ptrIfEEEEPS6_PKS6_NS0_5tupleIJSF_S6_EEENSJ_IJSG_SG_EEENS0_18inequality_wrapperI22is_equal_div_10_uniqueIfEEEPmJS6_EEE10hipError_tPvRmT3_T4_T5_T6_T7_T9_mT8_P12ihipStream_tbDpT10_ENKUlT_T0_E_clISt17integral_constantIbLb0EES19_IbLb1EEEEDaS15_S16_EUlS15_E_NS1_11comp_targetILNS1_3genE4ELNS1_11target_archE910ELNS1_3gpuE8ELNS1_3repE0EEENS1_30default_config_static_selectorELNS0_4arch9wavefront6targetE1EEEvT1_.num_named_barrier, 0
	.set _ZN7rocprim17ROCPRIM_400000_NS6detail17trampoline_kernelINS0_14default_configENS1_25partition_config_selectorILNS1_17partition_subalgoE8EfNS0_10empty_typeEbEEZZNS1_14partition_implILS5_8ELb0ES3_jN6thrust23THRUST_200600_302600_NS6detail15normal_iteratorINSA_10device_ptrIfEEEEPS6_PKS6_NS0_5tupleIJSF_S6_EEENSJ_IJSG_SG_EEENS0_18inequality_wrapperI22is_equal_div_10_uniqueIfEEEPmJS6_EEE10hipError_tPvRmT3_T4_T5_T6_T7_T9_mT8_P12ihipStream_tbDpT10_ENKUlT_T0_E_clISt17integral_constantIbLb0EES19_IbLb1EEEEDaS15_S16_EUlS15_E_NS1_11comp_targetILNS1_3genE4ELNS1_11target_archE910ELNS1_3gpuE8ELNS1_3repE0EEENS1_30default_config_static_selectorELNS0_4arch9wavefront6targetE1EEEvT1_.private_seg_size, 0
	.set _ZN7rocprim17ROCPRIM_400000_NS6detail17trampoline_kernelINS0_14default_configENS1_25partition_config_selectorILNS1_17partition_subalgoE8EfNS0_10empty_typeEbEEZZNS1_14partition_implILS5_8ELb0ES3_jN6thrust23THRUST_200600_302600_NS6detail15normal_iteratorINSA_10device_ptrIfEEEEPS6_PKS6_NS0_5tupleIJSF_S6_EEENSJ_IJSG_SG_EEENS0_18inequality_wrapperI22is_equal_div_10_uniqueIfEEEPmJS6_EEE10hipError_tPvRmT3_T4_T5_T6_T7_T9_mT8_P12ihipStream_tbDpT10_ENKUlT_T0_E_clISt17integral_constantIbLb0EES19_IbLb1EEEEDaS15_S16_EUlS15_E_NS1_11comp_targetILNS1_3genE4ELNS1_11target_archE910ELNS1_3gpuE8ELNS1_3repE0EEENS1_30default_config_static_selectorELNS0_4arch9wavefront6targetE1EEEvT1_.uses_vcc, 0
	.set _ZN7rocprim17ROCPRIM_400000_NS6detail17trampoline_kernelINS0_14default_configENS1_25partition_config_selectorILNS1_17partition_subalgoE8EfNS0_10empty_typeEbEEZZNS1_14partition_implILS5_8ELb0ES3_jN6thrust23THRUST_200600_302600_NS6detail15normal_iteratorINSA_10device_ptrIfEEEEPS6_PKS6_NS0_5tupleIJSF_S6_EEENSJ_IJSG_SG_EEENS0_18inequality_wrapperI22is_equal_div_10_uniqueIfEEEPmJS6_EEE10hipError_tPvRmT3_T4_T5_T6_T7_T9_mT8_P12ihipStream_tbDpT10_ENKUlT_T0_E_clISt17integral_constantIbLb0EES19_IbLb1EEEEDaS15_S16_EUlS15_E_NS1_11comp_targetILNS1_3genE4ELNS1_11target_archE910ELNS1_3gpuE8ELNS1_3repE0EEENS1_30default_config_static_selectorELNS0_4arch9wavefront6targetE1EEEvT1_.uses_flat_scratch, 0
	.set _ZN7rocprim17ROCPRIM_400000_NS6detail17trampoline_kernelINS0_14default_configENS1_25partition_config_selectorILNS1_17partition_subalgoE8EfNS0_10empty_typeEbEEZZNS1_14partition_implILS5_8ELb0ES3_jN6thrust23THRUST_200600_302600_NS6detail15normal_iteratorINSA_10device_ptrIfEEEEPS6_PKS6_NS0_5tupleIJSF_S6_EEENSJ_IJSG_SG_EEENS0_18inequality_wrapperI22is_equal_div_10_uniqueIfEEEPmJS6_EEE10hipError_tPvRmT3_T4_T5_T6_T7_T9_mT8_P12ihipStream_tbDpT10_ENKUlT_T0_E_clISt17integral_constantIbLb0EES19_IbLb1EEEEDaS15_S16_EUlS15_E_NS1_11comp_targetILNS1_3genE4ELNS1_11target_archE910ELNS1_3gpuE8ELNS1_3repE0EEENS1_30default_config_static_selectorELNS0_4arch9wavefront6targetE1EEEvT1_.has_dyn_sized_stack, 0
	.set _ZN7rocprim17ROCPRIM_400000_NS6detail17trampoline_kernelINS0_14default_configENS1_25partition_config_selectorILNS1_17partition_subalgoE8EfNS0_10empty_typeEbEEZZNS1_14partition_implILS5_8ELb0ES3_jN6thrust23THRUST_200600_302600_NS6detail15normal_iteratorINSA_10device_ptrIfEEEEPS6_PKS6_NS0_5tupleIJSF_S6_EEENSJ_IJSG_SG_EEENS0_18inequality_wrapperI22is_equal_div_10_uniqueIfEEEPmJS6_EEE10hipError_tPvRmT3_T4_T5_T6_T7_T9_mT8_P12ihipStream_tbDpT10_ENKUlT_T0_E_clISt17integral_constantIbLb0EES19_IbLb1EEEEDaS15_S16_EUlS15_E_NS1_11comp_targetILNS1_3genE4ELNS1_11target_archE910ELNS1_3gpuE8ELNS1_3repE0EEENS1_30default_config_static_selectorELNS0_4arch9wavefront6targetE1EEEvT1_.has_recursion, 0
	.set _ZN7rocprim17ROCPRIM_400000_NS6detail17trampoline_kernelINS0_14default_configENS1_25partition_config_selectorILNS1_17partition_subalgoE8EfNS0_10empty_typeEbEEZZNS1_14partition_implILS5_8ELb0ES3_jN6thrust23THRUST_200600_302600_NS6detail15normal_iteratorINSA_10device_ptrIfEEEEPS6_PKS6_NS0_5tupleIJSF_S6_EEENSJ_IJSG_SG_EEENS0_18inequality_wrapperI22is_equal_div_10_uniqueIfEEEPmJS6_EEE10hipError_tPvRmT3_T4_T5_T6_T7_T9_mT8_P12ihipStream_tbDpT10_ENKUlT_T0_E_clISt17integral_constantIbLb0EES19_IbLb1EEEEDaS15_S16_EUlS15_E_NS1_11comp_targetILNS1_3genE4ELNS1_11target_archE910ELNS1_3gpuE8ELNS1_3repE0EEENS1_30default_config_static_selectorELNS0_4arch9wavefront6targetE1EEEvT1_.has_indirect_call, 0
	.section	.AMDGPU.csdata,"",@progbits
; Kernel info:
; codeLenInByte = 0
; TotalNumSgprs: 4
; NumVgprs: 0
; ScratchSize: 0
; MemoryBound: 0
; FloatMode: 240
; IeeeMode: 1
; LDSByteSize: 0 bytes/workgroup (compile time only)
; SGPRBlocks: 0
; VGPRBlocks: 0
; NumSGPRsForWavesPerEU: 4
; NumVGPRsForWavesPerEU: 1
; Occupancy: 10
; WaveLimiterHint : 0
; COMPUTE_PGM_RSRC2:SCRATCH_EN: 0
; COMPUTE_PGM_RSRC2:USER_SGPR: 6
; COMPUTE_PGM_RSRC2:TRAP_HANDLER: 0
; COMPUTE_PGM_RSRC2:TGID_X_EN: 1
; COMPUTE_PGM_RSRC2:TGID_Y_EN: 0
; COMPUTE_PGM_RSRC2:TGID_Z_EN: 0
; COMPUTE_PGM_RSRC2:TIDIG_COMP_CNT: 0
	.section	.text._ZN7rocprim17ROCPRIM_400000_NS6detail17trampoline_kernelINS0_14default_configENS1_25partition_config_selectorILNS1_17partition_subalgoE8EfNS0_10empty_typeEbEEZZNS1_14partition_implILS5_8ELb0ES3_jN6thrust23THRUST_200600_302600_NS6detail15normal_iteratorINSA_10device_ptrIfEEEEPS6_PKS6_NS0_5tupleIJSF_S6_EEENSJ_IJSG_SG_EEENS0_18inequality_wrapperI22is_equal_div_10_uniqueIfEEEPmJS6_EEE10hipError_tPvRmT3_T4_T5_T6_T7_T9_mT8_P12ihipStream_tbDpT10_ENKUlT_T0_E_clISt17integral_constantIbLb0EES19_IbLb1EEEEDaS15_S16_EUlS15_E_NS1_11comp_targetILNS1_3genE3ELNS1_11target_archE908ELNS1_3gpuE7ELNS1_3repE0EEENS1_30default_config_static_selectorELNS0_4arch9wavefront6targetE1EEEvT1_,"axG",@progbits,_ZN7rocprim17ROCPRIM_400000_NS6detail17trampoline_kernelINS0_14default_configENS1_25partition_config_selectorILNS1_17partition_subalgoE8EfNS0_10empty_typeEbEEZZNS1_14partition_implILS5_8ELb0ES3_jN6thrust23THRUST_200600_302600_NS6detail15normal_iteratorINSA_10device_ptrIfEEEEPS6_PKS6_NS0_5tupleIJSF_S6_EEENSJ_IJSG_SG_EEENS0_18inequality_wrapperI22is_equal_div_10_uniqueIfEEEPmJS6_EEE10hipError_tPvRmT3_T4_T5_T6_T7_T9_mT8_P12ihipStream_tbDpT10_ENKUlT_T0_E_clISt17integral_constantIbLb0EES19_IbLb1EEEEDaS15_S16_EUlS15_E_NS1_11comp_targetILNS1_3genE3ELNS1_11target_archE908ELNS1_3gpuE7ELNS1_3repE0EEENS1_30default_config_static_selectorELNS0_4arch9wavefront6targetE1EEEvT1_,comdat
	.protected	_ZN7rocprim17ROCPRIM_400000_NS6detail17trampoline_kernelINS0_14default_configENS1_25partition_config_selectorILNS1_17partition_subalgoE8EfNS0_10empty_typeEbEEZZNS1_14partition_implILS5_8ELb0ES3_jN6thrust23THRUST_200600_302600_NS6detail15normal_iteratorINSA_10device_ptrIfEEEEPS6_PKS6_NS0_5tupleIJSF_S6_EEENSJ_IJSG_SG_EEENS0_18inequality_wrapperI22is_equal_div_10_uniqueIfEEEPmJS6_EEE10hipError_tPvRmT3_T4_T5_T6_T7_T9_mT8_P12ihipStream_tbDpT10_ENKUlT_T0_E_clISt17integral_constantIbLb0EES19_IbLb1EEEEDaS15_S16_EUlS15_E_NS1_11comp_targetILNS1_3genE3ELNS1_11target_archE908ELNS1_3gpuE7ELNS1_3repE0EEENS1_30default_config_static_selectorELNS0_4arch9wavefront6targetE1EEEvT1_ ; -- Begin function _ZN7rocprim17ROCPRIM_400000_NS6detail17trampoline_kernelINS0_14default_configENS1_25partition_config_selectorILNS1_17partition_subalgoE8EfNS0_10empty_typeEbEEZZNS1_14partition_implILS5_8ELb0ES3_jN6thrust23THRUST_200600_302600_NS6detail15normal_iteratorINSA_10device_ptrIfEEEEPS6_PKS6_NS0_5tupleIJSF_S6_EEENSJ_IJSG_SG_EEENS0_18inequality_wrapperI22is_equal_div_10_uniqueIfEEEPmJS6_EEE10hipError_tPvRmT3_T4_T5_T6_T7_T9_mT8_P12ihipStream_tbDpT10_ENKUlT_T0_E_clISt17integral_constantIbLb0EES19_IbLb1EEEEDaS15_S16_EUlS15_E_NS1_11comp_targetILNS1_3genE3ELNS1_11target_archE908ELNS1_3gpuE7ELNS1_3repE0EEENS1_30default_config_static_selectorELNS0_4arch9wavefront6targetE1EEEvT1_
	.globl	_ZN7rocprim17ROCPRIM_400000_NS6detail17trampoline_kernelINS0_14default_configENS1_25partition_config_selectorILNS1_17partition_subalgoE8EfNS0_10empty_typeEbEEZZNS1_14partition_implILS5_8ELb0ES3_jN6thrust23THRUST_200600_302600_NS6detail15normal_iteratorINSA_10device_ptrIfEEEEPS6_PKS6_NS0_5tupleIJSF_S6_EEENSJ_IJSG_SG_EEENS0_18inequality_wrapperI22is_equal_div_10_uniqueIfEEEPmJS6_EEE10hipError_tPvRmT3_T4_T5_T6_T7_T9_mT8_P12ihipStream_tbDpT10_ENKUlT_T0_E_clISt17integral_constantIbLb0EES19_IbLb1EEEEDaS15_S16_EUlS15_E_NS1_11comp_targetILNS1_3genE3ELNS1_11target_archE908ELNS1_3gpuE7ELNS1_3repE0EEENS1_30default_config_static_selectorELNS0_4arch9wavefront6targetE1EEEvT1_
	.p2align	8
	.type	_ZN7rocprim17ROCPRIM_400000_NS6detail17trampoline_kernelINS0_14default_configENS1_25partition_config_selectorILNS1_17partition_subalgoE8EfNS0_10empty_typeEbEEZZNS1_14partition_implILS5_8ELb0ES3_jN6thrust23THRUST_200600_302600_NS6detail15normal_iteratorINSA_10device_ptrIfEEEEPS6_PKS6_NS0_5tupleIJSF_S6_EEENSJ_IJSG_SG_EEENS0_18inequality_wrapperI22is_equal_div_10_uniqueIfEEEPmJS6_EEE10hipError_tPvRmT3_T4_T5_T6_T7_T9_mT8_P12ihipStream_tbDpT10_ENKUlT_T0_E_clISt17integral_constantIbLb0EES19_IbLb1EEEEDaS15_S16_EUlS15_E_NS1_11comp_targetILNS1_3genE3ELNS1_11target_archE908ELNS1_3gpuE7ELNS1_3repE0EEENS1_30default_config_static_selectorELNS0_4arch9wavefront6targetE1EEEvT1_,@function
_ZN7rocprim17ROCPRIM_400000_NS6detail17trampoline_kernelINS0_14default_configENS1_25partition_config_selectorILNS1_17partition_subalgoE8EfNS0_10empty_typeEbEEZZNS1_14partition_implILS5_8ELb0ES3_jN6thrust23THRUST_200600_302600_NS6detail15normal_iteratorINSA_10device_ptrIfEEEEPS6_PKS6_NS0_5tupleIJSF_S6_EEENSJ_IJSG_SG_EEENS0_18inequality_wrapperI22is_equal_div_10_uniqueIfEEEPmJS6_EEE10hipError_tPvRmT3_T4_T5_T6_T7_T9_mT8_P12ihipStream_tbDpT10_ENKUlT_T0_E_clISt17integral_constantIbLb0EES19_IbLb1EEEEDaS15_S16_EUlS15_E_NS1_11comp_targetILNS1_3genE3ELNS1_11target_archE908ELNS1_3gpuE7ELNS1_3repE0EEENS1_30default_config_static_selectorELNS0_4arch9wavefront6targetE1EEEvT1_: ; @_ZN7rocprim17ROCPRIM_400000_NS6detail17trampoline_kernelINS0_14default_configENS1_25partition_config_selectorILNS1_17partition_subalgoE8EfNS0_10empty_typeEbEEZZNS1_14partition_implILS5_8ELb0ES3_jN6thrust23THRUST_200600_302600_NS6detail15normal_iteratorINSA_10device_ptrIfEEEEPS6_PKS6_NS0_5tupleIJSF_S6_EEENSJ_IJSG_SG_EEENS0_18inequality_wrapperI22is_equal_div_10_uniqueIfEEEPmJS6_EEE10hipError_tPvRmT3_T4_T5_T6_T7_T9_mT8_P12ihipStream_tbDpT10_ENKUlT_T0_E_clISt17integral_constantIbLb0EES19_IbLb1EEEEDaS15_S16_EUlS15_E_NS1_11comp_targetILNS1_3genE3ELNS1_11target_archE908ELNS1_3gpuE7ELNS1_3repE0EEENS1_30default_config_static_selectorELNS0_4arch9wavefront6targetE1EEEvT1_
; %bb.0:
	.section	.rodata,"a",@progbits
	.p2align	6, 0x0
	.amdhsa_kernel _ZN7rocprim17ROCPRIM_400000_NS6detail17trampoline_kernelINS0_14default_configENS1_25partition_config_selectorILNS1_17partition_subalgoE8EfNS0_10empty_typeEbEEZZNS1_14partition_implILS5_8ELb0ES3_jN6thrust23THRUST_200600_302600_NS6detail15normal_iteratorINSA_10device_ptrIfEEEEPS6_PKS6_NS0_5tupleIJSF_S6_EEENSJ_IJSG_SG_EEENS0_18inequality_wrapperI22is_equal_div_10_uniqueIfEEEPmJS6_EEE10hipError_tPvRmT3_T4_T5_T6_T7_T9_mT8_P12ihipStream_tbDpT10_ENKUlT_T0_E_clISt17integral_constantIbLb0EES19_IbLb1EEEEDaS15_S16_EUlS15_E_NS1_11comp_targetILNS1_3genE3ELNS1_11target_archE908ELNS1_3gpuE7ELNS1_3repE0EEENS1_30default_config_static_selectorELNS0_4arch9wavefront6targetE1EEEvT1_
		.amdhsa_group_segment_fixed_size 0
		.amdhsa_private_segment_fixed_size 0
		.amdhsa_kernarg_size 128
		.amdhsa_user_sgpr_count 6
		.amdhsa_user_sgpr_private_segment_buffer 1
		.amdhsa_user_sgpr_dispatch_ptr 0
		.amdhsa_user_sgpr_queue_ptr 0
		.amdhsa_user_sgpr_kernarg_segment_ptr 1
		.amdhsa_user_sgpr_dispatch_id 0
		.amdhsa_user_sgpr_flat_scratch_init 0
		.amdhsa_user_sgpr_private_segment_size 0
		.amdhsa_uses_dynamic_stack 0
		.amdhsa_system_sgpr_private_segment_wavefront_offset 0
		.amdhsa_system_sgpr_workgroup_id_x 1
		.amdhsa_system_sgpr_workgroup_id_y 0
		.amdhsa_system_sgpr_workgroup_id_z 0
		.amdhsa_system_sgpr_workgroup_info 0
		.amdhsa_system_vgpr_workitem_id 0
		.amdhsa_next_free_vgpr 1
		.amdhsa_next_free_sgpr 0
		.amdhsa_reserve_vcc 0
		.amdhsa_reserve_flat_scratch 0
		.amdhsa_float_round_mode_32 0
		.amdhsa_float_round_mode_16_64 0
		.amdhsa_float_denorm_mode_32 3
		.amdhsa_float_denorm_mode_16_64 3
		.amdhsa_dx10_clamp 1
		.amdhsa_ieee_mode 1
		.amdhsa_fp16_overflow 0
		.amdhsa_exception_fp_ieee_invalid_op 0
		.amdhsa_exception_fp_denorm_src 0
		.amdhsa_exception_fp_ieee_div_zero 0
		.amdhsa_exception_fp_ieee_overflow 0
		.amdhsa_exception_fp_ieee_underflow 0
		.amdhsa_exception_fp_ieee_inexact 0
		.amdhsa_exception_int_div_zero 0
	.end_amdhsa_kernel
	.section	.text._ZN7rocprim17ROCPRIM_400000_NS6detail17trampoline_kernelINS0_14default_configENS1_25partition_config_selectorILNS1_17partition_subalgoE8EfNS0_10empty_typeEbEEZZNS1_14partition_implILS5_8ELb0ES3_jN6thrust23THRUST_200600_302600_NS6detail15normal_iteratorINSA_10device_ptrIfEEEEPS6_PKS6_NS0_5tupleIJSF_S6_EEENSJ_IJSG_SG_EEENS0_18inequality_wrapperI22is_equal_div_10_uniqueIfEEEPmJS6_EEE10hipError_tPvRmT3_T4_T5_T6_T7_T9_mT8_P12ihipStream_tbDpT10_ENKUlT_T0_E_clISt17integral_constantIbLb0EES19_IbLb1EEEEDaS15_S16_EUlS15_E_NS1_11comp_targetILNS1_3genE3ELNS1_11target_archE908ELNS1_3gpuE7ELNS1_3repE0EEENS1_30default_config_static_selectorELNS0_4arch9wavefront6targetE1EEEvT1_,"axG",@progbits,_ZN7rocprim17ROCPRIM_400000_NS6detail17trampoline_kernelINS0_14default_configENS1_25partition_config_selectorILNS1_17partition_subalgoE8EfNS0_10empty_typeEbEEZZNS1_14partition_implILS5_8ELb0ES3_jN6thrust23THRUST_200600_302600_NS6detail15normal_iteratorINSA_10device_ptrIfEEEEPS6_PKS6_NS0_5tupleIJSF_S6_EEENSJ_IJSG_SG_EEENS0_18inequality_wrapperI22is_equal_div_10_uniqueIfEEEPmJS6_EEE10hipError_tPvRmT3_T4_T5_T6_T7_T9_mT8_P12ihipStream_tbDpT10_ENKUlT_T0_E_clISt17integral_constantIbLb0EES19_IbLb1EEEEDaS15_S16_EUlS15_E_NS1_11comp_targetILNS1_3genE3ELNS1_11target_archE908ELNS1_3gpuE7ELNS1_3repE0EEENS1_30default_config_static_selectorELNS0_4arch9wavefront6targetE1EEEvT1_,comdat
.Lfunc_end139:
	.size	_ZN7rocprim17ROCPRIM_400000_NS6detail17trampoline_kernelINS0_14default_configENS1_25partition_config_selectorILNS1_17partition_subalgoE8EfNS0_10empty_typeEbEEZZNS1_14partition_implILS5_8ELb0ES3_jN6thrust23THRUST_200600_302600_NS6detail15normal_iteratorINSA_10device_ptrIfEEEEPS6_PKS6_NS0_5tupleIJSF_S6_EEENSJ_IJSG_SG_EEENS0_18inequality_wrapperI22is_equal_div_10_uniqueIfEEEPmJS6_EEE10hipError_tPvRmT3_T4_T5_T6_T7_T9_mT8_P12ihipStream_tbDpT10_ENKUlT_T0_E_clISt17integral_constantIbLb0EES19_IbLb1EEEEDaS15_S16_EUlS15_E_NS1_11comp_targetILNS1_3genE3ELNS1_11target_archE908ELNS1_3gpuE7ELNS1_3repE0EEENS1_30default_config_static_selectorELNS0_4arch9wavefront6targetE1EEEvT1_, .Lfunc_end139-_ZN7rocprim17ROCPRIM_400000_NS6detail17trampoline_kernelINS0_14default_configENS1_25partition_config_selectorILNS1_17partition_subalgoE8EfNS0_10empty_typeEbEEZZNS1_14partition_implILS5_8ELb0ES3_jN6thrust23THRUST_200600_302600_NS6detail15normal_iteratorINSA_10device_ptrIfEEEEPS6_PKS6_NS0_5tupleIJSF_S6_EEENSJ_IJSG_SG_EEENS0_18inequality_wrapperI22is_equal_div_10_uniqueIfEEEPmJS6_EEE10hipError_tPvRmT3_T4_T5_T6_T7_T9_mT8_P12ihipStream_tbDpT10_ENKUlT_T0_E_clISt17integral_constantIbLb0EES19_IbLb1EEEEDaS15_S16_EUlS15_E_NS1_11comp_targetILNS1_3genE3ELNS1_11target_archE908ELNS1_3gpuE7ELNS1_3repE0EEENS1_30default_config_static_selectorELNS0_4arch9wavefront6targetE1EEEvT1_
                                        ; -- End function
	.set _ZN7rocprim17ROCPRIM_400000_NS6detail17trampoline_kernelINS0_14default_configENS1_25partition_config_selectorILNS1_17partition_subalgoE8EfNS0_10empty_typeEbEEZZNS1_14partition_implILS5_8ELb0ES3_jN6thrust23THRUST_200600_302600_NS6detail15normal_iteratorINSA_10device_ptrIfEEEEPS6_PKS6_NS0_5tupleIJSF_S6_EEENSJ_IJSG_SG_EEENS0_18inequality_wrapperI22is_equal_div_10_uniqueIfEEEPmJS6_EEE10hipError_tPvRmT3_T4_T5_T6_T7_T9_mT8_P12ihipStream_tbDpT10_ENKUlT_T0_E_clISt17integral_constantIbLb0EES19_IbLb1EEEEDaS15_S16_EUlS15_E_NS1_11comp_targetILNS1_3genE3ELNS1_11target_archE908ELNS1_3gpuE7ELNS1_3repE0EEENS1_30default_config_static_selectorELNS0_4arch9wavefront6targetE1EEEvT1_.num_vgpr, 0
	.set _ZN7rocprim17ROCPRIM_400000_NS6detail17trampoline_kernelINS0_14default_configENS1_25partition_config_selectorILNS1_17partition_subalgoE8EfNS0_10empty_typeEbEEZZNS1_14partition_implILS5_8ELb0ES3_jN6thrust23THRUST_200600_302600_NS6detail15normal_iteratorINSA_10device_ptrIfEEEEPS6_PKS6_NS0_5tupleIJSF_S6_EEENSJ_IJSG_SG_EEENS0_18inequality_wrapperI22is_equal_div_10_uniqueIfEEEPmJS6_EEE10hipError_tPvRmT3_T4_T5_T6_T7_T9_mT8_P12ihipStream_tbDpT10_ENKUlT_T0_E_clISt17integral_constantIbLb0EES19_IbLb1EEEEDaS15_S16_EUlS15_E_NS1_11comp_targetILNS1_3genE3ELNS1_11target_archE908ELNS1_3gpuE7ELNS1_3repE0EEENS1_30default_config_static_selectorELNS0_4arch9wavefront6targetE1EEEvT1_.num_agpr, 0
	.set _ZN7rocprim17ROCPRIM_400000_NS6detail17trampoline_kernelINS0_14default_configENS1_25partition_config_selectorILNS1_17partition_subalgoE8EfNS0_10empty_typeEbEEZZNS1_14partition_implILS5_8ELb0ES3_jN6thrust23THRUST_200600_302600_NS6detail15normal_iteratorINSA_10device_ptrIfEEEEPS6_PKS6_NS0_5tupleIJSF_S6_EEENSJ_IJSG_SG_EEENS0_18inequality_wrapperI22is_equal_div_10_uniqueIfEEEPmJS6_EEE10hipError_tPvRmT3_T4_T5_T6_T7_T9_mT8_P12ihipStream_tbDpT10_ENKUlT_T0_E_clISt17integral_constantIbLb0EES19_IbLb1EEEEDaS15_S16_EUlS15_E_NS1_11comp_targetILNS1_3genE3ELNS1_11target_archE908ELNS1_3gpuE7ELNS1_3repE0EEENS1_30default_config_static_selectorELNS0_4arch9wavefront6targetE1EEEvT1_.numbered_sgpr, 0
	.set _ZN7rocprim17ROCPRIM_400000_NS6detail17trampoline_kernelINS0_14default_configENS1_25partition_config_selectorILNS1_17partition_subalgoE8EfNS0_10empty_typeEbEEZZNS1_14partition_implILS5_8ELb0ES3_jN6thrust23THRUST_200600_302600_NS6detail15normal_iteratorINSA_10device_ptrIfEEEEPS6_PKS6_NS0_5tupleIJSF_S6_EEENSJ_IJSG_SG_EEENS0_18inequality_wrapperI22is_equal_div_10_uniqueIfEEEPmJS6_EEE10hipError_tPvRmT3_T4_T5_T6_T7_T9_mT8_P12ihipStream_tbDpT10_ENKUlT_T0_E_clISt17integral_constantIbLb0EES19_IbLb1EEEEDaS15_S16_EUlS15_E_NS1_11comp_targetILNS1_3genE3ELNS1_11target_archE908ELNS1_3gpuE7ELNS1_3repE0EEENS1_30default_config_static_selectorELNS0_4arch9wavefront6targetE1EEEvT1_.num_named_barrier, 0
	.set _ZN7rocprim17ROCPRIM_400000_NS6detail17trampoline_kernelINS0_14default_configENS1_25partition_config_selectorILNS1_17partition_subalgoE8EfNS0_10empty_typeEbEEZZNS1_14partition_implILS5_8ELb0ES3_jN6thrust23THRUST_200600_302600_NS6detail15normal_iteratorINSA_10device_ptrIfEEEEPS6_PKS6_NS0_5tupleIJSF_S6_EEENSJ_IJSG_SG_EEENS0_18inequality_wrapperI22is_equal_div_10_uniqueIfEEEPmJS6_EEE10hipError_tPvRmT3_T4_T5_T6_T7_T9_mT8_P12ihipStream_tbDpT10_ENKUlT_T0_E_clISt17integral_constantIbLb0EES19_IbLb1EEEEDaS15_S16_EUlS15_E_NS1_11comp_targetILNS1_3genE3ELNS1_11target_archE908ELNS1_3gpuE7ELNS1_3repE0EEENS1_30default_config_static_selectorELNS0_4arch9wavefront6targetE1EEEvT1_.private_seg_size, 0
	.set _ZN7rocprim17ROCPRIM_400000_NS6detail17trampoline_kernelINS0_14default_configENS1_25partition_config_selectorILNS1_17partition_subalgoE8EfNS0_10empty_typeEbEEZZNS1_14partition_implILS5_8ELb0ES3_jN6thrust23THRUST_200600_302600_NS6detail15normal_iteratorINSA_10device_ptrIfEEEEPS6_PKS6_NS0_5tupleIJSF_S6_EEENSJ_IJSG_SG_EEENS0_18inequality_wrapperI22is_equal_div_10_uniqueIfEEEPmJS6_EEE10hipError_tPvRmT3_T4_T5_T6_T7_T9_mT8_P12ihipStream_tbDpT10_ENKUlT_T0_E_clISt17integral_constantIbLb0EES19_IbLb1EEEEDaS15_S16_EUlS15_E_NS1_11comp_targetILNS1_3genE3ELNS1_11target_archE908ELNS1_3gpuE7ELNS1_3repE0EEENS1_30default_config_static_selectorELNS0_4arch9wavefront6targetE1EEEvT1_.uses_vcc, 0
	.set _ZN7rocprim17ROCPRIM_400000_NS6detail17trampoline_kernelINS0_14default_configENS1_25partition_config_selectorILNS1_17partition_subalgoE8EfNS0_10empty_typeEbEEZZNS1_14partition_implILS5_8ELb0ES3_jN6thrust23THRUST_200600_302600_NS6detail15normal_iteratorINSA_10device_ptrIfEEEEPS6_PKS6_NS0_5tupleIJSF_S6_EEENSJ_IJSG_SG_EEENS0_18inequality_wrapperI22is_equal_div_10_uniqueIfEEEPmJS6_EEE10hipError_tPvRmT3_T4_T5_T6_T7_T9_mT8_P12ihipStream_tbDpT10_ENKUlT_T0_E_clISt17integral_constantIbLb0EES19_IbLb1EEEEDaS15_S16_EUlS15_E_NS1_11comp_targetILNS1_3genE3ELNS1_11target_archE908ELNS1_3gpuE7ELNS1_3repE0EEENS1_30default_config_static_selectorELNS0_4arch9wavefront6targetE1EEEvT1_.uses_flat_scratch, 0
	.set _ZN7rocprim17ROCPRIM_400000_NS6detail17trampoline_kernelINS0_14default_configENS1_25partition_config_selectorILNS1_17partition_subalgoE8EfNS0_10empty_typeEbEEZZNS1_14partition_implILS5_8ELb0ES3_jN6thrust23THRUST_200600_302600_NS6detail15normal_iteratorINSA_10device_ptrIfEEEEPS6_PKS6_NS0_5tupleIJSF_S6_EEENSJ_IJSG_SG_EEENS0_18inequality_wrapperI22is_equal_div_10_uniqueIfEEEPmJS6_EEE10hipError_tPvRmT3_T4_T5_T6_T7_T9_mT8_P12ihipStream_tbDpT10_ENKUlT_T0_E_clISt17integral_constantIbLb0EES19_IbLb1EEEEDaS15_S16_EUlS15_E_NS1_11comp_targetILNS1_3genE3ELNS1_11target_archE908ELNS1_3gpuE7ELNS1_3repE0EEENS1_30default_config_static_selectorELNS0_4arch9wavefront6targetE1EEEvT1_.has_dyn_sized_stack, 0
	.set _ZN7rocprim17ROCPRIM_400000_NS6detail17trampoline_kernelINS0_14default_configENS1_25partition_config_selectorILNS1_17partition_subalgoE8EfNS0_10empty_typeEbEEZZNS1_14partition_implILS5_8ELb0ES3_jN6thrust23THRUST_200600_302600_NS6detail15normal_iteratorINSA_10device_ptrIfEEEEPS6_PKS6_NS0_5tupleIJSF_S6_EEENSJ_IJSG_SG_EEENS0_18inequality_wrapperI22is_equal_div_10_uniqueIfEEEPmJS6_EEE10hipError_tPvRmT3_T4_T5_T6_T7_T9_mT8_P12ihipStream_tbDpT10_ENKUlT_T0_E_clISt17integral_constantIbLb0EES19_IbLb1EEEEDaS15_S16_EUlS15_E_NS1_11comp_targetILNS1_3genE3ELNS1_11target_archE908ELNS1_3gpuE7ELNS1_3repE0EEENS1_30default_config_static_selectorELNS0_4arch9wavefront6targetE1EEEvT1_.has_recursion, 0
	.set _ZN7rocprim17ROCPRIM_400000_NS6detail17trampoline_kernelINS0_14default_configENS1_25partition_config_selectorILNS1_17partition_subalgoE8EfNS0_10empty_typeEbEEZZNS1_14partition_implILS5_8ELb0ES3_jN6thrust23THRUST_200600_302600_NS6detail15normal_iteratorINSA_10device_ptrIfEEEEPS6_PKS6_NS0_5tupleIJSF_S6_EEENSJ_IJSG_SG_EEENS0_18inequality_wrapperI22is_equal_div_10_uniqueIfEEEPmJS6_EEE10hipError_tPvRmT3_T4_T5_T6_T7_T9_mT8_P12ihipStream_tbDpT10_ENKUlT_T0_E_clISt17integral_constantIbLb0EES19_IbLb1EEEEDaS15_S16_EUlS15_E_NS1_11comp_targetILNS1_3genE3ELNS1_11target_archE908ELNS1_3gpuE7ELNS1_3repE0EEENS1_30default_config_static_selectorELNS0_4arch9wavefront6targetE1EEEvT1_.has_indirect_call, 0
	.section	.AMDGPU.csdata,"",@progbits
; Kernel info:
; codeLenInByte = 0
; TotalNumSgprs: 4
; NumVgprs: 0
; ScratchSize: 0
; MemoryBound: 0
; FloatMode: 240
; IeeeMode: 1
; LDSByteSize: 0 bytes/workgroup (compile time only)
; SGPRBlocks: 0
; VGPRBlocks: 0
; NumSGPRsForWavesPerEU: 4
; NumVGPRsForWavesPerEU: 1
; Occupancy: 10
; WaveLimiterHint : 0
; COMPUTE_PGM_RSRC2:SCRATCH_EN: 0
; COMPUTE_PGM_RSRC2:USER_SGPR: 6
; COMPUTE_PGM_RSRC2:TRAP_HANDLER: 0
; COMPUTE_PGM_RSRC2:TGID_X_EN: 1
; COMPUTE_PGM_RSRC2:TGID_Y_EN: 0
; COMPUTE_PGM_RSRC2:TGID_Z_EN: 0
; COMPUTE_PGM_RSRC2:TIDIG_COMP_CNT: 0
	.section	.text._ZN7rocprim17ROCPRIM_400000_NS6detail17trampoline_kernelINS0_14default_configENS1_25partition_config_selectorILNS1_17partition_subalgoE8EfNS0_10empty_typeEbEEZZNS1_14partition_implILS5_8ELb0ES3_jN6thrust23THRUST_200600_302600_NS6detail15normal_iteratorINSA_10device_ptrIfEEEEPS6_PKS6_NS0_5tupleIJSF_S6_EEENSJ_IJSG_SG_EEENS0_18inequality_wrapperI22is_equal_div_10_uniqueIfEEEPmJS6_EEE10hipError_tPvRmT3_T4_T5_T6_T7_T9_mT8_P12ihipStream_tbDpT10_ENKUlT_T0_E_clISt17integral_constantIbLb0EES19_IbLb1EEEEDaS15_S16_EUlS15_E_NS1_11comp_targetILNS1_3genE2ELNS1_11target_archE906ELNS1_3gpuE6ELNS1_3repE0EEENS1_30default_config_static_selectorELNS0_4arch9wavefront6targetE1EEEvT1_,"axG",@progbits,_ZN7rocprim17ROCPRIM_400000_NS6detail17trampoline_kernelINS0_14default_configENS1_25partition_config_selectorILNS1_17partition_subalgoE8EfNS0_10empty_typeEbEEZZNS1_14partition_implILS5_8ELb0ES3_jN6thrust23THRUST_200600_302600_NS6detail15normal_iteratorINSA_10device_ptrIfEEEEPS6_PKS6_NS0_5tupleIJSF_S6_EEENSJ_IJSG_SG_EEENS0_18inequality_wrapperI22is_equal_div_10_uniqueIfEEEPmJS6_EEE10hipError_tPvRmT3_T4_T5_T6_T7_T9_mT8_P12ihipStream_tbDpT10_ENKUlT_T0_E_clISt17integral_constantIbLb0EES19_IbLb1EEEEDaS15_S16_EUlS15_E_NS1_11comp_targetILNS1_3genE2ELNS1_11target_archE906ELNS1_3gpuE6ELNS1_3repE0EEENS1_30default_config_static_selectorELNS0_4arch9wavefront6targetE1EEEvT1_,comdat
	.protected	_ZN7rocprim17ROCPRIM_400000_NS6detail17trampoline_kernelINS0_14default_configENS1_25partition_config_selectorILNS1_17partition_subalgoE8EfNS0_10empty_typeEbEEZZNS1_14partition_implILS5_8ELb0ES3_jN6thrust23THRUST_200600_302600_NS6detail15normal_iteratorINSA_10device_ptrIfEEEEPS6_PKS6_NS0_5tupleIJSF_S6_EEENSJ_IJSG_SG_EEENS0_18inequality_wrapperI22is_equal_div_10_uniqueIfEEEPmJS6_EEE10hipError_tPvRmT3_T4_T5_T6_T7_T9_mT8_P12ihipStream_tbDpT10_ENKUlT_T0_E_clISt17integral_constantIbLb0EES19_IbLb1EEEEDaS15_S16_EUlS15_E_NS1_11comp_targetILNS1_3genE2ELNS1_11target_archE906ELNS1_3gpuE6ELNS1_3repE0EEENS1_30default_config_static_selectorELNS0_4arch9wavefront6targetE1EEEvT1_ ; -- Begin function _ZN7rocprim17ROCPRIM_400000_NS6detail17trampoline_kernelINS0_14default_configENS1_25partition_config_selectorILNS1_17partition_subalgoE8EfNS0_10empty_typeEbEEZZNS1_14partition_implILS5_8ELb0ES3_jN6thrust23THRUST_200600_302600_NS6detail15normal_iteratorINSA_10device_ptrIfEEEEPS6_PKS6_NS0_5tupleIJSF_S6_EEENSJ_IJSG_SG_EEENS0_18inequality_wrapperI22is_equal_div_10_uniqueIfEEEPmJS6_EEE10hipError_tPvRmT3_T4_T5_T6_T7_T9_mT8_P12ihipStream_tbDpT10_ENKUlT_T0_E_clISt17integral_constantIbLb0EES19_IbLb1EEEEDaS15_S16_EUlS15_E_NS1_11comp_targetILNS1_3genE2ELNS1_11target_archE906ELNS1_3gpuE6ELNS1_3repE0EEENS1_30default_config_static_selectorELNS0_4arch9wavefront6targetE1EEEvT1_
	.globl	_ZN7rocprim17ROCPRIM_400000_NS6detail17trampoline_kernelINS0_14default_configENS1_25partition_config_selectorILNS1_17partition_subalgoE8EfNS0_10empty_typeEbEEZZNS1_14partition_implILS5_8ELb0ES3_jN6thrust23THRUST_200600_302600_NS6detail15normal_iteratorINSA_10device_ptrIfEEEEPS6_PKS6_NS0_5tupleIJSF_S6_EEENSJ_IJSG_SG_EEENS0_18inequality_wrapperI22is_equal_div_10_uniqueIfEEEPmJS6_EEE10hipError_tPvRmT3_T4_T5_T6_T7_T9_mT8_P12ihipStream_tbDpT10_ENKUlT_T0_E_clISt17integral_constantIbLb0EES19_IbLb1EEEEDaS15_S16_EUlS15_E_NS1_11comp_targetILNS1_3genE2ELNS1_11target_archE906ELNS1_3gpuE6ELNS1_3repE0EEENS1_30default_config_static_selectorELNS0_4arch9wavefront6targetE1EEEvT1_
	.p2align	8
	.type	_ZN7rocprim17ROCPRIM_400000_NS6detail17trampoline_kernelINS0_14default_configENS1_25partition_config_selectorILNS1_17partition_subalgoE8EfNS0_10empty_typeEbEEZZNS1_14partition_implILS5_8ELb0ES3_jN6thrust23THRUST_200600_302600_NS6detail15normal_iteratorINSA_10device_ptrIfEEEEPS6_PKS6_NS0_5tupleIJSF_S6_EEENSJ_IJSG_SG_EEENS0_18inequality_wrapperI22is_equal_div_10_uniqueIfEEEPmJS6_EEE10hipError_tPvRmT3_T4_T5_T6_T7_T9_mT8_P12ihipStream_tbDpT10_ENKUlT_T0_E_clISt17integral_constantIbLb0EES19_IbLb1EEEEDaS15_S16_EUlS15_E_NS1_11comp_targetILNS1_3genE2ELNS1_11target_archE906ELNS1_3gpuE6ELNS1_3repE0EEENS1_30default_config_static_selectorELNS0_4arch9wavefront6targetE1EEEvT1_,@function
_ZN7rocprim17ROCPRIM_400000_NS6detail17trampoline_kernelINS0_14default_configENS1_25partition_config_selectorILNS1_17partition_subalgoE8EfNS0_10empty_typeEbEEZZNS1_14partition_implILS5_8ELb0ES3_jN6thrust23THRUST_200600_302600_NS6detail15normal_iteratorINSA_10device_ptrIfEEEEPS6_PKS6_NS0_5tupleIJSF_S6_EEENSJ_IJSG_SG_EEENS0_18inequality_wrapperI22is_equal_div_10_uniqueIfEEEPmJS6_EEE10hipError_tPvRmT3_T4_T5_T6_T7_T9_mT8_P12ihipStream_tbDpT10_ENKUlT_T0_E_clISt17integral_constantIbLb0EES19_IbLb1EEEEDaS15_S16_EUlS15_E_NS1_11comp_targetILNS1_3genE2ELNS1_11target_archE906ELNS1_3gpuE6ELNS1_3repE0EEENS1_30default_config_static_selectorELNS0_4arch9wavefront6targetE1EEEvT1_: ; @_ZN7rocprim17ROCPRIM_400000_NS6detail17trampoline_kernelINS0_14default_configENS1_25partition_config_selectorILNS1_17partition_subalgoE8EfNS0_10empty_typeEbEEZZNS1_14partition_implILS5_8ELb0ES3_jN6thrust23THRUST_200600_302600_NS6detail15normal_iteratorINSA_10device_ptrIfEEEEPS6_PKS6_NS0_5tupleIJSF_S6_EEENSJ_IJSG_SG_EEENS0_18inequality_wrapperI22is_equal_div_10_uniqueIfEEEPmJS6_EEE10hipError_tPvRmT3_T4_T5_T6_T7_T9_mT8_P12ihipStream_tbDpT10_ENKUlT_T0_E_clISt17integral_constantIbLb0EES19_IbLb1EEEEDaS15_S16_EUlS15_E_NS1_11comp_targetILNS1_3genE2ELNS1_11target_archE906ELNS1_3gpuE6ELNS1_3repE0EEENS1_30default_config_static_selectorELNS0_4arch9wavefront6targetE1EEEvT1_
; %bb.0:
	s_load_dwordx2 s[34:35], s[4:5], 0x28
	s_load_dwordx4 s[36:39], s[4:5], 0x40
	s_load_dwordx2 s[6:7], s[4:5], 0x50
	s_load_dwordx2 s[42:43], s[4:5], 0x60
	v_cmp_ne_u32_e64 s[2:3], 0, v0
	v_cmp_eq_u32_e64 s[0:1], 0, v0
	s_and_saveexec_b64 s[8:9], s[0:1]
	s_cbranch_execz .LBB140_4
; %bb.1:
	s_mov_b64 s[12:13], exec
	v_mbcnt_lo_u32_b32 v1, s12, 0
	v_mbcnt_hi_u32_b32 v1, s13, v1
	v_cmp_eq_u32_e32 vcc, 0, v1
                                        ; implicit-def: $vgpr2
	s_and_saveexec_b64 s[10:11], vcc
	s_cbranch_execz .LBB140_3
; %bb.2:
	s_load_dwordx2 s[14:15], s[4:5], 0x70
	s_bcnt1_i32_b64 s12, s[12:13]
	v_mov_b32_e32 v2, 0
	v_mov_b32_e32 v3, s12
	s_waitcnt lgkmcnt(0)
	global_atomic_add v2, v2, v3, s[14:15] glc
.LBB140_3:
	s_or_b64 exec, exec, s[10:11]
	s_waitcnt vmcnt(0)
	v_readfirstlane_b32 s10, v2
	v_add_u32_e32 v1, s10, v1
	v_mov_b32_e32 v2, 0
	ds_write_b32 v2, v1
.LBB140_4:
	s_or_b64 exec, exec, s[8:9]
	v_mov_b32_e32 v2, 0
	s_load_dwordx4 s[8:11], s[4:5], 0x8
	s_load_dword s12, s[4:5], 0x68
	s_waitcnt lgkmcnt(0)
	s_barrier
	ds_read_b32 v1, v2
	s_waitcnt lgkmcnt(0)
	s_barrier
	global_load_dwordx2 v[18:19], v2, s[38:39]
	s_lshl_b64 s[4:5], s[10:11], 2
	s_add_u32 s13, s8, s4
	s_addc_u32 s9, s9, s5
	s_add_i32 s14, s12, -1
	s_lshl_b32 s4, s14, 12
	s_add_i32 s8, s10, s4
	s_lshl_b32 s4, s12, 12
	s_add_u32 s4, s10, s4
	s_addc_u32 s5, s11, 0
	v_mov_b32_e32 v3, s4
	v_readfirstlane_b32 s33, v1
	v_lshlrev_b32_e32 v1, 12, v1
	v_mov_b32_e32 v4, s5
	v_cmp_le_u64_e32 vcc, s[6:7], v[3:4]
	s_cmp_eq_u32 s33, s14
	v_lshlrev_b64 v[1:2], 2, v[1:2]
	s_cselect_b64 s[38:39], -1, 0
	s_and_b64 s[44:45], vcc, s[38:39]
	v_mov_b32_e32 v3, s9
	v_add_co_u32_e32 v20, vcc, s13, v1
	s_xor_b64 s[40:41], s[44:45], -1
	v_addc_co_u32_e32 v21, vcc, v3, v2, vcc
	s_mov_b64 s[4:5], -1
	s_and_b64 vcc, exec, s[40:41]
	v_lshrrev_b32_e32 v22, 3, v0
	s_cbranch_vccz .LBB140_6
; %bb.5:
	v_lshlrev_b32_e32 v5, 2, v0
	v_add_co_u32_e32 v1, vcc, v20, v5
	v_addc_co_u32_e32 v2, vcc, 0, v21, vcc
	v_add_co_u32_e32 v3, vcc, 0x1000, v1
	v_addc_co_u32_e32 v4, vcc, 0, v2, vcc
	flat_load_dword v6, v[1:2]
	flat_load_dword v7, v[1:2] offset:1024
	flat_load_dword v8, v[1:2] offset:2048
	;; [unrolled: 1-line block ×3, first 2 shown]
	flat_load_dword v10, v[3:4]
	flat_load_dword v11, v[3:4] offset:1024
	flat_load_dword v12, v[3:4] offset:2048
	;; [unrolled: 1-line block ×3, first 2 shown]
	v_add_co_u32_e32 v3, vcc, 0x2000, v1
	v_addc_co_u32_e32 v4, vcc, 0, v2, vcc
	flat_load_dword v14, v[3:4]
	flat_load_dword v15, v[3:4] offset:1024
	flat_load_dword v16, v[3:4] offset:2048
	;; [unrolled: 1-line block ×3, first 2 shown]
	v_add_co_u32_e32 v1, vcc, 0x3000, v1
	v_addc_co_u32_e32 v2, vcc, 0, v2, vcc
	flat_load_dword v3, v[1:2]
	flat_load_dword v4, v[1:2] offset:1024
	flat_load_dword v23, v[1:2] offset:2048
	;; [unrolled: 1-line block ×3, first 2 shown]
	v_or_b32_e32 v2, 0x100, v0
	v_or_b32_e32 v25, 0x200, v0
	;; [unrolled: 1-line block ×9, first 2 shown]
	v_and_b32_e32 v1, 28, v22
	v_or_b32_e32 v33, 0xa00, v0
	v_lshrrev_b32_e32 v2, 3, v2
	v_lshrrev_b32_e32 v25, 3, v25
	;; [unrolled: 1-line block ×9, first 2 shown]
	v_add_u32_e32 v1, v1, v5
	v_lshrrev_b32_e32 v33, 3, v33
	v_and_b32_e32 v2, 60, v2
	v_and_b32_e32 v25, 0x5c, v25
	;; [unrolled: 1-line block ×9, first 2 shown]
	v_add_u32_e32 v2, v2, v5
	v_add_u32_e32 v25, v25, v5
	;; [unrolled: 1-line block ×9, first 2 shown]
	s_mov_b64 s[4:5], 0
	s_waitcnt vmcnt(0) lgkmcnt(0)
	ds_write_b32 v1, v6
	ds_write_b32 v2, v7 offset:1024
	ds_write_b32 v25, v8 offset:2048
	;; [unrolled: 1-line block ×9, first 2 shown]
	v_and_b32_e32 v1, 0x15c, v33
	v_add_u32_e32 v1, v1, v5
	ds_write_b32 v1, v16 offset:10240
	v_or_b32_e32 v1, 0xb00, v0
	v_lshrrev_b32_e32 v1, 3, v1
	v_and_b32_e32 v1, 0x17c, v1
	v_add_u32_e32 v1, v1, v5
	ds_write_b32 v1, v17 offset:11264
	v_or_b32_e32 v1, 0xc00, v0
	v_lshrrev_b32_e32 v1, 3, v1
	;; [unrolled: 5-line block ×5, first 2 shown]
	v_and_b32_e32 v1, 0x1fc, v1
	v_add_u32_e32 v1, v1, v5
	ds_write_b32 v1, v24 offset:15360
	s_waitcnt lgkmcnt(0)
	s_barrier
.LBB140_6:
	s_andn2_b64 vcc, exec, s[4:5]
	s_sub_i32 s56, s6, s8
	s_cbranch_vccnz .LBB140_40
; %bb.7:
	v_mov_b32_e32 v1, 0
	v_cmp_gt_u32_e32 vcc, s56, v0
	v_mov_b32_e32 v2, v1
	v_mov_b32_e32 v3, v1
	;; [unrolled: 1-line block ×15, first 2 shown]
	s_and_saveexec_b64 s[4:5], vcc
	s_cbranch_execz .LBB140_9
; %bb.8:
	v_lshlrev_b32_e32 v2, 2, v0
	v_add_co_u32_e32 v2, vcc, v20, v2
	v_addc_co_u32_e32 v3, vcc, 0, v21, vcc
	flat_load_dword v2, v[2:3]
	v_mov_b32_e32 v3, v1
	v_mov_b32_e32 v4, v1
	v_mov_b32_e32 v5, v1
	v_mov_b32_e32 v6, v1
	v_mov_b32_e32 v7, v1
	v_mov_b32_e32 v8, v1
	v_mov_b32_e32 v9, v1
	v_mov_b32_e32 v10, v1
	v_mov_b32_e32 v11, v1
	v_mov_b32_e32 v12, v1
	v_mov_b32_e32 v13, v1
	v_mov_b32_e32 v14, v1
	v_mov_b32_e32 v15, v1
	v_mov_b32_e32 v16, v1
	v_mov_b32_e32 v17, v1
	s_waitcnt vmcnt(0) lgkmcnt(0)
	v_mov_b32_e32 v1, v2
	v_mov_b32_e32 v2, v3
	;; [unrolled: 1-line block ×16, first 2 shown]
.LBB140_9:
	s_or_b64 exec, exec, s[4:5]
	v_or_b32_e32 v17, 0x100, v0
	v_cmp_gt_u32_e32 vcc, s56, v17
	s_and_saveexec_b64 s[4:5], vcc
	s_cbranch_execz .LBB140_11
; %bb.10:
	v_lshlrev_b32_e32 v2, 2, v0
	v_add_co_u32_e32 v23, vcc, v20, v2
	v_addc_co_u32_e32 v24, vcc, 0, v21, vcc
	flat_load_dword v2, v[23:24] offset:1024
.LBB140_11:
	s_or_b64 exec, exec, s[4:5]
	v_or_b32_e32 v23, 0x200, v0
	v_cmp_gt_u32_e32 vcc, s56, v23
	s_and_saveexec_b64 s[4:5], vcc
	s_cbranch_execz .LBB140_13
; %bb.12:
	v_lshlrev_b32_e32 v3, 2, v0
	v_add_co_u32_e32 v24, vcc, v20, v3
	v_addc_co_u32_e32 v25, vcc, 0, v21, vcc
	flat_load_dword v3, v[24:25] offset:2048
.LBB140_13:
	s_or_b64 exec, exec, s[4:5]
	v_or_b32_e32 v24, 0x300, v0
	v_cmp_gt_u32_e32 vcc, s56, v24
	s_and_saveexec_b64 s[4:5], vcc
	s_cbranch_execz .LBB140_15
; %bb.14:
	v_lshlrev_b32_e32 v4, 2, v0
	v_add_co_u32_e32 v25, vcc, v20, v4
	v_addc_co_u32_e32 v26, vcc, 0, v21, vcc
	flat_load_dword v4, v[25:26] offset:3072
.LBB140_15:
	s_or_b64 exec, exec, s[4:5]
	v_or_b32_e32 v25, 0x400, v0
	v_cmp_gt_u32_e32 vcc, s56, v25
	s_and_saveexec_b64 s[4:5], vcc
	s_cbranch_execz .LBB140_17
; %bb.16:
	v_lshlrev_b32_e32 v5, 2, v25
	v_add_co_u32_e32 v26, vcc, v20, v5
	v_addc_co_u32_e32 v27, vcc, 0, v21, vcc
	flat_load_dword v5, v[26:27]
.LBB140_17:
	s_or_b64 exec, exec, s[4:5]
	v_or_b32_e32 v26, 0x500, v0
	v_cmp_gt_u32_e32 vcc, s56, v26
	s_and_saveexec_b64 s[4:5], vcc
	s_cbranch_execz .LBB140_19
; %bb.18:
	v_lshlrev_b32_e32 v6, 2, v26
	v_add_co_u32_e32 v27, vcc, v20, v6
	v_addc_co_u32_e32 v28, vcc, 0, v21, vcc
	flat_load_dword v6, v[27:28]
.LBB140_19:
	;; [unrolled: 11-line block ×12, first 2 shown]
	s_or_b64 exec, exec, s[4:5]
	v_and_b32_e32 v22, 28, v22
	v_lshlrev_b32_e32 v37, 2, v0
	v_add_u32_e32 v22, v22, v37
	ds_write_b32 v22, v1
	v_lshrrev_b32_e32 v1, 3, v17
	v_and_b32_e32 v1, 60, v1
	v_add_u32_e32 v1, v1, v37
	s_waitcnt vmcnt(0) lgkmcnt(0)
	ds_write_b32 v1, v2 offset:1024
	v_lshrrev_b32_e32 v1, 3, v23
	v_and_b32_e32 v1, 0x7c, v1
	v_add_u32_e32 v1, v1, v37
	ds_write_b32 v1, v3 offset:2048
	v_lshrrev_b32_e32 v1, 3, v24
	v_and_b32_e32 v1, 0x7c, v1
	v_add_u32_e32 v1, v1, v37
	;; [unrolled: 4-line block ×14, first 2 shown]
	ds_write_b32 v1, v16 offset:15360
	s_waitcnt lgkmcnt(0)
	s_barrier
.LBB140_40:
	v_lshlrev_b32_e32 v1, 1, v0
	v_and_b32_e32 v1, 0x1fc, v1
	v_lshl_add_u32 v1, v0, 6, v1
	ds_read2_b32 v[15:16], v1 offset1:1
	ds_read2_b32 v[13:14], v1 offset0:2 offset1:3
	ds_read2_b32 v[11:12], v1 offset0:4 offset1:5
	;; [unrolled: 1-line block ×7, first 2 shown]
	s_cmp_lg_u32 s33, 0
	s_cselect_b64 s[46:47], -1, 0
	s_cmp_lg_u64 s[10:11], 0
	s_cselect_b64 s[4:5], -1, 0
	s_or_b64 s[4:5], s[4:5], s[46:47]
	v_lshlrev_b32_e32 v17, 4, v0
	s_mov_b64 s[48:49], 0
	s_and_b64 vcc, exec, s[4:5]
	s_waitcnt vmcnt(0) lgkmcnt(0)
	s_barrier
	s_cbranch_vccz .LBB140_45
; %bb.41:
	v_add_co_u32_e32 v20, vcc, -4, v20
	v_addc_co_u32_e32 v21, vcc, -1, v21, vcc
	flat_load_dword v20, v[20:21]
	v_lshlrev_b32_e32 v21, 2, v0
	s_and_b64 vcc, exec, s[40:41]
	ds_write_b32 v21, v2
	s_cbranch_vccz .LBB140_46
; %bb.42:
	s_waitcnt vmcnt(0) lgkmcnt(0)
	v_mov_b32_e32 v22, v20
	s_barrier
	s_and_saveexec_b64 s[4:5], s[2:3]
; %bb.43:
	v_add_u32_e32 v22, -4, v21
	ds_read_b32 v22, v22
; %bb.44:
	s_or_b64 exec, exec, s[4:5]
	v_cvt_i32_f32_e32 v23, v1
	v_cvt_i32_f32_e32 v24, v2
	s_mov_b32 s4, 0x66666667
	v_cvt_i32_f32_e32 v25, v4
	v_mul_hi_i32 v23, v23, s4
	v_mul_hi_i32 v24, v24, s4
	s_waitcnt lgkmcnt(0)
	v_cvt_i32_f32_e32 v22, v22
	v_mul_hi_i32 v25, v25, s4
	v_lshrrev_b32_e32 v26, 31, v23
	v_ashrrev_i32_e32 v23, 2, v23
	v_lshrrev_b32_e32 v27, 31, v24
	v_ashrrev_i32_e32 v24, 2, v24
	v_add_u32_e32 v23, v23, v26
	v_add_u32_e32 v24, v24, v27
	v_cmp_ne_u32_e32 vcc, v23, v24
	v_cvt_i32_f32_e32 v24, v3
	v_lshrrev_b32_e32 v26, 31, v25
	v_ashrrev_i32_e32 v25, 2, v25
	v_add_u32_e32 v25, v25, v26
	v_mul_hi_i32 v24, v24, s4
	v_cndmask_b32_e64 v54, 0, 1, vcc
	v_cmp_ne_u32_e32 vcc, v25, v23
	v_cvt_i32_f32_e32 v23, v6
	v_lshrrev_b32_e32 v26, 31, v24
	v_ashrrev_i32_e32 v24, 2, v24
	v_add_u32_e32 v24, v24, v26
	v_cndmask_b32_e64 v55, 0, 1, vcc
	v_cmp_ne_u32_e32 vcc, v24, v25
	v_cvt_i32_f32_e32 v25, v5
	v_mul_hi_i32 v23, v23, s4
	v_cndmask_b32_e64 v56, 0, 1, vcc
	v_mul_hi_i32 v22, v22, s4
	v_mul_hi_i32 v25, v25, s4
	v_lshrrev_b32_e32 v26, 31, v23
	v_ashrrev_i32_e32 v23, 2, v23
	v_add_u32_e32 v23, v23, v26
	v_cmp_ne_u32_e32 vcc, v23, v24
	v_cvt_i32_f32_e32 v24, v8
	v_lshrrev_b32_e32 v26, 31, v25
	v_ashrrev_i32_e32 v25, 2, v25
	v_add_u32_e32 v25, v25, v26
	v_cndmask_b32_e64 v57, 0, 1, vcc
	v_cmp_ne_u32_e32 vcc, v25, v23
	v_cvt_i32_f32_e32 v23, v7
	v_mul_hi_i32 v24, v24, s4
	v_cndmask_b32_e64 v58, 0, 1, vcc
	v_mul_hi_i32 v23, v23, s4
	v_lshrrev_b32_e32 v26, 31, v24
	v_ashrrev_i32_e32 v24, 2, v24
	v_add_u32_e32 v24, v24, v26
	v_cmp_ne_u32_e32 vcc, v24, v25
	v_cvt_i32_f32_e32 v25, v10
	v_lshrrev_b32_e32 v26, 31, v23
	v_ashrrev_i32_e32 v23, 2, v23
	v_add_u32_e32 v23, v23, v26
	v_cndmask_b32_e64 v59, 0, 1, vcc
	v_cmp_ne_u32_e32 vcc, v23, v24
	v_cvt_i32_f32_e32 v24, v9
	v_mul_hi_i32 v25, v25, s4
	v_cndmask_b32_e64 v60, 0, 1, vcc
	;; [unrolled: 14-line block ×5, first 2 shown]
	v_mul_hi_i32 v24, v24, s4
	v_lshrrev_b32_e32 v26, 31, v25
	v_ashrrev_i32_e32 v25, 2, v25
	v_add_u32_e32 v25, v25, v26
	v_cmp_ne_u32_e32 vcc, v25, v23
	v_lshrrev_b32_e32 v23, 31, v24
	v_ashrrev_i32_e32 v24, 2, v24
	v_add_u32_e32 v23, v24, v23
	v_lshrrev_b32_e32 v24, 31, v22
	v_ashrrev_i32_e32 v22, 2, v22
	v_cndmask_b32_e64 v67, 0, 1, vcc
	v_cmp_ne_u32_e32 vcc, v23, v25
	v_add_u32_e32 v22, v22, v24
	v_cndmask_b32_e64 v68, 0, 1, vcc
	v_cmp_ne_u32_e64 s[50:51], v22, v23
	s_branch .LBB140_82
.LBB140_45:
                                        ; implicit-def: $sgpr50_sgpr51
                                        ; implicit-def: $vgpr54
                                        ; implicit-def: $vgpr55
                                        ; implicit-def: $vgpr56
                                        ; implicit-def: $vgpr57
                                        ; implicit-def: $vgpr58
                                        ; implicit-def: $vgpr59
                                        ; implicit-def: $vgpr60
                                        ; implicit-def: $vgpr61
                                        ; implicit-def: $vgpr62
                                        ; implicit-def: $vgpr68
                                        ; implicit-def: $vgpr67
                                        ; implicit-def: $vgpr66
                                        ; implicit-def: $vgpr65
                                        ; implicit-def: $vgpr64
                                        ; implicit-def: $vgpr63
	s_branch .LBB140_83
.LBB140_46:
                                        ; implicit-def: $sgpr50_sgpr51
                                        ; implicit-def: $vgpr54
                                        ; implicit-def: $vgpr55
                                        ; implicit-def: $vgpr56
                                        ; implicit-def: $vgpr57
                                        ; implicit-def: $vgpr58
                                        ; implicit-def: $vgpr59
                                        ; implicit-def: $vgpr60
                                        ; implicit-def: $vgpr61
                                        ; implicit-def: $vgpr62
                                        ; implicit-def: $vgpr68
                                        ; implicit-def: $vgpr67
                                        ; implicit-def: $vgpr66
                                        ; implicit-def: $vgpr65
                                        ; implicit-def: $vgpr64
                                        ; implicit-def: $vgpr63
	s_cbranch_execz .LBB140_82
; %bb.47:
	v_or_b32_e32 v22, 15, v17
	v_cmp_gt_u32_e32 vcc, s56, v22
	s_mov_b64 s[6:7], 0
	s_mov_b64 s[4:5], 0
	s_and_saveexec_b64 s[8:9], vcc
	s_cbranch_execz .LBB140_49
; %bb.48:
	v_cvt_i32_f32_e32 v22, v1
	v_cvt_i32_f32_e32 v23, v2
	s_mov_b32 s4, 0x66666667
	v_mul_hi_i32 v22, v22, s4
	v_mul_hi_i32 v23, v23, s4
	v_lshrrev_b32_e32 v24, 31, v22
	v_ashrrev_i32_e32 v22, 2, v22
	v_lshrrev_b32_e32 v25, 31, v23
	v_ashrrev_i32_e32 v23, 2, v23
	v_add_u32_e32 v22, v22, v24
	v_add_u32_e32 v23, v23, v25
	v_cmp_ne_u32_e32 vcc, v22, v23
	s_and_b64 s[4:5], vcc, exec
.LBB140_49:
	s_or_b64 exec, exec, s[8:9]
	v_or_b32_e32 v22, 14, v17
	v_cmp_gt_u32_e32 vcc, s56, v22
	s_and_saveexec_b64 s[8:9], vcc
	s_cbranch_execz .LBB140_51
; %bb.50:
	v_cvt_i32_f32_e32 v22, v4
	v_cvt_i32_f32_e32 v23, v1
	s_mov_b32 s6, 0x66666667
	v_mul_hi_i32 v22, v22, s6
	v_mul_hi_i32 v23, v23, s6
	v_lshrrev_b32_e32 v24, 31, v22
	v_ashrrev_i32_e32 v22, 2, v22
	v_lshrrev_b32_e32 v25, 31, v23
	v_ashrrev_i32_e32 v23, 2, v23
	v_add_u32_e32 v22, v22, v24
	v_add_u32_e32 v23, v23, v25
	v_cmp_ne_u32_e32 vcc, v22, v23
	s_and_b64 s[6:7], vcc, exec
.LBB140_51:
	s_or_b64 exec, exec, s[8:9]
	v_or_b32_e32 v22, 13, v17
	v_cmp_gt_u32_e32 vcc, s56, v22
	s_mov_b64 s[10:11], 0
	s_mov_b64 s[8:9], 0
	s_and_saveexec_b64 s[12:13], vcc
	s_cbranch_execz .LBB140_53
; %bb.52:
	v_cvt_i32_f32_e32 v22, v3
	v_cvt_i32_f32_e32 v23, v4
	s_mov_b32 s8, 0x66666667
	v_mul_hi_i32 v22, v22, s8
	v_mul_hi_i32 v23, v23, s8
	v_lshrrev_b32_e32 v24, 31, v22
	v_ashrrev_i32_e32 v22, 2, v22
	v_lshrrev_b32_e32 v25, 31, v23
	v_ashrrev_i32_e32 v23, 2, v23
	v_add_u32_e32 v22, v22, v24
	v_add_u32_e32 v23, v23, v25
	v_cmp_ne_u32_e32 vcc, v22, v23
	s_and_b64 s[8:9], vcc, exec
.LBB140_53:
	s_or_b64 exec, exec, s[12:13]
	v_or_b32_e32 v22, 12, v17
	v_cmp_gt_u32_e32 vcc, s56, v22
	s_and_saveexec_b64 s[12:13], vcc
	s_cbranch_execz .LBB140_55
; %bb.54:
	v_cvt_i32_f32_e32 v22, v6
	v_cvt_i32_f32_e32 v23, v3
	s_mov_b32 s10, 0x66666667
	v_mul_hi_i32 v22, v22, s10
	v_mul_hi_i32 v23, v23, s10
	v_lshrrev_b32_e32 v24, 31, v22
	v_ashrrev_i32_e32 v22, 2, v22
	v_lshrrev_b32_e32 v25, 31, v23
	v_ashrrev_i32_e32 v23, 2, v23
	v_add_u32_e32 v22, v22, v24
	v_add_u32_e32 v23, v23, v25
	v_cmp_ne_u32_e32 vcc, v22, v23
	s_and_b64 s[10:11], vcc, exec
.LBB140_55:
	s_or_b64 exec, exec, s[12:13]
	;; [unrolled: 42-line block ×7, first 2 shown]
	v_or_b32_e32 v22, 1, v17
	v_cmp_gt_u32_e32 vcc, s56, v22
	s_mov_b64 s[48:49], 0
	s_and_saveexec_b64 s[50:51], vcc
	s_cbranch_execz .LBB140_77
; %bb.76:
	v_cvt_i32_f32_e32 v22, v15
	v_cvt_i32_f32_e32 v23, v16
	s_mov_b32 s48, 0x66666667
	v_mul_hi_i32 v22, v22, s48
	v_mul_hi_i32 v23, v23, s48
	v_lshrrev_b32_e32 v24, 31, v22
	v_ashrrev_i32_e32 v22, 2, v22
	v_lshrrev_b32_e32 v25, 31, v23
	v_ashrrev_i32_e32 v23, 2, v23
	v_add_u32_e32 v22, v22, v24
	v_add_u32_e32 v23, v23, v25
	v_cmp_ne_u32_e32 vcc, v22, v23
	s_and_b64 s[48:49], vcc, exec
.LBB140_77:
	s_or_b64 exec, exec, s[50:51]
	s_waitcnt vmcnt(0) lgkmcnt(0)
	s_barrier
	s_and_saveexec_b64 s[50:51], s[2:3]
; %bb.78:
	v_add_u32_e32 v20, -4, v21
	ds_read_b32 v20, v20
; %bb.79:
	s_or_b64 exec, exec, s[50:51]
	v_cmp_gt_u32_e32 vcc, s56, v17
	s_mov_b64 s[50:51], 0
	s_and_saveexec_b64 s[52:53], vcc
	s_cbranch_execz .LBB140_81
; %bb.80:
	s_waitcnt lgkmcnt(0)
	v_cvt_i32_f32_e32 v20, v20
	v_cvt_i32_f32_e32 v21, v15
	s_mov_b32 s50, 0x66666667
	v_mul_hi_i32 v20, v20, s50
	v_mul_hi_i32 v21, v21, s50
	v_lshrrev_b32_e32 v22, 31, v20
	v_ashrrev_i32_e32 v20, 2, v20
	v_lshrrev_b32_e32 v23, 31, v21
	v_ashrrev_i32_e32 v21, 2, v21
	v_add_u32_e32 v20, v20, v22
	v_add_u32_e32 v21, v21, v23
	v_cmp_ne_u32_e32 vcc, v20, v21
	s_and_b64 s[50:51], vcc, exec
.LBB140_81:
	s_or_b64 exec, exec, s[52:53]
	v_cndmask_b32_e64 v68, 0, 1, s[48:49]
	v_cndmask_b32_e64 v67, 0, 1, s[30:31]
	;; [unrolled: 1-line block ×15, first 2 shown]
.LBB140_82:
	s_mov_b64 s[48:49], -1
	s_cbranch_execnz .LBB140_123
.LBB140_83:
	v_cvt_i32_f32_e32 v34, v1
	v_cvt_i32_f32_e32 v33, v4
	;; [unrolled: 1-line block ×14, first 2 shown]
	s_waitcnt vmcnt(0) lgkmcnt(0)
	v_lshlrev_b32_e32 v20, 2, v0
	s_and_b64 vcc, exec, s[40:41]
	ds_write_b32 v20, v2
	s_cbranch_vccz .LBB140_87
; %bb.84:
	v_cvt_i32_f32_e32 v35, v2
	s_mov_b32 s54, 0x66666667
	v_mul_hi_i32 v36, v34, s54
	v_mul_hi_i32 v37, v33, s54
	;; [unrolled: 1-line block ×3, first 2 shown]
	v_cvt_i32_f32_e32 v39, v15
	v_lshrrev_b32_e32 v38, 31, v36
	v_ashrrev_i32_e32 v36, 2, v36
	v_add_u32_e32 v36, v36, v38
	v_lshrrev_b32_e32 v38, 31, v35
	v_ashrrev_i32_e32 v35, 2, v35
	v_add_u32_e32 v35, v35, v38
	v_mul_hi_i32 v38, v32, s54
	v_cmp_ne_u32_e32 vcc, v36, v35
	v_lshrrev_b32_e32 v35, 31, v37
	v_ashrrev_i32_e32 v37, 2, v37
	v_add_u32_e32 v35, v37, v35
	v_mul_hi_i32 v37, v31, s54
	v_cmp_ne_u32_e64 s[4:5], v35, v36
	v_lshrrev_b32_e32 v36, 31, v38
	v_ashrrev_i32_e32 v38, 2, v38
	v_add_u32_e32 v36, v38, v36
	v_mul_hi_i32 v38, v30, s54
	v_cmp_ne_u32_e64 s[6:7], v36, v35
	;; [unrolled: 5-line block ×10, first 2 shown]
	v_lshrrev_b32_e32 v35, 31, v37
	v_ashrrev_i32_e32 v37, 2, v37
	v_add_u32_e32 v35, v37, v35
	v_cmp_ne_u32_e64 s[24:25], v35, v36
	v_lshrrev_b32_e32 v36, 31, v38
	v_ashrrev_i32_e32 v37, 2, v38
	v_mul_hi_i32 v38, v21, s54
	v_add_u32_e32 v36, v37, v36
	v_mul_hi_i32 v37, v39, s54
	v_cmp_ne_u32_e64 s[26:27], v36, v35
	v_lshrrev_b32_e32 v35, 31, v38
	v_ashrrev_i32_e32 v38, 2, v38
	v_add_u32_e32 v38, v38, v35
	v_cmp_ne_u32_e64 s[28:29], v38, v36
	v_lshrrev_b32_e32 v35, 31, v37
	v_ashrrev_i32_e32 v36, 2, v37
	v_add_u32_e32 v35, v36, v35
	v_cmp_ne_u32_e64 s[30:31], v35, v38
	s_waitcnt lgkmcnt(0)
	s_barrier
                                        ; implicit-def: $sgpr50_sgpr51
	s_and_saveexec_b64 s[52:53], s[2:3]
	s_xor_b64 s[52:53], exec, s[52:53]
	s_cbranch_execz .LBB140_86
; %bb.85:
	v_add_u32_e32 v36, -4, v20
	ds_read_b32 v36, v36
	s_or_b64 s[48:49], s[48:49], exec
	s_waitcnt lgkmcnt(0)
	v_cvt_i32_f32_e32 v36, v36
	v_mul_hi_i32 v36, v36, s54
	v_lshrrev_b32_e32 v37, 31, v36
	v_ashrrev_i32_e32 v36, 2, v36
	v_add_u32_e32 v36, v36, v37
	v_cmp_ne_u32_e64 s[50:51], v36, v35
.LBB140_86:
	s_or_b64 exec, exec, s[52:53]
	v_cndmask_b32_e64 v54, 0, 1, vcc
	v_cndmask_b32_e64 v55, 0, 1, s[4:5]
	v_cndmask_b32_e64 v56, 0, 1, s[6:7]
	;; [unrolled: 1-line block ×14, first 2 shown]
	s_branch .LBB140_123
.LBB140_87:
                                        ; implicit-def: $sgpr50_sgpr51
                                        ; implicit-def: $vgpr54
                                        ; implicit-def: $vgpr55
                                        ; implicit-def: $vgpr56
                                        ; implicit-def: $vgpr57
                                        ; implicit-def: $vgpr58
                                        ; implicit-def: $vgpr59
                                        ; implicit-def: $vgpr60
                                        ; implicit-def: $vgpr61
                                        ; implicit-def: $vgpr62
                                        ; implicit-def: $vgpr68
                                        ; implicit-def: $vgpr67
                                        ; implicit-def: $vgpr66
                                        ; implicit-def: $vgpr65
                                        ; implicit-def: $vgpr64
                                        ; implicit-def: $vgpr63
	s_cbranch_execz .LBB140_123
; %bb.88:
	v_or_b32_e32 v35, 15, v17
	v_cmp_gt_u32_e32 vcc, s56, v35
	s_mov_b64 s[4:5], 0
	s_mov_b64 s[6:7], 0
	s_and_saveexec_b64 s[8:9], vcc
	s_cbranch_execz .LBB140_90
; %bb.89:
	v_cvt_i32_f32_e32 v35, v2
	s_mov_b32 s6, 0x66666667
	v_mul_hi_i32 v36, v34, s6
	v_mul_hi_i32 v35, v35, s6
	v_lshrrev_b32_e32 v37, 31, v36
	v_ashrrev_i32_e32 v36, 2, v36
	v_add_u32_e32 v36, v36, v37
	v_lshrrev_b32_e32 v37, 31, v35
	v_ashrrev_i32_e32 v35, 2, v35
	v_add_u32_e32 v35, v35, v37
	v_cmp_ne_u32_e32 vcc, v36, v35
	s_and_b64 s[6:7], vcc, exec
.LBB140_90:
	s_or_b64 exec, exec, s[8:9]
	v_or_b32_e32 v35, 14, v17
	v_cmp_gt_u32_e32 vcc, s56, v35
	s_and_saveexec_b64 s[8:9], vcc
	s_cbranch_execz .LBB140_92
; %bb.91:
	s_mov_b32 s4, 0x66666667
	v_mul_hi_i32 v35, v33, s4
	v_mul_hi_i32 v34, v34, s4
	v_lshrrev_b32_e32 v36, 31, v35
	v_ashrrev_i32_e32 v35, 2, v35
	v_lshrrev_b32_e32 v37, 31, v34
	v_ashrrev_i32_e32 v34, 2, v34
	v_add_u32_e32 v35, v35, v36
	v_add_u32_e32 v34, v34, v37
	v_cmp_ne_u32_e32 vcc, v35, v34
	s_and_b64 s[4:5], vcc, exec
.LBB140_92:
	s_or_b64 exec, exec, s[8:9]
	v_or_b32_e32 v34, 13, v17
	v_cmp_gt_u32_e32 vcc, s56, v34
	s_mov_b64 s[10:11], 0
	s_mov_b64 s[8:9], 0
	s_and_saveexec_b64 s[12:13], vcc
	s_cbranch_execz .LBB140_94
; %bb.93:
	s_mov_b32 s8, 0x66666667
	v_mul_hi_i32 v34, v32, s8
	v_mul_hi_i32 v33, v33, s8
	v_lshrrev_b32_e32 v35, 31, v34
	v_ashrrev_i32_e32 v34, 2, v34
	v_lshrrev_b32_e32 v36, 31, v33
	v_ashrrev_i32_e32 v33, 2, v33
	v_add_u32_e32 v34, v34, v35
	v_add_u32_e32 v33, v33, v36
	v_cmp_ne_u32_e32 vcc, v34, v33
	s_and_b64 s[8:9], vcc, exec
.LBB140_94:
	s_or_b64 exec, exec, s[12:13]
	v_or_b32_e32 v33, 12, v17
	v_cmp_gt_u32_e32 vcc, s56, v33
	s_and_saveexec_b64 s[12:13], vcc
	s_cbranch_execz .LBB140_96
; %bb.95:
	s_mov_b32 s10, 0x66666667
	v_mul_hi_i32 v33, v31, s10
	v_mul_hi_i32 v32, v32, s10
	v_lshrrev_b32_e32 v34, 31, v33
	v_ashrrev_i32_e32 v33, 2, v33
	v_lshrrev_b32_e32 v35, 31, v32
	v_ashrrev_i32_e32 v32, 2, v32
	v_add_u32_e32 v33, v33, v34
	v_add_u32_e32 v32, v32, v35
	v_cmp_ne_u32_e32 vcc, v33, v32
	s_and_b64 s[10:11], vcc, exec
.LBB140_96:
	s_or_b64 exec, exec, s[12:13]
	v_or_b32_e32 v32, 11, v17
	v_cmp_gt_u32_e32 vcc, s56, v32
	s_mov_b64 s[14:15], 0
	s_mov_b64 s[12:13], 0
	s_and_saveexec_b64 s[16:17], vcc
	s_cbranch_execz .LBB140_98
; %bb.97:
	s_mov_b32 s12, 0x66666667
	v_mul_hi_i32 v32, v30, s12
	v_mul_hi_i32 v31, v31, s12
	v_lshrrev_b32_e32 v33, 31, v32
	v_ashrrev_i32_e32 v32, 2, v32
	v_lshrrev_b32_e32 v34, 31, v31
	v_ashrrev_i32_e32 v31, 2, v31
	v_add_u32_e32 v32, v32, v33
	v_add_u32_e32 v31, v31, v34
	v_cmp_ne_u32_e32 vcc, v32, v31
	s_and_b64 s[12:13], vcc, exec
.LBB140_98:
	;; [unrolled: 38-line block ×6, first 2 shown]
	s_or_b64 exec, exec, s[50:51]
	v_or_b32_e32 v23, 2, v17
	v_cmp_gt_u32_e32 vcc, s56, v23
	s_and_saveexec_b64 s[50:51], vcc
	s_cbranch_execz .LBB140_116
; %bb.115:
	s_mov_b32 s30, 0x66666667
	v_mul_hi_i32 v23, v21, s30
	v_mul_hi_i32 v22, v22, s30
	v_lshrrev_b32_e32 v24, 31, v23
	v_ashrrev_i32_e32 v23, 2, v23
	v_lshrrev_b32_e32 v25, 31, v22
	v_ashrrev_i32_e32 v22, 2, v22
	v_add_u32_e32 v23, v23, v24
	v_add_u32_e32 v22, v22, v25
	v_cmp_ne_u32_e32 vcc, v23, v22
	s_and_b64 s[30:31], vcc, exec
.LBB140_116:
	s_or_b64 exec, exec, s[50:51]
	v_or_b32_e32 v22, 1, v17
	v_cmp_gt_u32_e32 vcc, s56, v22
	s_mov_b64 s[52:53], 0
	s_and_saveexec_b64 s[50:51], vcc
	s_cbranch_execz .LBB140_118
; %bb.117:
	v_cvt_i32_f32_e32 v22, v15
	s_mov_b32 s52, 0x66666667
	v_mul_hi_i32 v21, v21, s52
	v_mul_hi_i32 v22, v22, s52
	v_lshrrev_b32_e32 v23, 31, v21
	v_ashrrev_i32_e32 v21, 2, v21
	v_lshrrev_b32_e32 v24, 31, v22
	v_ashrrev_i32_e32 v22, 2, v22
	v_add_u32_e32 v22, v22, v24
	v_add_u32_e32 v21, v21, v23
	v_cmp_ne_u32_e32 vcc, v22, v21
	s_and_b64 s[52:53], vcc, exec
.LBB140_118:
	s_or_b64 exec, exec, s[50:51]
	s_waitcnt lgkmcnt(0)
	s_barrier
                                        ; implicit-def: $sgpr50_sgpr51
	s_and_saveexec_b64 s[54:55], s[2:3]
	s_cbranch_execz .LBB140_122
; %bb.119:
	v_cmp_gt_u32_e32 vcc, s56, v17
	s_mov_b64 s[50:51], 0
	s_and_saveexec_b64 s[2:3], vcc
	s_cbranch_execz .LBB140_121
; %bb.120:
	v_add_u32_e32 v20, -4, v20
	ds_read_b32 v20, v20
	v_cvt_i32_f32_e32 v21, v15
	s_mov_b32 s50, 0x66666667
	v_mul_hi_i32 v21, v21, s50
	s_waitcnt lgkmcnt(0)
	v_cvt_i32_f32_e32 v20, v20
	v_lshrrev_b32_e32 v22, 31, v21
	v_mul_hi_i32 v20, v20, s50
	v_ashrrev_i32_e32 v21, 2, v21
	v_add_u32_e32 v21, v21, v22
	v_lshrrev_b32_e32 v23, 31, v20
	v_ashrrev_i32_e32 v20, 2, v20
	v_add_u32_e32 v20, v20, v23
	v_cmp_ne_u32_e32 vcc, v20, v21
	s_and_b64 s[50:51], vcc, exec
.LBB140_121:
	s_or_b64 exec, exec, s[2:3]
	s_or_b64 s[48:49], s[48:49], exec
.LBB140_122:
	s_or_b64 exec, exec, s[54:55]
	v_cndmask_b32_e64 v67, 0, 1, s[30:31]
	v_cndmask_b32_e64 v66, 0, 1, s[28:29]
	;; [unrolled: 1-line block ×15, first 2 shown]
.LBB140_123:
	v_mov_b32_e32 v31, 1
	s_and_saveexec_b64 s[2:3], s[48:49]
; %bb.124:
	v_cndmask_b32_e64 v31, 0, 1, s[50:51]
; %bb.125:
	s_or_b64 exec, exec, s[2:3]
	s_andn2_b64 vcc, exec, s[44:45]
	s_cbranch_vccnz .LBB140_127
; %bb.126:
	v_cmp_gt_u32_e32 vcc, s56, v17
	s_waitcnt vmcnt(0) lgkmcnt(0)
	v_or_b32_e32 v20, 1, v17
	v_cndmask_b32_e32 v31, 0, v31, vcc
	v_cmp_gt_u32_e32 vcc, s56, v20
	v_or_b32_e32 v20, 2, v17
	v_cndmask_b32_e32 v68, 0, v68, vcc
	v_cmp_gt_u32_e32 vcc, s56, v20
	;; [unrolled: 3-line block ×15, first 2 shown]
	v_cndmask_b32_e32 v54, 0, v54, vcc
.LBB140_127:
	v_and_b32_e32 v40, 0xff, v66
	v_and_b32_e32 v42, 0xff, v65
	v_add_u32_sdwa v21, v64, v63 dst_sel:DWORD dst_unused:UNUSED_PAD src0_sel:BYTE_0 src1_sel:BYTE_0
	v_and_b32_e32 v36, 0xff, v68
	v_and_b32_e32 v38, 0xff, v67
	v_add3_u32 v21, v21, v42, v40
	v_and_b32_e32 v34, 0xffff, v31
	v_and_b32_e32 v17, 0xff, v62
	v_add3_u32 v21, v21, v38, v36
	;; [unrolled: 3-line block ×5, first 2 shown]
	v_and_b32_e32 v41, 0xff, v55
	s_waitcnt vmcnt(0) lgkmcnt(0)
	v_and_b32_e32 v20, 0xff, v54
	v_add3_u32 v21, v21, v37, v39
	v_add3_u32 v45, v21, v41, v20
	v_mbcnt_lo_u32_b32 v20, -1, 0
	v_mbcnt_hi_u32_b32 v43, -1, v20
	v_and_b32_e32 v20, 15, v43
	v_cmp_eq_u32_e64 s[14:15], 0, v20
	v_cmp_lt_u32_e64 s[12:13], 1, v20
	v_cmp_lt_u32_e64 s[10:11], 3, v20
	;; [unrolled: 1-line block ×3, first 2 shown]
	v_and_b32_e32 v20, 16, v43
	v_cmp_eq_u32_e64 s[6:7], 0, v20
	v_or_b32_e32 v20, 63, v0
	v_cmp_lt_u32_e64 s[2:3], 31, v43
	v_lshrrev_b32_e32 v44, 6, v0
	v_cmp_eq_u32_e64 s[4:5], v0, v20
	s_and_b64 vcc, exec, s[46:47]
	s_barrier
	s_cbranch_vccz .LBB140_149
; %bb.128:
	v_mov_b32_dpp v20, v45 row_shr:1 row_mask:0xf bank_mask:0xf
	v_cndmask_b32_e64 v20, v20, 0, s[14:15]
	v_add_u32_e32 v20, v20, v45
	s_nop 1
	v_mov_b32_dpp v21, v20 row_shr:2 row_mask:0xf bank_mask:0xf
	v_cndmask_b32_e64 v21, 0, v21, s[12:13]
	v_add_u32_e32 v20, v20, v21
	s_nop 1
	;; [unrolled: 4-line block ×4, first 2 shown]
	v_mov_b32_dpp v21, v20 row_bcast:15 row_mask:0xf bank_mask:0xf
	v_cndmask_b32_e64 v21, v21, 0, s[6:7]
	v_add_u32_e32 v20, v20, v21
	s_nop 1
	v_mov_b32_dpp v21, v20 row_bcast:31 row_mask:0xf bank_mask:0xf
	v_cndmask_b32_e64 v21, 0, v21, s[2:3]
	v_add_u32_e32 v20, v20, v21
	s_and_saveexec_b64 s[16:17], s[4:5]
; %bb.129:
	v_lshlrev_b32_e32 v21, 2, v44
	ds_write_b32 v21, v20
; %bb.130:
	s_or_b64 exec, exec, s[16:17]
	v_cmp_gt_u32_e32 vcc, 4, v0
	s_waitcnt lgkmcnt(0)
	s_barrier
	s_and_saveexec_b64 s[16:17], vcc
	s_cbranch_execz .LBB140_132
; %bb.131:
	v_lshlrev_b32_e32 v21, 2, v0
	ds_read_b32 v22, v21
	v_and_b32_e32 v23, 3, v43
	v_cmp_ne_u32_e32 vcc, 0, v23
	s_waitcnt lgkmcnt(0)
	v_mov_b32_dpp v24, v22 row_shr:1 row_mask:0xf bank_mask:0xf
	v_cndmask_b32_e32 v24, 0, v24, vcc
	v_add_u32_e32 v22, v24, v22
	v_cmp_lt_u32_e32 vcc, 1, v23
	s_nop 0
	v_mov_b32_dpp v24, v22 row_shr:2 row_mask:0xf bank_mask:0xf
	v_cndmask_b32_e32 v23, 0, v24, vcc
	v_add_u32_e32 v22, v22, v23
	ds_write_b32 v21, v22
.LBB140_132:
	s_or_b64 exec, exec, s[16:17]
	v_cmp_gt_u32_e32 vcc, 64, v0
	v_cmp_lt_u32_e64 s[16:17], 63, v0
	s_waitcnt lgkmcnt(0)
	s_barrier
                                        ; implicit-def: $vgpr46
	s_and_saveexec_b64 s[18:19], s[16:17]
	s_cbranch_execz .LBB140_134
; %bb.133:
	v_lshl_add_u32 v21, v44, 2, -4
	ds_read_b32 v46, v21
	s_waitcnt lgkmcnt(0)
	v_add_u32_e32 v20, v46, v20
.LBB140_134:
	s_or_b64 exec, exec, s[18:19]
	v_subrev_co_u32_e64 v21, s[16:17], 1, v43
	v_and_b32_e32 v22, 64, v43
	v_cmp_lt_i32_e64 s[18:19], v21, v22
	v_cndmask_b32_e64 v21, v21, v43, s[18:19]
	v_lshlrev_b32_e32 v21, 2, v21
	ds_bpermute_b32 v47, v21, v20
	s_and_saveexec_b64 s[18:19], vcc
	s_cbranch_execz .LBB140_154
; %bb.135:
	v_mov_b32_e32 v26, 0
	ds_read_b32 v20, v26 offset:12
	s_and_saveexec_b64 s[20:21], s[16:17]
	s_cbranch_execz .LBB140_137
; %bb.136:
	s_add_i32 s22, s33, 64
	s_mov_b32 s23, 0
	s_lshl_b64 s[22:23], s[22:23], 3
	s_add_u32 s22, s42, s22
	v_mov_b32_e32 v21, 1
	s_addc_u32 s23, s43, s23
	s_waitcnt lgkmcnt(0)
	global_store_dwordx2 v26, v[20:21], s[22:23]
.LBB140_137:
	s_or_b64 exec, exec, s[20:21]
	v_xad_u32 v22, v43, -1, s33
	v_add_u32_e32 v25, 64, v22
	v_lshlrev_b64 v[23:24], 3, v[25:26]
	v_mov_b32_e32 v21, s43
	v_add_co_u32_e32 v27, vcc, s42, v23
	v_addc_co_u32_e32 v28, vcc, v21, v24, vcc
	global_load_dwordx2 v[24:25], v[27:28], off glc
	s_waitcnt vmcnt(0)
	v_cmp_eq_u16_sdwa s[22:23], v25, v26 src0_sel:BYTE_0 src1_sel:DWORD
	s_and_saveexec_b64 s[20:21], s[22:23]
	s_cbranch_execz .LBB140_141
; %bb.138:
	s_mov_b64 s[22:23], 0
	v_mov_b32_e32 v21, 0
.LBB140_139:                            ; =>This Inner Loop Header: Depth=1
	global_load_dwordx2 v[24:25], v[27:28], off glc
	s_waitcnt vmcnt(0)
	v_cmp_ne_u16_sdwa s[24:25], v25, v21 src0_sel:BYTE_0 src1_sel:DWORD
	s_or_b64 s[22:23], s[24:25], s[22:23]
	s_andn2_b64 exec, exec, s[22:23]
	s_cbranch_execnz .LBB140_139
; %bb.140:
	s_or_b64 exec, exec, s[22:23]
.LBB140_141:
	s_or_b64 exec, exec, s[20:21]
	v_and_b32_e32 v49, 63, v43
	v_mov_b32_e32 v48, 2
	v_lshlrev_b64 v[26:27], v43, -1
	v_cmp_ne_u32_e32 vcc, 63, v49
	v_cmp_eq_u16_sdwa s[20:21], v25, v48 src0_sel:BYTE_0 src1_sel:DWORD
	v_addc_co_u32_e32 v28, vcc, 0, v43, vcc
	v_and_b32_e32 v21, s21, v27
	v_lshlrev_b32_e32 v50, 2, v28
	v_or_b32_e32 v21, 0x80000000, v21
	ds_bpermute_b32 v28, v50, v24
	v_and_b32_e32 v23, s20, v26
	v_ffbl_b32_e32 v21, v21
	v_add_u32_e32 v21, 32, v21
	v_ffbl_b32_e32 v23, v23
	v_min_u32_e32 v21, v23, v21
	v_cmp_lt_u32_e32 vcc, v49, v21
	s_waitcnt lgkmcnt(0)
	v_cndmask_b32_e32 v23, 0, v28, vcc
	v_cmp_gt_u32_e32 vcc, 62, v49
	v_add_u32_e32 v23, v23, v24
	v_cndmask_b32_e64 v24, 0, 2, vcc
	v_add_lshl_u32 v51, v24, v43, 2
	ds_bpermute_b32 v24, v51, v23
	v_add_u32_e32 v52, 2, v49
	v_cmp_le_u32_e32 vcc, v52, v21
	v_add_u32_e32 v69, 4, v49
	v_add_u32_e32 v71, 8, v49
	s_waitcnt lgkmcnt(0)
	v_cndmask_b32_e32 v24, 0, v24, vcc
	v_cmp_gt_u32_e32 vcc, 60, v49
	v_add_u32_e32 v23, v23, v24
	v_cndmask_b32_e64 v24, 0, 4, vcc
	v_add_lshl_u32 v53, v24, v43, 2
	ds_bpermute_b32 v24, v53, v23
	v_cmp_le_u32_e32 vcc, v69, v21
	v_add_u32_e32 v73, 16, v49
	v_add_u32_e32 v75, 32, v49
	s_waitcnt lgkmcnt(0)
	v_cndmask_b32_e32 v24, 0, v24, vcc
	v_cmp_gt_u32_e32 vcc, 56, v49
	v_add_u32_e32 v23, v23, v24
	v_cndmask_b32_e64 v24, 0, 8, vcc
	v_add_lshl_u32 v70, v24, v43, 2
	ds_bpermute_b32 v24, v70, v23
	v_cmp_le_u32_e32 vcc, v71, v21
	s_waitcnt lgkmcnt(0)
	v_cndmask_b32_e32 v24, 0, v24, vcc
	v_cmp_gt_u32_e32 vcc, 48, v49
	v_add_u32_e32 v23, v23, v24
	v_cndmask_b32_e64 v24, 0, 16, vcc
	v_add_lshl_u32 v72, v24, v43, 2
	ds_bpermute_b32 v24, v72, v23
	v_cmp_le_u32_e32 vcc, v73, v21
	s_waitcnt lgkmcnt(0)
	v_cndmask_b32_e32 v24, 0, v24, vcc
	v_add_u32_e32 v23, v23, v24
	v_mov_b32_e32 v24, 0x80
	v_lshl_or_b32 v74, v43, 2, v24
	ds_bpermute_b32 v24, v74, v23
	v_cmp_le_u32_e32 vcc, v75, v21
	s_waitcnt lgkmcnt(0)
	v_cndmask_b32_e32 v21, 0, v24, vcc
	v_add_u32_e32 v24, v23, v21
	v_mov_b32_e32 v23, 0
	s_branch .LBB140_144
.LBB140_142:                            ;   in Loop: Header=BB140_144 Depth=1
	s_or_b64 exec, exec, s[20:21]
	v_cmp_eq_u16_sdwa s[20:21], v25, v48 src0_sel:BYTE_0 src1_sel:DWORD
	v_and_b32_e32 v28, s21, v27
	v_or_b32_e32 v28, 0x80000000, v28
	ds_bpermute_b32 v76, v50, v24
	v_and_b32_e32 v29, s20, v26
	v_ffbl_b32_e32 v28, v28
	v_add_u32_e32 v28, 32, v28
	v_ffbl_b32_e32 v29, v29
	v_min_u32_e32 v28, v29, v28
	v_cmp_lt_u32_e32 vcc, v49, v28
	s_waitcnt lgkmcnt(0)
	v_cndmask_b32_e32 v29, 0, v76, vcc
	v_add_u32_e32 v24, v29, v24
	ds_bpermute_b32 v29, v51, v24
	v_cmp_le_u32_e32 vcc, v52, v28
	v_subrev_u32_e32 v22, 64, v22
	s_mov_b64 s[20:21], 0
	s_waitcnt lgkmcnt(0)
	v_cndmask_b32_e32 v29, 0, v29, vcc
	v_add_u32_e32 v24, v24, v29
	ds_bpermute_b32 v29, v53, v24
	v_cmp_le_u32_e32 vcc, v69, v28
	s_waitcnt lgkmcnt(0)
	v_cndmask_b32_e32 v29, 0, v29, vcc
	v_add_u32_e32 v24, v24, v29
	ds_bpermute_b32 v29, v70, v24
	v_cmp_le_u32_e32 vcc, v71, v28
	;; [unrolled: 5-line block ×4, first 2 shown]
	s_waitcnt lgkmcnt(0)
	v_cndmask_b32_e32 v28, 0, v29, vcc
	v_add3_u32 v24, v28, v21, v24
.LBB140_143:                            ;   in Loop: Header=BB140_144 Depth=1
	s_and_b64 vcc, exec, s[20:21]
	s_cbranch_vccnz .LBB140_150
.LBB140_144:                            ; =>This Loop Header: Depth=1
                                        ;     Child Loop BB140_147 Depth 2
	v_cmp_ne_u16_sdwa s[20:21], v25, v48 src0_sel:BYTE_0 src1_sel:DWORD
	v_mov_b32_e32 v21, v24
	s_cmp_lg_u64 s[20:21], exec
	s_mov_b64 s[20:21], -1
                                        ; implicit-def: $vgpr24
                                        ; implicit-def: $vgpr25
	s_cbranch_scc1 .LBB140_143
; %bb.145:                              ;   in Loop: Header=BB140_144 Depth=1
	v_lshlrev_b64 v[24:25], 3, v[22:23]
	v_mov_b32_e32 v29, s43
	v_add_co_u32_e32 v28, vcc, s42, v24
	v_addc_co_u32_e32 v29, vcc, v29, v25, vcc
	global_load_dwordx2 v[24:25], v[28:29], off glc
	s_waitcnt vmcnt(0)
	v_cmp_eq_u16_sdwa s[22:23], v25, v23 src0_sel:BYTE_0 src1_sel:DWORD
	s_and_saveexec_b64 s[20:21], s[22:23]
	s_cbranch_execz .LBB140_142
; %bb.146:                              ;   in Loop: Header=BB140_144 Depth=1
	s_mov_b64 s[22:23], 0
.LBB140_147:                            ;   Parent Loop BB140_144 Depth=1
                                        ; =>  This Inner Loop Header: Depth=2
	global_load_dwordx2 v[24:25], v[28:29], off glc
	s_waitcnt vmcnt(0)
	v_cmp_ne_u16_sdwa s[24:25], v25, v23 src0_sel:BYTE_0 src1_sel:DWORD
	s_or_b64 s[22:23], s[24:25], s[22:23]
	s_andn2_b64 exec, exec, s[22:23]
	s_cbranch_execnz .LBB140_147
; %bb.148:                              ;   in Loop: Header=BB140_144 Depth=1
	s_or_b64 exec, exec, s[22:23]
	s_branch .LBB140_142
.LBB140_149:
                                        ; implicit-def: $vgpr21
                                        ; implicit-def: $vgpr46
	s_cbranch_execnz .LBB140_155
	s_branch .LBB140_164
.LBB140_150:
	s_and_saveexec_b64 s[20:21], s[16:17]
	s_cbranch_execz .LBB140_152
; %bb.151:
	s_add_i32 s22, s33, 64
	s_mov_b32 s23, 0
	s_lshl_b64 s[22:23], s[22:23], 3
	s_add_u32 s22, s42, s22
	v_add_u32_e32 v22, v21, v20
	v_mov_b32_e32 v23, 2
	s_addc_u32 s23, s43, s23
	v_mov_b32_e32 v24, 0
	global_store_dwordx2 v24, v[22:23], s[22:23]
	ds_write_b64 v24, v[20:21] offset:16896
.LBB140_152:
	s_or_b64 exec, exec, s[20:21]
	s_and_b64 exec, exec, s[0:1]
; %bb.153:
	v_mov_b32_e32 v20, 0
	ds_write_b32 v20, v21 offset:12
.LBB140_154:
	s_or_b64 exec, exec, s[18:19]
	v_mov_b32_e32 v20, 0
	s_waitcnt vmcnt(0) lgkmcnt(0)
	s_barrier
	ds_read_b32 v22, v20 offset:12
	s_waitcnt lgkmcnt(0)
	s_barrier
	ds_read_b64 v[20:21], v20 offset:16896
	v_cndmask_b32_e64 v23, v47, v46, s[16:17]
	v_cndmask_b32_e64 v23, v23, 0, s[0:1]
	v_add_u32_e32 v46, v22, v23
	s_branch .LBB140_164
.LBB140_155:
	s_waitcnt lgkmcnt(0)
	v_mov_b32_dpp v20, v45 row_shr:1 row_mask:0xf bank_mask:0xf
	v_cndmask_b32_e64 v20, v20, 0, s[14:15]
	v_add_u32_e32 v20, v20, v45
	s_nop 1
	v_mov_b32_dpp v21, v20 row_shr:2 row_mask:0xf bank_mask:0xf
	v_cndmask_b32_e64 v21, 0, v21, s[12:13]
	v_add_u32_e32 v20, v20, v21
	s_nop 1
	;; [unrolled: 4-line block ×4, first 2 shown]
	v_mov_b32_dpp v21, v20 row_bcast:15 row_mask:0xf bank_mask:0xf
	v_cndmask_b32_e64 v21, v21, 0, s[6:7]
	v_add_u32_e32 v20, v20, v21
	s_nop 1
	v_mov_b32_dpp v21, v20 row_bcast:31 row_mask:0xf bank_mask:0xf
	v_cndmask_b32_e64 v21, 0, v21, s[2:3]
	v_add_u32_e32 v20, v20, v21
	s_and_saveexec_b64 s[2:3], s[4:5]
; %bb.156:
	v_lshlrev_b32_e32 v21, 2, v44
	ds_write_b32 v21, v20
; %bb.157:
	s_or_b64 exec, exec, s[2:3]
	v_cmp_gt_u32_e32 vcc, 4, v0
	s_waitcnt lgkmcnt(0)
	s_barrier
	s_and_saveexec_b64 s[2:3], vcc
	s_cbranch_execz .LBB140_159
; %bb.158:
	v_lshlrev_b32_e32 v21, 2, v0
	ds_read_b32 v22, v21
	v_and_b32_e32 v23, 3, v43
	v_cmp_ne_u32_e32 vcc, 0, v23
	s_waitcnt lgkmcnt(0)
	v_mov_b32_dpp v24, v22 row_shr:1 row_mask:0xf bank_mask:0xf
	v_cndmask_b32_e32 v24, 0, v24, vcc
	v_add_u32_e32 v22, v24, v22
	v_cmp_lt_u32_e32 vcc, 1, v23
	s_nop 0
	v_mov_b32_dpp v24, v22 row_shr:2 row_mask:0xf bank_mask:0xf
	v_cndmask_b32_e32 v23, 0, v24, vcc
	v_add_u32_e32 v22, v22, v23
	ds_write_b32 v21, v22
.LBB140_159:
	s_or_b64 exec, exec, s[2:3]
	v_cmp_lt_u32_e32 vcc, 63, v0
	v_mov_b32_e32 v21, 0
	v_mov_b32_e32 v22, 0
	s_waitcnt lgkmcnt(0)
	s_barrier
	s_and_saveexec_b64 s[2:3], vcc
; %bb.160:
	v_lshl_add_u32 v22, v44, 2, -4
	ds_read_b32 v22, v22
; %bb.161:
	s_or_b64 exec, exec, s[2:3]
	v_subrev_co_u32_e32 v23, vcc, 1, v43
	v_and_b32_e32 v24, 64, v43
	v_cmp_lt_i32_e64 s[2:3], v23, v24
	v_cndmask_b32_e64 v23, v23, v43, s[2:3]
	s_waitcnt lgkmcnt(0)
	v_add_u32_e32 v20, v22, v20
	v_lshlrev_b32_e32 v23, 2, v23
	ds_bpermute_b32 v23, v23, v20
	ds_read_b32 v20, v21 offset:12
	s_and_saveexec_b64 s[2:3], s[0:1]
	s_cbranch_execz .LBB140_163
; %bb.162:
	v_mov_b32_e32 v24, 0
	v_mov_b32_e32 v21, 2
	s_waitcnt lgkmcnt(0)
	global_store_dwordx2 v24, v[20:21], s[42:43] offset:512
.LBB140_163:
	s_or_b64 exec, exec, s[2:3]
	s_waitcnt lgkmcnt(1)
	v_cndmask_b32_e32 v21, v23, v22, vcc
	v_cndmask_b32_e64 v46, v21, 0, s[0:1]
	s_waitcnt vmcnt(0) lgkmcnt(0)
	s_barrier
	v_mov_b32_e32 v21, 0
.LBB140_164:
	v_add_u32_e32 v52, v46, v34
	v_add_u32_e32 v50, v52, v36
	;; [unrolled: 1-line block ×5, first 2 shown]
	v_add_u32_sdwa v40, v42, v64 dst_sel:DWORD dst_unused:UNUSED_PAD src0_sel:DWORD src1_sel:BYTE_0
	v_add_u32_sdwa v38, v40, v63 dst_sel:DWORD dst_unused:UNUSED_PAD src0_sel:DWORD src1_sel:BYTE_0
	v_add_u32_e32 v36, v38, v17
	v_add_u32_e32 v34, v36, v30
	;; [unrolled: 1-line block ×6, first 2 shown]
	s_movk_i32 s4, 0x101
	v_add_u32_e32 v24, v26, v39
	s_waitcnt lgkmcnt(0)
	v_cmp_gt_u32_e32 vcc, s4, v20
	v_add_u32_e32 v22, v24, v41
	s_mov_b64 s[2:3], -1
	v_and_b32_e32 v17, 1, v31
	s_cbranch_vccnz .LBB140_168
; %bb.165:
	s_and_b64 vcc, exec, s[2:3]
	s_cbranch_vccnz .LBB140_201
.LBB140_166:
	s_and_b64 s[0:1], s[0:1], s[38:39]
	s_and_saveexec_b64 s[2:3], s[0:1]
	s_cbranch_execnz .LBB140_237
.LBB140_167:
	s_endpgm
.LBB140_168:
	v_lshlrev_b64 v[69:70], 2, v[18:19]
	v_mov_b32_e32 v25, s35
	v_add_co_u32_e32 v69, vcc, s34, v69
	v_add_u32_e32 v23, v21, v20
	v_addc_co_u32_e32 v70, vcc, v25, v70, vcc
	v_cmp_lt_u32_e32 vcc, v46, v23
	s_or_b64 s[2:3], s[40:41], vcc
	v_cmp_eq_u32_e32 vcc, 1, v17
	s_and_b64 s[4:5], s[2:3], vcc
	s_and_saveexec_b64 s[2:3], s[4:5]
	s_cbranch_execz .LBB140_170
; %bb.169:
	v_mov_b32_e32 v47, 0
	v_lshlrev_b64 v[71:72], 2, v[46:47]
	v_add_co_u32_e32 v71, vcc, v69, v71
	v_addc_co_u32_e32 v72, vcc, v70, v72, vcc
	global_store_dword v[71:72], v15, off
.LBB140_170:
	s_or_b64 exec, exec, s[2:3]
	v_cmp_lt_u32_e32 vcc, v52, v23
	v_and_b32_e32 v25, 1, v68
	s_or_b64 s[2:3], s[40:41], vcc
	v_cmp_eq_u32_e32 vcc, 1, v25
	s_and_b64 s[4:5], s[2:3], vcc
	s_and_saveexec_b64 s[2:3], s[4:5]
	s_cbranch_execz .LBB140_172
; %bb.171:
	v_mov_b32_e32 v53, 0
	v_lshlrev_b64 v[71:72], 2, v[52:53]
	v_add_co_u32_e32 v71, vcc, v69, v71
	v_addc_co_u32_e32 v72, vcc, v70, v72, vcc
	global_store_dword v[71:72], v16, off
.LBB140_172:
	s_or_b64 exec, exec, s[2:3]
	v_cmp_lt_u32_e32 vcc, v50, v23
	v_and_b32_e32 v25, 1, v67
	s_or_b64 s[2:3], s[40:41], vcc
	v_cmp_eq_u32_e32 vcc, 1, v25
	s_and_b64 s[4:5], s[2:3], vcc
	s_and_saveexec_b64 s[2:3], s[4:5]
	s_cbranch_execz .LBB140_174
; %bb.173:
	v_mov_b32_e32 v51, 0
	v_lshlrev_b64 v[71:72], 2, v[50:51]
	v_add_co_u32_e32 v71, vcc, v69, v71
	v_addc_co_u32_e32 v72, vcc, v70, v72, vcc
	global_store_dword v[71:72], v13, off
.LBB140_174:
	s_or_b64 exec, exec, s[2:3]
	v_cmp_lt_u32_e32 vcc, v48, v23
	v_and_b32_e32 v25, 1, v66
	s_or_b64 s[2:3], s[40:41], vcc
	v_cmp_eq_u32_e32 vcc, 1, v25
	s_and_b64 s[4:5], s[2:3], vcc
	s_and_saveexec_b64 s[2:3], s[4:5]
	s_cbranch_execz .LBB140_176
; %bb.175:
	v_mov_b32_e32 v49, 0
	v_lshlrev_b64 v[71:72], 2, v[48:49]
	v_add_co_u32_e32 v71, vcc, v69, v71
	v_addc_co_u32_e32 v72, vcc, v70, v72, vcc
	global_store_dword v[71:72], v14, off
.LBB140_176:
	s_or_b64 exec, exec, s[2:3]
	v_cmp_lt_u32_e32 vcc, v44, v23
	v_and_b32_e32 v25, 1, v65
	s_or_b64 s[2:3], s[40:41], vcc
	v_cmp_eq_u32_e32 vcc, 1, v25
	s_and_b64 s[4:5], s[2:3], vcc
	s_and_saveexec_b64 s[2:3], s[4:5]
	s_cbranch_execz .LBB140_178
; %bb.177:
	v_mov_b32_e32 v45, 0
	v_lshlrev_b64 v[71:72], 2, v[44:45]
	v_add_co_u32_e32 v71, vcc, v69, v71
	v_addc_co_u32_e32 v72, vcc, v70, v72, vcc
	global_store_dword v[71:72], v11, off
.LBB140_178:
	s_or_b64 exec, exec, s[2:3]
	v_cmp_lt_u32_e32 vcc, v42, v23
	v_and_b32_e32 v25, 1, v64
	s_or_b64 s[2:3], s[40:41], vcc
	v_cmp_eq_u32_e32 vcc, 1, v25
	s_and_b64 s[4:5], s[2:3], vcc
	s_and_saveexec_b64 s[2:3], s[4:5]
	s_cbranch_execz .LBB140_180
; %bb.179:
	v_mov_b32_e32 v43, 0
	v_lshlrev_b64 v[71:72], 2, v[42:43]
	v_add_co_u32_e32 v71, vcc, v69, v71
	v_addc_co_u32_e32 v72, vcc, v70, v72, vcc
	global_store_dword v[71:72], v12, off
.LBB140_180:
	s_or_b64 exec, exec, s[2:3]
	v_cmp_lt_u32_e32 vcc, v40, v23
	v_and_b32_e32 v25, 1, v63
	s_or_b64 s[2:3], s[40:41], vcc
	v_cmp_eq_u32_e32 vcc, 1, v25
	s_and_b64 s[4:5], s[2:3], vcc
	s_and_saveexec_b64 s[2:3], s[4:5]
	s_cbranch_execz .LBB140_182
; %bb.181:
	v_mov_b32_e32 v41, 0
	v_lshlrev_b64 v[71:72], 2, v[40:41]
	v_add_co_u32_e32 v71, vcc, v69, v71
	v_addc_co_u32_e32 v72, vcc, v70, v72, vcc
	global_store_dword v[71:72], v9, off
.LBB140_182:
	s_or_b64 exec, exec, s[2:3]
	v_cmp_lt_u32_e32 vcc, v38, v23
	v_and_b32_e32 v25, 1, v62
	s_or_b64 s[2:3], s[40:41], vcc
	v_cmp_eq_u32_e32 vcc, 1, v25
	s_and_b64 s[4:5], s[2:3], vcc
	s_and_saveexec_b64 s[2:3], s[4:5]
	s_cbranch_execz .LBB140_184
; %bb.183:
	v_mov_b32_e32 v39, 0
	v_lshlrev_b64 v[71:72], 2, v[38:39]
	v_add_co_u32_e32 v71, vcc, v69, v71
	v_addc_co_u32_e32 v72, vcc, v70, v72, vcc
	global_store_dword v[71:72], v10, off
.LBB140_184:
	s_or_b64 exec, exec, s[2:3]
	v_cmp_lt_u32_e32 vcc, v36, v23
	v_and_b32_e32 v25, 1, v61
	s_or_b64 s[2:3], s[40:41], vcc
	v_cmp_eq_u32_e32 vcc, 1, v25
	s_and_b64 s[4:5], s[2:3], vcc
	s_and_saveexec_b64 s[2:3], s[4:5]
	s_cbranch_execz .LBB140_186
; %bb.185:
	v_mov_b32_e32 v37, 0
	v_lshlrev_b64 v[71:72], 2, v[36:37]
	v_add_co_u32_e32 v71, vcc, v69, v71
	v_addc_co_u32_e32 v72, vcc, v70, v72, vcc
	global_store_dword v[71:72], v7, off
.LBB140_186:
	s_or_b64 exec, exec, s[2:3]
	v_cmp_lt_u32_e32 vcc, v34, v23
	v_and_b32_e32 v25, 1, v60
	s_or_b64 s[2:3], s[40:41], vcc
	v_cmp_eq_u32_e32 vcc, 1, v25
	s_and_b64 s[4:5], s[2:3], vcc
	s_and_saveexec_b64 s[2:3], s[4:5]
	s_cbranch_execz .LBB140_188
; %bb.187:
	v_mov_b32_e32 v35, 0
	v_lshlrev_b64 v[71:72], 2, v[34:35]
	v_add_co_u32_e32 v71, vcc, v69, v71
	v_addc_co_u32_e32 v72, vcc, v70, v72, vcc
	global_store_dword v[71:72], v8, off
.LBB140_188:
	s_or_b64 exec, exec, s[2:3]
	v_cmp_lt_u32_e32 vcc, v32, v23
	v_and_b32_e32 v25, 1, v59
	s_or_b64 s[2:3], s[40:41], vcc
	v_cmp_eq_u32_e32 vcc, 1, v25
	s_and_b64 s[4:5], s[2:3], vcc
	s_and_saveexec_b64 s[2:3], s[4:5]
	s_cbranch_execz .LBB140_190
; %bb.189:
	v_mov_b32_e32 v33, 0
	v_lshlrev_b64 v[71:72], 2, v[32:33]
	v_add_co_u32_e32 v71, vcc, v69, v71
	v_addc_co_u32_e32 v72, vcc, v70, v72, vcc
	global_store_dword v[71:72], v5, off
.LBB140_190:
	s_or_b64 exec, exec, s[2:3]
	v_cmp_lt_u32_e32 vcc, v30, v23
	v_and_b32_e32 v25, 1, v58
	s_or_b64 s[2:3], s[40:41], vcc
	v_cmp_eq_u32_e32 vcc, 1, v25
	s_and_b64 s[4:5], s[2:3], vcc
	s_and_saveexec_b64 s[2:3], s[4:5]
	s_cbranch_execz .LBB140_192
; %bb.191:
	v_mov_b32_e32 v31, 0
	v_lshlrev_b64 v[71:72], 2, v[30:31]
	v_add_co_u32_e32 v71, vcc, v69, v71
	v_addc_co_u32_e32 v72, vcc, v70, v72, vcc
	global_store_dword v[71:72], v6, off
.LBB140_192:
	s_or_b64 exec, exec, s[2:3]
	v_cmp_lt_u32_e32 vcc, v28, v23
	v_and_b32_e32 v25, 1, v57
	s_or_b64 s[2:3], s[40:41], vcc
	v_cmp_eq_u32_e32 vcc, 1, v25
	s_and_b64 s[4:5], s[2:3], vcc
	s_and_saveexec_b64 s[2:3], s[4:5]
	s_cbranch_execz .LBB140_194
; %bb.193:
	v_mov_b32_e32 v29, 0
	v_lshlrev_b64 v[71:72], 2, v[28:29]
	v_add_co_u32_e32 v71, vcc, v69, v71
	v_addc_co_u32_e32 v72, vcc, v70, v72, vcc
	global_store_dword v[71:72], v3, off
.LBB140_194:
	s_or_b64 exec, exec, s[2:3]
	v_cmp_lt_u32_e32 vcc, v26, v23
	v_and_b32_e32 v25, 1, v56
	s_or_b64 s[2:3], s[40:41], vcc
	v_cmp_eq_u32_e32 vcc, 1, v25
	s_and_b64 s[4:5], s[2:3], vcc
	s_and_saveexec_b64 s[2:3], s[4:5]
	s_cbranch_execz .LBB140_196
; %bb.195:
	v_mov_b32_e32 v27, 0
	v_lshlrev_b64 v[71:72], 2, v[26:27]
	v_add_co_u32_e32 v71, vcc, v69, v71
	v_addc_co_u32_e32 v72, vcc, v70, v72, vcc
	global_store_dword v[71:72], v4, off
.LBB140_196:
	s_or_b64 exec, exec, s[2:3]
	v_cmp_lt_u32_e32 vcc, v24, v23
	v_and_b32_e32 v25, 1, v55
	s_or_b64 s[2:3], s[40:41], vcc
	v_cmp_eq_u32_e32 vcc, 1, v25
	s_and_b64 s[4:5], s[2:3], vcc
	s_and_saveexec_b64 s[2:3], s[4:5]
	s_cbranch_execz .LBB140_198
; %bb.197:
	v_mov_b32_e32 v25, 0
	v_lshlrev_b64 v[71:72], 2, v[24:25]
	v_add_co_u32_e32 v71, vcc, v69, v71
	v_addc_co_u32_e32 v72, vcc, v70, v72, vcc
	global_store_dword v[71:72], v1, off
.LBB140_198:
	s_or_b64 exec, exec, s[2:3]
	v_cmp_lt_u32_e32 vcc, v22, v23
	v_and_b32_e32 v23, 1, v54
	s_or_b64 s[2:3], s[40:41], vcc
	v_cmp_eq_u32_e32 vcc, 1, v23
	s_and_b64 s[4:5], s[2:3], vcc
	s_and_saveexec_b64 s[2:3], s[4:5]
	s_cbranch_execz .LBB140_200
; %bb.199:
	v_mov_b32_e32 v23, 0
	v_lshlrev_b64 v[71:72], 2, v[22:23]
	v_add_co_u32_e32 v69, vcc, v69, v71
	v_addc_co_u32_e32 v70, vcc, v70, v72, vcc
	global_store_dword v[69:70], v2, off
.LBB140_200:
	s_or_b64 exec, exec, s[2:3]
	s_branch .LBB140_166
.LBB140_201:
	v_cmp_eq_u32_e32 vcc, 1, v17
	s_and_saveexec_b64 s[2:3], vcc
; %bb.202:
	v_sub_u32_e32 v17, v46, v21
	v_lshlrev_b32_e32 v17, 2, v17
	ds_write_b32 v17, v15
; %bb.203:
	s_or_b64 exec, exec, s[2:3]
	v_and_b32_e32 v15, 1, v68
	v_cmp_eq_u32_e32 vcc, 1, v15
	s_and_saveexec_b64 s[2:3], vcc
; %bb.204:
	v_sub_u32_e32 v15, v52, v21
	v_lshlrev_b32_e32 v15, 2, v15
	ds_write_b32 v15, v16
; %bb.205:
	s_or_b64 exec, exec, s[2:3]
	v_and_b32_e32 v15, 1, v67
	;; [unrolled: 9-line block ×15, first 2 shown]
	v_cmp_eq_u32_e32 vcc, 1, v1
	s_and_saveexec_b64 s[2:3], vcc
; %bb.232:
	v_sub_u32_e32 v1, v22, v21
	v_lshlrev_b32_e32 v1, 2, v1
	ds_write_b32 v1, v2
; %bb.233:
	s_or_b64 exec, exec, s[2:3]
	v_cmp_lt_u32_e32 vcc, v0, v20
	s_waitcnt vmcnt(0) lgkmcnt(0)
	s_barrier
	s_and_saveexec_b64 s[4:5], vcc
	s_cbranch_execz .LBB140_236
; %bb.234:
	v_mov_b32_e32 v1, 0
	v_lshlrev_b64 v[4:5], 2, v[18:19]
	v_mov_b32_e32 v2, v21
	v_mov_b32_e32 v3, v1
	;; [unrolled: 1-line block ×3, first 2 shown]
	v_add_co_u32_e32 v4, vcc, s34, v4
	v_lshlrev_b64 v[2:3], 2, v[2:3]
	v_addc_co_u32_e32 v5, vcc, v6, v5, vcc
	v_add_co_u32_e32 v2, vcc, v4, v2
	v_addc_co_u32_e32 v3, vcc, v5, v3, vcc
	v_lshlrev_b32_e32 v4, 2, v0
	s_mov_b64 s[6:7], 0
.LBB140_235:                            ; =>This Inner Loop Header: Depth=1
	ds_read_b32 v7, v4
	v_lshlrev_b64 v[5:6], 2, v[0:1]
	v_add_u32_e32 v0, 0x100, v0
	v_cmp_ge_u32_e32 vcc, v0, v20
	v_add_co_u32_e64 v5, s[2:3], v2, v5
	v_add_u32_e32 v4, 0x400, v4
	v_addc_co_u32_e64 v6, s[2:3], v3, v6, s[2:3]
	s_or_b64 s[6:7], vcc, s[6:7]
	s_waitcnt lgkmcnt(0)
	global_store_dword v[5:6], v7, off
	s_andn2_b64 exec, exec, s[6:7]
	s_cbranch_execnz .LBB140_235
.LBB140_236:
	s_or_b64 exec, exec, s[4:5]
	s_and_b64 s[0:1], s[0:1], s[38:39]
	s_and_saveexec_b64 s[2:3], s[0:1]
	s_cbranch_execz .LBB140_167
.LBB140_237:
	v_add_co_u32_e32 v0, vcc, v18, v20
	v_addc_co_u32_e32 v1, vcc, 0, v19, vcc
	v_add_co_u32_e32 v0, vcc, v0, v21
	v_mov_b32_e32 v2, 0
	v_addc_co_u32_e32 v1, vcc, 0, v1, vcc
	global_store_dwordx2 v2, v[0:1], s[36:37]
	s_endpgm
	.section	.rodata,"a",@progbits
	.p2align	6, 0x0
	.amdhsa_kernel _ZN7rocprim17ROCPRIM_400000_NS6detail17trampoline_kernelINS0_14default_configENS1_25partition_config_selectorILNS1_17partition_subalgoE8EfNS0_10empty_typeEbEEZZNS1_14partition_implILS5_8ELb0ES3_jN6thrust23THRUST_200600_302600_NS6detail15normal_iteratorINSA_10device_ptrIfEEEEPS6_PKS6_NS0_5tupleIJSF_S6_EEENSJ_IJSG_SG_EEENS0_18inequality_wrapperI22is_equal_div_10_uniqueIfEEEPmJS6_EEE10hipError_tPvRmT3_T4_T5_T6_T7_T9_mT8_P12ihipStream_tbDpT10_ENKUlT_T0_E_clISt17integral_constantIbLb0EES19_IbLb1EEEEDaS15_S16_EUlS15_E_NS1_11comp_targetILNS1_3genE2ELNS1_11target_archE906ELNS1_3gpuE6ELNS1_3repE0EEENS1_30default_config_static_selectorELNS0_4arch9wavefront6targetE1EEEvT1_
		.amdhsa_group_segment_fixed_size 16904
		.amdhsa_private_segment_fixed_size 0
		.amdhsa_kernarg_size 128
		.amdhsa_user_sgpr_count 6
		.amdhsa_user_sgpr_private_segment_buffer 1
		.amdhsa_user_sgpr_dispatch_ptr 0
		.amdhsa_user_sgpr_queue_ptr 0
		.amdhsa_user_sgpr_kernarg_segment_ptr 1
		.amdhsa_user_sgpr_dispatch_id 0
		.amdhsa_user_sgpr_flat_scratch_init 0
		.amdhsa_user_sgpr_private_segment_size 0
		.amdhsa_uses_dynamic_stack 0
		.amdhsa_system_sgpr_private_segment_wavefront_offset 0
		.amdhsa_system_sgpr_workgroup_id_x 1
		.amdhsa_system_sgpr_workgroup_id_y 0
		.amdhsa_system_sgpr_workgroup_id_z 0
		.amdhsa_system_sgpr_workgroup_info 0
		.amdhsa_system_vgpr_workitem_id 0
		.amdhsa_next_free_vgpr 77
		.amdhsa_next_free_sgpr 98
		.amdhsa_reserve_vcc 1
		.amdhsa_reserve_flat_scratch 0
		.amdhsa_float_round_mode_32 0
		.amdhsa_float_round_mode_16_64 0
		.amdhsa_float_denorm_mode_32 3
		.amdhsa_float_denorm_mode_16_64 3
		.amdhsa_dx10_clamp 1
		.amdhsa_ieee_mode 1
		.amdhsa_fp16_overflow 0
		.amdhsa_exception_fp_ieee_invalid_op 0
		.amdhsa_exception_fp_denorm_src 0
		.amdhsa_exception_fp_ieee_div_zero 0
		.amdhsa_exception_fp_ieee_overflow 0
		.amdhsa_exception_fp_ieee_underflow 0
		.amdhsa_exception_fp_ieee_inexact 0
		.amdhsa_exception_int_div_zero 0
	.end_amdhsa_kernel
	.section	.text._ZN7rocprim17ROCPRIM_400000_NS6detail17trampoline_kernelINS0_14default_configENS1_25partition_config_selectorILNS1_17partition_subalgoE8EfNS0_10empty_typeEbEEZZNS1_14partition_implILS5_8ELb0ES3_jN6thrust23THRUST_200600_302600_NS6detail15normal_iteratorINSA_10device_ptrIfEEEEPS6_PKS6_NS0_5tupleIJSF_S6_EEENSJ_IJSG_SG_EEENS0_18inequality_wrapperI22is_equal_div_10_uniqueIfEEEPmJS6_EEE10hipError_tPvRmT3_T4_T5_T6_T7_T9_mT8_P12ihipStream_tbDpT10_ENKUlT_T0_E_clISt17integral_constantIbLb0EES19_IbLb1EEEEDaS15_S16_EUlS15_E_NS1_11comp_targetILNS1_3genE2ELNS1_11target_archE906ELNS1_3gpuE6ELNS1_3repE0EEENS1_30default_config_static_selectorELNS0_4arch9wavefront6targetE1EEEvT1_,"axG",@progbits,_ZN7rocprim17ROCPRIM_400000_NS6detail17trampoline_kernelINS0_14default_configENS1_25partition_config_selectorILNS1_17partition_subalgoE8EfNS0_10empty_typeEbEEZZNS1_14partition_implILS5_8ELb0ES3_jN6thrust23THRUST_200600_302600_NS6detail15normal_iteratorINSA_10device_ptrIfEEEEPS6_PKS6_NS0_5tupleIJSF_S6_EEENSJ_IJSG_SG_EEENS0_18inequality_wrapperI22is_equal_div_10_uniqueIfEEEPmJS6_EEE10hipError_tPvRmT3_T4_T5_T6_T7_T9_mT8_P12ihipStream_tbDpT10_ENKUlT_T0_E_clISt17integral_constantIbLb0EES19_IbLb1EEEEDaS15_S16_EUlS15_E_NS1_11comp_targetILNS1_3genE2ELNS1_11target_archE906ELNS1_3gpuE6ELNS1_3repE0EEENS1_30default_config_static_selectorELNS0_4arch9wavefront6targetE1EEEvT1_,comdat
.Lfunc_end140:
	.size	_ZN7rocprim17ROCPRIM_400000_NS6detail17trampoline_kernelINS0_14default_configENS1_25partition_config_selectorILNS1_17partition_subalgoE8EfNS0_10empty_typeEbEEZZNS1_14partition_implILS5_8ELb0ES3_jN6thrust23THRUST_200600_302600_NS6detail15normal_iteratorINSA_10device_ptrIfEEEEPS6_PKS6_NS0_5tupleIJSF_S6_EEENSJ_IJSG_SG_EEENS0_18inequality_wrapperI22is_equal_div_10_uniqueIfEEEPmJS6_EEE10hipError_tPvRmT3_T4_T5_T6_T7_T9_mT8_P12ihipStream_tbDpT10_ENKUlT_T0_E_clISt17integral_constantIbLb0EES19_IbLb1EEEEDaS15_S16_EUlS15_E_NS1_11comp_targetILNS1_3genE2ELNS1_11target_archE906ELNS1_3gpuE6ELNS1_3repE0EEENS1_30default_config_static_selectorELNS0_4arch9wavefront6targetE1EEEvT1_, .Lfunc_end140-_ZN7rocprim17ROCPRIM_400000_NS6detail17trampoline_kernelINS0_14default_configENS1_25partition_config_selectorILNS1_17partition_subalgoE8EfNS0_10empty_typeEbEEZZNS1_14partition_implILS5_8ELb0ES3_jN6thrust23THRUST_200600_302600_NS6detail15normal_iteratorINSA_10device_ptrIfEEEEPS6_PKS6_NS0_5tupleIJSF_S6_EEENSJ_IJSG_SG_EEENS0_18inequality_wrapperI22is_equal_div_10_uniqueIfEEEPmJS6_EEE10hipError_tPvRmT3_T4_T5_T6_T7_T9_mT8_P12ihipStream_tbDpT10_ENKUlT_T0_E_clISt17integral_constantIbLb0EES19_IbLb1EEEEDaS15_S16_EUlS15_E_NS1_11comp_targetILNS1_3genE2ELNS1_11target_archE906ELNS1_3gpuE6ELNS1_3repE0EEENS1_30default_config_static_selectorELNS0_4arch9wavefront6targetE1EEEvT1_
                                        ; -- End function
	.set _ZN7rocprim17ROCPRIM_400000_NS6detail17trampoline_kernelINS0_14default_configENS1_25partition_config_selectorILNS1_17partition_subalgoE8EfNS0_10empty_typeEbEEZZNS1_14partition_implILS5_8ELb0ES3_jN6thrust23THRUST_200600_302600_NS6detail15normal_iteratorINSA_10device_ptrIfEEEEPS6_PKS6_NS0_5tupleIJSF_S6_EEENSJ_IJSG_SG_EEENS0_18inequality_wrapperI22is_equal_div_10_uniqueIfEEEPmJS6_EEE10hipError_tPvRmT3_T4_T5_T6_T7_T9_mT8_P12ihipStream_tbDpT10_ENKUlT_T0_E_clISt17integral_constantIbLb0EES19_IbLb1EEEEDaS15_S16_EUlS15_E_NS1_11comp_targetILNS1_3genE2ELNS1_11target_archE906ELNS1_3gpuE6ELNS1_3repE0EEENS1_30default_config_static_selectorELNS0_4arch9wavefront6targetE1EEEvT1_.num_vgpr, 77
	.set _ZN7rocprim17ROCPRIM_400000_NS6detail17trampoline_kernelINS0_14default_configENS1_25partition_config_selectorILNS1_17partition_subalgoE8EfNS0_10empty_typeEbEEZZNS1_14partition_implILS5_8ELb0ES3_jN6thrust23THRUST_200600_302600_NS6detail15normal_iteratorINSA_10device_ptrIfEEEEPS6_PKS6_NS0_5tupleIJSF_S6_EEENSJ_IJSG_SG_EEENS0_18inequality_wrapperI22is_equal_div_10_uniqueIfEEEPmJS6_EEE10hipError_tPvRmT3_T4_T5_T6_T7_T9_mT8_P12ihipStream_tbDpT10_ENKUlT_T0_E_clISt17integral_constantIbLb0EES19_IbLb1EEEEDaS15_S16_EUlS15_E_NS1_11comp_targetILNS1_3genE2ELNS1_11target_archE906ELNS1_3gpuE6ELNS1_3repE0EEENS1_30default_config_static_selectorELNS0_4arch9wavefront6targetE1EEEvT1_.num_agpr, 0
	.set _ZN7rocprim17ROCPRIM_400000_NS6detail17trampoline_kernelINS0_14default_configENS1_25partition_config_selectorILNS1_17partition_subalgoE8EfNS0_10empty_typeEbEEZZNS1_14partition_implILS5_8ELb0ES3_jN6thrust23THRUST_200600_302600_NS6detail15normal_iteratorINSA_10device_ptrIfEEEEPS6_PKS6_NS0_5tupleIJSF_S6_EEENSJ_IJSG_SG_EEENS0_18inequality_wrapperI22is_equal_div_10_uniqueIfEEEPmJS6_EEE10hipError_tPvRmT3_T4_T5_T6_T7_T9_mT8_P12ihipStream_tbDpT10_ENKUlT_T0_E_clISt17integral_constantIbLb0EES19_IbLb1EEEEDaS15_S16_EUlS15_E_NS1_11comp_targetILNS1_3genE2ELNS1_11target_archE906ELNS1_3gpuE6ELNS1_3repE0EEENS1_30default_config_static_selectorELNS0_4arch9wavefront6targetE1EEEvT1_.numbered_sgpr, 57
	.set _ZN7rocprim17ROCPRIM_400000_NS6detail17trampoline_kernelINS0_14default_configENS1_25partition_config_selectorILNS1_17partition_subalgoE8EfNS0_10empty_typeEbEEZZNS1_14partition_implILS5_8ELb0ES3_jN6thrust23THRUST_200600_302600_NS6detail15normal_iteratorINSA_10device_ptrIfEEEEPS6_PKS6_NS0_5tupleIJSF_S6_EEENSJ_IJSG_SG_EEENS0_18inequality_wrapperI22is_equal_div_10_uniqueIfEEEPmJS6_EEE10hipError_tPvRmT3_T4_T5_T6_T7_T9_mT8_P12ihipStream_tbDpT10_ENKUlT_T0_E_clISt17integral_constantIbLb0EES19_IbLb1EEEEDaS15_S16_EUlS15_E_NS1_11comp_targetILNS1_3genE2ELNS1_11target_archE906ELNS1_3gpuE6ELNS1_3repE0EEENS1_30default_config_static_selectorELNS0_4arch9wavefront6targetE1EEEvT1_.num_named_barrier, 0
	.set _ZN7rocprim17ROCPRIM_400000_NS6detail17trampoline_kernelINS0_14default_configENS1_25partition_config_selectorILNS1_17partition_subalgoE8EfNS0_10empty_typeEbEEZZNS1_14partition_implILS5_8ELb0ES3_jN6thrust23THRUST_200600_302600_NS6detail15normal_iteratorINSA_10device_ptrIfEEEEPS6_PKS6_NS0_5tupleIJSF_S6_EEENSJ_IJSG_SG_EEENS0_18inequality_wrapperI22is_equal_div_10_uniqueIfEEEPmJS6_EEE10hipError_tPvRmT3_T4_T5_T6_T7_T9_mT8_P12ihipStream_tbDpT10_ENKUlT_T0_E_clISt17integral_constantIbLb0EES19_IbLb1EEEEDaS15_S16_EUlS15_E_NS1_11comp_targetILNS1_3genE2ELNS1_11target_archE906ELNS1_3gpuE6ELNS1_3repE0EEENS1_30default_config_static_selectorELNS0_4arch9wavefront6targetE1EEEvT1_.private_seg_size, 0
	.set _ZN7rocprim17ROCPRIM_400000_NS6detail17trampoline_kernelINS0_14default_configENS1_25partition_config_selectorILNS1_17partition_subalgoE8EfNS0_10empty_typeEbEEZZNS1_14partition_implILS5_8ELb0ES3_jN6thrust23THRUST_200600_302600_NS6detail15normal_iteratorINSA_10device_ptrIfEEEEPS6_PKS6_NS0_5tupleIJSF_S6_EEENSJ_IJSG_SG_EEENS0_18inequality_wrapperI22is_equal_div_10_uniqueIfEEEPmJS6_EEE10hipError_tPvRmT3_T4_T5_T6_T7_T9_mT8_P12ihipStream_tbDpT10_ENKUlT_T0_E_clISt17integral_constantIbLb0EES19_IbLb1EEEEDaS15_S16_EUlS15_E_NS1_11comp_targetILNS1_3genE2ELNS1_11target_archE906ELNS1_3gpuE6ELNS1_3repE0EEENS1_30default_config_static_selectorELNS0_4arch9wavefront6targetE1EEEvT1_.uses_vcc, 1
	.set _ZN7rocprim17ROCPRIM_400000_NS6detail17trampoline_kernelINS0_14default_configENS1_25partition_config_selectorILNS1_17partition_subalgoE8EfNS0_10empty_typeEbEEZZNS1_14partition_implILS5_8ELb0ES3_jN6thrust23THRUST_200600_302600_NS6detail15normal_iteratorINSA_10device_ptrIfEEEEPS6_PKS6_NS0_5tupleIJSF_S6_EEENSJ_IJSG_SG_EEENS0_18inequality_wrapperI22is_equal_div_10_uniqueIfEEEPmJS6_EEE10hipError_tPvRmT3_T4_T5_T6_T7_T9_mT8_P12ihipStream_tbDpT10_ENKUlT_T0_E_clISt17integral_constantIbLb0EES19_IbLb1EEEEDaS15_S16_EUlS15_E_NS1_11comp_targetILNS1_3genE2ELNS1_11target_archE906ELNS1_3gpuE6ELNS1_3repE0EEENS1_30default_config_static_selectorELNS0_4arch9wavefront6targetE1EEEvT1_.uses_flat_scratch, 0
	.set _ZN7rocprim17ROCPRIM_400000_NS6detail17trampoline_kernelINS0_14default_configENS1_25partition_config_selectorILNS1_17partition_subalgoE8EfNS0_10empty_typeEbEEZZNS1_14partition_implILS5_8ELb0ES3_jN6thrust23THRUST_200600_302600_NS6detail15normal_iteratorINSA_10device_ptrIfEEEEPS6_PKS6_NS0_5tupleIJSF_S6_EEENSJ_IJSG_SG_EEENS0_18inequality_wrapperI22is_equal_div_10_uniqueIfEEEPmJS6_EEE10hipError_tPvRmT3_T4_T5_T6_T7_T9_mT8_P12ihipStream_tbDpT10_ENKUlT_T0_E_clISt17integral_constantIbLb0EES19_IbLb1EEEEDaS15_S16_EUlS15_E_NS1_11comp_targetILNS1_3genE2ELNS1_11target_archE906ELNS1_3gpuE6ELNS1_3repE0EEENS1_30default_config_static_selectorELNS0_4arch9wavefront6targetE1EEEvT1_.has_dyn_sized_stack, 0
	.set _ZN7rocprim17ROCPRIM_400000_NS6detail17trampoline_kernelINS0_14default_configENS1_25partition_config_selectorILNS1_17partition_subalgoE8EfNS0_10empty_typeEbEEZZNS1_14partition_implILS5_8ELb0ES3_jN6thrust23THRUST_200600_302600_NS6detail15normal_iteratorINSA_10device_ptrIfEEEEPS6_PKS6_NS0_5tupleIJSF_S6_EEENSJ_IJSG_SG_EEENS0_18inequality_wrapperI22is_equal_div_10_uniqueIfEEEPmJS6_EEE10hipError_tPvRmT3_T4_T5_T6_T7_T9_mT8_P12ihipStream_tbDpT10_ENKUlT_T0_E_clISt17integral_constantIbLb0EES19_IbLb1EEEEDaS15_S16_EUlS15_E_NS1_11comp_targetILNS1_3genE2ELNS1_11target_archE906ELNS1_3gpuE6ELNS1_3repE0EEENS1_30default_config_static_selectorELNS0_4arch9wavefront6targetE1EEEvT1_.has_recursion, 0
	.set _ZN7rocprim17ROCPRIM_400000_NS6detail17trampoline_kernelINS0_14default_configENS1_25partition_config_selectorILNS1_17partition_subalgoE8EfNS0_10empty_typeEbEEZZNS1_14partition_implILS5_8ELb0ES3_jN6thrust23THRUST_200600_302600_NS6detail15normal_iteratorINSA_10device_ptrIfEEEEPS6_PKS6_NS0_5tupleIJSF_S6_EEENSJ_IJSG_SG_EEENS0_18inequality_wrapperI22is_equal_div_10_uniqueIfEEEPmJS6_EEE10hipError_tPvRmT3_T4_T5_T6_T7_T9_mT8_P12ihipStream_tbDpT10_ENKUlT_T0_E_clISt17integral_constantIbLb0EES19_IbLb1EEEEDaS15_S16_EUlS15_E_NS1_11comp_targetILNS1_3genE2ELNS1_11target_archE906ELNS1_3gpuE6ELNS1_3repE0EEENS1_30default_config_static_selectorELNS0_4arch9wavefront6targetE1EEEvT1_.has_indirect_call, 0
	.section	.AMDGPU.csdata,"",@progbits
; Kernel info:
; codeLenInByte = 10912
; TotalNumSgprs: 61
; NumVgprs: 77
; ScratchSize: 0
; MemoryBound: 0
; FloatMode: 240
; IeeeMode: 1
; LDSByteSize: 16904 bytes/workgroup (compile time only)
; SGPRBlocks: 12
; VGPRBlocks: 19
; NumSGPRsForWavesPerEU: 102
; NumVGPRsForWavesPerEU: 77
; Occupancy: 3
; WaveLimiterHint : 1
; COMPUTE_PGM_RSRC2:SCRATCH_EN: 0
; COMPUTE_PGM_RSRC2:USER_SGPR: 6
; COMPUTE_PGM_RSRC2:TRAP_HANDLER: 0
; COMPUTE_PGM_RSRC2:TGID_X_EN: 1
; COMPUTE_PGM_RSRC2:TGID_Y_EN: 0
; COMPUTE_PGM_RSRC2:TGID_Z_EN: 0
; COMPUTE_PGM_RSRC2:TIDIG_COMP_CNT: 0
	.section	.text._ZN7rocprim17ROCPRIM_400000_NS6detail17trampoline_kernelINS0_14default_configENS1_25partition_config_selectorILNS1_17partition_subalgoE8EfNS0_10empty_typeEbEEZZNS1_14partition_implILS5_8ELb0ES3_jN6thrust23THRUST_200600_302600_NS6detail15normal_iteratorINSA_10device_ptrIfEEEEPS6_PKS6_NS0_5tupleIJSF_S6_EEENSJ_IJSG_SG_EEENS0_18inequality_wrapperI22is_equal_div_10_uniqueIfEEEPmJS6_EEE10hipError_tPvRmT3_T4_T5_T6_T7_T9_mT8_P12ihipStream_tbDpT10_ENKUlT_T0_E_clISt17integral_constantIbLb0EES19_IbLb1EEEEDaS15_S16_EUlS15_E_NS1_11comp_targetILNS1_3genE10ELNS1_11target_archE1200ELNS1_3gpuE4ELNS1_3repE0EEENS1_30default_config_static_selectorELNS0_4arch9wavefront6targetE1EEEvT1_,"axG",@progbits,_ZN7rocprim17ROCPRIM_400000_NS6detail17trampoline_kernelINS0_14default_configENS1_25partition_config_selectorILNS1_17partition_subalgoE8EfNS0_10empty_typeEbEEZZNS1_14partition_implILS5_8ELb0ES3_jN6thrust23THRUST_200600_302600_NS6detail15normal_iteratorINSA_10device_ptrIfEEEEPS6_PKS6_NS0_5tupleIJSF_S6_EEENSJ_IJSG_SG_EEENS0_18inequality_wrapperI22is_equal_div_10_uniqueIfEEEPmJS6_EEE10hipError_tPvRmT3_T4_T5_T6_T7_T9_mT8_P12ihipStream_tbDpT10_ENKUlT_T0_E_clISt17integral_constantIbLb0EES19_IbLb1EEEEDaS15_S16_EUlS15_E_NS1_11comp_targetILNS1_3genE10ELNS1_11target_archE1200ELNS1_3gpuE4ELNS1_3repE0EEENS1_30default_config_static_selectorELNS0_4arch9wavefront6targetE1EEEvT1_,comdat
	.protected	_ZN7rocprim17ROCPRIM_400000_NS6detail17trampoline_kernelINS0_14default_configENS1_25partition_config_selectorILNS1_17partition_subalgoE8EfNS0_10empty_typeEbEEZZNS1_14partition_implILS5_8ELb0ES3_jN6thrust23THRUST_200600_302600_NS6detail15normal_iteratorINSA_10device_ptrIfEEEEPS6_PKS6_NS0_5tupleIJSF_S6_EEENSJ_IJSG_SG_EEENS0_18inequality_wrapperI22is_equal_div_10_uniqueIfEEEPmJS6_EEE10hipError_tPvRmT3_T4_T5_T6_T7_T9_mT8_P12ihipStream_tbDpT10_ENKUlT_T0_E_clISt17integral_constantIbLb0EES19_IbLb1EEEEDaS15_S16_EUlS15_E_NS1_11comp_targetILNS1_3genE10ELNS1_11target_archE1200ELNS1_3gpuE4ELNS1_3repE0EEENS1_30default_config_static_selectorELNS0_4arch9wavefront6targetE1EEEvT1_ ; -- Begin function _ZN7rocprim17ROCPRIM_400000_NS6detail17trampoline_kernelINS0_14default_configENS1_25partition_config_selectorILNS1_17partition_subalgoE8EfNS0_10empty_typeEbEEZZNS1_14partition_implILS5_8ELb0ES3_jN6thrust23THRUST_200600_302600_NS6detail15normal_iteratorINSA_10device_ptrIfEEEEPS6_PKS6_NS0_5tupleIJSF_S6_EEENSJ_IJSG_SG_EEENS0_18inequality_wrapperI22is_equal_div_10_uniqueIfEEEPmJS6_EEE10hipError_tPvRmT3_T4_T5_T6_T7_T9_mT8_P12ihipStream_tbDpT10_ENKUlT_T0_E_clISt17integral_constantIbLb0EES19_IbLb1EEEEDaS15_S16_EUlS15_E_NS1_11comp_targetILNS1_3genE10ELNS1_11target_archE1200ELNS1_3gpuE4ELNS1_3repE0EEENS1_30default_config_static_selectorELNS0_4arch9wavefront6targetE1EEEvT1_
	.globl	_ZN7rocprim17ROCPRIM_400000_NS6detail17trampoline_kernelINS0_14default_configENS1_25partition_config_selectorILNS1_17partition_subalgoE8EfNS0_10empty_typeEbEEZZNS1_14partition_implILS5_8ELb0ES3_jN6thrust23THRUST_200600_302600_NS6detail15normal_iteratorINSA_10device_ptrIfEEEEPS6_PKS6_NS0_5tupleIJSF_S6_EEENSJ_IJSG_SG_EEENS0_18inequality_wrapperI22is_equal_div_10_uniqueIfEEEPmJS6_EEE10hipError_tPvRmT3_T4_T5_T6_T7_T9_mT8_P12ihipStream_tbDpT10_ENKUlT_T0_E_clISt17integral_constantIbLb0EES19_IbLb1EEEEDaS15_S16_EUlS15_E_NS1_11comp_targetILNS1_3genE10ELNS1_11target_archE1200ELNS1_3gpuE4ELNS1_3repE0EEENS1_30default_config_static_selectorELNS0_4arch9wavefront6targetE1EEEvT1_
	.p2align	8
	.type	_ZN7rocprim17ROCPRIM_400000_NS6detail17trampoline_kernelINS0_14default_configENS1_25partition_config_selectorILNS1_17partition_subalgoE8EfNS0_10empty_typeEbEEZZNS1_14partition_implILS5_8ELb0ES3_jN6thrust23THRUST_200600_302600_NS6detail15normal_iteratorINSA_10device_ptrIfEEEEPS6_PKS6_NS0_5tupleIJSF_S6_EEENSJ_IJSG_SG_EEENS0_18inequality_wrapperI22is_equal_div_10_uniqueIfEEEPmJS6_EEE10hipError_tPvRmT3_T4_T5_T6_T7_T9_mT8_P12ihipStream_tbDpT10_ENKUlT_T0_E_clISt17integral_constantIbLb0EES19_IbLb1EEEEDaS15_S16_EUlS15_E_NS1_11comp_targetILNS1_3genE10ELNS1_11target_archE1200ELNS1_3gpuE4ELNS1_3repE0EEENS1_30default_config_static_selectorELNS0_4arch9wavefront6targetE1EEEvT1_,@function
_ZN7rocprim17ROCPRIM_400000_NS6detail17trampoline_kernelINS0_14default_configENS1_25partition_config_selectorILNS1_17partition_subalgoE8EfNS0_10empty_typeEbEEZZNS1_14partition_implILS5_8ELb0ES3_jN6thrust23THRUST_200600_302600_NS6detail15normal_iteratorINSA_10device_ptrIfEEEEPS6_PKS6_NS0_5tupleIJSF_S6_EEENSJ_IJSG_SG_EEENS0_18inequality_wrapperI22is_equal_div_10_uniqueIfEEEPmJS6_EEE10hipError_tPvRmT3_T4_T5_T6_T7_T9_mT8_P12ihipStream_tbDpT10_ENKUlT_T0_E_clISt17integral_constantIbLb0EES19_IbLb1EEEEDaS15_S16_EUlS15_E_NS1_11comp_targetILNS1_3genE10ELNS1_11target_archE1200ELNS1_3gpuE4ELNS1_3repE0EEENS1_30default_config_static_selectorELNS0_4arch9wavefront6targetE1EEEvT1_: ; @_ZN7rocprim17ROCPRIM_400000_NS6detail17trampoline_kernelINS0_14default_configENS1_25partition_config_selectorILNS1_17partition_subalgoE8EfNS0_10empty_typeEbEEZZNS1_14partition_implILS5_8ELb0ES3_jN6thrust23THRUST_200600_302600_NS6detail15normal_iteratorINSA_10device_ptrIfEEEEPS6_PKS6_NS0_5tupleIJSF_S6_EEENSJ_IJSG_SG_EEENS0_18inequality_wrapperI22is_equal_div_10_uniqueIfEEEPmJS6_EEE10hipError_tPvRmT3_T4_T5_T6_T7_T9_mT8_P12ihipStream_tbDpT10_ENKUlT_T0_E_clISt17integral_constantIbLb0EES19_IbLb1EEEEDaS15_S16_EUlS15_E_NS1_11comp_targetILNS1_3genE10ELNS1_11target_archE1200ELNS1_3gpuE4ELNS1_3repE0EEENS1_30default_config_static_selectorELNS0_4arch9wavefront6targetE1EEEvT1_
; %bb.0:
	.section	.rodata,"a",@progbits
	.p2align	6, 0x0
	.amdhsa_kernel _ZN7rocprim17ROCPRIM_400000_NS6detail17trampoline_kernelINS0_14default_configENS1_25partition_config_selectorILNS1_17partition_subalgoE8EfNS0_10empty_typeEbEEZZNS1_14partition_implILS5_8ELb0ES3_jN6thrust23THRUST_200600_302600_NS6detail15normal_iteratorINSA_10device_ptrIfEEEEPS6_PKS6_NS0_5tupleIJSF_S6_EEENSJ_IJSG_SG_EEENS0_18inequality_wrapperI22is_equal_div_10_uniqueIfEEEPmJS6_EEE10hipError_tPvRmT3_T4_T5_T6_T7_T9_mT8_P12ihipStream_tbDpT10_ENKUlT_T0_E_clISt17integral_constantIbLb0EES19_IbLb1EEEEDaS15_S16_EUlS15_E_NS1_11comp_targetILNS1_3genE10ELNS1_11target_archE1200ELNS1_3gpuE4ELNS1_3repE0EEENS1_30default_config_static_selectorELNS0_4arch9wavefront6targetE1EEEvT1_
		.amdhsa_group_segment_fixed_size 0
		.amdhsa_private_segment_fixed_size 0
		.amdhsa_kernarg_size 128
		.amdhsa_user_sgpr_count 6
		.amdhsa_user_sgpr_private_segment_buffer 1
		.amdhsa_user_sgpr_dispatch_ptr 0
		.amdhsa_user_sgpr_queue_ptr 0
		.amdhsa_user_sgpr_kernarg_segment_ptr 1
		.amdhsa_user_sgpr_dispatch_id 0
		.amdhsa_user_sgpr_flat_scratch_init 0
		.amdhsa_user_sgpr_private_segment_size 0
		.amdhsa_uses_dynamic_stack 0
		.amdhsa_system_sgpr_private_segment_wavefront_offset 0
		.amdhsa_system_sgpr_workgroup_id_x 1
		.amdhsa_system_sgpr_workgroup_id_y 0
		.amdhsa_system_sgpr_workgroup_id_z 0
		.amdhsa_system_sgpr_workgroup_info 0
		.amdhsa_system_vgpr_workitem_id 0
		.amdhsa_next_free_vgpr 1
		.amdhsa_next_free_sgpr 0
		.amdhsa_reserve_vcc 0
		.amdhsa_reserve_flat_scratch 0
		.amdhsa_float_round_mode_32 0
		.amdhsa_float_round_mode_16_64 0
		.amdhsa_float_denorm_mode_32 3
		.amdhsa_float_denorm_mode_16_64 3
		.amdhsa_dx10_clamp 1
		.amdhsa_ieee_mode 1
		.amdhsa_fp16_overflow 0
		.amdhsa_exception_fp_ieee_invalid_op 0
		.amdhsa_exception_fp_denorm_src 0
		.amdhsa_exception_fp_ieee_div_zero 0
		.amdhsa_exception_fp_ieee_overflow 0
		.amdhsa_exception_fp_ieee_underflow 0
		.amdhsa_exception_fp_ieee_inexact 0
		.amdhsa_exception_int_div_zero 0
	.end_amdhsa_kernel
	.section	.text._ZN7rocprim17ROCPRIM_400000_NS6detail17trampoline_kernelINS0_14default_configENS1_25partition_config_selectorILNS1_17partition_subalgoE8EfNS0_10empty_typeEbEEZZNS1_14partition_implILS5_8ELb0ES3_jN6thrust23THRUST_200600_302600_NS6detail15normal_iteratorINSA_10device_ptrIfEEEEPS6_PKS6_NS0_5tupleIJSF_S6_EEENSJ_IJSG_SG_EEENS0_18inequality_wrapperI22is_equal_div_10_uniqueIfEEEPmJS6_EEE10hipError_tPvRmT3_T4_T5_T6_T7_T9_mT8_P12ihipStream_tbDpT10_ENKUlT_T0_E_clISt17integral_constantIbLb0EES19_IbLb1EEEEDaS15_S16_EUlS15_E_NS1_11comp_targetILNS1_3genE10ELNS1_11target_archE1200ELNS1_3gpuE4ELNS1_3repE0EEENS1_30default_config_static_selectorELNS0_4arch9wavefront6targetE1EEEvT1_,"axG",@progbits,_ZN7rocprim17ROCPRIM_400000_NS6detail17trampoline_kernelINS0_14default_configENS1_25partition_config_selectorILNS1_17partition_subalgoE8EfNS0_10empty_typeEbEEZZNS1_14partition_implILS5_8ELb0ES3_jN6thrust23THRUST_200600_302600_NS6detail15normal_iteratorINSA_10device_ptrIfEEEEPS6_PKS6_NS0_5tupleIJSF_S6_EEENSJ_IJSG_SG_EEENS0_18inequality_wrapperI22is_equal_div_10_uniqueIfEEEPmJS6_EEE10hipError_tPvRmT3_T4_T5_T6_T7_T9_mT8_P12ihipStream_tbDpT10_ENKUlT_T0_E_clISt17integral_constantIbLb0EES19_IbLb1EEEEDaS15_S16_EUlS15_E_NS1_11comp_targetILNS1_3genE10ELNS1_11target_archE1200ELNS1_3gpuE4ELNS1_3repE0EEENS1_30default_config_static_selectorELNS0_4arch9wavefront6targetE1EEEvT1_,comdat
.Lfunc_end141:
	.size	_ZN7rocprim17ROCPRIM_400000_NS6detail17trampoline_kernelINS0_14default_configENS1_25partition_config_selectorILNS1_17partition_subalgoE8EfNS0_10empty_typeEbEEZZNS1_14partition_implILS5_8ELb0ES3_jN6thrust23THRUST_200600_302600_NS6detail15normal_iteratorINSA_10device_ptrIfEEEEPS6_PKS6_NS0_5tupleIJSF_S6_EEENSJ_IJSG_SG_EEENS0_18inequality_wrapperI22is_equal_div_10_uniqueIfEEEPmJS6_EEE10hipError_tPvRmT3_T4_T5_T6_T7_T9_mT8_P12ihipStream_tbDpT10_ENKUlT_T0_E_clISt17integral_constantIbLb0EES19_IbLb1EEEEDaS15_S16_EUlS15_E_NS1_11comp_targetILNS1_3genE10ELNS1_11target_archE1200ELNS1_3gpuE4ELNS1_3repE0EEENS1_30default_config_static_selectorELNS0_4arch9wavefront6targetE1EEEvT1_, .Lfunc_end141-_ZN7rocprim17ROCPRIM_400000_NS6detail17trampoline_kernelINS0_14default_configENS1_25partition_config_selectorILNS1_17partition_subalgoE8EfNS0_10empty_typeEbEEZZNS1_14partition_implILS5_8ELb0ES3_jN6thrust23THRUST_200600_302600_NS6detail15normal_iteratorINSA_10device_ptrIfEEEEPS6_PKS6_NS0_5tupleIJSF_S6_EEENSJ_IJSG_SG_EEENS0_18inequality_wrapperI22is_equal_div_10_uniqueIfEEEPmJS6_EEE10hipError_tPvRmT3_T4_T5_T6_T7_T9_mT8_P12ihipStream_tbDpT10_ENKUlT_T0_E_clISt17integral_constantIbLb0EES19_IbLb1EEEEDaS15_S16_EUlS15_E_NS1_11comp_targetILNS1_3genE10ELNS1_11target_archE1200ELNS1_3gpuE4ELNS1_3repE0EEENS1_30default_config_static_selectorELNS0_4arch9wavefront6targetE1EEEvT1_
                                        ; -- End function
	.set _ZN7rocprim17ROCPRIM_400000_NS6detail17trampoline_kernelINS0_14default_configENS1_25partition_config_selectorILNS1_17partition_subalgoE8EfNS0_10empty_typeEbEEZZNS1_14partition_implILS5_8ELb0ES3_jN6thrust23THRUST_200600_302600_NS6detail15normal_iteratorINSA_10device_ptrIfEEEEPS6_PKS6_NS0_5tupleIJSF_S6_EEENSJ_IJSG_SG_EEENS0_18inequality_wrapperI22is_equal_div_10_uniqueIfEEEPmJS6_EEE10hipError_tPvRmT3_T4_T5_T6_T7_T9_mT8_P12ihipStream_tbDpT10_ENKUlT_T0_E_clISt17integral_constantIbLb0EES19_IbLb1EEEEDaS15_S16_EUlS15_E_NS1_11comp_targetILNS1_3genE10ELNS1_11target_archE1200ELNS1_3gpuE4ELNS1_3repE0EEENS1_30default_config_static_selectorELNS0_4arch9wavefront6targetE1EEEvT1_.num_vgpr, 0
	.set _ZN7rocprim17ROCPRIM_400000_NS6detail17trampoline_kernelINS0_14default_configENS1_25partition_config_selectorILNS1_17partition_subalgoE8EfNS0_10empty_typeEbEEZZNS1_14partition_implILS5_8ELb0ES3_jN6thrust23THRUST_200600_302600_NS6detail15normal_iteratorINSA_10device_ptrIfEEEEPS6_PKS6_NS0_5tupleIJSF_S6_EEENSJ_IJSG_SG_EEENS0_18inequality_wrapperI22is_equal_div_10_uniqueIfEEEPmJS6_EEE10hipError_tPvRmT3_T4_T5_T6_T7_T9_mT8_P12ihipStream_tbDpT10_ENKUlT_T0_E_clISt17integral_constantIbLb0EES19_IbLb1EEEEDaS15_S16_EUlS15_E_NS1_11comp_targetILNS1_3genE10ELNS1_11target_archE1200ELNS1_3gpuE4ELNS1_3repE0EEENS1_30default_config_static_selectorELNS0_4arch9wavefront6targetE1EEEvT1_.num_agpr, 0
	.set _ZN7rocprim17ROCPRIM_400000_NS6detail17trampoline_kernelINS0_14default_configENS1_25partition_config_selectorILNS1_17partition_subalgoE8EfNS0_10empty_typeEbEEZZNS1_14partition_implILS5_8ELb0ES3_jN6thrust23THRUST_200600_302600_NS6detail15normal_iteratorINSA_10device_ptrIfEEEEPS6_PKS6_NS0_5tupleIJSF_S6_EEENSJ_IJSG_SG_EEENS0_18inequality_wrapperI22is_equal_div_10_uniqueIfEEEPmJS6_EEE10hipError_tPvRmT3_T4_T5_T6_T7_T9_mT8_P12ihipStream_tbDpT10_ENKUlT_T0_E_clISt17integral_constantIbLb0EES19_IbLb1EEEEDaS15_S16_EUlS15_E_NS1_11comp_targetILNS1_3genE10ELNS1_11target_archE1200ELNS1_3gpuE4ELNS1_3repE0EEENS1_30default_config_static_selectorELNS0_4arch9wavefront6targetE1EEEvT1_.numbered_sgpr, 0
	.set _ZN7rocprim17ROCPRIM_400000_NS6detail17trampoline_kernelINS0_14default_configENS1_25partition_config_selectorILNS1_17partition_subalgoE8EfNS0_10empty_typeEbEEZZNS1_14partition_implILS5_8ELb0ES3_jN6thrust23THRUST_200600_302600_NS6detail15normal_iteratorINSA_10device_ptrIfEEEEPS6_PKS6_NS0_5tupleIJSF_S6_EEENSJ_IJSG_SG_EEENS0_18inequality_wrapperI22is_equal_div_10_uniqueIfEEEPmJS6_EEE10hipError_tPvRmT3_T4_T5_T6_T7_T9_mT8_P12ihipStream_tbDpT10_ENKUlT_T0_E_clISt17integral_constantIbLb0EES19_IbLb1EEEEDaS15_S16_EUlS15_E_NS1_11comp_targetILNS1_3genE10ELNS1_11target_archE1200ELNS1_3gpuE4ELNS1_3repE0EEENS1_30default_config_static_selectorELNS0_4arch9wavefront6targetE1EEEvT1_.num_named_barrier, 0
	.set _ZN7rocprim17ROCPRIM_400000_NS6detail17trampoline_kernelINS0_14default_configENS1_25partition_config_selectorILNS1_17partition_subalgoE8EfNS0_10empty_typeEbEEZZNS1_14partition_implILS5_8ELb0ES3_jN6thrust23THRUST_200600_302600_NS6detail15normal_iteratorINSA_10device_ptrIfEEEEPS6_PKS6_NS0_5tupleIJSF_S6_EEENSJ_IJSG_SG_EEENS0_18inequality_wrapperI22is_equal_div_10_uniqueIfEEEPmJS6_EEE10hipError_tPvRmT3_T4_T5_T6_T7_T9_mT8_P12ihipStream_tbDpT10_ENKUlT_T0_E_clISt17integral_constantIbLb0EES19_IbLb1EEEEDaS15_S16_EUlS15_E_NS1_11comp_targetILNS1_3genE10ELNS1_11target_archE1200ELNS1_3gpuE4ELNS1_3repE0EEENS1_30default_config_static_selectorELNS0_4arch9wavefront6targetE1EEEvT1_.private_seg_size, 0
	.set _ZN7rocprim17ROCPRIM_400000_NS6detail17trampoline_kernelINS0_14default_configENS1_25partition_config_selectorILNS1_17partition_subalgoE8EfNS0_10empty_typeEbEEZZNS1_14partition_implILS5_8ELb0ES3_jN6thrust23THRUST_200600_302600_NS6detail15normal_iteratorINSA_10device_ptrIfEEEEPS6_PKS6_NS0_5tupleIJSF_S6_EEENSJ_IJSG_SG_EEENS0_18inequality_wrapperI22is_equal_div_10_uniqueIfEEEPmJS6_EEE10hipError_tPvRmT3_T4_T5_T6_T7_T9_mT8_P12ihipStream_tbDpT10_ENKUlT_T0_E_clISt17integral_constantIbLb0EES19_IbLb1EEEEDaS15_S16_EUlS15_E_NS1_11comp_targetILNS1_3genE10ELNS1_11target_archE1200ELNS1_3gpuE4ELNS1_3repE0EEENS1_30default_config_static_selectorELNS0_4arch9wavefront6targetE1EEEvT1_.uses_vcc, 0
	.set _ZN7rocprim17ROCPRIM_400000_NS6detail17trampoline_kernelINS0_14default_configENS1_25partition_config_selectorILNS1_17partition_subalgoE8EfNS0_10empty_typeEbEEZZNS1_14partition_implILS5_8ELb0ES3_jN6thrust23THRUST_200600_302600_NS6detail15normal_iteratorINSA_10device_ptrIfEEEEPS6_PKS6_NS0_5tupleIJSF_S6_EEENSJ_IJSG_SG_EEENS0_18inequality_wrapperI22is_equal_div_10_uniqueIfEEEPmJS6_EEE10hipError_tPvRmT3_T4_T5_T6_T7_T9_mT8_P12ihipStream_tbDpT10_ENKUlT_T0_E_clISt17integral_constantIbLb0EES19_IbLb1EEEEDaS15_S16_EUlS15_E_NS1_11comp_targetILNS1_3genE10ELNS1_11target_archE1200ELNS1_3gpuE4ELNS1_3repE0EEENS1_30default_config_static_selectorELNS0_4arch9wavefront6targetE1EEEvT1_.uses_flat_scratch, 0
	.set _ZN7rocprim17ROCPRIM_400000_NS6detail17trampoline_kernelINS0_14default_configENS1_25partition_config_selectorILNS1_17partition_subalgoE8EfNS0_10empty_typeEbEEZZNS1_14partition_implILS5_8ELb0ES3_jN6thrust23THRUST_200600_302600_NS6detail15normal_iteratorINSA_10device_ptrIfEEEEPS6_PKS6_NS0_5tupleIJSF_S6_EEENSJ_IJSG_SG_EEENS0_18inequality_wrapperI22is_equal_div_10_uniqueIfEEEPmJS6_EEE10hipError_tPvRmT3_T4_T5_T6_T7_T9_mT8_P12ihipStream_tbDpT10_ENKUlT_T0_E_clISt17integral_constantIbLb0EES19_IbLb1EEEEDaS15_S16_EUlS15_E_NS1_11comp_targetILNS1_3genE10ELNS1_11target_archE1200ELNS1_3gpuE4ELNS1_3repE0EEENS1_30default_config_static_selectorELNS0_4arch9wavefront6targetE1EEEvT1_.has_dyn_sized_stack, 0
	.set _ZN7rocprim17ROCPRIM_400000_NS6detail17trampoline_kernelINS0_14default_configENS1_25partition_config_selectorILNS1_17partition_subalgoE8EfNS0_10empty_typeEbEEZZNS1_14partition_implILS5_8ELb0ES3_jN6thrust23THRUST_200600_302600_NS6detail15normal_iteratorINSA_10device_ptrIfEEEEPS6_PKS6_NS0_5tupleIJSF_S6_EEENSJ_IJSG_SG_EEENS0_18inequality_wrapperI22is_equal_div_10_uniqueIfEEEPmJS6_EEE10hipError_tPvRmT3_T4_T5_T6_T7_T9_mT8_P12ihipStream_tbDpT10_ENKUlT_T0_E_clISt17integral_constantIbLb0EES19_IbLb1EEEEDaS15_S16_EUlS15_E_NS1_11comp_targetILNS1_3genE10ELNS1_11target_archE1200ELNS1_3gpuE4ELNS1_3repE0EEENS1_30default_config_static_selectorELNS0_4arch9wavefront6targetE1EEEvT1_.has_recursion, 0
	.set _ZN7rocprim17ROCPRIM_400000_NS6detail17trampoline_kernelINS0_14default_configENS1_25partition_config_selectorILNS1_17partition_subalgoE8EfNS0_10empty_typeEbEEZZNS1_14partition_implILS5_8ELb0ES3_jN6thrust23THRUST_200600_302600_NS6detail15normal_iteratorINSA_10device_ptrIfEEEEPS6_PKS6_NS0_5tupleIJSF_S6_EEENSJ_IJSG_SG_EEENS0_18inequality_wrapperI22is_equal_div_10_uniqueIfEEEPmJS6_EEE10hipError_tPvRmT3_T4_T5_T6_T7_T9_mT8_P12ihipStream_tbDpT10_ENKUlT_T0_E_clISt17integral_constantIbLb0EES19_IbLb1EEEEDaS15_S16_EUlS15_E_NS1_11comp_targetILNS1_3genE10ELNS1_11target_archE1200ELNS1_3gpuE4ELNS1_3repE0EEENS1_30default_config_static_selectorELNS0_4arch9wavefront6targetE1EEEvT1_.has_indirect_call, 0
	.section	.AMDGPU.csdata,"",@progbits
; Kernel info:
; codeLenInByte = 0
; TotalNumSgprs: 4
; NumVgprs: 0
; ScratchSize: 0
; MemoryBound: 0
; FloatMode: 240
; IeeeMode: 1
; LDSByteSize: 0 bytes/workgroup (compile time only)
; SGPRBlocks: 0
; VGPRBlocks: 0
; NumSGPRsForWavesPerEU: 4
; NumVGPRsForWavesPerEU: 1
; Occupancy: 10
; WaveLimiterHint : 0
; COMPUTE_PGM_RSRC2:SCRATCH_EN: 0
; COMPUTE_PGM_RSRC2:USER_SGPR: 6
; COMPUTE_PGM_RSRC2:TRAP_HANDLER: 0
; COMPUTE_PGM_RSRC2:TGID_X_EN: 1
; COMPUTE_PGM_RSRC2:TGID_Y_EN: 0
; COMPUTE_PGM_RSRC2:TGID_Z_EN: 0
; COMPUTE_PGM_RSRC2:TIDIG_COMP_CNT: 0
	.section	.text._ZN7rocprim17ROCPRIM_400000_NS6detail17trampoline_kernelINS0_14default_configENS1_25partition_config_selectorILNS1_17partition_subalgoE8EfNS0_10empty_typeEbEEZZNS1_14partition_implILS5_8ELb0ES3_jN6thrust23THRUST_200600_302600_NS6detail15normal_iteratorINSA_10device_ptrIfEEEEPS6_PKS6_NS0_5tupleIJSF_S6_EEENSJ_IJSG_SG_EEENS0_18inequality_wrapperI22is_equal_div_10_uniqueIfEEEPmJS6_EEE10hipError_tPvRmT3_T4_T5_T6_T7_T9_mT8_P12ihipStream_tbDpT10_ENKUlT_T0_E_clISt17integral_constantIbLb0EES19_IbLb1EEEEDaS15_S16_EUlS15_E_NS1_11comp_targetILNS1_3genE9ELNS1_11target_archE1100ELNS1_3gpuE3ELNS1_3repE0EEENS1_30default_config_static_selectorELNS0_4arch9wavefront6targetE1EEEvT1_,"axG",@progbits,_ZN7rocprim17ROCPRIM_400000_NS6detail17trampoline_kernelINS0_14default_configENS1_25partition_config_selectorILNS1_17partition_subalgoE8EfNS0_10empty_typeEbEEZZNS1_14partition_implILS5_8ELb0ES3_jN6thrust23THRUST_200600_302600_NS6detail15normal_iteratorINSA_10device_ptrIfEEEEPS6_PKS6_NS0_5tupleIJSF_S6_EEENSJ_IJSG_SG_EEENS0_18inequality_wrapperI22is_equal_div_10_uniqueIfEEEPmJS6_EEE10hipError_tPvRmT3_T4_T5_T6_T7_T9_mT8_P12ihipStream_tbDpT10_ENKUlT_T0_E_clISt17integral_constantIbLb0EES19_IbLb1EEEEDaS15_S16_EUlS15_E_NS1_11comp_targetILNS1_3genE9ELNS1_11target_archE1100ELNS1_3gpuE3ELNS1_3repE0EEENS1_30default_config_static_selectorELNS0_4arch9wavefront6targetE1EEEvT1_,comdat
	.protected	_ZN7rocprim17ROCPRIM_400000_NS6detail17trampoline_kernelINS0_14default_configENS1_25partition_config_selectorILNS1_17partition_subalgoE8EfNS0_10empty_typeEbEEZZNS1_14partition_implILS5_8ELb0ES3_jN6thrust23THRUST_200600_302600_NS6detail15normal_iteratorINSA_10device_ptrIfEEEEPS6_PKS6_NS0_5tupleIJSF_S6_EEENSJ_IJSG_SG_EEENS0_18inequality_wrapperI22is_equal_div_10_uniqueIfEEEPmJS6_EEE10hipError_tPvRmT3_T4_T5_T6_T7_T9_mT8_P12ihipStream_tbDpT10_ENKUlT_T0_E_clISt17integral_constantIbLb0EES19_IbLb1EEEEDaS15_S16_EUlS15_E_NS1_11comp_targetILNS1_3genE9ELNS1_11target_archE1100ELNS1_3gpuE3ELNS1_3repE0EEENS1_30default_config_static_selectorELNS0_4arch9wavefront6targetE1EEEvT1_ ; -- Begin function _ZN7rocprim17ROCPRIM_400000_NS6detail17trampoline_kernelINS0_14default_configENS1_25partition_config_selectorILNS1_17partition_subalgoE8EfNS0_10empty_typeEbEEZZNS1_14partition_implILS5_8ELb0ES3_jN6thrust23THRUST_200600_302600_NS6detail15normal_iteratorINSA_10device_ptrIfEEEEPS6_PKS6_NS0_5tupleIJSF_S6_EEENSJ_IJSG_SG_EEENS0_18inequality_wrapperI22is_equal_div_10_uniqueIfEEEPmJS6_EEE10hipError_tPvRmT3_T4_T5_T6_T7_T9_mT8_P12ihipStream_tbDpT10_ENKUlT_T0_E_clISt17integral_constantIbLb0EES19_IbLb1EEEEDaS15_S16_EUlS15_E_NS1_11comp_targetILNS1_3genE9ELNS1_11target_archE1100ELNS1_3gpuE3ELNS1_3repE0EEENS1_30default_config_static_selectorELNS0_4arch9wavefront6targetE1EEEvT1_
	.globl	_ZN7rocprim17ROCPRIM_400000_NS6detail17trampoline_kernelINS0_14default_configENS1_25partition_config_selectorILNS1_17partition_subalgoE8EfNS0_10empty_typeEbEEZZNS1_14partition_implILS5_8ELb0ES3_jN6thrust23THRUST_200600_302600_NS6detail15normal_iteratorINSA_10device_ptrIfEEEEPS6_PKS6_NS0_5tupleIJSF_S6_EEENSJ_IJSG_SG_EEENS0_18inequality_wrapperI22is_equal_div_10_uniqueIfEEEPmJS6_EEE10hipError_tPvRmT3_T4_T5_T6_T7_T9_mT8_P12ihipStream_tbDpT10_ENKUlT_T0_E_clISt17integral_constantIbLb0EES19_IbLb1EEEEDaS15_S16_EUlS15_E_NS1_11comp_targetILNS1_3genE9ELNS1_11target_archE1100ELNS1_3gpuE3ELNS1_3repE0EEENS1_30default_config_static_selectorELNS0_4arch9wavefront6targetE1EEEvT1_
	.p2align	8
	.type	_ZN7rocprim17ROCPRIM_400000_NS6detail17trampoline_kernelINS0_14default_configENS1_25partition_config_selectorILNS1_17partition_subalgoE8EfNS0_10empty_typeEbEEZZNS1_14partition_implILS5_8ELb0ES3_jN6thrust23THRUST_200600_302600_NS6detail15normal_iteratorINSA_10device_ptrIfEEEEPS6_PKS6_NS0_5tupleIJSF_S6_EEENSJ_IJSG_SG_EEENS0_18inequality_wrapperI22is_equal_div_10_uniqueIfEEEPmJS6_EEE10hipError_tPvRmT3_T4_T5_T6_T7_T9_mT8_P12ihipStream_tbDpT10_ENKUlT_T0_E_clISt17integral_constantIbLb0EES19_IbLb1EEEEDaS15_S16_EUlS15_E_NS1_11comp_targetILNS1_3genE9ELNS1_11target_archE1100ELNS1_3gpuE3ELNS1_3repE0EEENS1_30default_config_static_selectorELNS0_4arch9wavefront6targetE1EEEvT1_,@function
_ZN7rocprim17ROCPRIM_400000_NS6detail17trampoline_kernelINS0_14default_configENS1_25partition_config_selectorILNS1_17partition_subalgoE8EfNS0_10empty_typeEbEEZZNS1_14partition_implILS5_8ELb0ES3_jN6thrust23THRUST_200600_302600_NS6detail15normal_iteratorINSA_10device_ptrIfEEEEPS6_PKS6_NS0_5tupleIJSF_S6_EEENSJ_IJSG_SG_EEENS0_18inequality_wrapperI22is_equal_div_10_uniqueIfEEEPmJS6_EEE10hipError_tPvRmT3_T4_T5_T6_T7_T9_mT8_P12ihipStream_tbDpT10_ENKUlT_T0_E_clISt17integral_constantIbLb0EES19_IbLb1EEEEDaS15_S16_EUlS15_E_NS1_11comp_targetILNS1_3genE9ELNS1_11target_archE1100ELNS1_3gpuE3ELNS1_3repE0EEENS1_30default_config_static_selectorELNS0_4arch9wavefront6targetE1EEEvT1_: ; @_ZN7rocprim17ROCPRIM_400000_NS6detail17trampoline_kernelINS0_14default_configENS1_25partition_config_selectorILNS1_17partition_subalgoE8EfNS0_10empty_typeEbEEZZNS1_14partition_implILS5_8ELb0ES3_jN6thrust23THRUST_200600_302600_NS6detail15normal_iteratorINSA_10device_ptrIfEEEEPS6_PKS6_NS0_5tupleIJSF_S6_EEENSJ_IJSG_SG_EEENS0_18inequality_wrapperI22is_equal_div_10_uniqueIfEEEPmJS6_EEE10hipError_tPvRmT3_T4_T5_T6_T7_T9_mT8_P12ihipStream_tbDpT10_ENKUlT_T0_E_clISt17integral_constantIbLb0EES19_IbLb1EEEEDaS15_S16_EUlS15_E_NS1_11comp_targetILNS1_3genE9ELNS1_11target_archE1100ELNS1_3gpuE3ELNS1_3repE0EEENS1_30default_config_static_selectorELNS0_4arch9wavefront6targetE1EEEvT1_
; %bb.0:
	.section	.rodata,"a",@progbits
	.p2align	6, 0x0
	.amdhsa_kernel _ZN7rocprim17ROCPRIM_400000_NS6detail17trampoline_kernelINS0_14default_configENS1_25partition_config_selectorILNS1_17partition_subalgoE8EfNS0_10empty_typeEbEEZZNS1_14partition_implILS5_8ELb0ES3_jN6thrust23THRUST_200600_302600_NS6detail15normal_iteratorINSA_10device_ptrIfEEEEPS6_PKS6_NS0_5tupleIJSF_S6_EEENSJ_IJSG_SG_EEENS0_18inequality_wrapperI22is_equal_div_10_uniqueIfEEEPmJS6_EEE10hipError_tPvRmT3_T4_T5_T6_T7_T9_mT8_P12ihipStream_tbDpT10_ENKUlT_T0_E_clISt17integral_constantIbLb0EES19_IbLb1EEEEDaS15_S16_EUlS15_E_NS1_11comp_targetILNS1_3genE9ELNS1_11target_archE1100ELNS1_3gpuE3ELNS1_3repE0EEENS1_30default_config_static_selectorELNS0_4arch9wavefront6targetE1EEEvT1_
		.amdhsa_group_segment_fixed_size 0
		.amdhsa_private_segment_fixed_size 0
		.amdhsa_kernarg_size 128
		.amdhsa_user_sgpr_count 6
		.amdhsa_user_sgpr_private_segment_buffer 1
		.amdhsa_user_sgpr_dispatch_ptr 0
		.amdhsa_user_sgpr_queue_ptr 0
		.amdhsa_user_sgpr_kernarg_segment_ptr 1
		.amdhsa_user_sgpr_dispatch_id 0
		.amdhsa_user_sgpr_flat_scratch_init 0
		.amdhsa_user_sgpr_private_segment_size 0
		.amdhsa_uses_dynamic_stack 0
		.amdhsa_system_sgpr_private_segment_wavefront_offset 0
		.amdhsa_system_sgpr_workgroup_id_x 1
		.amdhsa_system_sgpr_workgroup_id_y 0
		.amdhsa_system_sgpr_workgroup_id_z 0
		.amdhsa_system_sgpr_workgroup_info 0
		.amdhsa_system_vgpr_workitem_id 0
		.amdhsa_next_free_vgpr 1
		.amdhsa_next_free_sgpr 0
		.amdhsa_reserve_vcc 0
		.amdhsa_reserve_flat_scratch 0
		.amdhsa_float_round_mode_32 0
		.amdhsa_float_round_mode_16_64 0
		.amdhsa_float_denorm_mode_32 3
		.amdhsa_float_denorm_mode_16_64 3
		.amdhsa_dx10_clamp 1
		.amdhsa_ieee_mode 1
		.amdhsa_fp16_overflow 0
		.amdhsa_exception_fp_ieee_invalid_op 0
		.amdhsa_exception_fp_denorm_src 0
		.amdhsa_exception_fp_ieee_div_zero 0
		.amdhsa_exception_fp_ieee_overflow 0
		.amdhsa_exception_fp_ieee_underflow 0
		.amdhsa_exception_fp_ieee_inexact 0
		.amdhsa_exception_int_div_zero 0
	.end_amdhsa_kernel
	.section	.text._ZN7rocprim17ROCPRIM_400000_NS6detail17trampoline_kernelINS0_14default_configENS1_25partition_config_selectorILNS1_17partition_subalgoE8EfNS0_10empty_typeEbEEZZNS1_14partition_implILS5_8ELb0ES3_jN6thrust23THRUST_200600_302600_NS6detail15normal_iteratorINSA_10device_ptrIfEEEEPS6_PKS6_NS0_5tupleIJSF_S6_EEENSJ_IJSG_SG_EEENS0_18inequality_wrapperI22is_equal_div_10_uniqueIfEEEPmJS6_EEE10hipError_tPvRmT3_T4_T5_T6_T7_T9_mT8_P12ihipStream_tbDpT10_ENKUlT_T0_E_clISt17integral_constantIbLb0EES19_IbLb1EEEEDaS15_S16_EUlS15_E_NS1_11comp_targetILNS1_3genE9ELNS1_11target_archE1100ELNS1_3gpuE3ELNS1_3repE0EEENS1_30default_config_static_selectorELNS0_4arch9wavefront6targetE1EEEvT1_,"axG",@progbits,_ZN7rocprim17ROCPRIM_400000_NS6detail17trampoline_kernelINS0_14default_configENS1_25partition_config_selectorILNS1_17partition_subalgoE8EfNS0_10empty_typeEbEEZZNS1_14partition_implILS5_8ELb0ES3_jN6thrust23THRUST_200600_302600_NS6detail15normal_iteratorINSA_10device_ptrIfEEEEPS6_PKS6_NS0_5tupleIJSF_S6_EEENSJ_IJSG_SG_EEENS0_18inequality_wrapperI22is_equal_div_10_uniqueIfEEEPmJS6_EEE10hipError_tPvRmT3_T4_T5_T6_T7_T9_mT8_P12ihipStream_tbDpT10_ENKUlT_T0_E_clISt17integral_constantIbLb0EES19_IbLb1EEEEDaS15_S16_EUlS15_E_NS1_11comp_targetILNS1_3genE9ELNS1_11target_archE1100ELNS1_3gpuE3ELNS1_3repE0EEENS1_30default_config_static_selectorELNS0_4arch9wavefront6targetE1EEEvT1_,comdat
.Lfunc_end142:
	.size	_ZN7rocprim17ROCPRIM_400000_NS6detail17trampoline_kernelINS0_14default_configENS1_25partition_config_selectorILNS1_17partition_subalgoE8EfNS0_10empty_typeEbEEZZNS1_14partition_implILS5_8ELb0ES3_jN6thrust23THRUST_200600_302600_NS6detail15normal_iteratorINSA_10device_ptrIfEEEEPS6_PKS6_NS0_5tupleIJSF_S6_EEENSJ_IJSG_SG_EEENS0_18inequality_wrapperI22is_equal_div_10_uniqueIfEEEPmJS6_EEE10hipError_tPvRmT3_T4_T5_T6_T7_T9_mT8_P12ihipStream_tbDpT10_ENKUlT_T0_E_clISt17integral_constantIbLb0EES19_IbLb1EEEEDaS15_S16_EUlS15_E_NS1_11comp_targetILNS1_3genE9ELNS1_11target_archE1100ELNS1_3gpuE3ELNS1_3repE0EEENS1_30default_config_static_selectorELNS0_4arch9wavefront6targetE1EEEvT1_, .Lfunc_end142-_ZN7rocprim17ROCPRIM_400000_NS6detail17trampoline_kernelINS0_14default_configENS1_25partition_config_selectorILNS1_17partition_subalgoE8EfNS0_10empty_typeEbEEZZNS1_14partition_implILS5_8ELb0ES3_jN6thrust23THRUST_200600_302600_NS6detail15normal_iteratorINSA_10device_ptrIfEEEEPS6_PKS6_NS0_5tupleIJSF_S6_EEENSJ_IJSG_SG_EEENS0_18inequality_wrapperI22is_equal_div_10_uniqueIfEEEPmJS6_EEE10hipError_tPvRmT3_T4_T5_T6_T7_T9_mT8_P12ihipStream_tbDpT10_ENKUlT_T0_E_clISt17integral_constantIbLb0EES19_IbLb1EEEEDaS15_S16_EUlS15_E_NS1_11comp_targetILNS1_3genE9ELNS1_11target_archE1100ELNS1_3gpuE3ELNS1_3repE0EEENS1_30default_config_static_selectorELNS0_4arch9wavefront6targetE1EEEvT1_
                                        ; -- End function
	.set _ZN7rocprim17ROCPRIM_400000_NS6detail17trampoline_kernelINS0_14default_configENS1_25partition_config_selectorILNS1_17partition_subalgoE8EfNS0_10empty_typeEbEEZZNS1_14partition_implILS5_8ELb0ES3_jN6thrust23THRUST_200600_302600_NS6detail15normal_iteratorINSA_10device_ptrIfEEEEPS6_PKS6_NS0_5tupleIJSF_S6_EEENSJ_IJSG_SG_EEENS0_18inequality_wrapperI22is_equal_div_10_uniqueIfEEEPmJS6_EEE10hipError_tPvRmT3_T4_T5_T6_T7_T9_mT8_P12ihipStream_tbDpT10_ENKUlT_T0_E_clISt17integral_constantIbLb0EES19_IbLb1EEEEDaS15_S16_EUlS15_E_NS1_11comp_targetILNS1_3genE9ELNS1_11target_archE1100ELNS1_3gpuE3ELNS1_3repE0EEENS1_30default_config_static_selectorELNS0_4arch9wavefront6targetE1EEEvT1_.num_vgpr, 0
	.set _ZN7rocprim17ROCPRIM_400000_NS6detail17trampoline_kernelINS0_14default_configENS1_25partition_config_selectorILNS1_17partition_subalgoE8EfNS0_10empty_typeEbEEZZNS1_14partition_implILS5_8ELb0ES3_jN6thrust23THRUST_200600_302600_NS6detail15normal_iteratorINSA_10device_ptrIfEEEEPS6_PKS6_NS0_5tupleIJSF_S6_EEENSJ_IJSG_SG_EEENS0_18inequality_wrapperI22is_equal_div_10_uniqueIfEEEPmJS6_EEE10hipError_tPvRmT3_T4_T5_T6_T7_T9_mT8_P12ihipStream_tbDpT10_ENKUlT_T0_E_clISt17integral_constantIbLb0EES19_IbLb1EEEEDaS15_S16_EUlS15_E_NS1_11comp_targetILNS1_3genE9ELNS1_11target_archE1100ELNS1_3gpuE3ELNS1_3repE0EEENS1_30default_config_static_selectorELNS0_4arch9wavefront6targetE1EEEvT1_.num_agpr, 0
	.set _ZN7rocprim17ROCPRIM_400000_NS6detail17trampoline_kernelINS0_14default_configENS1_25partition_config_selectorILNS1_17partition_subalgoE8EfNS0_10empty_typeEbEEZZNS1_14partition_implILS5_8ELb0ES3_jN6thrust23THRUST_200600_302600_NS6detail15normal_iteratorINSA_10device_ptrIfEEEEPS6_PKS6_NS0_5tupleIJSF_S6_EEENSJ_IJSG_SG_EEENS0_18inequality_wrapperI22is_equal_div_10_uniqueIfEEEPmJS6_EEE10hipError_tPvRmT3_T4_T5_T6_T7_T9_mT8_P12ihipStream_tbDpT10_ENKUlT_T0_E_clISt17integral_constantIbLb0EES19_IbLb1EEEEDaS15_S16_EUlS15_E_NS1_11comp_targetILNS1_3genE9ELNS1_11target_archE1100ELNS1_3gpuE3ELNS1_3repE0EEENS1_30default_config_static_selectorELNS0_4arch9wavefront6targetE1EEEvT1_.numbered_sgpr, 0
	.set _ZN7rocprim17ROCPRIM_400000_NS6detail17trampoline_kernelINS0_14default_configENS1_25partition_config_selectorILNS1_17partition_subalgoE8EfNS0_10empty_typeEbEEZZNS1_14partition_implILS5_8ELb0ES3_jN6thrust23THRUST_200600_302600_NS6detail15normal_iteratorINSA_10device_ptrIfEEEEPS6_PKS6_NS0_5tupleIJSF_S6_EEENSJ_IJSG_SG_EEENS0_18inequality_wrapperI22is_equal_div_10_uniqueIfEEEPmJS6_EEE10hipError_tPvRmT3_T4_T5_T6_T7_T9_mT8_P12ihipStream_tbDpT10_ENKUlT_T0_E_clISt17integral_constantIbLb0EES19_IbLb1EEEEDaS15_S16_EUlS15_E_NS1_11comp_targetILNS1_3genE9ELNS1_11target_archE1100ELNS1_3gpuE3ELNS1_3repE0EEENS1_30default_config_static_selectorELNS0_4arch9wavefront6targetE1EEEvT1_.num_named_barrier, 0
	.set _ZN7rocprim17ROCPRIM_400000_NS6detail17trampoline_kernelINS0_14default_configENS1_25partition_config_selectorILNS1_17partition_subalgoE8EfNS0_10empty_typeEbEEZZNS1_14partition_implILS5_8ELb0ES3_jN6thrust23THRUST_200600_302600_NS6detail15normal_iteratorINSA_10device_ptrIfEEEEPS6_PKS6_NS0_5tupleIJSF_S6_EEENSJ_IJSG_SG_EEENS0_18inequality_wrapperI22is_equal_div_10_uniqueIfEEEPmJS6_EEE10hipError_tPvRmT3_T4_T5_T6_T7_T9_mT8_P12ihipStream_tbDpT10_ENKUlT_T0_E_clISt17integral_constantIbLb0EES19_IbLb1EEEEDaS15_S16_EUlS15_E_NS1_11comp_targetILNS1_3genE9ELNS1_11target_archE1100ELNS1_3gpuE3ELNS1_3repE0EEENS1_30default_config_static_selectorELNS0_4arch9wavefront6targetE1EEEvT1_.private_seg_size, 0
	.set _ZN7rocprim17ROCPRIM_400000_NS6detail17trampoline_kernelINS0_14default_configENS1_25partition_config_selectorILNS1_17partition_subalgoE8EfNS0_10empty_typeEbEEZZNS1_14partition_implILS5_8ELb0ES3_jN6thrust23THRUST_200600_302600_NS6detail15normal_iteratorINSA_10device_ptrIfEEEEPS6_PKS6_NS0_5tupleIJSF_S6_EEENSJ_IJSG_SG_EEENS0_18inequality_wrapperI22is_equal_div_10_uniqueIfEEEPmJS6_EEE10hipError_tPvRmT3_T4_T5_T6_T7_T9_mT8_P12ihipStream_tbDpT10_ENKUlT_T0_E_clISt17integral_constantIbLb0EES19_IbLb1EEEEDaS15_S16_EUlS15_E_NS1_11comp_targetILNS1_3genE9ELNS1_11target_archE1100ELNS1_3gpuE3ELNS1_3repE0EEENS1_30default_config_static_selectorELNS0_4arch9wavefront6targetE1EEEvT1_.uses_vcc, 0
	.set _ZN7rocprim17ROCPRIM_400000_NS6detail17trampoline_kernelINS0_14default_configENS1_25partition_config_selectorILNS1_17partition_subalgoE8EfNS0_10empty_typeEbEEZZNS1_14partition_implILS5_8ELb0ES3_jN6thrust23THRUST_200600_302600_NS6detail15normal_iteratorINSA_10device_ptrIfEEEEPS6_PKS6_NS0_5tupleIJSF_S6_EEENSJ_IJSG_SG_EEENS0_18inequality_wrapperI22is_equal_div_10_uniqueIfEEEPmJS6_EEE10hipError_tPvRmT3_T4_T5_T6_T7_T9_mT8_P12ihipStream_tbDpT10_ENKUlT_T0_E_clISt17integral_constantIbLb0EES19_IbLb1EEEEDaS15_S16_EUlS15_E_NS1_11comp_targetILNS1_3genE9ELNS1_11target_archE1100ELNS1_3gpuE3ELNS1_3repE0EEENS1_30default_config_static_selectorELNS0_4arch9wavefront6targetE1EEEvT1_.uses_flat_scratch, 0
	.set _ZN7rocprim17ROCPRIM_400000_NS6detail17trampoline_kernelINS0_14default_configENS1_25partition_config_selectorILNS1_17partition_subalgoE8EfNS0_10empty_typeEbEEZZNS1_14partition_implILS5_8ELb0ES3_jN6thrust23THRUST_200600_302600_NS6detail15normal_iteratorINSA_10device_ptrIfEEEEPS6_PKS6_NS0_5tupleIJSF_S6_EEENSJ_IJSG_SG_EEENS0_18inequality_wrapperI22is_equal_div_10_uniqueIfEEEPmJS6_EEE10hipError_tPvRmT3_T4_T5_T6_T7_T9_mT8_P12ihipStream_tbDpT10_ENKUlT_T0_E_clISt17integral_constantIbLb0EES19_IbLb1EEEEDaS15_S16_EUlS15_E_NS1_11comp_targetILNS1_3genE9ELNS1_11target_archE1100ELNS1_3gpuE3ELNS1_3repE0EEENS1_30default_config_static_selectorELNS0_4arch9wavefront6targetE1EEEvT1_.has_dyn_sized_stack, 0
	.set _ZN7rocprim17ROCPRIM_400000_NS6detail17trampoline_kernelINS0_14default_configENS1_25partition_config_selectorILNS1_17partition_subalgoE8EfNS0_10empty_typeEbEEZZNS1_14partition_implILS5_8ELb0ES3_jN6thrust23THRUST_200600_302600_NS6detail15normal_iteratorINSA_10device_ptrIfEEEEPS6_PKS6_NS0_5tupleIJSF_S6_EEENSJ_IJSG_SG_EEENS0_18inequality_wrapperI22is_equal_div_10_uniqueIfEEEPmJS6_EEE10hipError_tPvRmT3_T4_T5_T6_T7_T9_mT8_P12ihipStream_tbDpT10_ENKUlT_T0_E_clISt17integral_constantIbLb0EES19_IbLb1EEEEDaS15_S16_EUlS15_E_NS1_11comp_targetILNS1_3genE9ELNS1_11target_archE1100ELNS1_3gpuE3ELNS1_3repE0EEENS1_30default_config_static_selectorELNS0_4arch9wavefront6targetE1EEEvT1_.has_recursion, 0
	.set _ZN7rocprim17ROCPRIM_400000_NS6detail17trampoline_kernelINS0_14default_configENS1_25partition_config_selectorILNS1_17partition_subalgoE8EfNS0_10empty_typeEbEEZZNS1_14partition_implILS5_8ELb0ES3_jN6thrust23THRUST_200600_302600_NS6detail15normal_iteratorINSA_10device_ptrIfEEEEPS6_PKS6_NS0_5tupleIJSF_S6_EEENSJ_IJSG_SG_EEENS0_18inequality_wrapperI22is_equal_div_10_uniqueIfEEEPmJS6_EEE10hipError_tPvRmT3_T4_T5_T6_T7_T9_mT8_P12ihipStream_tbDpT10_ENKUlT_T0_E_clISt17integral_constantIbLb0EES19_IbLb1EEEEDaS15_S16_EUlS15_E_NS1_11comp_targetILNS1_3genE9ELNS1_11target_archE1100ELNS1_3gpuE3ELNS1_3repE0EEENS1_30default_config_static_selectorELNS0_4arch9wavefront6targetE1EEEvT1_.has_indirect_call, 0
	.section	.AMDGPU.csdata,"",@progbits
; Kernel info:
; codeLenInByte = 0
; TotalNumSgprs: 4
; NumVgprs: 0
; ScratchSize: 0
; MemoryBound: 0
; FloatMode: 240
; IeeeMode: 1
; LDSByteSize: 0 bytes/workgroup (compile time only)
; SGPRBlocks: 0
; VGPRBlocks: 0
; NumSGPRsForWavesPerEU: 4
; NumVGPRsForWavesPerEU: 1
; Occupancy: 10
; WaveLimiterHint : 0
; COMPUTE_PGM_RSRC2:SCRATCH_EN: 0
; COMPUTE_PGM_RSRC2:USER_SGPR: 6
; COMPUTE_PGM_RSRC2:TRAP_HANDLER: 0
; COMPUTE_PGM_RSRC2:TGID_X_EN: 1
; COMPUTE_PGM_RSRC2:TGID_Y_EN: 0
; COMPUTE_PGM_RSRC2:TGID_Z_EN: 0
; COMPUTE_PGM_RSRC2:TIDIG_COMP_CNT: 0
	.section	.text._ZN7rocprim17ROCPRIM_400000_NS6detail17trampoline_kernelINS0_14default_configENS1_25partition_config_selectorILNS1_17partition_subalgoE8EfNS0_10empty_typeEbEEZZNS1_14partition_implILS5_8ELb0ES3_jN6thrust23THRUST_200600_302600_NS6detail15normal_iteratorINSA_10device_ptrIfEEEEPS6_PKS6_NS0_5tupleIJSF_S6_EEENSJ_IJSG_SG_EEENS0_18inequality_wrapperI22is_equal_div_10_uniqueIfEEEPmJS6_EEE10hipError_tPvRmT3_T4_T5_T6_T7_T9_mT8_P12ihipStream_tbDpT10_ENKUlT_T0_E_clISt17integral_constantIbLb0EES19_IbLb1EEEEDaS15_S16_EUlS15_E_NS1_11comp_targetILNS1_3genE8ELNS1_11target_archE1030ELNS1_3gpuE2ELNS1_3repE0EEENS1_30default_config_static_selectorELNS0_4arch9wavefront6targetE1EEEvT1_,"axG",@progbits,_ZN7rocprim17ROCPRIM_400000_NS6detail17trampoline_kernelINS0_14default_configENS1_25partition_config_selectorILNS1_17partition_subalgoE8EfNS0_10empty_typeEbEEZZNS1_14partition_implILS5_8ELb0ES3_jN6thrust23THRUST_200600_302600_NS6detail15normal_iteratorINSA_10device_ptrIfEEEEPS6_PKS6_NS0_5tupleIJSF_S6_EEENSJ_IJSG_SG_EEENS0_18inequality_wrapperI22is_equal_div_10_uniqueIfEEEPmJS6_EEE10hipError_tPvRmT3_T4_T5_T6_T7_T9_mT8_P12ihipStream_tbDpT10_ENKUlT_T0_E_clISt17integral_constantIbLb0EES19_IbLb1EEEEDaS15_S16_EUlS15_E_NS1_11comp_targetILNS1_3genE8ELNS1_11target_archE1030ELNS1_3gpuE2ELNS1_3repE0EEENS1_30default_config_static_selectorELNS0_4arch9wavefront6targetE1EEEvT1_,comdat
	.protected	_ZN7rocprim17ROCPRIM_400000_NS6detail17trampoline_kernelINS0_14default_configENS1_25partition_config_selectorILNS1_17partition_subalgoE8EfNS0_10empty_typeEbEEZZNS1_14partition_implILS5_8ELb0ES3_jN6thrust23THRUST_200600_302600_NS6detail15normal_iteratorINSA_10device_ptrIfEEEEPS6_PKS6_NS0_5tupleIJSF_S6_EEENSJ_IJSG_SG_EEENS0_18inequality_wrapperI22is_equal_div_10_uniqueIfEEEPmJS6_EEE10hipError_tPvRmT3_T4_T5_T6_T7_T9_mT8_P12ihipStream_tbDpT10_ENKUlT_T0_E_clISt17integral_constantIbLb0EES19_IbLb1EEEEDaS15_S16_EUlS15_E_NS1_11comp_targetILNS1_3genE8ELNS1_11target_archE1030ELNS1_3gpuE2ELNS1_3repE0EEENS1_30default_config_static_selectorELNS0_4arch9wavefront6targetE1EEEvT1_ ; -- Begin function _ZN7rocprim17ROCPRIM_400000_NS6detail17trampoline_kernelINS0_14default_configENS1_25partition_config_selectorILNS1_17partition_subalgoE8EfNS0_10empty_typeEbEEZZNS1_14partition_implILS5_8ELb0ES3_jN6thrust23THRUST_200600_302600_NS6detail15normal_iteratorINSA_10device_ptrIfEEEEPS6_PKS6_NS0_5tupleIJSF_S6_EEENSJ_IJSG_SG_EEENS0_18inequality_wrapperI22is_equal_div_10_uniqueIfEEEPmJS6_EEE10hipError_tPvRmT3_T4_T5_T6_T7_T9_mT8_P12ihipStream_tbDpT10_ENKUlT_T0_E_clISt17integral_constantIbLb0EES19_IbLb1EEEEDaS15_S16_EUlS15_E_NS1_11comp_targetILNS1_3genE8ELNS1_11target_archE1030ELNS1_3gpuE2ELNS1_3repE0EEENS1_30default_config_static_selectorELNS0_4arch9wavefront6targetE1EEEvT1_
	.globl	_ZN7rocprim17ROCPRIM_400000_NS6detail17trampoline_kernelINS0_14default_configENS1_25partition_config_selectorILNS1_17partition_subalgoE8EfNS0_10empty_typeEbEEZZNS1_14partition_implILS5_8ELb0ES3_jN6thrust23THRUST_200600_302600_NS6detail15normal_iteratorINSA_10device_ptrIfEEEEPS6_PKS6_NS0_5tupleIJSF_S6_EEENSJ_IJSG_SG_EEENS0_18inequality_wrapperI22is_equal_div_10_uniqueIfEEEPmJS6_EEE10hipError_tPvRmT3_T4_T5_T6_T7_T9_mT8_P12ihipStream_tbDpT10_ENKUlT_T0_E_clISt17integral_constantIbLb0EES19_IbLb1EEEEDaS15_S16_EUlS15_E_NS1_11comp_targetILNS1_3genE8ELNS1_11target_archE1030ELNS1_3gpuE2ELNS1_3repE0EEENS1_30default_config_static_selectorELNS0_4arch9wavefront6targetE1EEEvT1_
	.p2align	8
	.type	_ZN7rocprim17ROCPRIM_400000_NS6detail17trampoline_kernelINS0_14default_configENS1_25partition_config_selectorILNS1_17partition_subalgoE8EfNS0_10empty_typeEbEEZZNS1_14partition_implILS5_8ELb0ES3_jN6thrust23THRUST_200600_302600_NS6detail15normal_iteratorINSA_10device_ptrIfEEEEPS6_PKS6_NS0_5tupleIJSF_S6_EEENSJ_IJSG_SG_EEENS0_18inequality_wrapperI22is_equal_div_10_uniqueIfEEEPmJS6_EEE10hipError_tPvRmT3_T4_T5_T6_T7_T9_mT8_P12ihipStream_tbDpT10_ENKUlT_T0_E_clISt17integral_constantIbLb0EES19_IbLb1EEEEDaS15_S16_EUlS15_E_NS1_11comp_targetILNS1_3genE8ELNS1_11target_archE1030ELNS1_3gpuE2ELNS1_3repE0EEENS1_30default_config_static_selectorELNS0_4arch9wavefront6targetE1EEEvT1_,@function
_ZN7rocprim17ROCPRIM_400000_NS6detail17trampoline_kernelINS0_14default_configENS1_25partition_config_selectorILNS1_17partition_subalgoE8EfNS0_10empty_typeEbEEZZNS1_14partition_implILS5_8ELb0ES3_jN6thrust23THRUST_200600_302600_NS6detail15normal_iteratorINSA_10device_ptrIfEEEEPS6_PKS6_NS0_5tupleIJSF_S6_EEENSJ_IJSG_SG_EEENS0_18inequality_wrapperI22is_equal_div_10_uniqueIfEEEPmJS6_EEE10hipError_tPvRmT3_T4_T5_T6_T7_T9_mT8_P12ihipStream_tbDpT10_ENKUlT_T0_E_clISt17integral_constantIbLb0EES19_IbLb1EEEEDaS15_S16_EUlS15_E_NS1_11comp_targetILNS1_3genE8ELNS1_11target_archE1030ELNS1_3gpuE2ELNS1_3repE0EEENS1_30default_config_static_selectorELNS0_4arch9wavefront6targetE1EEEvT1_: ; @_ZN7rocprim17ROCPRIM_400000_NS6detail17trampoline_kernelINS0_14default_configENS1_25partition_config_selectorILNS1_17partition_subalgoE8EfNS0_10empty_typeEbEEZZNS1_14partition_implILS5_8ELb0ES3_jN6thrust23THRUST_200600_302600_NS6detail15normal_iteratorINSA_10device_ptrIfEEEEPS6_PKS6_NS0_5tupleIJSF_S6_EEENSJ_IJSG_SG_EEENS0_18inequality_wrapperI22is_equal_div_10_uniqueIfEEEPmJS6_EEE10hipError_tPvRmT3_T4_T5_T6_T7_T9_mT8_P12ihipStream_tbDpT10_ENKUlT_T0_E_clISt17integral_constantIbLb0EES19_IbLb1EEEEDaS15_S16_EUlS15_E_NS1_11comp_targetILNS1_3genE8ELNS1_11target_archE1030ELNS1_3gpuE2ELNS1_3repE0EEENS1_30default_config_static_selectorELNS0_4arch9wavefront6targetE1EEEvT1_
; %bb.0:
	.section	.rodata,"a",@progbits
	.p2align	6, 0x0
	.amdhsa_kernel _ZN7rocprim17ROCPRIM_400000_NS6detail17trampoline_kernelINS0_14default_configENS1_25partition_config_selectorILNS1_17partition_subalgoE8EfNS0_10empty_typeEbEEZZNS1_14partition_implILS5_8ELb0ES3_jN6thrust23THRUST_200600_302600_NS6detail15normal_iteratorINSA_10device_ptrIfEEEEPS6_PKS6_NS0_5tupleIJSF_S6_EEENSJ_IJSG_SG_EEENS0_18inequality_wrapperI22is_equal_div_10_uniqueIfEEEPmJS6_EEE10hipError_tPvRmT3_T4_T5_T6_T7_T9_mT8_P12ihipStream_tbDpT10_ENKUlT_T0_E_clISt17integral_constantIbLb0EES19_IbLb1EEEEDaS15_S16_EUlS15_E_NS1_11comp_targetILNS1_3genE8ELNS1_11target_archE1030ELNS1_3gpuE2ELNS1_3repE0EEENS1_30default_config_static_selectorELNS0_4arch9wavefront6targetE1EEEvT1_
		.amdhsa_group_segment_fixed_size 0
		.amdhsa_private_segment_fixed_size 0
		.amdhsa_kernarg_size 128
		.amdhsa_user_sgpr_count 6
		.amdhsa_user_sgpr_private_segment_buffer 1
		.amdhsa_user_sgpr_dispatch_ptr 0
		.amdhsa_user_sgpr_queue_ptr 0
		.amdhsa_user_sgpr_kernarg_segment_ptr 1
		.amdhsa_user_sgpr_dispatch_id 0
		.amdhsa_user_sgpr_flat_scratch_init 0
		.amdhsa_user_sgpr_private_segment_size 0
		.amdhsa_uses_dynamic_stack 0
		.amdhsa_system_sgpr_private_segment_wavefront_offset 0
		.amdhsa_system_sgpr_workgroup_id_x 1
		.amdhsa_system_sgpr_workgroup_id_y 0
		.amdhsa_system_sgpr_workgroup_id_z 0
		.amdhsa_system_sgpr_workgroup_info 0
		.amdhsa_system_vgpr_workitem_id 0
		.amdhsa_next_free_vgpr 1
		.amdhsa_next_free_sgpr 0
		.amdhsa_reserve_vcc 0
		.amdhsa_reserve_flat_scratch 0
		.amdhsa_float_round_mode_32 0
		.amdhsa_float_round_mode_16_64 0
		.amdhsa_float_denorm_mode_32 3
		.amdhsa_float_denorm_mode_16_64 3
		.amdhsa_dx10_clamp 1
		.amdhsa_ieee_mode 1
		.amdhsa_fp16_overflow 0
		.amdhsa_exception_fp_ieee_invalid_op 0
		.amdhsa_exception_fp_denorm_src 0
		.amdhsa_exception_fp_ieee_div_zero 0
		.amdhsa_exception_fp_ieee_overflow 0
		.amdhsa_exception_fp_ieee_underflow 0
		.amdhsa_exception_fp_ieee_inexact 0
		.amdhsa_exception_int_div_zero 0
	.end_amdhsa_kernel
	.section	.text._ZN7rocprim17ROCPRIM_400000_NS6detail17trampoline_kernelINS0_14default_configENS1_25partition_config_selectorILNS1_17partition_subalgoE8EfNS0_10empty_typeEbEEZZNS1_14partition_implILS5_8ELb0ES3_jN6thrust23THRUST_200600_302600_NS6detail15normal_iteratorINSA_10device_ptrIfEEEEPS6_PKS6_NS0_5tupleIJSF_S6_EEENSJ_IJSG_SG_EEENS0_18inequality_wrapperI22is_equal_div_10_uniqueIfEEEPmJS6_EEE10hipError_tPvRmT3_T4_T5_T6_T7_T9_mT8_P12ihipStream_tbDpT10_ENKUlT_T0_E_clISt17integral_constantIbLb0EES19_IbLb1EEEEDaS15_S16_EUlS15_E_NS1_11comp_targetILNS1_3genE8ELNS1_11target_archE1030ELNS1_3gpuE2ELNS1_3repE0EEENS1_30default_config_static_selectorELNS0_4arch9wavefront6targetE1EEEvT1_,"axG",@progbits,_ZN7rocprim17ROCPRIM_400000_NS6detail17trampoline_kernelINS0_14default_configENS1_25partition_config_selectorILNS1_17partition_subalgoE8EfNS0_10empty_typeEbEEZZNS1_14partition_implILS5_8ELb0ES3_jN6thrust23THRUST_200600_302600_NS6detail15normal_iteratorINSA_10device_ptrIfEEEEPS6_PKS6_NS0_5tupleIJSF_S6_EEENSJ_IJSG_SG_EEENS0_18inequality_wrapperI22is_equal_div_10_uniqueIfEEEPmJS6_EEE10hipError_tPvRmT3_T4_T5_T6_T7_T9_mT8_P12ihipStream_tbDpT10_ENKUlT_T0_E_clISt17integral_constantIbLb0EES19_IbLb1EEEEDaS15_S16_EUlS15_E_NS1_11comp_targetILNS1_3genE8ELNS1_11target_archE1030ELNS1_3gpuE2ELNS1_3repE0EEENS1_30default_config_static_selectorELNS0_4arch9wavefront6targetE1EEEvT1_,comdat
.Lfunc_end143:
	.size	_ZN7rocprim17ROCPRIM_400000_NS6detail17trampoline_kernelINS0_14default_configENS1_25partition_config_selectorILNS1_17partition_subalgoE8EfNS0_10empty_typeEbEEZZNS1_14partition_implILS5_8ELb0ES3_jN6thrust23THRUST_200600_302600_NS6detail15normal_iteratorINSA_10device_ptrIfEEEEPS6_PKS6_NS0_5tupleIJSF_S6_EEENSJ_IJSG_SG_EEENS0_18inequality_wrapperI22is_equal_div_10_uniqueIfEEEPmJS6_EEE10hipError_tPvRmT3_T4_T5_T6_T7_T9_mT8_P12ihipStream_tbDpT10_ENKUlT_T0_E_clISt17integral_constantIbLb0EES19_IbLb1EEEEDaS15_S16_EUlS15_E_NS1_11comp_targetILNS1_3genE8ELNS1_11target_archE1030ELNS1_3gpuE2ELNS1_3repE0EEENS1_30default_config_static_selectorELNS0_4arch9wavefront6targetE1EEEvT1_, .Lfunc_end143-_ZN7rocprim17ROCPRIM_400000_NS6detail17trampoline_kernelINS0_14default_configENS1_25partition_config_selectorILNS1_17partition_subalgoE8EfNS0_10empty_typeEbEEZZNS1_14partition_implILS5_8ELb0ES3_jN6thrust23THRUST_200600_302600_NS6detail15normal_iteratorINSA_10device_ptrIfEEEEPS6_PKS6_NS0_5tupleIJSF_S6_EEENSJ_IJSG_SG_EEENS0_18inequality_wrapperI22is_equal_div_10_uniqueIfEEEPmJS6_EEE10hipError_tPvRmT3_T4_T5_T6_T7_T9_mT8_P12ihipStream_tbDpT10_ENKUlT_T0_E_clISt17integral_constantIbLb0EES19_IbLb1EEEEDaS15_S16_EUlS15_E_NS1_11comp_targetILNS1_3genE8ELNS1_11target_archE1030ELNS1_3gpuE2ELNS1_3repE0EEENS1_30default_config_static_selectorELNS0_4arch9wavefront6targetE1EEEvT1_
                                        ; -- End function
	.set _ZN7rocprim17ROCPRIM_400000_NS6detail17trampoline_kernelINS0_14default_configENS1_25partition_config_selectorILNS1_17partition_subalgoE8EfNS0_10empty_typeEbEEZZNS1_14partition_implILS5_8ELb0ES3_jN6thrust23THRUST_200600_302600_NS6detail15normal_iteratorINSA_10device_ptrIfEEEEPS6_PKS6_NS0_5tupleIJSF_S6_EEENSJ_IJSG_SG_EEENS0_18inequality_wrapperI22is_equal_div_10_uniqueIfEEEPmJS6_EEE10hipError_tPvRmT3_T4_T5_T6_T7_T9_mT8_P12ihipStream_tbDpT10_ENKUlT_T0_E_clISt17integral_constantIbLb0EES19_IbLb1EEEEDaS15_S16_EUlS15_E_NS1_11comp_targetILNS1_3genE8ELNS1_11target_archE1030ELNS1_3gpuE2ELNS1_3repE0EEENS1_30default_config_static_selectorELNS0_4arch9wavefront6targetE1EEEvT1_.num_vgpr, 0
	.set _ZN7rocprim17ROCPRIM_400000_NS6detail17trampoline_kernelINS0_14default_configENS1_25partition_config_selectorILNS1_17partition_subalgoE8EfNS0_10empty_typeEbEEZZNS1_14partition_implILS5_8ELb0ES3_jN6thrust23THRUST_200600_302600_NS6detail15normal_iteratorINSA_10device_ptrIfEEEEPS6_PKS6_NS0_5tupleIJSF_S6_EEENSJ_IJSG_SG_EEENS0_18inequality_wrapperI22is_equal_div_10_uniqueIfEEEPmJS6_EEE10hipError_tPvRmT3_T4_T5_T6_T7_T9_mT8_P12ihipStream_tbDpT10_ENKUlT_T0_E_clISt17integral_constantIbLb0EES19_IbLb1EEEEDaS15_S16_EUlS15_E_NS1_11comp_targetILNS1_3genE8ELNS1_11target_archE1030ELNS1_3gpuE2ELNS1_3repE0EEENS1_30default_config_static_selectorELNS0_4arch9wavefront6targetE1EEEvT1_.num_agpr, 0
	.set _ZN7rocprim17ROCPRIM_400000_NS6detail17trampoline_kernelINS0_14default_configENS1_25partition_config_selectorILNS1_17partition_subalgoE8EfNS0_10empty_typeEbEEZZNS1_14partition_implILS5_8ELb0ES3_jN6thrust23THRUST_200600_302600_NS6detail15normal_iteratorINSA_10device_ptrIfEEEEPS6_PKS6_NS0_5tupleIJSF_S6_EEENSJ_IJSG_SG_EEENS0_18inequality_wrapperI22is_equal_div_10_uniqueIfEEEPmJS6_EEE10hipError_tPvRmT3_T4_T5_T6_T7_T9_mT8_P12ihipStream_tbDpT10_ENKUlT_T0_E_clISt17integral_constantIbLb0EES19_IbLb1EEEEDaS15_S16_EUlS15_E_NS1_11comp_targetILNS1_3genE8ELNS1_11target_archE1030ELNS1_3gpuE2ELNS1_3repE0EEENS1_30default_config_static_selectorELNS0_4arch9wavefront6targetE1EEEvT1_.numbered_sgpr, 0
	.set _ZN7rocprim17ROCPRIM_400000_NS6detail17trampoline_kernelINS0_14default_configENS1_25partition_config_selectorILNS1_17partition_subalgoE8EfNS0_10empty_typeEbEEZZNS1_14partition_implILS5_8ELb0ES3_jN6thrust23THRUST_200600_302600_NS6detail15normal_iteratorINSA_10device_ptrIfEEEEPS6_PKS6_NS0_5tupleIJSF_S6_EEENSJ_IJSG_SG_EEENS0_18inequality_wrapperI22is_equal_div_10_uniqueIfEEEPmJS6_EEE10hipError_tPvRmT3_T4_T5_T6_T7_T9_mT8_P12ihipStream_tbDpT10_ENKUlT_T0_E_clISt17integral_constantIbLb0EES19_IbLb1EEEEDaS15_S16_EUlS15_E_NS1_11comp_targetILNS1_3genE8ELNS1_11target_archE1030ELNS1_3gpuE2ELNS1_3repE0EEENS1_30default_config_static_selectorELNS0_4arch9wavefront6targetE1EEEvT1_.num_named_barrier, 0
	.set _ZN7rocprim17ROCPRIM_400000_NS6detail17trampoline_kernelINS0_14default_configENS1_25partition_config_selectorILNS1_17partition_subalgoE8EfNS0_10empty_typeEbEEZZNS1_14partition_implILS5_8ELb0ES3_jN6thrust23THRUST_200600_302600_NS6detail15normal_iteratorINSA_10device_ptrIfEEEEPS6_PKS6_NS0_5tupleIJSF_S6_EEENSJ_IJSG_SG_EEENS0_18inequality_wrapperI22is_equal_div_10_uniqueIfEEEPmJS6_EEE10hipError_tPvRmT3_T4_T5_T6_T7_T9_mT8_P12ihipStream_tbDpT10_ENKUlT_T0_E_clISt17integral_constantIbLb0EES19_IbLb1EEEEDaS15_S16_EUlS15_E_NS1_11comp_targetILNS1_3genE8ELNS1_11target_archE1030ELNS1_3gpuE2ELNS1_3repE0EEENS1_30default_config_static_selectorELNS0_4arch9wavefront6targetE1EEEvT1_.private_seg_size, 0
	.set _ZN7rocprim17ROCPRIM_400000_NS6detail17trampoline_kernelINS0_14default_configENS1_25partition_config_selectorILNS1_17partition_subalgoE8EfNS0_10empty_typeEbEEZZNS1_14partition_implILS5_8ELb0ES3_jN6thrust23THRUST_200600_302600_NS6detail15normal_iteratorINSA_10device_ptrIfEEEEPS6_PKS6_NS0_5tupleIJSF_S6_EEENSJ_IJSG_SG_EEENS0_18inequality_wrapperI22is_equal_div_10_uniqueIfEEEPmJS6_EEE10hipError_tPvRmT3_T4_T5_T6_T7_T9_mT8_P12ihipStream_tbDpT10_ENKUlT_T0_E_clISt17integral_constantIbLb0EES19_IbLb1EEEEDaS15_S16_EUlS15_E_NS1_11comp_targetILNS1_3genE8ELNS1_11target_archE1030ELNS1_3gpuE2ELNS1_3repE0EEENS1_30default_config_static_selectorELNS0_4arch9wavefront6targetE1EEEvT1_.uses_vcc, 0
	.set _ZN7rocprim17ROCPRIM_400000_NS6detail17trampoline_kernelINS0_14default_configENS1_25partition_config_selectorILNS1_17partition_subalgoE8EfNS0_10empty_typeEbEEZZNS1_14partition_implILS5_8ELb0ES3_jN6thrust23THRUST_200600_302600_NS6detail15normal_iteratorINSA_10device_ptrIfEEEEPS6_PKS6_NS0_5tupleIJSF_S6_EEENSJ_IJSG_SG_EEENS0_18inequality_wrapperI22is_equal_div_10_uniqueIfEEEPmJS6_EEE10hipError_tPvRmT3_T4_T5_T6_T7_T9_mT8_P12ihipStream_tbDpT10_ENKUlT_T0_E_clISt17integral_constantIbLb0EES19_IbLb1EEEEDaS15_S16_EUlS15_E_NS1_11comp_targetILNS1_3genE8ELNS1_11target_archE1030ELNS1_3gpuE2ELNS1_3repE0EEENS1_30default_config_static_selectorELNS0_4arch9wavefront6targetE1EEEvT1_.uses_flat_scratch, 0
	.set _ZN7rocprim17ROCPRIM_400000_NS6detail17trampoline_kernelINS0_14default_configENS1_25partition_config_selectorILNS1_17partition_subalgoE8EfNS0_10empty_typeEbEEZZNS1_14partition_implILS5_8ELb0ES3_jN6thrust23THRUST_200600_302600_NS6detail15normal_iteratorINSA_10device_ptrIfEEEEPS6_PKS6_NS0_5tupleIJSF_S6_EEENSJ_IJSG_SG_EEENS0_18inequality_wrapperI22is_equal_div_10_uniqueIfEEEPmJS6_EEE10hipError_tPvRmT3_T4_T5_T6_T7_T9_mT8_P12ihipStream_tbDpT10_ENKUlT_T0_E_clISt17integral_constantIbLb0EES19_IbLb1EEEEDaS15_S16_EUlS15_E_NS1_11comp_targetILNS1_3genE8ELNS1_11target_archE1030ELNS1_3gpuE2ELNS1_3repE0EEENS1_30default_config_static_selectorELNS0_4arch9wavefront6targetE1EEEvT1_.has_dyn_sized_stack, 0
	.set _ZN7rocprim17ROCPRIM_400000_NS6detail17trampoline_kernelINS0_14default_configENS1_25partition_config_selectorILNS1_17partition_subalgoE8EfNS0_10empty_typeEbEEZZNS1_14partition_implILS5_8ELb0ES3_jN6thrust23THRUST_200600_302600_NS6detail15normal_iteratorINSA_10device_ptrIfEEEEPS6_PKS6_NS0_5tupleIJSF_S6_EEENSJ_IJSG_SG_EEENS0_18inequality_wrapperI22is_equal_div_10_uniqueIfEEEPmJS6_EEE10hipError_tPvRmT3_T4_T5_T6_T7_T9_mT8_P12ihipStream_tbDpT10_ENKUlT_T0_E_clISt17integral_constantIbLb0EES19_IbLb1EEEEDaS15_S16_EUlS15_E_NS1_11comp_targetILNS1_3genE8ELNS1_11target_archE1030ELNS1_3gpuE2ELNS1_3repE0EEENS1_30default_config_static_selectorELNS0_4arch9wavefront6targetE1EEEvT1_.has_recursion, 0
	.set _ZN7rocprim17ROCPRIM_400000_NS6detail17trampoline_kernelINS0_14default_configENS1_25partition_config_selectorILNS1_17partition_subalgoE8EfNS0_10empty_typeEbEEZZNS1_14partition_implILS5_8ELb0ES3_jN6thrust23THRUST_200600_302600_NS6detail15normal_iteratorINSA_10device_ptrIfEEEEPS6_PKS6_NS0_5tupleIJSF_S6_EEENSJ_IJSG_SG_EEENS0_18inequality_wrapperI22is_equal_div_10_uniqueIfEEEPmJS6_EEE10hipError_tPvRmT3_T4_T5_T6_T7_T9_mT8_P12ihipStream_tbDpT10_ENKUlT_T0_E_clISt17integral_constantIbLb0EES19_IbLb1EEEEDaS15_S16_EUlS15_E_NS1_11comp_targetILNS1_3genE8ELNS1_11target_archE1030ELNS1_3gpuE2ELNS1_3repE0EEENS1_30default_config_static_selectorELNS0_4arch9wavefront6targetE1EEEvT1_.has_indirect_call, 0
	.section	.AMDGPU.csdata,"",@progbits
; Kernel info:
; codeLenInByte = 0
; TotalNumSgprs: 4
; NumVgprs: 0
; ScratchSize: 0
; MemoryBound: 0
; FloatMode: 240
; IeeeMode: 1
; LDSByteSize: 0 bytes/workgroup (compile time only)
; SGPRBlocks: 0
; VGPRBlocks: 0
; NumSGPRsForWavesPerEU: 4
; NumVGPRsForWavesPerEU: 1
; Occupancy: 10
; WaveLimiterHint : 0
; COMPUTE_PGM_RSRC2:SCRATCH_EN: 0
; COMPUTE_PGM_RSRC2:USER_SGPR: 6
; COMPUTE_PGM_RSRC2:TRAP_HANDLER: 0
; COMPUTE_PGM_RSRC2:TGID_X_EN: 1
; COMPUTE_PGM_RSRC2:TGID_Y_EN: 0
; COMPUTE_PGM_RSRC2:TGID_Z_EN: 0
; COMPUTE_PGM_RSRC2:TIDIG_COMP_CNT: 0
	.section	.text._ZN6thrust23THRUST_200600_302600_NS11hip_rocprim14__parallel_for6kernelILj256ENS1_20__uninitialized_fill7functorINS0_10device_ptrIyEEyEEmLj1EEEvT0_T1_SA_,"axG",@progbits,_ZN6thrust23THRUST_200600_302600_NS11hip_rocprim14__parallel_for6kernelILj256ENS1_20__uninitialized_fill7functorINS0_10device_ptrIyEEyEEmLj1EEEvT0_T1_SA_,comdat
	.protected	_ZN6thrust23THRUST_200600_302600_NS11hip_rocprim14__parallel_for6kernelILj256ENS1_20__uninitialized_fill7functorINS0_10device_ptrIyEEyEEmLj1EEEvT0_T1_SA_ ; -- Begin function _ZN6thrust23THRUST_200600_302600_NS11hip_rocprim14__parallel_for6kernelILj256ENS1_20__uninitialized_fill7functorINS0_10device_ptrIyEEyEEmLj1EEEvT0_T1_SA_
	.globl	_ZN6thrust23THRUST_200600_302600_NS11hip_rocprim14__parallel_for6kernelILj256ENS1_20__uninitialized_fill7functorINS0_10device_ptrIyEEyEEmLj1EEEvT0_T1_SA_
	.p2align	8
	.type	_ZN6thrust23THRUST_200600_302600_NS11hip_rocprim14__parallel_for6kernelILj256ENS1_20__uninitialized_fill7functorINS0_10device_ptrIyEEyEEmLj1EEEvT0_T1_SA_,@function
_ZN6thrust23THRUST_200600_302600_NS11hip_rocprim14__parallel_for6kernelILj256ENS1_20__uninitialized_fill7functorINS0_10device_ptrIyEEyEEmLj1EEEvT0_T1_SA_: ; @_ZN6thrust23THRUST_200600_302600_NS11hip_rocprim14__parallel_for6kernelILj256ENS1_20__uninitialized_fill7functorINS0_10device_ptrIyEEyEEmLj1EEEvT0_T1_SA_
; %bb.0:
	s_load_dwordx8 s[8:15], s[4:5], 0x0
	s_lshl_b32 s0, s6, 8
	v_mov_b32_e32 v1, 0xff
	v_mov_b32_e32 v2, 0
	s_mov_b64 s[4:5], -1
	s_waitcnt lgkmcnt(0)
	s_add_u32 s0, s14, s0
	s_addc_u32 s1, s15, 0
	s_sub_u32 s2, s12, s0
	s_subb_u32 s3, s13, s1
	v_cmp_gt_u64_e32 vcc, s[2:3], v[1:2]
	s_cbranch_vccz .LBB144_3
; %bb.1:
	s_andn2_b64 vcc, exec, s[4:5]
	s_cbranch_vccz .LBB144_6
.LBB144_2:
	s_endpgm
.LBB144_3:
	v_cmp_gt_u32_e32 vcc, s2, v0
	s_and_saveexec_b64 s[2:3], vcc
	s_cbranch_execz .LBB144_5
; %bb.4:
	s_lshl_b64 s[4:5], s[0:1], 3
	s_add_u32 s4, s8, s4
	s_addc_u32 s5, s9, s5
	v_lshlrev_b32_e32 v1, 3, v0
	v_mov_b32_e32 v2, s5
	v_add_co_u32_e32 v1, vcc, s4, v1
	v_mov_b32_e32 v3, s10
	v_addc_co_u32_e32 v2, vcc, 0, v2, vcc
	v_mov_b32_e32 v4, s11
	flat_store_dwordx2 v[1:2], v[3:4]
.LBB144_5:
	s_or_b64 exec, exec, s[2:3]
	s_cbranch_execnz .LBB144_2
.LBB144_6:
	s_lshl_b64 s[0:1], s[0:1], 3
	s_add_u32 s0, s8, s0
	s_addc_u32 s1, s9, s1
	v_lshlrev_b32_e32 v0, 3, v0
	v_mov_b32_e32 v1, s1
	v_add_co_u32_e32 v0, vcc, s0, v0
	v_mov_b32_e32 v2, s10
	v_addc_co_u32_e32 v1, vcc, 0, v1, vcc
	v_mov_b32_e32 v3, s11
	flat_store_dwordx2 v[0:1], v[2:3]
	s_endpgm
	.section	.rodata,"a",@progbits
	.p2align	6, 0x0
	.amdhsa_kernel _ZN6thrust23THRUST_200600_302600_NS11hip_rocprim14__parallel_for6kernelILj256ENS1_20__uninitialized_fill7functorINS0_10device_ptrIyEEyEEmLj1EEEvT0_T1_SA_
		.amdhsa_group_segment_fixed_size 0
		.amdhsa_private_segment_fixed_size 0
		.amdhsa_kernarg_size 32
		.amdhsa_user_sgpr_count 6
		.amdhsa_user_sgpr_private_segment_buffer 1
		.amdhsa_user_sgpr_dispatch_ptr 0
		.amdhsa_user_sgpr_queue_ptr 0
		.amdhsa_user_sgpr_kernarg_segment_ptr 1
		.amdhsa_user_sgpr_dispatch_id 0
		.amdhsa_user_sgpr_flat_scratch_init 0
		.amdhsa_user_sgpr_private_segment_size 0
		.amdhsa_uses_dynamic_stack 0
		.amdhsa_system_sgpr_private_segment_wavefront_offset 0
		.amdhsa_system_sgpr_workgroup_id_x 1
		.amdhsa_system_sgpr_workgroup_id_y 0
		.amdhsa_system_sgpr_workgroup_id_z 0
		.amdhsa_system_sgpr_workgroup_info 0
		.amdhsa_system_vgpr_workitem_id 0
		.amdhsa_next_free_vgpr 5
		.amdhsa_next_free_sgpr 16
		.amdhsa_reserve_vcc 1
		.amdhsa_reserve_flat_scratch 0
		.amdhsa_float_round_mode_32 0
		.amdhsa_float_round_mode_16_64 0
		.amdhsa_float_denorm_mode_32 3
		.amdhsa_float_denorm_mode_16_64 3
		.amdhsa_dx10_clamp 1
		.amdhsa_ieee_mode 1
		.amdhsa_fp16_overflow 0
		.amdhsa_exception_fp_ieee_invalid_op 0
		.amdhsa_exception_fp_denorm_src 0
		.amdhsa_exception_fp_ieee_div_zero 0
		.amdhsa_exception_fp_ieee_overflow 0
		.amdhsa_exception_fp_ieee_underflow 0
		.amdhsa_exception_fp_ieee_inexact 0
		.amdhsa_exception_int_div_zero 0
	.end_amdhsa_kernel
	.section	.text._ZN6thrust23THRUST_200600_302600_NS11hip_rocprim14__parallel_for6kernelILj256ENS1_20__uninitialized_fill7functorINS0_10device_ptrIyEEyEEmLj1EEEvT0_T1_SA_,"axG",@progbits,_ZN6thrust23THRUST_200600_302600_NS11hip_rocprim14__parallel_for6kernelILj256ENS1_20__uninitialized_fill7functorINS0_10device_ptrIyEEyEEmLj1EEEvT0_T1_SA_,comdat
.Lfunc_end144:
	.size	_ZN6thrust23THRUST_200600_302600_NS11hip_rocprim14__parallel_for6kernelILj256ENS1_20__uninitialized_fill7functorINS0_10device_ptrIyEEyEEmLj1EEEvT0_T1_SA_, .Lfunc_end144-_ZN6thrust23THRUST_200600_302600_NS11hip_rocprim14__parallel_for6kernelILj256ENS1_20__uninitialized_fill7functorINS0_10device_ptrIyEEyEEmLj1EEEvT0_T1_SA_
                                        ; -- End function
	.set _ZN6thrust23THRUST_200600_302600_NS11hip_rocprim14__parallel_for6kernelILj256ENS1_20__uninitialized_fill7functorINS0_10device_ptrIyEEyEEmLj1EEEvT0_T1_SA_.num_vgpr, 5
	.set _ZN6thrust23THRUST_200600_302600_NS11hip_rocprim14__parallel_for6kernelILj256ENS1_20__uninitialized_fill7functorINS0_10device_ptrIyEEyEEmLj1EEEvT0_T1_SA_.num_agpr, 0
	.set _ZN6thrust23THRUST_200600_302600_NS11hip_rocprim14__parallel_for6kernelILj256ENS1_20__uninitialized_fill7functorINS0_10device_ptrIyEEyEEmLj1EEEvT0_T1_SA_.numbered_sgpr, 16
	.set _ZN6thrust23THRUST_200600_302600_NS11hip_rocprim14__parallel_for6kernelILj256ENS1_20__uninitialized_fill7functorINS0_10device_ptrIyEEyEEmLj1EEEvT0_T1_SA_.num_named_barrier, 0
	.set _ZN6thrust23THRUST_200600_302600_NS11hip_rocprim14__parallel_for6kernelILj256ENS1_20__uninitialized_fill7functorINS0_10device_ptrIyEEyEEmLj1EEEvT0_T1_SA_.private_seg_size, 0
	.set _ZN6thrust23THRUST_200600_302600_NS11hip_rocprim14__parallel_for6kernelILj256ENS1_20__uninitialized_fill7functorINS0_10device_ptrIyEEyEEmLj1EEEvT0_T1_SA_.uses_vcc, 1
	.set _ZN6thrust23THRUST_200600_302600_NS11hip_rocprim14__parallel_for6kernelILj256ENS1_20__uninitialized_fill7functorINS0_10device_ptrIyEEyEEmLj1EEEvT0_T1_SA_.uses_flat_scratch, 0
	.set _ZN6thrust23THRUST_200600_302600_NS11hip_rocprim14__parallel_for6kernelILj256ENS1_20__uninitialized_fill7functorINS0_10device_ptrIyEEyEEmLj1EEEvT0_T1_SA_.has_dyn_sized_stack, 0
	.set _ZN6thrust23THRUST_200600_302600_NS11hip_rocprim14__parallel_for6kernelILj256ENS1_20__uninitialized_fill7functorINS0_10device_ptrIyEEyEEmLj1EEEvT0_T1_SA_.has_recursion, 0
	.set _ZN6thrust23THRUST_200600_302600_NS11hip_rocprim14__parallel_for6kernelILj256ENS1_20__uninitialized_fill7functorINS0_10device_ptrIyEEyEEmLj1EEEvT0_T1_SA_.has_indirect_call, 0
	.section	.AMDGPU.csdata,"",@progbits
; Kernel info:
; codeLenInByte = 180
; TotalNumSgprs: 20
; NumVgprs: 5
; ScratchSize: 0
; MemoryBound: 0
; FloatMode: 240
; IeeeMode: 1
; LDSByteSize: 0 bytes/workgroup (compile time only)
; SGPRBlocks: 2
; VGPRBlocks: 1
; NumSGPRsForWavesPerEU: 20
; NumVGPRsForWavesPerEU: 5
; Occupancy: 10
; WaveLimiterHint : 0
; COMPUTE_PGM_RSRC2:SCRATCH_EN: 0
; COMPUTE_PGM_RSRC2:USER_SGPR: 6
; COMPUTE_PGM_RSRC2:TRAP_HANDLER: 0
; COMPUTE_PGM_RSRC2:TGID_X_EN: 1
; COMPUTE_PGM_RSRC2:TGID_Y_EN: 0
; COMPUTE_PGM_RSRC2:TGID_Z_EN: 0
; COMPUTE_PGM_RSRC2:TIDIG_COMP_CNT: 0
	.section	.text._ZN7rocprim17ROCPRIM_400000_NS6detail17trampoline_kernelINS0_14default_configENS1_25partition_config_selectorILNS1_17partition_subalgoE8EyNS0_10empty_typeEbEEZZNS1_14partition_implILS5_8ELb0ES3_jN6thrust23THRUST_200600_302600_NS6detail15normal_iteratorINSA_10device_ptrIyEEEEPS6_PKS6_NS0_5tupleIJSF_S6_EEENSJ_IJSG_SG_EEENS0_18inequality_wrapperINSA_8equal_toIyEEEEPmJS6_EEE10hipError_tPvRmT3_T4_T5_T6_T7_T9_mT8_P12ihipStream_tbDpT10_ENKUlT_T0_E_clISt17integral_constantIbLb0EES1A_EEDaS15_S16_EUlS15_E_NS1_11comp_targetILNS1_3genE0ELNS1_11target_archE4294967295ELNS1_3gpuE0ELNS1_3repE0EEENS1_30default_config_static_selectorELNS0_4arch9wavefront6targetE1EEEvT1_,"axG",@progbits,_ZN7rocprim17ROCPRIM_400000_NS6detail17trampoline_kernelINS0_14default_configENS1_25partition_config_selectorILNS1_17partition_subalgoE8EyNS0_10empty_typeEbEEZZNS1_14partition_implILS5_8ELb0ES3_jN6thrust23THRUST_200600_302600_NS6detail15normal_iteratorINSA_10device_ptrIyEEEEPS6_PKS6_NS0_5tupleIJSF_S6_EEENSJ_IJSG_SG_EEENS0_18inequality_wrapperINSA_8equal_toIyEEEEPmJS6_EEE10hipError_tPvRmT3_T4_T5_T6_T7_T9_mT8_P12ihipStream_tbDpT10_ENKUlT_T0_E_clISt17integral_constantIbLb0EES1A_EEDaS15_S16_EUlS15_E_NS1_11comp_targetILNS1_3genE0ELNS1_11target_archE4294967295ELNS1_3gpuE0ELNS1_3repE0EEENS1_30default_config_static_selectorELNS0_4arch9wavefront6targetE1EEEvT1_,comdat
	.protected	_ZN7rocprim17ROCPRIM_400000_NS6detail17trampoline_kernelINS0_14default_configENS1_25partition_config_selectorILNS1_17partition_subalgoE8EyNS0_10empty_typeEbEEZZNS1_14partition_implILS5_8ELb0ES3_jN6thrust23THRUST_200600_302600_NS6detail15normal_iteratorINSA_10device_ptrIyEEEEPS6_PKS6_NS0_5tupleIJSF_S6_EEENSJ_IJSG_SG_EEENS0_18inequality_wrapperINSA_8equal_toIyEEEEPmJS6_EEE10hipError_tPvRmT3_T4_T5_T6_T7_T9_mT8_P12ihipStream_tbDpT10_ENKUlT_T0_E_clISt17integral_constantIbLb0EES1A_EEDaS15_S16_EUlS15_E_NS1_11comp_targetILNS1_3genE0ELNS1_11target_archE4294967295ELNS1_3gpuE0ELNS1_3repE0EEENS1_30default_config_static_selectorELNS0_4arch9wavefront6targetE1EEEvT1_ ; -- Begin function _ZN7rocprim17ROCPRIM_400000_NS6detail17trampoline_kernelINS0_14default_configENS1_25partition_config_selectorILNS1_17partition_subalgoE8EyNS0_10empty_typeEbEEZZNS1_14partition_implILS5_8ELb0ES3_jN6thrust23THRUST_200600_302600_NS6detail15normal_iteratorINSA_10device_ptrIyEEEEPS6_PKS6_NS0_5tupleIJSF_S6_EEENSJ_IJSG_SG_EEENS0_18inequality_wrapperINSA_8equal_toIyEEEEPmJS6_EEE10hipError_tPvRmT3_T4_T5_T6_T7_T9_mT8_P12ihipStream_tbDpT10_ENKUlT_T0_E_clISt17integral_constantIbLb0EES1A_EEDaS15_S16_EUlS15_E_NS1_11comp_targetILNS1_3genE0ELNS1_11target_archE4294967295ELNS1_3gpuE0ELNS1_3repE0EEENS1_30default_config_static_selectorELNS0_4arch9wavefront6targetE1EEEvT1_
	.globl	_ZN7rocprim17ROCPRIM_400000_NS6detail17trampoline_kernelINS0_14default_configENS1_25partition_config_selectorILNS1_17partition_subalgoE8EyNS0_10empty_typeEbEEZZNS1_14partition_implILS5_8ELb0ES3_jN6thrust23THRUST_200600_302600_NS6detail15normal_iteratorINSA_10device_ptrIyEEEEPS6_PKS6_NS0_5tupleIJSF_S6_EEENSJ_IJSG_SG_EEENS0_18inequality_wrapperINSA_8equal_toIyEEEEPmJS6_EEE10hipError_tPvRmT3_T4_T5_T6_T7_T9_mT8_P12ihipStream_tbDpT10_ENKUlT_T0_E_clISt17integral_constantIbLb0EES1A_EEDaS15_S16_EUlS15_E_NS1_11comp_targetILNS1_3genE0ELNS1_11target_archE4294967295ELNS1_3gpuE0ELNS1_3repE0EEENS1_30default_config_static_selectorELNS0_4arch9wavefront6targetE1EEEvT1_
	.p2align	8
	.type	_ZN7rocprim17ROCPRIM_400000_NS6detail17trampoline_kernelINS0_14default_configENS1_25partition_config_selectorILNS1_17partition_subalgoE8EyNS0_10empty_typeEbEEZZNS1_14partition_implILS5_8ELb0ES3_jN6thrust23THRUST_200600_302600_NS6detail15normal_iteratorINSA_10device_ptrIyEEEEPS6_PKS6_NS0_5tupleIJSF_S6_EEENSJ_IJSG_SG_EEENS0_18inequality_wrapperINSA_8equal_toIyEEEEPmJS6_EEE10hipError_tPvRmT3_T4_T5_T6_T7_T9_mT8_P12ihipStream_tbDpT10_ENKUlT_T0_E_clISt17integral_constantIbLb0EES1A_EEDaS15_S16_EUlS15_E_NS1_11comp_targetILNS1_3genE0ELNS1_11target_archE4294967295ELNS1_3gpuE0ELNS1_3repE0EEENS1_30default_config_static_selectorELNS0_4arch9wavefront6targetE1EEEvT1_,@function
_ZN7rocprim17ROCPRIM_400000_NS6detail17trampoline_kernelINS0_14default_configENS1_25partition_config_selectorILNS1_17partition_subalgoE8EyNS0_10empty_typeEbEEZZNS1_14partition_implILS5_8ELb0ES3_jN6thrust23THRUST_200600_302600_NS6detail15normal_iteratorINSA_10device_ptrIyEEEEPS6_PKS6_NS0_5tupleIJSF_S6_EEENSJ_IJSG_SG_EEENS0_18inequality_wrapperINSA_8equal_toIyEEEEPmJS6_EEE10hipError_tPvRmT3_T4_T5_T6_T7_T9_mT8_P12ihipStream_tbDpT10_ENKUlT_T0_E_clISt17integral_constantIbLb0EES1A_EEDaS15_S16_EUlS15_E_NS1_11comp_targetILNS1_3genE0ELNS1_11target_archE4294967295ELNS1_3gpuE0ELNS1_3repE0EEENS1_30default_config_static_selectorELNS0_4arch9wavefront6targetE1EEEvT1_: ; @_ZN7rocprim17ROCPRIM_400000_NS6detail17trampoline_kernelINS0_14default_configENS1_25partition_config_selectorILNS1_17partition_subalgoE8EyNS0_10empty_typeEbEEZZNS1_14partition_implILS5_8ELb0ES3_jN6thrust23THRUST_200600_302600_NS6detail15normal_iteratorINSA_10device_ptrIyEEEEPS6_PKS6_NS0_5tupleIJSF_S6_EEENSJ_IJSG_SG_EEENS0_18inequality_wrapperINSA_8equal_toIyEEEEPmJS6_EEE10hipError_tPvRmT3_T4_T5_T6_T7_T9_mT8_P12ihipStream_tbDpT10_ENKUlT_T0_E_clISt17integral_constantIbLb0EES1A_EEDaS15_S16_EUlS15_E_NS1_11comp_targetILNS1_3genE0ELNS1_11target_archE4294967295ELNS1_3gpuE0ELNS1_3repE0EEENS1_30default_config_static_selectorELNS0_4arch9wavefront6targetE1EEEvT1_
; %bb.0:
	.section	.rodata,"a",@progbits
	.p2align	6, 0x0
	.amdhsa_kernel _ZN7rocprim17ROCPRIM_400000_NS6detail17trampoline_kernelINS0_14default_configENS1_25partition_config_selectorILNS1_17partition_subalgoE8EyNS0_10empty_typeEbEEZZNS1_14partition_implILS5_8ELb0ES3_jN6thrust23THRUST_200600_302600_NS6detail15normal_iteratorINSA_10device_ptrIyEEEEPS6_PKS6_NS0_5tupleIJSF_S6_EEENSJ_IJSG_SG_EEENS0_18inequality_wrapperINSA_8equal_toIyEEEEPmJS6_EEE10hipError_tPvRmT3_T4_T5_T6_T7_T9_mT8_P12ihipStream_tbDpT10_ENKUlT_T0_E_clISt17integral_constantIbLb0EES1A_EEDaS15_S16_EUlS15_E_NS1_11comp_targetILNS1_3genE0ELNS1_11target_archE4294967295ELNS1_3gpuE0ELNS1_3repE0EEENS1_30default_config_static_selectorELNS0_4arch9wavefront6targetE1EEEvT1_
		.amdhsa_group_segment_fixed_size 0
		.amdhsa_private_segment_fixed_size 0
		.amdhsa_kernarg_size 112
		.amdhsa_user_sgpr_count 6
		.amdhsa_user_sgpr_private_segment_buffer 1
		.amdhsa_user_sgpr_dispatch_ptr 0
		.amdhsa_user_sgpr_queue_ptr 0
		.amdhsa_user_sgpr_kernarg_segment_ptr 1
		.amdhsa_user_sgpr_dispatch_id 0
		.amdhsa_user_sgpr_flat_scratch_init 0
		.amdhsa_user_sgpr_private_segment_size 0
		.amdhsa_uses_dynamic_stack 0
		.amdhsa_system_sgpr_private_segment_wavefront_offset 0
		.amdhsa_system_sgpr_workgroup_id_x 1
		.amdhsa_system_sgpr_workgroup_id_y 0
		.amdhsa_system_sgpr_workgroup_id_z 0
		.amdhsa_system_sgpr_workgroup_info 0
		.amdhsa_system_vgpr_workitem_id 0
		.amdhsa_next_free_vgpr 1
		.amdhsa_next_free_sgpr 0
		.amdhsa_reserve_vcc 0
		.amdhsa_reserve_flat_scratch 0
		.amdhsa_float_round_mode_32 0
		.amdhsa_float_round_mode_16_64 0
		.amdhsa_float_denorm_mode_32 3
		.amdhsa_float_denorm_mode_16_64 3
		.amdhsa_dx10_clamp 1
		.amdhsa_ieee_mode 1
		.amdhsa_fp16_overflow 0
		.amdhsa_exception_fp_ieee_invalid_op 0
		.amdhsa_exception_fp_denorm_src 0
		.amdhsa_exception_fp_ieee_div_zero 0
		.amdhsa_exception_fp_ieee_overflow 0
		.amdhsa_exception_fp_ieee_underflow 0
		.amdhsa_exception_fp_ieee_inexact 0
		.amdhsa_exception_int_div_zero 0
	.end_amdhsa_kernel
	.section	.text._ZN7rocprim17ROCPRIM_400000_NS6detail17trampoline_kernelINS0_14default_configENS1_25partition_config_selectorILNS1_17partition_subalgoE8EyNS0_10empty_typeEbEEZZNS1_14partition_implILS5_8ELb0ES3_jN6thrust23THRUST_200600_302600_NS6detail15normal_iteratorINSA_10device_ptrIyEEEEPS6_PKS6_NS0_5tupleIJSF_S6_EEENSJ_IJSG_SG_EEENS0_18inequality_wrapperINSA_8equal_toIyEEEEPmJS6_EEE10hipError_tPvRmT3_T4_T5_T6_T7_T9_mT8_P12ihipStream_tbDpT10_ENKUlT_T0_E_clISt17integral_constantIbLb0EES1A_EEDaS15_S16_EUlS15_E_NS1_11comp_targetILNS1_3genE0ELNS1_11target_archE4294967295ELNS1_3gpuE0ELNS1_3repE0EEENS1_30default_config_static_selectorELNS0_4arch9wavefront6targetE1EEEvT1_,"axG",@progbits,_ZN7rocprim17ROCPRIM_400000_NS6detail17trampoline_kernelINS0_14default_configENS1_25partition_config_selectorILNS1_17partition_subalgoE8EyNS0_10empty_typeEbEEZZNS1_14partition_implILS5_8ELb0ES3_jN6thrust23THRUST_200600_302600_NS6detail15normal_iteratorINSA_10device_ptrIyEEEEPS6_PKS6_NS0_5tupleIJSF_S6_EEENSJ_IJSG_SG_EEENS0_18inequality_wrapperINSA_8equal_toIyEEEEPmJS6_EEE10hipError_tPvRmT3_T4_T5_T6_T7_T9_mT8_P12ihipStream_tbDpT10_ENKUlT_T0_E_clISt17integral_constantIbLb0EES1A_EEDaS15_S16_EUlS15_E_NS1_11comp_targetILNS1_3genE0ELNS1_11target_archE4294967295ELNS1_3gpuE0ELNS1_3repE0EEENS1_30default_config_static_selectorELNS0_4arch9wavefront6targetE1EEEvT1_,comdat
.Lfunc_end145:
	.size	_ZN7rocprim17ROCPRIM_400000_NS6detail17trampoline_kernelINS0_14default_configENS1_25partition_config_selectorILNS1_17partition_subalgoE8EyNS0_10empty_typeEbEEZZNS1_14partition_implILS5_8ELb0ES3_jN6thrust23THRUST_200600_302600_NS6detail15normal_iteratorINSA_10device_ptrIyEEEEPS6_PKS6_NS0_5tupleIJSF_S6_EEENSJ_IJSG_SG_EEENS0_18inequality_wrapperINSA_8equal_toIyEEEEPmJS6_EEE10hipError_tPvRmT3_T4_T5_T6_T7_T9_mT8_P12ihipStream_tbDpT10_ENKUlT_T0_E_clISt17integral_constantIbLb0EES1A_EEDaS15_S16_EUlS15_E_NS1_11comp_targetILNS1_3genE0ELNS1_11target_archE4294967295ELNS1_3gpuE0ELNS1_3repE0EEENS1_30default_config_static_selectorELNS0_4arch9wavefront6targetE1EEEvT1_, .Lfunc_end145-_ZN7rocprim17ROCPRIM_400000_NS6detail17trampoline_kernelINS0_14default_configENS1_25partition_config_selectorILNS1_17partition_subalgoE8EyNS0_10empty_typeEbEEZZNS1_14partition_implILS5_8ELb0ES3_jN6thrust23THRUST_200600_302600_NS6detail15normal_iteratorINSA_10device_ptrIyEEEEPS6_PKS6_NS0_5tupleIJSF_S6_EEENSJ_IJSG_SG_EEENS0_18inequality_wrapperINSA_8equal_toIyEEEEPmJS6_EEE10hipError_tPvRmT3_T4_T5_T6_T7_T9_mT8_P12ihipStream_tbDpT10_ENKUlT_T0_E_clISt17integral_constantIbLb0EES1A_EEDaS15_S16_EUlS15_E_NS1_11comp_targetILNS1_3genE0ELNS1_11target_archE4294967295ELNS1_3gpuE0ELNS1_3repE0EEENS1_30default_config_static_selectorELNS0_4arch9wavefront6targetE1EEEvT1_
                                        ; -- End function
	.set _ZN7rocprim17ROCPRIM_400000_NS6detail17trampoline_kernelINS0_14default_configENS1_25partition_config_selectorILNS1_17partition_subalgoE8EyNS0_10empty_typeEbEEZZNS1_14partition_implILS5_8ELb0ES3_jN6thrust23THRUST_200600_302600_NS6detail15normal_iteratorINSA_10device_ptrIyEEEEPS6_PKS6_NS0_5tupleIJSF_S6_EEENSJ_IJSG_SG_EEENS0_18inequality_wrapperINSA_8equal_toIyEEEEPmJS6_EEE10hipError_tPvRmT3_T4_T5_T6_T7_T9_mT8_P12ihipStream_tbDpT10_ENKUlT_T0_E_clISt17integral_constantIbLb0EES1A_EEDaS15_S16_EUlS15_E_NS1_11comp_targetILNS1_3genE0ELNS1_11target_archE4294967295ELNS1_3gpuE0ELNS1_3repE0EEENS1_30default_config_static_selectorELNS0_4arch9wavefront6targetE1EEEvT1_.num_vgpr, 0
	.set _ZN7rocprim17ROCPRIM_400000_NS6detail17trampoline_kernelINS0_14default_configENS1_25partition_config_selectorILNS1_17partition_subalgoE8EyNS0_10empty_typeEbEEZZNS1_14partition_implILS5_8ELb0ES3_jN6thrust23THRUST_200600_302600_NS6detail15normal_iteratorINSA_10device_ptrIyEEEEPS6_PKS6_NS0_5tupleIJSF_S6_EEENSJ_IJSG_SG_EEENS0_18inequality_wrapperINSA_8equal_toIyEEEEPmJS6_EEE10hipError_tPvRmT3_T4_T5_T6_T7_T9_mT8_P12ihipStream_tbDpT10_ENKUlT_T0_E_clISt17integral_constantIbLb0EES1A_EEDaS15_S16_EUlS15_E_NS1_11comp_targetILNS1_3genE0ELNS1_11target_archE4294967295ELNS1_3gpuE0ELNS1_3repE0EEENS1_30default_config_static_selectorELNS0_4arch9wavefront6targetE1EEEvT1_.num_agpr, 0
	.set _ZN7rocprim17ROCPRIM_400000_NS6detail17trampoline_kernelINS0_14default_configENS1_25partition_config_selectorILNS1_17partition_subalgoE8EyNS0_10empty_typeEbEEZZNS1_14partition_implILS5_8ELb0ES3_jN6thrust23THRUST_200600_302600_NS6detail15normal_iteratorINSA_10device_ptrIyEEEEPS6_PKS6_NS0_5tupleIJSF_S6_EEENSJ_IJSG_SG_EEENS0_18inequality_wrapperINSA_8equal_toIyEEEEPmJS6_EEE10hipError_tPvRmT3_T4_T5_T6_T7_T9_mT8_P12ihipStream_tbDpT10_ENKUlT_T0_E_clISt17integral_constantIbLb0EES1A_EEDaS15_S16_EUlS15_E_NS1_11comp_targetILNS1_3genE0ELNS1_11target_archE4294967295ELNS1_3gpuE0ELNS1_3repE0EEENS1_30default_config_static_selectorELNS0_4arch9wavefront6targetE1EEEvT1_.numbered_sgpr, 0
	.set _ZN7rocprim17ROCPRIM_400000_NS6detail17trampoline_kernelINS0_14default_configENS1_25partition_config_selectorILNS1_17partition_subalgoE8EyNS0_10empty_typeEbEEZZNS1_14partition_implILS5_8ELb0ES3_jN6thrust23THRUST_200600_302600_NS6detail15normal_iteratorINSA_10device_ptrIyEEEEPS6_PKS6_NS0_5tupleIJSF_S6_EEENSJ_IJSG_SG_EEENS0_18inequality_wrapperINSA_8equal_toIyEEEEPmJS6_EEE10hipError_tPvRmT3_T4_T5_T6_T7_T9_mT8_P12ihipStream_tbDpT10_ENKUlT_T0_E_clISt17integral_constantIbLb0EES1A_EEDaS15_S16_EUlS15_E_NS1_11comp_targetILNS1_3genE0ELNS1_11target_archE4294967295ELNS1_3gpuE0ELNS1_3repE0EEENS1_30default_config_static_selectorELNS0_4arch9wavefront6targetE1EEEvT1_.num_named_barrier, 0
	.set _ZN7rocprim17ROCPRIM_400000_NS6detail17trampoline_kernelINS0_14default_configENS1_25partition_config_selectorILNS1_17partition_subalgoE8EyNS0_10empty_typeEbEEZZNS1_14partition_implILS5_8ELb0ES3_jN6thrust23THRUST_200600_302600_NS6detail15normal_iteratorINSA_10device_ptrIyEEEEPS6_PKS6_NS0_5tupleIJSF_S6_EEENSJ_IJSG_SG_EEENS0_18inequality_wrapperINSA_8equal_toIyEEEEPmJS6_EEE10hipError_tPvRmT3_T4_T5_T6_T7_T9_mT8_P12ihipStream_tbDpT10_ENKUlT_T0_E_clISt17integral_constantIbLb0EES1A_EEDaS15_S16_EUlS15_E_NS1_11comp_targetILNS1_3genE0ELNS1_11target_archE4294967295ELNS1_3gpuE0ELNS1_3repE0EEENS1_30default_config_static_selectorELNS0_4arch9wavefront6targetE1EEEvT1_.private_seg_size, 0
	.set _ZN7rocprim17ROCPRIM_400000_NS6detail17trampoline_kernelINS0_14default_configENS1_25partition_config_selectorILNS1_17partition_subalgoE8EyNS0_10empty_typeEbEEZZNS1_14partition_implILS5_8ELb0ES3_jN6thrust23THRUST_200600_302600_NS6detail15normal_iteratorINSA_10device_ptrIyEEEEPS6_PKS6_NS0_5tupleIJSF_S6_EEENSJ_IJSG_SG_EEENS0_18inequality_wrapperINSA_8equal_toIyEEEEPmJS6_EEE10hipError_tPvRmT3_T4_T5_T6_T7_T9_mT8_P12ihipStream_tbDpT10_ENKUlT_T0_E_clISt17integral_constantIbLb0EES1A_EEDaS15_S16_EUlS15_E_NS1_11comp_targetILNS1_3genE0ELNS1_11target_archE4294967295ELNS1_3gpuE0ELNS1_3repE0EEENS1_30default_config_static_selectorELNS0_4arch9wavefront6targetE1EEEvT1_.uses_vcc, 0
	.set _ZN7rocprim17ROCPRIM_400000_NS6detail17trampoline_kernelINS0_14default_configENS1_25partition_config_selectorILNS1_17partition_subalgoE8EyNS0_10empty_typeEbEEZZNS1_14partition_implILS5_8ELb0ES3_jN6thrust23THRUST_200600_302600_NS6detail15normal_iteratorINSA_10device_ptrIyEEEEPS6_PKS6_NS0_5tupleIJSF_S6_EEENSJ_IJSG_SG_EEENS0_18inequality_wrapperINSA_8equal_toIyEEEEPmJS6_EEE10hipError_tPvRmT3_T4_T5_T6_T7_T9_mT8_P12ihipStream_tbDpT10_ENKUlT_T0_E_clISt17integral_constantIbLb0EES1A_EEDaS15_S16_EUlS15_E_NS1_11comp_targetILNS1_3genE0ELNS1_11target_archE4294967295ELNS1_3gpuE0ELNS1_3repE0EEENS1_30default_config_static_selectorELNS0_4arch9wavefront6targetE1EEEvT1_.uses_flat_scratch, 0
	.set _ZN7rocprim17ROCPRIM_400000_NS6detail17trampoline_kernelINS0_14default_configENS1_25partition_config_selectorILNS1_17partition_subalgoE8EyNS0_10empty_typeEbEEZZNS1_14partition_implILS5_8ELb0ES3_jN6thrust23THRUST_200600_302600_NS6detail15normal_iteratorINSA_10device_ptrIyEEEEPS6_PKS6_NS0_5tupleIJSF_S6_EEENSJ_IJSG_SG_EEENS0_18inequality_wrapperINSA_8equal_toIyEEEEPmJS6_EEE10hipError_tPvRmT3_T4_T5_T6_T7_T9_mT8_P12ihipStream_tbDpT10_ENKUlT_T0_E_clISt17integral_constantIbLb0EES1A_EEDaS15_S16_EUlS15_E_NS1_11comp_targetILNS1_3genE0ELNS1_11target_archE4294967295ELNS1_3gpuE0ELNS1_3repE0EEENS1_30default_config_static_selectorELNS0_4arch9wavefront6targetE1EEEvT1_.has_dyn_sized_stack, 0
	.set _ZN7rocprim17ROCPRIM_400000_NS6detail17trampoline_kernelINS0_14default_configENS1_25partition_config_selectorILNS1_17partition_subalgoE8EyNS0_10empty_typeEbEEZZNS1_14partition_implILS5_8ELb0ES3_jN6thrust23THRUST_200600_302600_NS6detail15normal_iteratorINSA_10device_ptrIyEEEEPS6_PKS6_NS0_5tupleIJSF_S6_EEENSJ_IJSG_SG_EEENS0_18inequality_wrapperINSA_8equal_toIyEEEEPmJS6_EEE10hipError_tPvRmT3_T4_T5_T6_T7_T9_mT8_P12ihipStream_tbDpT10_ENKUlT_T0_E_clISt17integral_constantIbLb0EES1A_EEDaS15_S16_EUlS15_E_NS1_11comp_targetILNS1_3genE0ELNS1_11target_archE4294967295ELNS1_3gpuE0ELNS1_3repE0EEENS1_30default_config_static_selectorELNS0_4arch9wavefront6targetE1EEEvT1_.has_recursion, 0
	.set _ZN7rocprim17ROCPRIM_400000_NS6detail17trampoline_kernelINS0_14default_configENS1_25partition_config_selectorILNS1_17partition_subalgoE8EyNS0_10empty_typeEbEEZZNS1_14partition_implILS5_8ELb0ES3_jN6thrust23THRUST_200600_302600_NS6detail15normal_iteratorINSA_10device_ptrIyEEEEPS6_PKS6_NS0_5tupleIJSF_S6_EEENSJ_IJSG_SG_EEENS0_18inequality_wrapperINSA_8equal_toIyEEEEPmJS6_EEE10hipError_tPvRmT3_T4_T5_T6_T7_T9_mT8_P12ihipStream_tbDpT10_ENKUlT_T0_E_clISt17integral_constantIbLb0EES1A_EEDaS15_S16_EUlS15_E_NS1_11comp_targetILNS1_3genE0ELNS1_11target_archE4294967295ELNS1_3gpuE0ELNS1_3repE0EEENS1_30default_config_static_selectorELNS0_4arch9wavefront6targetE1EEEvT1_.has_indirect_call, 0
	.section	.AMDGPU.csdata,"",@progbits
; Kernel info:
; codeLenInByte = 0
; TotalNumSgprs: 4
; NumVgprs: 0
; ScratchSize: 0
; MemoryBound: 0
; FloatMode: 240
; IeeeMode: 1
; LDSByteSize: 0 bytes/workgroup (compile time only)
; SGPRBlocks: 0
; VGPRBlocks: 0
; NumSGPRsForWavesPerEU: 4
; NumVGPRsForWavesPerEU: 1
; Occupancy: 10
; WaveLimiterHint : 0
; COMPUTE_PGM_RSRC2:SCRATCH_EN: 0
; COMPUTE_PGM_RSRC2:USER_SGPR: 6
; COMPUTE_PGM_RSRC2:TRAP_HANDLER: 0
; COMPUTE_PGM_RSRC2:TGID_X_EN: 1
; COMPUTE_PGM_RSRC2:TGID_Y_EN: 0
; COMPUTE_PGM_RSRC2:TGID_Z_EN: 0
; COMPUTE_PGM_RSRC2:TIDIG_COMP_CNT: 0
	.section	.text._ZN7rocprim17ROCPRIM_400000_NS6detail17trampoline_kernelINS0_14default_configENS1_25partition_config_selectorILNS1_17partition_subalgoE8EyNS0_10empty_typeEbEEZZNS1_14partition_implILS5_8ELb0ES3_jN6thrust23THRUST_200600_302600_NS6detail15normal_iteratorINSA_10device_ptrIyEEEEPS6_PKS6_NS0_5tupleIJSF_S6_EEENSJ_IJSG_SG_EEENS0_18inequality_wrapperINSA_8equal_toIyEEEEPmJS6_EEE10hipError_tPvRmT3_T4_T5_T6_T7_T9_mT8_P12ihipStream_tbDpT10_ENKUlT_T0_E_clISt17integral_constantIbLb0EES1A_EEDaS15_S16_EUlS15_E_NS1_11comp_targetILNS1_3genE5ELNS1_11target_archE942ELNS1_3gpuE9ELNS1_3repE0EEENS1_30default_config_static_selectorELNS0_4arch9wavefront6targetE1EEEvT1_,"axG",@progbits,_ZN7rocprim17ROCPRIM_400000_NS6detail17trampoline_kernelINS0_14default_configENS1_25partition_config_selectorILNS1_17partition_subalgoE8EyNS0_10empty_typeEbEEZZNS1_14partition_implILS5_8ELb0ES3_jN6thrust23THRUST_200600_302600_NS6detail15normal_iteratorINSA_10device_ptrIyEEEEPS6_PKS6_NS0_5tupleIJSF_S6_EEENSJ_IJSG_SG_EEENS0_18inequality_wrapperINSA_8equal_toIyEEEEPmJS6_EEE10hipError_tPvRmT3_T4_T5_T6_T7_T9_mT8_P12ihipStream_tbDpT10_ENKUlT_T0_E_clISt17integral_constantIbLb0EES1A_EEDaS15_S16_EUlS15_E_NS1_11comp_targetILNS1_3genE5ELNS1_11target_archE942ELNS1_3gpuE9ELNS1_3repE0EEENS1_30default_config_static_selectorELNS0_4arch9wavefront6targetE1EEEvT1_,comdat
	.protected	_ZN7rocprim17ROCPRIM_400000_NS6detail17trampoline_kernelINS0_14default_configENS1_25partition_config_selectorILNS1_17partition_subalgoE8EyNS0_10empty_typeEbEEZZNS1_14partition_implILS5_8ELb0ES3_jN6thrust23THRUST_200600_302600_NS6detail15normal_iteratorINSA_10device_ptrIyEEEEPS6_PKS6_NS0_5tupleIJSF_S6_EEENSJ_IJSG_SG_EEENS0_18inequality_wrapperINSA_8equal_toIyEEEEPmJS6_EEE10hipError_tPvRmT3_T4_T5_T6_T7_T9_mT8_P12ihipStream_tbDpT10_ENKUlT_T0_E_clISt17integral_constantIbLb0EES1A_EEDaS15_S16_EUlS15_E_NS1_11comp_targetILNS1_3genE5ELNS1_11target_archE942ELNS1_3gpuE9ELNS1_3repE0EEENS1_30default_config_static_selectorELNS0_4arch9wavefront6targetE1EEEvT1_ ; -- Begin function _ZN7rocprim17ROCPRIM_400000_NS6detail17trampoline_kernelINS0_14default_configENS1_25partition_config_selectorILNS1_17partition_subalgoE8EyNS0_10empty_typeEbEEZZNS1_14partition_implILS5_8ELb0ES3_jN6thrust23THRUST_200600_302600_NS6detail15normal_iteratorINSA_10device_ptrIyEEEEPS6_PKS6_NS0_5tupleIJSF_S6_EEENSJ_IJSG_SG_EEENS0_18inequality_wrapperINSA_8equal_toIyEEEEPmJS6_EEE10hipError_tPvRmT3_T4_T5_T6_T7_T9_mT8_P12ihipStream_tbDpT10_ENKUlT_T0_E_clISt17integral_constantIbLb0EES1A_EEDaS15_S16_EUlS15_E_NS1_11comp_targetILNS1_3genE5ELNS1_11target_archE942ELNS1_3gpuE9ELNS1_3repE0EEENS1_30default_config_static_selectorELNS0_4arch9wavefront6targetE1EEEvT1_
	.globl	_ZN7rocprim17ROCPRIM_400000_NS6detail17trampoline_kernelINS0_14default_configENS1_25partition_config_selectorILNS1_17partition_subalgoE8EyNS0_10empty_typeEbEEZZNS1_14partition_implILS5_8ELb0ES3_jN6thrust23THRUST_200600_302600_NS6detail15normal_iteratorINSA_10device_ptrIyEEEEPS6_PKS6_NS0_5tupleIJSF_S6_EEENSJ_IJSG_SG_EEENS0_18inequality_wrapperINSA_8equal_toIyEEEEPmJS6_EEE10hipError_tPvRmT3_T4_T5_T6_T7_T9_mT8_P12ihipStream_tbDpT10_ENKUlT_T0_E_clISt17integral_constantIbLb0EES1A_EEDaS15_S16_EUlS15_E_NS1_11comp_targetILNS1_3genE5ELNS1_11target_archE942ELNS1_3gpuE9ELNS1_3repE0EEENS1_30default_config_static_selectorELNS0_4arch9wavefront6targetE1EEEvT1_
	.p2align	8
	.type	_ZN7rocprim17ROCPRIM_400000_NS6detail17trampoline_kernelINS0_14default_configENS1_25partition_config_selectorILNS1_17partition_subalgoE8EyNS0_10empty_typeEbEEZZNS1_14partition_implILS5_8ELb0ES3_jN6thrust23THRUST_200600_302600_NS6detail15normal_iteratorINSA_10device_ptrIyEEEEPS6_PKS6_NS0_5tupleIJSF_S6_EEENSJ_IJSG_SG_EEENS0_18inequality_wrapperINSA_8equal_toIyEEEEPmJS6_EEE10hipError_tPvRmT3_T4_T5_T6_T7_T9_mT8_P12ihipStream_tbDpT10_ENKUlT_T0_E_clISt17integral_constantIbLb0EES1A_EEDaS15_S16_EUlS15_E_NS1_11comp_targetILNS1_3genE5ELNS1_11target_archE942ELNS1_3gpuE9ELNS1_3repE0EEENS1_30default_config_static_selectorELNS0_4arch9wavefront6targetE1EEEvT1_,@function
_ZN7rocprim17ROCPRIM_400000_NS6detail17trampoline_kernelINS0_14default_configENS1_25partition_config_selectorILNS1_17partition_subalgoE8EyNS0_10empty_typeEbEEZZNS1_14partition_implILS5_8ELb0ES3_jN6thrust23THRUST_200600_302600_NS6detail15normal_iteratorINSA_10device_ptrIyEEEEPS6_PKS6_NS0_5tupleIJSF_S6_EEENSJ_IJSG_SG_EEENS0_18inequality_wrapperINSA_8equal_toIyEEEEPmJS6_EEE10hipError_tPvRmT3_T4_T5_T6_T7_T9_mT8_P12ihipStream_tbDpT10_ENKUlT_T0_E_clISt17integral_constantIbLb0EES1A_EEDaS15_S16_EUlS15_E_NS1_11comp_targetILNS1_3genE5ELNS1_11target_archE942ELNS1_3gpuE9ELNS1_3repE0EEENS1_30default_config_static_selectorELNS0_4arch9wavefront6targetE1EEEvT1_: ; @_ZN7rocprim17ROCPRIM_400000_NS6detail17trampoline_kernelINS0_14default_configENS1_25partition_config_selectorILNS1_17partition_subalgoE8EyNS0_10empty_typeEbEEZZNS1_14partition_implILS5_8ELb0ES3_jN6thrust23THRUST_200600_302600_NS6detail15normal_iteratorINSA_10device_ptrIyEEEEPS6_PKS6_NS0_5tupleIJSF_S6_EEENSJ_IJSG_SG_EEENS0_18inequality_wrapperINSA_8equal_toIyEEEEPmJS6_EEE10hipError_tPvRmT3_T4_T5_T6_T7_T9_mT8_P12ihipStream_tbDpT10_ENKUlT_T0_E_clISt17integral_constantIbLb0EES1A_EEDaS15_S16_EUlS15_E_NS1_11comp_targetILNS1_3genE5ELNS1_11target_archE942ELNS1_3gpuE9ELNS1_3repE0EEENS1_30default_config_static_selectorELNS0_4arch9wavefront6targetE1EEEvT1_
; %bb.0:
	.section	.rodata,"a",@progbits
	.p2align	6, 0x0
	.amdhsa_kernel _ZN7rocprim17ROCPRIM_400000_NS6detail17trampoline_kernelINS0_14default_configENS1_25partition_config_selectorILNS1_17partition_subalgoE8EyNS0_10empty_typeEbEEZZNS1_14partition_implILS5_8ELb0ES3_jN6thrust23THRUST_200600_302600_NS6detail15normal_iteratorINSA_10device_ptrIyEEEEPS6_PKS6_NS0_5tupleIJSF_S6_EEENSJ_IJSG_SG_EEENS0_18inequality_wrapperINSA_8equal_toIyEEEEPmJS6_EEE10hipError_tPvRmT3_T4_T5_T6_T7_T9_mT8_P12ihipStream_tbDpT10_ENKUlT_T0_E_clISt17integral_constantIbLb0EES1A_EEDaS15_S16_EUlS15_E_NS1_11comp_targetILNS1_3genE5ELNS1_11target_archE942ELNS1_3gpuE9ELNS1_3repE0EEENS1_30default_config_static_selectorELNS0_4arch9wavefront6targetE1EEEvT1_
		.amdhsa_group_segment_fixed_size 0
		.amdhsa_private_segment_fixed_size 0
		.amdhsa_kernarg_size 112
		.amdhsa_user_sgpr_count 6
		.amdhsa_user_sgpr_private_segment_buffer 1
		.amdhsa_user_sgpr_dispatch_ptr 0
		.amdhsa_user_sgpr_queue_ptr 0
		.amdhsa_user_sgpr_kernarg_segment_ptr 1
		.amdhsa_user_sgpr_dispatch_id 0
		.amdhsa_user_sgpr_flat_scratch_init 0
		.amdhsa_user_sgpr_private_segment_size 0
		.amdhsa_uses_dynamic_stack 0
		.amdhsa_system_sgpr_private_segment_wavefront_offset 0
		.amdhsa_system_sgpr_workgroup_id_x 1
		.amdhsa_system_sgpr_workgroup_id_y 0
		.amdhsa_system_sgpr_workgroup_id_z 0
		.amdhsa_system_sgpr_workgroup_info 0
		.amdhsa_system_vgpr_workitem_id 0
		.amdhsa_next_free_vgpr 1
		.amdhsa_next_free_sgpr 0
		.amdhsa_reserve_vcc 0
		.amdhsa_reserve_flat_scratch 0
		.amdhsa_float_round_mode_32 0
		.amdhsa_float_round_mode_16_64 0
		.amdhsa_float_denorm_mode_32 3
		.amdhsa_float_denorm_mode_16_64 3
		.amdhsa_dx10_clamp 1
		.amdhsa_ieee_mode 1
		.amdhsa_fp16_overflow 0
		.amdhsa_exception_fp_ieee_invalid_op 0
		.amdhsa_exception_fp_denorm_src 0
		.amdhsa_exception_fp_ieee_div_zero 0
		.amdhsa_exception_fp_ieee_overflow 0
		.amdhsa_exception_fp_ieee_underflow 0
		.amdhsa_exception_fp_ieee_inexact 0
		.amdhsa_exception_int_div_zero 0
	.end_amdhsa_kernel
	.section	.text._ZN7rocprim17ROCPRIM_400000_NS6detail17trampoline_kernelINS0_14default_configENS1_25partition_config_selectorILNS1_17partition_subalgoE8EyNS0_10empty_typeEbEEZZNS1_14partition_implILS5_8ELb0ES3_jN6thrust23THRUST_200600_302600_NS6detail15normal_iteratorINSA_10device_ptrIyEEEEPS6_PKS6_NS0_5tupleIJSF_S6_EEENSJ_IJSG_SG_EEENS0_18inequality_wrapperINSA_8equal_toIyEEEEPmJS6_EEE10hipError_tPvRmT3_T4_T5_T6_T7_T9_mT8_P12ihipStream_tbDpT10_ENKUlT_T0_E_clISt17integral_constantIbLb0EES1A_EEDaS15_S16_EUlS15_E_NS1_11comp_targetILNS1_3genE5ELNS1_11target_archE942ELNS1_3gpuE9ELNS1_3repE0EEENS1_30default_config_static_selectorELNS0_4arch9wavefront6targetE1EEEvT1_,"axG",@progbits,_ZN7rocprim17ROCPRIM_400000_NS6detail17trampoline_kernelINS0_14default_configENS1_25partition_config_selectorILNS1_17partition_subalgoE8EyNS0_10empty_typeEbEEZZNS1_14partition_implILS5_8ELb0ES3_jN6thrust23THRUST_200600_302600_NS6detail15normal_iteratorINSA_10device_ptrIyEEEEPS6_PKS6_NS0_5tupleIJSF_S6_EEENSJ_IJSG_SG_EEENS0_18inequality_wrapperINSA_8equal_toIyEEEEPmJS6_EEE10hipError_tPvRmT3_T4_T5_T6_T7_T9_mT8_P12ihipStream_tbDpT10_ENKUlT_T0_E_clISt17integral_constantIbLb0EES1A_EEDaS15_S16_EUlS15_E_NS1_11comp_targetILNS1_3genE5ELNS1_11target_archE942ELNS1_3gpuE9ELNS1_3repE0EEENS1_30default_config_static_selectorELNS0_4arch9wavefront6targetE1EEEvT1_,comdat
.Lfunc_end146:
	.size	_ZN7rocprim17ROCPRIM_400000_NS6detail17trampoline_kernelINS0_14default_configENS1_25partition_config_selectorILNS1_17partition_subalgoE8EyNS0_10empty_typeEbEEZZNS1_14partition_implILS5_8ELb0ES3_jN6thrust23THRUST_200600_302600_NS6detail15normal_iteratorINSA_10device_ptrIyEEEEPS6_PKS6_NS0_5tupleIJSF_S6_EEENSJ_IJSG_SG_EEENS0_18inequality_wrapperINSA_8equal_toIyEEEEPmJS6_EEE10hipError_tPvRmT3_T4_T5_T6_T7_T9_mT8_P12ihipStream_tbDpT10_ENKUlT_T0_E_clISt17integral_constantIbLb0EES1A_EEDaS15_S16_EUlS15_E_NS1_11comp_targetILNS1_3genE5ELNS1_11target_archE942ELNS1_3gpuE9ELNS1_3repE0EEENS1_30default_config_static_selectorELNS0_4arch9wavefront6targetE1EEEvT1_, .Lfunc_end146-_ZN7rocprim17ROCPRIM_400000_NS6detail17trampoline_kernelINS0_14default_configENS1_25partition_config_selectorILNS1_17partition_subalgoE8EyNS0_10empty_typeEbEEZZNS1_14partition_implILS5_8ELb0ES3_jN6thrust23THRUST_200600_302600_NS6detail15normal_iteratorINSA_10device_ptrIyEEEEPS6_PKS6_NS0_5tupleIJSF_S6_EEENSJ_IJSG_SG_EEENS0_18inequality_wrapperINSA_8equal_toIyEEEEPmJS6_EEE10hipError_tPvRmT3_T4_T5_T6_T7_T9_mT8_P12ihipStream_tbDpT10_ENKUlT_T0_E_clISt17integral_constantIbLb0EES1A_EEDaS15_S16_EUlS15_E_NS1_11comp_targetILNS1_3genE5ELNS1_11target_archE942ELNS1_3gpuE9ELNS1_3repE0EEENS1_30default_config_static_selectorELNS0_4arch9wavefront6targetE1EEEvT1_
                                        ; -- End function
	.set _ZN7rocprim17ROCPRIM_400000_NS6detail17trampoline_kernelINS0_14default_configENS1_25partition_config_selectorILNS1_17partition_subalgoE8EyNS0_10empty_typeEbEEZZNS1_14partition_implILS5_8ELb0ES3_jN6thrust23THRUST_200600_302600_NS6detail15normal_iteratorINSA_10device_ptrIyEEEEPS6_PKS6_NS0_5tupleIJSF_S6_EEENSJ_IJSG_SG_EEENS0_18inequality_wrapperINSA_8equal_toIyEEEEPmJS6_EEE10hipError_tPvRmT3_T4_T5_T6_T7_T9_mT8_P12ihipStream_tbDpT10_ENKUlT_T0_E_clISt17integral_constantIbLb0EES1A_EEDaS15_S16_EUlS15_E_NS1_11comp_targetILNS1_3genE5ELNS1_11target_archE942ELNS1_3gpuE9ELNS1_3repE0EEENS1_30default_config_static_selectorELNS0_4arch9wavefront6targetE1EEEvT1_.num_vgpr, 0
	.set _ZN7rocprim17ROCPRIM_400000_NS6detail17trampoline_kernelINS0_14default_configENS1_25partition_config_selectorILNS1_17partition_subalgoE8EyNS0_10empty_typeEbEEZZNS1_14partition_implILS5_8ELb0ES3_jN6thrust23THRUST_200600_302600_NS6detail15normal_iteratorINSA_10device_ptrIyEEEEPS6_PKS6_NS0_5tupleIJSF_S6_EEENSJ_IJSG_SG_EEENS0_18inequality_wrapperINSA_8equal_toIyEEEEPmJS6_EEE10hipError_tPvRmT3_T4_T5_T6_T7_T9_mT8_P12ihipStream_tbDpT10_ENKUlT_T0_E_clISt17integral_constantIbLb0EES1A_EEDaS15_S16_EUlS15_E_NS1_11comp_targetILNS1_3genE5ELNS1_11target_archE942ELNS1_3gpuE9ELNS1_3repE0EEENS1_30default_config_static_selectorELNS0_4arch9wavefront6targetE1EEEvT1_.num_agpr, 0
	.set _ZN7rocprim17ROCPRIM_400000_NS6detail17trampoline_kernelINS0_14default_configENS1_25partition_config_selectorILNS1_17partition_subalgoE8EyNS0_10empty_typeEbEEZZNS1_14partition_implILS5_8ELb0ES3_jN6thrust23THRUST_200600_302600_NS6detail15normal_iteratorINSA_10device_ptrIyEEEEPS6_PKS6_NS0_5tupleIJSF_S6_EEENSJ_IJSG_SG_EEENS0_18inequality_wrapperINSA_8equal_toIyEEEEPmJS6_EEE10hipError_tPvRmT3_T4_T5_T6_T7_T9_mT8_P12ihipStream_tbDpT10_ENKUlT_T0_E_clISt17integral_constantIbLb0EES1A_EEDaS15_S16_EUlS15_E_NS1_11comp_targetILNS1_3genE5ELNS1_11target_archE942ELNS1_3gpuE9ELNS1_3repE0EEENS1_30default_config_static_selectorELNS0_4arch9wavefront6targetE1EEEvT1_.numbered_sgpr, 0
	.set _ZN7rocprim17ROCPRIM_400000_NS6detail17trampoline_kernelINS0_14default_configENS1_25partition_config_selectorILNS1_17partition_subalgoE8EyNS0_10empty_typeEbEEZZNS1_14partition_implILS5_8ELb0ES3_jN6thrust23THRUST_200600_302600_NS6detail15normal_iteratorINSA_10device_ptrIyEEEEPS6_PKS6_NS0_5tupleIJSF_S6_EEENSJ_IJSG_SG_EEENS0_18inequality_wrapperINSA_8equal_toIyEEEEPmJS6_EEE10hipError_tPvRmT3_T4_T5_T6_T7_T9_mT8_P12ihipStream_tbDpT10_ENKUlT_T0_E_clISt17integral_constantIbLb0EES1A_EEDaS15_S16_EUlS15_E_NS1_11comp_targetILNS1_3genE5ELNS1_11target_archE942ELNS1_3gpuE9ELNS1_3repE0EEENS1_30default_config_static_selectorELNS0_4arch9wavefront6targetE1EEEvT1_.num_named_barrier, 0
	.set _ZN7rocprim17ROCPRIM_400000_NS6detail17trampoline_kernelINS0_14default_configENS1_25partition_config_selectorILNS1_17partition_subalgoE8EyNS0_10empty_typeEbEEZZNS1_14partition_implILS5_8ELb0ES3_jN6thrust23THRUST_200600_302600_NS6detail15normal_iteratorINSA_10device_ptrIyEEEEPS6_PKS6_NS0_5tupleIJSF_S6_EEENSJ_IJSG_SG_EEENS0_18inequality_wrapperINSA_8equal_toIyEEEEPmJS6_EEE10hipError_tPvRmT3_T4_T5_T6_T7_T9_mT8_P12ihipStream_tbDpT10_ENKUlT_T0_E_clISt17integral_constantIbLb0EES1A_EEDaS15_S16_EUlS15_E_NS1_11comp_targetILNS1_3genE5ELNS1_11target_archE942ELNS1_3gpuE9ELNS1_3repE0EEENS1_30default_config_static_selectorELNS0_4arch9wavefront6targetE1EEEvT1_.private_seg_size, 0
	.set _ZN7rocprim17ROCPRIM_400000_NS6detail17trampoline_kernelINS0_14default_configENS1_25partition_config_selectorILNS1_17partition_subalgoE8EyNS0_10empty_typeEbEEZZNS1_14partition_implILS5_8ELb0ES3_jN6thrust23THRUST_200600_302600_NS6detail15normal_iteratorINSA_10device_ptrIyEEEEPS6_PKS6_NS0_5tupleIJSF_S6_EEENSJ_IJSG_SG_EEENS0_18inequality_wrapperINSA_8equal_toIyEEEEPmJS6_EEE10hipError_tPvRmT3_T4_T5_T6_T7_T9_mT8_P12ihipStream_tbDpT10_ENKUlT_T0_E_clISt17integral_constantIbLb0EES1A_EEDaS15_S16_EUlS15_E_NS1_11comp_targetILNS1_3genE5ELNS1_11target_archE942ELNS1_3gpuE9ELNS1_3repE0EEENS1_30default_config_static_selectorELNS0_4arch9wavefront6targetE1EEEvT1_.uses_vcc, 0
	.set _ZN7rocprim17ROCPRIM_400000_NS6detail17trampoline_kernelINS0_14default_configENS1_25partition_config_selectorILNS1_17partition_subalgoE8EyNS0_10empty_typeEbEEZZNS1_14partition_implILS5_8ELb0ES3_jN6thrust23THRUST_200600_302600_NS6detail15normal_iteratorINSA_10device_ptrIyEEEEPS6_PKS6_NS0_5tupleIJSF_S6_EEENSJ_IJSG_SG_EEENS0_18inequality_wrapperINSA_8equal_toIyEEEEPmJS6_EEE10hipError_tPvRmT3_T4_T5_T6_T7_T9_mT8_P12ihipStream_tbDpT10_ENKUlT_T0_E_clISt17integral_constantIbLb0EES1A_EEDaS15_S16_EUlS15_E_NS1_11comp_targetILNS1_3genE5ELNS1_11target_archE942ELNS1_3gpuE9ELNS1_3repE0EEENS1_30default_config_static_selectorELNS0_4arch9wavefront6targetE1EEEvT1_.uses_flat_scratch, 0
	.set _ZN7rocprim17ROCPRIM_400000_NS6detail17trampoline_kernelINS0_14default_configENS1_25partition_config_selectorILNS1_17partition_subalgoE8EyNS0_10empty_typeEbEEZZNS1_14partition_implILS5_8ELb0ES3_jN6thrust23THRUST_200600_302600_NS6detail15normal_iteratorINSA_10device_ptrIyEEEEPS6_PKS6_NS0_5tupleIJSF_S6_EEENSJ_IJSG_SG_EEENS0_18inequality_wrapperINSA_8equal_toIyEEEEPmJS6_EEE10hipError_tPvRmT3_T4_T5_T6_T7_T9_mT8_P12ihipStream_tbDpT10_ENKUlT_T0_E_clISt17integral_constantIbLb0EES1A_EEDaS15_S16_EUlS15_E_NS1_11comp_targetILNS1_3genE5ELNS1_11target_archE942ELNS1_3gpuE9ELNS1_3repE0EEENS1_30default_config_static_selectorELNS0_4arch9wavefront6targetE1EEEvT1_.has_dyn_sized_stack, 0
	.set _ZN7rocprim17ROCPRIM_400000_NS6detail17trampoline_kernelINS0_14default_configENS1_25partition_config_selectorILNS1_17partition_subalgoE8EyNS0_10empty_typeEbEEZZNS1_14partition_implILS5_8ELb0ES3_jN6thrust23THRUST_200600_302600_NS6detail15normal_iteratorINSA_10device_ptrIyEEEEPS6_PKS6_NS0_5tupleIJSF_S6_EEENSJ_IJSG_SG_EEENS0_18inequality_wrapperINSA_8equal_toIyEEEEPmJS6_EEE10hipError_tPvRmT3_T4_T5_T6_T7_T9_mT8_P12ihipStream_tbDpT10_ENKUlT_T0_E_clISt17integral_constantIbLb0EES1A_EEDaS15_S16_EUlS15_E_NS1_11comp_targetILNS1_3genE5ELNS1_11target_archE942ELNS1_3gpuE9ELNS1_3repE0EEENS1_30default_config_static_selectorELNS0_4arch9wavefront6targetE1EEEvT1_.has_recursion, 0
	.set _ZN7rocprim17ROCPRIM_400000_NS6detail17trampoline_kernelINS0_14default_configENS1_25partition_config_selectorILNS1_17partition_subalgoE8EyNS0_10empty_typeEbEEZZNS1_14partition_implILS5_8ELb0ES3_jN6thrust23THRUST_200600_302600_NS6detail15normal_iteratorINSA_10device_ptrIyEEEEPS6_PKS6_NS0_5tupleIJSF_S6_EEENSJ_IJSG_SG_EEENS0_18inequality_wrapperINSA_8equal_toIyEEEEPmJS6_EEE10hipError_tPvRmT3_T4_T5_T6_T7_T9_mT8_P12ihipStream_tbDpT10_ENKUlT_T0_E_clISt17integral_constantIbLb0EES1A_EEDaS15_S16_EUlS15_E_NS1_11comp_targetILNS1_3genE5ELNS1_11target_archE942ELNS1_3gpuE9ELNS1_3repE0EEENS1_30default_config_static_selectorELNS0_4arch9wavefront6targetE1EEEvT1_.has_indirect_call, 0
	.section	.AMDGPU.csdata,"",@progbits
; Kernel info:
; codeLenInByte = 0
; TotalNumSgprs: 4
; NumVgprs: 0
; ScratchSize: 0
; MemoryBound: 0
; FloatMode: 240
; IeeeMode: 1
; LDSByteSize: 0 bytes/workgroup (compile time only)
; SGPRBlocks: 0
; VGPRBlocks: 0
; NumSGPRsForWavesPerEU: 4
; NumVGPRsForWavesPerEU: 1
; Occupancy: 10
; WaveLimiterHint : 0
; COMPUTE_PGM_RSRC2:SCRATCH_EN: 0
; COMPUTE_PGM_RSRC2:USER_SGPR: 6
; COMPUTE_PGM_RSRC2:TRAP_HANDLER: 0
; COMPUTE_PGM_RSRC2:TGID_X_EN: 1
; COMPUTE_PGM_RSRC2:TGID_Y_EN: 0
; COMPUTE_PGM_RSRC2:TGID_Z_EN: 0
; COMPUTE_PGM_RSRC2:TIDIG_COMP_CNT: 0
	.section	.text._ZN7rocprim17ROCPRIM_400000_NS6detail17trampoline_kernelINS0_14default_configENS1_25partition_config_selectorILNS1_17partition_subalgoE8EyNS0_10empty_typeEbEEZZNS1_14partition_implILS5_8ELb0ES3_jN6thrust23THRUST_200600_302600_NS6detail15normal_iteratorINSA_10device_ptrIyEEEEPS6_PKS6_NS0_5tupleIJSF_S6_EEENSJ_IJSG_SG_EEENS0_18inequality_wrapperINSA_8equal_toIyEEEEPmJS6_EEE10hipError_tPvRmT3_T4_T5_T6_T7_T9_mT8_P12ihipStream_tbDpT10_ENKUlT_T0_E_clISt17integral_constantIbLb0EES1A_EEDaS15_S16_EUlS15_E_NS1_11comp_targetILNS1_3genE4ELNS1_11target_archE910ELNS1_3gpuE8ELNS1_3repE0EEENS1_30default_config_static_selectorELNS0_4arch9wavefront6targetE1EEEvT1_,"axG",@progbits,_ZN7rocprim17ROCPRIM_400000_NS6detail17trampoline_kernelINS0_14default_configENS1_25partition_config_selectorILNS1_17partition_subalgoE8EyNS0_10empty_typeEbEEZZNS1_14partition_implILS5_8ELb0ES3_jN6thrust23THRUST_200600_302600_NS6detail15normal_iteratorINSA_10device_ptrIyEEEEPS6_PKS6_NS0_5tupleIJSF_S6_EEENSJ_IJSG_SG_EEENS0_18inequality_wrapperINSA_8equal_toIyEEEEPmJS6_EEE10hipError_tPvRmT3_T4_T5_T6_T7_T9_mT8_P12ihipStream_tbDpT10_ENKUlT_T0_E_clISt17integral_constantIbLb0EES1A_EEDaS15_S16_EUlS15_E_NS1_11comp_targetILNS1_3genE4ELNS1_11target_archE910ELNS1_3gpuE8ELNS1_3repE0EEENS1_30default_config_static_selectorELNS0_4arch9wavefront6targetE1EEEvT1_,comdat
	.protected	_ZN7rocprim17ROCPRIM_400000_NS6detail17trampoline_kernelINS0_14default_configENS1_25partition_config_selectorILNS1_17partition_subalgoE8EyNS0_10empty_typeEbEEZZNS1_14partition_implILS5_8ELb0ES3_jN6thrust23THRUST_200600_302600_NS6detail15normal_iteratorINSA_10device_ptrIyEEEEPS6_PKS6_NS0_5tupleIJSF_S6_EEENSJ_IJSG_SG_EEENS0_18inequality_wrapperINSA_8equal_toIyEEEEPmJS6_EEE10hipError_tPvRmT3_T4_T5_T6_T7_T9_mT8_P12ihipStream_tbDpT10_ENKUlT_T0_E_clISt17integral_constantIbLb0EES1A_EEDaS15_S16_EUlS15_E_NS1_11comp_targetILNS1_3genE4ELNS1_11target_archE910ELNS1_3gpuE8ELNS1_3repE0EEENS1_30default_config_static_selectorELNS0_4arch9wavefront6targetE1EEEvT1_ ; -- Begin function _ZN7rocprim17ROCPRIM_400000_NS6detail17trampoline_kernelINS0_14default_configENS1_25partition_config_selectorILNS1_17partition_subalgoE8EyNS0_10empty_typeEbEEZZNS1_14partition_implILS5_8ELb0ES3_jN6thrust23THRUST_200600_302600_NS6detail15normal_iteratorINSA_10device_ptrIyEEEEPS6_PKS6_NS0_5tupleIJSF_S6_EEENSJ_IJSG_SG_EEENS0_18inequality_wrapperINSA_8equal_toIyEEEEPmJS6_EEE10hipError_tPvRmT3_T4_T5_T6_T7_T9_mT8_P12ihipStream_tbDpT10_ENKUlT_T0_E_clISt17integral_constantIbLb0EES1A_EEDaS15_S16_EUlS15_E_NS1_11comp_targetILNS1_3genE4ELNS1_11target_archE910ELNS1_3gpuE8ELNS1_3repE0EEENS1_30default_config_static_selectorELNS0_4arch9wavefront6targetE1EEEvT1_
	.globl	_ZN7rocprim17ROCPRIM_400000_NS6detail17trampoline_kernelINS0_14default_configENS1_25partition_config_selectorILNS1_17partition_subalgoE8EyNS0_10empty_typeEbEEZZNS1_14partition_implILS5_8ELb0ES3_jN6thrust23THRUST_200600_302600_NS6detail15normal_iteratorINSA_10device_ptrIyEEEEPS6_PKS6_NS0_5tupleIJSF_S6_EEENSJ_IJSG_SG_EEENS0_18inequality_wrapperINSA_8equal_toIyEEEEPmJS6_EEE10hipError_tPvRmT3_T4_T5_T6_T7_T9_mT8_P12ihipStream_tbDpT10_ENKUlT_T0_E_clISt17integral_constantIbLb0EES1A_EEDaS15_S16_EUlS15_E_NS1_11comp_targetILNS1_3genE4ELNS1_11target_archE910ELNS1_3gpuE8ELNS1_3repE0EEENS1_30default_config_static_selectorELNS0_4arch9wavefront6targetE1EEEvT1_
	.p2align	8
	.type	_ZN7rocprim17ROCPRIM_400000_NS6detail17trampoline_kernelINS0_14default_configENS1_25partition_config_selectorILNS1_17partition_subalgoE8EyNS0_10empty_typeEbEEZZNS1_14partition_implILS5_8ELb0ES3_jN6thrust23THRUST_200600_302600_NS6detail15normal_iteratorINSA_10device_ptrIyEEEEPS6_PKS6_NS0_5tupleIJSF_S6_EEENSJ_IJSG_SG_EEENS0_18inequality_wrapperINSA_8equal_toIyEEEEPmJS6_EEE10hipError_tPvRmT3_T4_T5_T6_T7_T9_mT8_P12ihipStream_tbDpT10_ENKUlT_T0_E_clISt17integral_constantIbLb0EES1A_EEDaS15_S16_EUlS15_E_NS1_11comp_targetILNS1_3genE4ELNS1_11target_archE910ELNS1_3gpuE8ELNS1_3repE0EEENS1_30default_config_static_selectorELNS0_4arch9wavefront6targetE1EEEvT1_,@function
_ZN7rocprim17ROCPRIM_400000_NS6detail17trampoline_kernelINS0_14default_configENS1_25partition_config_selectorILNS1_17partition_subalgoE8EyNS0_10empty_typeEbEEZZNS1_14partition_implILS5_8ELb0ES3_jN6thrust23THRUST_200600_302600_NS6detail15normal_iteratorINSA_10device_ptrIyEEEEPS6_PKS6_NS0_5tupleIJSF_S6_EEENSJ_IJSG_SG_EEENS0_18inequality_wrapperINSA_8equal_toIyEEEEPmJS6_EEE10hipError_tPvRmT3_T4_T5_T6_T7_T9_mT8_P12ihipStream_tbDpT10_ENKUlT_T0_E_clISt17integral_constantIbLb0EES1A_EEDaS15_S16_EUlS15_E_NS1_11comp_targetILNS1_3genE4ELNS1_11target_archE910ELNS1_3gpuE8ELNS1_3repE0EEENS1_30default_config_static_selectorELNS0_4arch9wavefront6targetE1EEEvT1_: ; @_ZN7rocprim17ROCPRIM_400000_NS6detail17trampoline_kernelINS0_14default_configENS1_25partition_config_selectorILNS1_17partition_subalgoE8EyNS0_10empty_typeEbEEZZNS1_14partition_implILS5_8ELb0ES3_jN6thrust23THRUST_200600_302600_NS6detail15normal_iteratorINSA_10device_ptrIyEEEEPS6_PKS6_NS0_5tupleIJSF_S6_EEENSJ_IJSG_SG_EEENS0_18inequality_wrapperINSA_8equal_toIyEEEEPmJS6_EEE10hipError_tPvRmT3_T4_T5_T6_T7_T9_mT8_P12ihipStream_tbDpT10_ENKUlT_T0_E_clISt17integral_constantIbLb0EES1A_EEDaS15_S16_EUlS15_E_NS1_11comp_targetILNS1_3genE4ELNS1_11target_archE910ELNS1_3gpuE8ELNS1_3repE0EEENS1_30default_config_static_selectorELNS0_4arch9wavefront6targetE1EEEvT1_
; %bb.0:
	.section	.rodata,"a",@progbits
	.p2align	6, 0x0
	.amdhsa_kernel _ZN7rocprim17ROCPRIM_400000_NS6detail17trampoline_kernelINS0_14default_configENS1_25partition_config_selectorILNS1_17partition_subalgoE8EyNS0_10empty_typeEbEEZZNS1_14partition_implILS5_8ELb0ES3_jN6thrust23THRUST_200600_302600_NS6detail15normal_iteratorINSA_10device_ptrIyEEEEPS6_PKS6_NS0_5tupleIJSF_S6_EEENSJ_IJSG_SG_EEENS0_18inequality_wrapperINSA_8equal_toIyEEEEPmJS6_EEE10hipError_tPvRmT3_T4_T5_T6_T7_T9_mT8_P12ihipStream_tbDpT10_ENKUlT_T0_E_clISt17integral_constantIbLb0EES1A_EEDaS15_S16_EUlS15_E_NS1_11comp_targetILNS1_3genE4ELNS1_11target_archE910ELNS1_3gpuE8ELNS1_3repE0EEENS1_30default_config_static_selectorELNS0_4arch9wavefront6targetE1EEEvT1_
		.amdhsa_group_segment_fixed_size 0
		.amdhsa_private_segment_fixed_size 0
		.amdhsa_kernarg_size 112
		.amdhsa_user_sgpr_count 6
		.amdhsa_user_sgpr_private_segment_buffer 1
		.amdhsa_user_sgpr_dispatch_ptr 0
		.amdhsa_user_sgpr_queue_ptr 0
		.amdhsa_user_sgpr_kernarg_segment_ptr 1
		.amdhsa_user_sgpr_dispatch_id 0
		.amdhsa_user_sgpr_flat_scratch_init 0
		.amdhsa_user_sgpr_private_segment_size 0
		.amdhsa_uses_dynamic_stack 0
		.amdhsa_system_sgpr_private_segment_wavefront_offset 0
		.amdhsa_system_sgpr_workgroup_id_x 1
		.amdhsa_system_sgpr_workgroup_id_y 0
		.amdhsa_system_sgpr_workgroup_id_z 0
		.amdhsa_system_sgpr_workgroup_info 0
		.amdhsa_system_vgpr_workitem_id 0
		.amdhsa_next_free_vgpr 1
		.amdhsa_next_free_sgpr 0
		.amdhsa_reserve_vcc 0
		.amdhsa_reserve_flat_scratch 0
		.amdhsa_float_round_mode_32 0
		.amdhsa_float_round_mode_16_64 0
		.amdhsa_float_denorm_mode_32 3
		.amdhsa_float_denorm_mode_16_64 3
		.amdhsa_dx10_clamp 1
		.amdhsa_ieee_mode 1
		.amdhsa_fp16_overflow 0
		.amdhsa_exception_fp_ieee_invalid_op 0
		.amdhsa_exception_fp_denorm_src 0
		.amdhsa_exception_fp_ieee_div_zero 0
		.amdhsa_exception_fp_ieee_overflow 0
		.amdhsa_exception_fp_ieee_underflow 0
		.amdhsa_exception_fp_ieee_inexact 0
		.amdhsa_exception_int_div_zero 0
	.end_amdhsa_kernel
	.section	.text._ZN7rocprim17ROCPRIM_400000_NS6detail17trampoline_kernelINS0_14default_configENS1_25partition_config_selectorILNS1_17partition_subalgoE8EyNS0_10empty_typeEbEEZZNS1_14partition_implILS5_8ELb0ES3_jN6thrust23THRUST_200600_302600_NS6detail15normal_iteratorINSA_10device_ptrIyEEEEPS6_PKS6_NS0_5tupleIJSF_S6_EEENSJ_IJSG_SG_EEENS0_18inequality_wrapperINSA_8equal_toIyEEEEPmJS6_EEE10hipError_tPvRmT3_T4_T5_T6_T7_T9_mT8_P12ihipStream_tbDpT10_ENKUlT_T0_E_clISt17integral_constantIbLb0EES1A_EEDaS15_S16_EUlS15_E_NS1_11comp_targetILNS1_3genE4ELNS1_11target_archE910ELNS1_3gpuE8ELNS1_3repE0EEENS1_30default_config_static_selectorELNS0_4arch9wavefront6targetE1EEEvT1_,"axG",@progbits,_ZN7rocprim17ROCPRIM_400000_NS6detail17trampoline_kernelINS0_14default_configENS1_25partition_config_selectorILNS1_17partition_subalgoE8EyNS0_10empty_typeEbEEZZNS1_14partition_implILS5_8ELb0ES3_jN6thrust23THRUST_200600_302600_NS6detail15normal_iteratorINSA_10device_ptrIyEEEEPS6_PKS6_NS0_5tupleIJSF_S6_EEENSJ_IJSG_SG_EEENS0_18inequality_wrapperINSA_8equal_toIyEEEEPmJS6_EEE10hipError_tPvRmT3_T4_T5_T6_T7_T9_mT8_P12ihipStream_tbDpT10_ENKUlT_T0_E_clISt17integral_constantIbLb0EES1A_EEDaS15_S16_EUlS15_E_NS1_11comp_targetILNS1_3genE4ELNS1_11target_archE910ELNS1_3gpuE8ELNS1_3repE0EEENS1_30default_config_static_selectorELNS0_4arch9wavefront6targetE1EEEvT1_,comdat
.Lfunc_end147:
	.size	_ZN7rocprim17ROCPRIM_400000_NS6detail17trampoline_kernelINS0_14default_configENS1_25partition_config_selectorILNS1_17partition_subalgoE8EyNS0_10empty_typeEbEEZZNS1_14partition_implILS5_8ELb0ES3_jN6thrust23THRUST_200600_302600_NS6detail15normal_iteratorINSA_10device_ptrIyEEEEPS6_PKS6_NS0_5tupleIJSF_S6_EEENSJ_IJSG_SG_EEENS0_18inequality_wrapperINSA_8equal_toIyEEEEPmJS6_EEE10hipError_tPvRmT3_T4_T5_T6_T7_T9_mT8_P12ihipStream_tbDpT10_ENKUlT_T0_E_clISt17integral_constantIbLb0EES1A_EEDaS15_S16_EUlS15_E_NS1_11comp_targetILNS1_3genE4ELNS1_11target_archE910ELNS1_3gpuE8ELNS1_3repE0EEENS1_30default_config_static_selectorELNS0_4arch9wavefront6targetE1EEEvT1_, .Lfunc_end147-_ZN7rocprim17ROCPRIM_400000_NS6detail17trampoline_kernelINS0_14default_configENS1_25partition_config_selectorILNS1_17partition_subalgoE8EyNS0_10empty_typeEbEEZZNS1_14partition_implILS5_8ELb0ES3_jN6thrust23THRUST_200600_302600_NS6detail15normal_iteratorINSA_10device_ptrIyEEEEPS6_PKS6_NS0_5tupleIJSF_S6_EEENSJ_IJSG_SG_EEENS0_18inequality_wrapperINSA_8equal_toIyEEEEPmJS6_EEE10hipError_tPvRmT3_T4_T5_T6_T7_T9_mT8_P12ihipStream_tbDpT10_ENKUlT_T0_E_clISt17integral_constantIbLb0EES1A_EEDaS15_S16_EUlS15_E_NS1_11comp_targetILNS1_3genE4ELNS1_11target_archE910ELNS1_3gpuE8ELNS1_3repE0EEENS1_30default_config_static_selectorELNS0_4arch9wavefront6targetE1EEEvT1_
                                        ; -- End function
	.set _ZN7rocprim17ROCPRIM_400000_NS6detail17trampoline_kernelINS0_14default_configENS1_25partition_config_selectorILNS1_17partition_subalgoE8EyNS0_10empty_typeEbEEZZNS1_14partition_implILS5_8ELb0ES3_jN6thrust23THRUST_200600_302600_NS6detail15normal_iteratorINSA_10device_ptrIyEEEEPS6_PKS6_NS0_5tupleIJSF_S6_EEENSJ_IJSG_SG_EEENS0_18inequality_wrapperINSA_8equal_toIyEEEEPmJS6_EEE10hipError_tPvRmT3_T4_T5_T6_T7_T9_mT8_P12ihipStream_tbDpT10_ENKUlT_T0_E_clISt17integral_constantIbLb0EES1A_EEDaS15_S16_EUlS15_E_NS1_11comp_targetILNS1_3genE4ELNS1_11target_archE910ELNS1_3gpuE8ELNS1_3repE0EEENS1_30default_config_static_selectorELNS0_4arch9wavefront6targetE1EEEvT1_.num_vgpr, 0
	.set _ZN7rocprim17ROCPRIM_400000_NS6detail17trampoline_kernelINS0_14default_configENS1_25partition_config_selectorILNS1_17partition_subalgoE8EyNS0_10empty_typeEbEEZZNS1_14partition_implILS5_8ELb0ES3_jN6thrust23THRUST_200600_302600_NS6detail15normal_iteratorINSA_10device_ptrIyEEEEPS6_PKS6_NS0_5tupleIJSF_S6_EEENSJ_IJSG_SG_EEENS0_18inequality_wrapperINSA_8equal_toIyEEEEPmJS6_EEE10hipError_tPvRmT3_T4_T5_T6_T7_T9_mT8_P12ihipStream_tbDpT10_ENKUlT_T0_E_clISt17integral_constantIbLb0EES1A_EEDaS15_S16_EUlS15_E_NS1_11comp_targetILNS1_3genE4ELNS1_11target_archE910ELNS1_3gpuE8ELNS1_3repE0EEENS1_30default_config_static_selectorELNS0_4arch9wavefront6targetE1EEEvT1_.num_agpr, 0
	.set _ZN7rocprim17ROCPRIM_400000_NS6detail17trampoline_kernelINS0_14default_configENS1_25partition_config_selectorILNS1_17partition_subalgoE8EyNS0_10empty_typeEbEEZZNS1_14partition_implILS5_8ELb0ES3_jN6thrust23THRUST_200600_302600_NS6detail15normal_iteratorINSA_10device_ptrIyEEEEPS6_PKS6_NS0_5tupleIJSF_S6_EEENSJ_IJSG_SG_EEENS0_18inequality_wrapperINSA_8equal_toIyEEEEPmJS6_EEE10hipError_tPvRmT3_T4_T5_T6_T7_T9_mT8_P12ihipStream_tbDpT10_ENKUlT_T0_E_clISt17integral_constantIbLb0EES1A_EEDaS15_S16_EUlS15_E_NS1_11comp_targetILNS1_3genE4ELNS1_11target_archE910ELNS1_3gpuE8ELNS1_3repE0EEENS1_30default_config_static_selectorELNS0_4arch9wavefront6targetE1EEEvT1_.numbered_sgpr, 0
	.set _ZN7rocprim17ROCPRIM_400000_NS6detail17trampoline_kernelINS0_14default_configENS1_25partition_config_selectorILNS1_17partition_subalgoE8EyNS0_10empty_typeEbEEZZNS1_14partition_implILS5_8ELb0ES3_jN6thrust23THRUST_200600_302600_NS6detail15normal_iteratorINSA_10device_ptrIyEEEEPS6_PKS6_NS0_5tupleIJSF_S6_EEENSJ_IJSG_SG_EEENS0_18inequality_wrapperINSA_8equal_toIyEEEEPmJS6_EEE10hipError_tPvRmT3_T4_T5_T6_T7_T9_mT8_P12ihipStream_tbDpT10_ENKUlT_T0_E_clISt17integral_constantIbLb0EES1A_EEDaS15_S16_EUlS15_E_NS1_11comp_targetILNS1_3genE4ELNS1_11target_archE910ELNS1_3gpuE8ELNS1_3repE0EEENS1_30default_config_static_selectorELNS0_4arch9wavefront6targetE1EEEvT1_.num_named_barrier, 0
	.set _ZN7rocprim17ROCPRIM_400000_NS6detail17trampoline_kernelINS0_14default_configENS1_25partition_config_selectorILNS1_17partition_subalgoE8EyNS0_10empty_typeEbEEZZNS1_14partition_implILS5_8ELb0ES3_jN6thrust23THRUST_200600_302600_NS6detail15normal_iteratorINSA_10device_ptrIyEEEEPS6_PKS6_NS0_5tupleIJSF_S6_EEENSJ_IJSG_SG_EEENS0_18inequality_wrapperINSA_8equal_toIyEEEEPmJS6_EEE10hipError_tPvRmT3_T4_T5_T6_T7_T9_mT8_P12ihipStream_tbDpT10_ENKUlT_T0_E_clISt17integral_constantIbLb0EES1A_EEDaS15_S16_EUlS15_E_NS1_11comp_targetILNS1_3genE4ELNS1_11target_archE910ELNS1_3gpuE8ELNS1_3repE0EEENS1_30default_config_static_selectorELNS0_4arch9wavefront6targetE1EEEvT1_.private_seg_size, 0
	.set _ZN7rocprim17ROCPRIM_400000_NS6detail17trampoline_kernelINS0_14default_configENS1_25partition_config_selectorILNS1_17partition_subalgoE8EyNS0_10empty_typeEbEEZZNS1_14partition_implILS5_8ELb0ES3_jN6thrust23THRUST_200600_302600_NS6detail15normal_iteratorINSA_10device_ptrIyEEEEPS6_PKS6_NS0_5tupleIJSF_S6_EEENSJ_IJSG_SG_EEENS0_18inequality_wrapperINSA_8equal_toIyEEEEPmJS6_EEE10hipError_tPvRmT3_T4_T5_T6_T7_T9_mT8_P12ihipStream_tbDpT10_ENKUlT_T0_E_clISt17integral_constantIbLb0EES1A_EEDaS15_S16_EUlS15_E_NS1_11comp_targetILNS1_3genE4ELNS1_11target_archE910ELNS1_3gpuE8ELNS1_3repE0EEENS1_30default_config_static_selectorELNS0_4arch9wavefront6targetE1EEEvT1_.uses_vcc, 0
	.set _ZN7rocprim17ROCPRIM_400000_NS6detail17trampoline_kernelINS0_14default_configENS1_25partition_config_selectorILNS1_17partition_subalgoE8EyNS0_10empty_typeEbEEZZNS1_14partition_implILS5_8ELb0ES3_jN6thrust23THRUST_200600_302600_NS6detail15normal_iteratorINSA_10device_ptrIyEEEEPS6_PKS6_NS0_5tupleIJSF_S6_EEENSJ_IJSG_SG_EEENS0_18inequality_wrapperINSA_8equal_toIyEEEEPmJS6_EEE10hipError_tPvRmT3_T4_T5_T6_T7_T9_mT8_P12ihipStream_tbDpT10_ENKUlT_T0_E_clISt17integral_constantIbLb0EES1A_EEDaS15_S16_EUlS15_E_NS1_11comp_targetILNS1_3genE4ELNS1_11target_archE910ELNS1_3gpuE8ELNS1_3repE0EEENS1_30default_config_static_selectorELNS0_4arch9wavefront6targetE1EEEvT1_.uses_flat_scratch, 0
	.set _ZN7rocprim17ROCPRIM_400000_NS6detail17trampoline_kernelINS0_14default_configENS1_25partition_config_selectorILNS1_17partition_subalgoE8EyNS0_10empty_typeEbEEZZNS1_14partition_implILS5_8ELb0ES3_jN6thrust23THRUST_200600_302600_NS6detail15normal_iteratorINSA_10device_ptrIyEEEEPS6_PKS6_NS0_5tupleIJSF_S6_EEENSJ_IJSG_SG_EEENS0_18inequality_wrapperINSA_8equal_toIyEEEEPmJS6_EEE10hipError_tPvRmT3_T4_T5_T6_T7_T9_mT8_P12ihipStream_tbDpT10_ENKUlT_T0_E_clISt17integral_constantIbLb0EES1A_EEDaS15_S16_EUlS15_E_NS1_11comp_targetILNS1_3genE4ELNS1_11target_archE910ELNS1_3gpuE8ELNS1_3repE0EEENS1_30default_config_static_selectorELNS0_4arch9wavefront6targetE1EEEvT1_.has_dyn_sized_stack, 0
	.set _ZN7rocprim17ROCPRIM_400000_NS6detail17trampoline_kernelINS0_14default_configENS1_25partition_config_selectorILNS1_17partition_subalgoE8EyNS0_10empty_typeEbEEZZNS1_14partition_implILS5_8ELb0ES3_jN6thrust23THRUST_200600_302600_NS6detail15normal_iteratorINSA_10device_ptrIyEEEEPS6_PKS6_NS0_5tupleIJSF_S6_EEENSJ_IJSG_SG_EEENS0_18inequality_wrapperINSA_8equal_toIyEEEEPmJS6_EEE10hipError_tPvRmT3_T4_T5_T6_T7_T9_mT8_P12ihipStream_tbDpT10_ENKUlT_T0_E_clISt17integral_constantIbLb0EES1A_EEDaS15_S16_EUlS15_E_NS1_11comp_targetILNS1_3genE4ELNS1_11target_archE910ELNS1_3gpuE8ELNS1_3repE0EEENS1_30default_config_static_selectorELNS0_4arch9wavefront6targetE1EEEvT1_.has_recursion, 0
	.set _ZN7rocprim17ROCPRIM_400000_NS6detail17trampoline_kernelINS0_14default_configENS1_25partition_config_selectorILNS1_17partition_subalgoE8EyNS0_10empty_typeEbEEZZNS1_14partition_implILS5_8ELb0ES3_jN6thrust23THRUST_200600_302600_NS6detail15normal_iteratorINSA_10device_ptrIyEEEEPS6_PKS6_NS0_5tupleIJSF_S6_EEENSJ_IJSG_SG_EEENS0_18inequality_wrapperINSA_8equal_toIyEEEEPmJS6_EEE10hipError_tPvRmT3_T4_T5_T6_T7_T9_mT8_P12ihipStream_tbDpT10_ENKUlT_T0_E_clISt17integral_constantIbLb0EES1A_EEDaS15_S16_EUlS15_E_NS1_11comp_targetILNS1_3genE4ELNS1_11target_archE910ELNS1_3gpuE8ELNS1_3repE0EEENS1_30default_config_static_selectorELNS0_4arch9wavefront6targetE1EEEvT1_.has_indirect_call, 0
	.section	.AMDGPU.csdata,"",@progbits
; Kernel info:
; codeLenInByte = 0
; TotalNumSgprs: 4
; NumVgprs: 0
; ScratchSize: 0
; MemoryBound: 0
; FloatMode: 240
; IeeeMode: 1
; LDSByteSize: 0 bytes/workgroup (compile time only)
; SGPRBlocks: 0
; VGPRBlocks: 0
; NumSGPRsForWavesPerEU: 4
; NumVGPRsForWavesPerEU: 1
; Occupancy: 10
; WaveLimiterHint : 0
; COMPUTE_PGM_RSRC2:SCRATCH_EN: 0
; COMPUTE_PGM_RSRC2:USER_SGPR: 6
; COMPUTE_PGM_RSRC2:TRAP_HANDLER: 0
; COMPUTE_PGM_RSRC2:TGID_X_EN: 1
; COMPUTE_PGM_RSRC2:TGID_Y_EN: 0
; COMPUTE_PGM_RSRC2:TGID_Z_EN: 0
; COMPUTE_PGM_RSRC2:TIDIG_COMP_CNT: 0
	.section	.text._ZN7rocprim17ROCPRIM_400000_NS6detail17trampoline_kernelINS0_14default_configENS1_25partition_config_selectorILNS1_17partition_subalgoE8EyNS0_10empty_typeEbEEZZNS1_14partition_implILS5_8ELb0ES3_jN6thrust23THRUST_200600_302600_NS6detail15normal_iteratorINSA_10device_ptrIyEEEEPS6_PKS6_NS0_5tupleIJSF_S6_EEENSJ_IJSG_SG_EEENS0_18inequality_wrapperINSA_8equal_toIyEEEEPmJS6_EEE10hipError_tPvRmT3_T4_T5_T6_T7_T9_mT8_P12ihipStream_tbDpT10_ENKUlT_T0_E_clISt17integral_constantIbLb0EES1A_EEDaS15_S16_EUlS15_E_NS1_11comp_targetILNS1_3genE3ELNS1_11target_archE908ELNS1_3gpuE7ELNS1_3repE0EEENS1_30default_config_static_selectorELNS0_4arch9wavefront6targetE1EEEvT1_,"axG",@progbits,_ZN7rocprim17ROCPRIM_400000_NS6detail17trampoline_kernelINS0_14default_configENS1_25partition_config_selectorILNS1_17partition_subalgoE8EyNS0_10empty_typeEbEEZZNS1_14partition_implILS5_8ELb0ES3_jN6thrust23THRUST_200600_302600_NS6detail15normal_iteratorINSA_10device_ptrIyEEEEPS6_PKS6_NS0_5tupleIJSF_S6_EEENSJ_IJSG_SG_EEENS0_18inequality_wrapperINSA_8equal_toIyEEEEPmJS6_EEE10hipError_tPvRmT3_T4_T5_T6_T7_T9_mT8_P12ihipStream_tbDpT10_ENKUlT_T0_E_clISt17integral_constantIbLb0EES1A_EEDaS15_S16_EUlS15_E_NS1_11comp_targetILNS1_3genE3ELNS1_11target_archE908ELNS1_3gpuE7ELNS1_3repE0EEENS1_30default_config_static_selectorELNS0_4arch9wavefront6targetE1EEEvT1_,comdat
	.protected	_ZN7rocprim17ROCPRIM_400000_NS6detail17trampoline_kernelINS0_14default_configENS1_25partition_config_selectorILNS1_17partition_subalgoE8EyNS0_10empty_typeEbEEZZNS1_14partition_implILS5_8ELb0ES3_jN6thrust23THRUST_200600_302600_NS6detail15normal_iteratorINSA_10device_ptrIyEEEEPS6_PKS6_NS0_5tupleIJSF_S6_EEENSJ_IJSG_SG_EEENS0_18inequality_wrapperINSA_8equal_toIyEEEEPmJS6_EEE10hipError_tPvRmT3_T4_T5_T6_T7_T9_mT8_P12ihipStream_tbDpT10_ENKUlT_T0_E_clISt17integral_constantIbLb0EES1A_EEDaS15_S16_EUlS15_E_NS1_11comp_targetILNS1_3genE3ELNS1_11target_archE908ELNS1_3gpuE7ELNS1_3repE0EEENS1_30default_config_static_selectorELNS0_4arch9wavefront6targetE1EEEvT1_ ; -- Begin function _ZN7rocprim17ROCPRIM_400000_NS6detail17trampoline_kernelINS0_14default_configENS1_25partition_config_selectorILNS1_17partition_subalgoE8EyNS0_10empty_typeEbEEZZNS1_14partition_implILS5_8ELb0ES3_jN6thrust23THRUST_200600_302600_NS6detail15normal_iteratorINSA_10device_ptrIyEEEEPS6_PKS6_NS0_5tupleIJSF_S6_EEENSJ_IJSG_SG_EEENS0_18inequality_wrapperINSA_8equal_toIyEEEEPmJS6_EEE10hipError_tPvRmT3_T4_T5_T6_T7_T9_mT8_P12ihipStream_tbDpT10_ENKUlT_T0_E_clISt17integral_constantIbLb0EES1A_EEDaS15_S16_EUlS15_E_NS1_11comp_targetILNS1_3genE3ELNS1_11target_archE908ELNS1_3gpuE7ELNS1_3repE0EEENS1_30default_config_static_selectorELNS0_4arch9wavefront6targetE1EEEvT1_
	.globl	_ZN7rocprim17ROCPRIM_400000_NS6detail17trampoline_kernelINS0_14default_configENS1_25partition_config_selectorILNS1_17partition_subalgoE8EyNS0_10empty_typeEbEEZZNS1_14partition_implILS5_8ELb0ES3_jN6thrust23THRUST_200600_302600_NS6detail15normal_iteratorINSA_10device_ptrIyEEEEPS6_PKS6_NS0_5tupleIJSF_S6_EEENSJ_IJSG_SG_EEENS0_18inequality_wrapperINSA_8equal_toIyEEEEPmJS6_EEE10hipError_tPvRmT3_T4_T5_T6_T7_T9_mT8_P12ihipStream_tbDpT10_ENKUlT_T0_E_clISt17integral_constantIbLb0EES1A_EEDaS15_S16_EUlS15_E_NS1_11comp_targetILNS1_3genE3ELNS1_11target_archE908ELNS1_3gpuE7ELNS1_3repE0EEENS1_30default_config_static_selectorELNS0_4arch9wavefront6targetE1EEEvT1_
	.p2align	8
	.type	_ZN7rocprim17ROCPRIM_400000_NS6detail17trampoline_kernelINS0_14default_configENS1_25partition_config_selectorILNS1_17partition_subalgoE8EyNS0_10empty_typeEbEEZZNS1_14partition_implILS5_8ELb0ES3_jN6thrust23THRUST_200600_302600_NS6detail15normal_iteratorINSA_10device_ptrIyEEEEPS6_PKS6_NS0_5tupleIJSF_S6_EEENSJ_IJSG_SG_EEENS0_18inequality_wrapperINSA_8equal_toIyEEEEPmJS6_EEE10hipError_tPvRmT3_T4_T5_T6_T7_T9_mT8_P12ihipStream_tbDpT10_ENKUlT_T0_E_clISt17integral_constantIbLb0EES1A_EEDaS15_S16_EUlS15_E_NS1_11comp_targetILNS1_3genE3ELNS1_11target_archE908ELNS1_3gpuE7ELNS1_3repE0EEENS1_30default_config_static_selectorELNS0_4arch9wavefront6targetE1EEEvT1_,@function
_ZN7rocprim17ROCPRIM_400000_NS6detail17trampoline_kernelINS0_14default_configENS1_25partition_config_selectorILNS1_17partition_subalgoE8EyNS0_10empty_typeEbEEZZNS1_14partition_implILS5_8ELb0ES3_jN6thrust23THRUST_200600_302600_NS6detail15normal_iteratorINSA_10device_ptrIyEEEEPS6_PKS6_NS0_5tupleIJSF_S6_EEENSJ_IJSG_SG_EEENS0_18inequality_wrapperINSA_8equal_toIyEEEEPmJS6_EEE10hipError_tPvRmT3_T4_T5_T6_T7_T9_mT8_P12ihipStream_tbDpT10_ENKUlT_T0_E_clISt17integral_constantIbLb0EES1A_EEDaS15_S16_EUlS15_E_NS1_11comp_targetILNS1_3genE3ELNS1_11target_archE908ELNS1_3gpuE7ELNS1_3repE0EEENS1_30default_config_static_selectorELNS0_4arch9wavefront6targetE1EEEvT1_: ; @_ZN7rocprim17ROCPRIM_400000_NS6detail17trampoline_kernelINS0_14default_configENS1_25partition_config_selectorILNS1_17partition_subalgoE8EyNS0_10empty_typeEbEEZZNS1_14partition_implILS5_8ELb0ES3_jN6thrust23THRUST_200600_302600_NS6detail15normal_iteratorINSA_10device_ptrIyEEEEPS6_PKS6_NS0_5tupleIJSF_S6_EEENSJ_IJSG_SG_EEENS0_18inequality_wrapperINSA_8equal_toIyEEEEPmJS6_EEE10hipError_tPvRmT3_T4_T5_T6_T7_T9_mT8_P12ihipStream_tbDpT10_ENKUlT_T0_E_clISt17integral_constantIbLb0EES1A_EEDaS15_S16_EUlS15_E_NS1_11comp_targetILNS1_3genE3ELNS1_11target_archE908ELNS1_3gpuE7ELNS1_3repE0EEENS1_30default_config_static_selectorELNS0_4arch9wavefront6targetE1EEEvT1_
; %bb.0:
	.section	.rodata,"a",@progbits
	.p2align	6, 0x0
	.amdhsa_kernel _ZN7rocprim17ROCPRIM_400000_NS6detail17trampoline_kernelINS0_14default_configENS1_25partition_config_selectorILNS1_17partition_subalgoE8EyNS0_10empty_typeEbEEZZNS1_14partition_implILS5_8ELb0ES3_jN6thrust23THRUST_200600_302600_NS6detail15normal_iteratorINSA_10device_ptrIyEEEEPS6_PKS6_NS0_5tupleIJSF_S6_EEENSJ_IJSG_SG_EEENS0_18inequality_wrapperINSA_8equal_toIyEEEEPmJS6_EEE10hipError_tPvRmT3_T4_T5_T6_T7_T9_mT8_P12ihipStream_tbDpT10_ENKUlT_T0_E_clISt17integral_constantIbLb0EES1A_EEDaS15_S16_EUlS15_E_NS1_11comp_targetILNS1_3genE3ELNS1_11target_archE908ELNS1_3gpuE7ELNS1_3repE0EEENS1_30default_config_static_selectorELNS0_4arch9wavefront6targetE1EEEvT1_
		.amdhsa_group_segment_fixed_size 0
		.amdhsa_private_segment_fixed_size 0
		.amdhsa_kernarg_size 112
		.amdhsa_user_sgpr_count 6
		.amdhsa_user_sgpr_private_segment_buffer 1
		.amdhsa_user_sgpr_dispatch_ptr 0
		.amdhsa_user_sgpr_queue_ptr 0
		.amdhsa_user_sgpr_kernarg_segment_ptr 1
		.amdhsa_user_sgpr_dispatch_id 0
		.amdhsa_user_sgpr_flat_scratch_init 0
		.amdhsa_user_sgpr_private_segment_size 0
		.amdhsa_uses_dynamic_stack 0
		.amdhsa_system_sgpr_private_segment_wavefront_offset 0
		.amdhsa_system_sgpr_workgroup_id_x 1
		.amdhsa_system_sgpr_workgroup_id_y 0
		.amdhsa_system_sgpr_workgroup_id_z 0
		.amdhsa_system_sgpr_workgroup_info 0
		.amdhsa_system_vgpr_workitem_id 0
		.amdhsa_next_free_vgpr 1
		.amdhsa_next_free_sgpr 0
		.amdhsa_reserve_vcc 0
		.amdhsa_reserve_flat_scratch 0
		.amdhsa_float_round_mode_32 0
		.amdhsa_float_round_mode_16_64 0
		.amdhsa_float_denorm_mode_32 3
		.amdhsa_float_denorm_mode_16_64 3
		.amdhsa_dx10_clamp 1
		.amdhsa_ieee_mode 1
		.amdhsa_fp16_overflow 0
		.amdhsa_exception_fp_ieee_invalid_op 0
		.amdhsa_exception_fp_denorm_src 0
		.amdhsa_exception_fp_ieee_div_zero 0
		.amdhsa_exception_fp_ieee_overflow 0
		.amdhsa_exception_fp_ieee_underflow 0
		.amdhsa_exception_fp_ieee_inexact 0
		.amdhsa_exception_int_div_zero 0
	.end_amdhsa_kernel
	.section	.text._ZN7rocprim17ROCPRIM_400000_NS6detail17trampoline_kernelINS0_14default_configENS1_25partition_config_selectorILNS1_17partition_subalgoE8EyNS0_10empty_typeEbEEZZNS1_14partition_implILS5_8ELb0ES3_jN6thrust23THRUST_200600_302600_NS6detail15normal_iteratorINSA_10device_ptrIyEEEEPS6_PKS6_NS0_5tupleIJSF_S6_EEENSJ_IJSG_SG_EEENS0_18inequality_wrapperINSA_8equal_toIyEEEEPmJS6_EEE10hipError_tPvRmT3_T4_T5_T6_T7_T9_mT8_P12ihipStream_tbDpT10_ENKUlT_T0_E_clISt17integral_constantIbLb0EES1A_EEDaS15_S16_EUlS15_E_NS1_11comp_targetILNS1_3genE3ELNS1_11target_archE908ELNS1_3gpuE7ELNS1_3repE0EEENS1_30default_config_static_selectorELNS0_4arch9wavefront6targetE1EEEvT1_,"axG",@progbits,_ZN7rocprim17ROCPRIM_400000_NS6detail17trampoline_kernelINS0_14default_configENS1_25partition_config_selectorILNS1_17partition_subalgoE8EyNS0_10empty_typeEbEEZZNS1_14partition_implILS5_8ELb0ES3_jN6thrust23THRUST_200600_302600_NS6detail15normal_iteratorINSA_10device_ptrIyEEEEPS6_PKS6_NS0_5tupleIJSF_S6_EEENSJ_IJSG_SG_EEENS0_18inequality_wrapperINSA_8equal_toIyEEEEPmJS6_EEE10hipError_tPvRmT3_T4_T5_T6_T7_T9_mT8_P12ihipStream_tbDpT10_ENKUlT_T0_E_clISt17integral_constantIbLb0EES1A_EEDaS15_S16_EUlS15_E_NS1_11comp_targetILNS1_3genE3ELNS1_11target_archE908ELNS1_3gpuE7ELNS1_3repE0EEENS1_30default_config_static_selectorELNS0_4arch9wavefront6targetE1EEEvT1_,comdat
.Lfunc_end148:
	.size	_ZN7rocprim17ROCPRIM_400000_NS6detail17trampoline_kernelINS0_14default_configENS1_25partition_config_selectorILNS1_17partition_subalgoE8EyNS0_10empty_typeEbEEZZNS1_14partition_implILS5_8ELb0ES3_jN6thrust23THRUST_200600_302600_NS6detail15normal_iteratorINSA_10device_ptrIyEEEEPS6_PKS6_NS0_5tupleIJSF_S6_EEENSJ_IJSG_SG_EEENS0_18inequality_wrapperINSA_8equal_toIyEEEEPmJS6_EEE10hipError_tPvRmT3_T4_T5_T6_T7_T9_mT8_P12ihipStream_tbDpT10_ENKUlT_T0_E_clISt17integral_constantIbLb0EES1A_EEDaS15_S16_EUlS15_E_NS1_11comp_targetILNS1_3genE3ELNS1_11target_archE908ELNS1_3gpuE7ELNS1_3repE0EEENS1_30default_config_static_selectorELNS0_4arch9wavefront6targetE1EEEvT1_, .Lfunc_end148-_ZN7rocprim17ROCPRIM_400000_NS6detail17trampoline_kernelINS0_14default_configENS1_25partition_config_selectorILNS1_17partition_subalgoE8EyNS0_10empty_typeEbEEZZNS1_14partition_implILS5_8ELb0ES3_jN6thrust23THRUST_200600_302600_NS6detail15normal_iteratorINSA_10device_ptrIyEEEEPS6_PKS6_NS0_5tupleIJSF_S6_EEENSJ_IJSG_SG_EEENS0_18inequality_wrapperINSA_8equal_toIyEEEEPmJS6_EEE10hipError_tPvRmT3_T4_T5_T6_T7_T9_mT8_P12ihipStream_tbDpT10_ENKUlT_T0_E_clISt17integral_constantIbLb0EES1A_EEDaS15_S16_EUlS15_E_NS1_11comp_targetILNS1_3genE3ELNS1_11target_archE908ELNS1_3gpuE7ELNS1_3repE0EEENS1_30default_config_static_selectorELNS0_4arch9wavefront6targetE1EEEvT1_
                                        ; -- End function
	.set _ZN7rocprim17ROCPRIM_400000_NS6detail17trampoline_kernelINS0_14default_configENS1_25partition_config_selectorILNS1_17partition_subalgoE8EyNS0_10empty_typeEbEEZZNS1_14partition_implILS5_8ELb0ES3_jN6thrust23THRUST_200600_302600_NS6detail15normal_iteratorINSA_10device_ptrIyEEEEPS6_PKS6_NS0_5tupleIJSF_S6_EEENSJ_IJSG_SG_EEENS0_18inequality_wrapperINSA_8equal_toIyEEEEPmJS6_EEE10hipError_tPvRmT3_T4_T5_T6_T7_T9_mT8_P12ihipStream_tbDpT10_ENKUlT_T0_E_clISt17integral_constantIbLb0EES1A_EEDaS15_S16_EUlS15_E_NS1_11comp_targetILNS1_3genE3ELNS1_11target_archE908ELNS1_3gpuE7ELNS1_3repE0EEENS1_30default_config_static_selectorELNS0_4arch9wavefront6targetE1EEEvT1_.num_vgpr, 0
	.set _ZN7rocprim17ROCPRIM_400000_NS6detail17trampoline_kernelINS0_14default_configENS1_25partition_config_selectorILNS1_17partition_subalgoE8EyNS0_10empty_typeEbEEZZNS1_14partition_implILS5_8ELb0ES3_jN6thrust23THRUST_200600_302600_NS6detail15normal_iteratorINSA_10device_ptrIyEEEEPS6_PKS6_NS0_5tupleIJSF_S6_EEENSJ_IJSG_SG_EEENS0_18inequality_wrapperINSA_8equal_toIyEEEEPmJS6_EEE10hipError_tPvRmT3_T4_T5_T6_T7_T9_mT8_P12ihipStream_tbDpT10_ENKUlT_T0_E_clISt17integral_constantIbLb0EES1A_EEDaS15_S16_EUlS15_E_NS1_11comp_targetILNS1_3genE3ELNS1_11target_archE908ELNS1_3gpuE7ELNS1_3repE0EEENS1_30default_config_static_selectorELNS0_4arch9wavefront6targetE1EEEvT1_.num_agpr, 0
	.set _ZN7rocprim17ROCPRIM_400000_NS6detail17trampoline_kernelINS0_14default_configENS1_25partition_config_selectorILNS1_17partition_subalgoE8EyNS0_10empty_typeEbEEZZNS1_14partition_implILS5_8ELb0ES3_jN6thrust23THRUST_200600_302600_NS6detail15normal_iteratorINSA_10device_ptrIyEEEEPS6_PKS6_NS0_5tupleIJSF_S6_EEENSJ_IJSG_SG_EEENS0_18inequality_wrapperINSA_8equal_toIyEEEEPmJS6_EEE10hipError_tPvRmT3_T4_T5_T6_T7_T9_mT8_P12ihipStream_tbDpT10_ENKUlT_T0_E_clISt17integral_constantIbLb0EES1A_EEDaS15_S16_EUlS15_E_NS1_11comp_targetILNS1_3genE3ELNS1_11target_archE908ELNS1_3gpuE7ELNS1_3repE0EEENS1_30default_config_static_selectorELNS0_4arch9wavefront6targetE1EEEvT1_.numbered_sgpr, 0
	.set _ZN7rocprim17ROCPRIM_400000_NS6detail17trampoline_kernelINS0_14default_configENS1_25partition_config_selectorILNS1_17partition_subalgoE8EyNS0_10empty_typeEbEEZZNS1_14partition_implILS5_8ELb0ES3_jN6thrust23THRUST_200600_302600_NS6detail15normal_iteratorINSA_10device_ptrIyEEEEPS6_PKS6_NS0_5tupleIJSF_S6_EEENSJ_IJSG_SG_EEENS0_18inequality_wrapperINSA_8equal_toIyEEEEPmJS6_EEE10hipError_tPvRmT3_T4_T5_T6_T7_T9_mT8_P12ihipStream_tbDpT10_ENKUlT_T0_E_clISt17integral_constantIbLb0EES1A_EEDaS15_S16_EUlS15_E_NS1_11comp_targetILNS1_3genE3ELNS1_11target_archE908ELNS1_3gpuE7ELNS1_3repE0EEENS1_30default_config_static_selectorELNS0_4arch9wavefront6targetE1EEEvT1_.num_named_barrier, 0
	.set _ZN7rocprim17ROCPRIM_400000_NS6detail17trampoline_kernelINS0_14default_configENS1_25partition_config_selectorILNS1_17partition_subalgoE8EyNS0_10empty_typeEbEEZZNS1_14partition_implILS5_8ELb0ES3_jN6thrust23THRUST_200600_302600_NS6detail15normal_iteratorINSA_10device_ptrIyEEEEPS6_PKS6_NS0_5tupleIJSF_S6_EEENSJ_IJSG_SG_EEENS0_18inequality_wrapperINSA_8equal_toIyEEEEPmJS6_EEE10hipError_tPvRmT3_T4_T5_T6_T7_T9_mT8_P12ihipStream_tbDpT10_ENKUlT_T0_E_clISt17integral_constantIbLb0EES1A_EEDaS15_S16_EUlS15_E_NS1_11comp_targetILNS1_3genE3ELNS1_11target_archE908ELNS1_3gpuE7ELNS1_3repE0EEENS1_30default_config_static_selectorELNS0_4arch9wavefront6targetE1EEEvT1_.private_seg_size, 0
	.set _ZN7rocprim17ROCPRIM_400000_NS6detail17trampoline_kernelINS0_14default_configENS1_25partition_config_selectorILNS1_17partition_subalgoE8EyNS0_10empty_typeEbEEZZNS1_14partition_implILS5_8ELb0ES3_jN6thrust23THRUST_200600_302600_NS6detail15normal_iteratorINSA_10device_ptrIyEEEEPS6_PKS6_NS0_5tupleIJSF_S6_EEENSJ_IJSG_SG_EEENS0_18inequality_wrapperINSA_8equal_toIyEEEEPmJS6_EEE10hipError_tPvRmT3_T4_T5_T6_T7_T9_mT8_P12ihipStream_tbDpT10_ENKUlT_T0_E_clISt17integral_constantIbLb0EES1A_EEDaS15_S16_EUlS15_E_NS1_11comp_targetILNS1_3genE3ELNS1_11target_archE908ELNS1_3gpuE7ELNS1_3repE0EEENS1_30default_config_static_selectorELNS0_4arch9wavefront6targetE1EEEvT1_.uses_vcc, 0
	.set _ZN7rocprim17ROCPRIM_400000_NS6detail17trampoline_kernelINS0_14default_configENS1_25partition_config_selectorILNS1_17partition_subalgoE8EyNS0_10empty_typeEbEEZZNS1_14partition_implILS5_8ELb0ES3_jN6thrust23THRUST_200600_302600_NS6detail15normal_iteratorINSA_10device_ptrIyEEEEPS6_PKS6_NS0_5tupleIJSF_S6_EEENSJ_IJSG_SG_EEENS0_18inequality_wrapperINSA_8equal_toIyEEEEPmJS6_EEE10hipError_tPvRmT3_T4_T5_T6_T7_T9_mT8_P12ihipStream_tbDpT10_ENKUlT_T0_E_clISt17integral_constantIbLb0EES1A_EEDaS15_S16_EUlS15_E_NS1_11comp_targetILNS1_3genE3ELNS1_11target_archE908ELNS1_3gpuE7ELNS1_3repE0EEENS1_30default_config_static_selectorELNS0_4arch9wavefront6targetE1EEEvT1_.uses_flat_scratch, 0
	.set _ZN7rocprim17ROCPRIM_400000_NS6detail17trampoline_kernelINS0_14default_configENS1_25partition_config_selectorILNS1_17partition_subalgoE8EyNS0_10empty_typeEbEEZZNS1_14partition_implILS5_8ELb0ES3_jN6thrust23THRUST_200600_302600_NS6detail15normal_iteratorINSA_10device_ptrIyEEEEPS6_PKS6_NS0_5tupleIJSF_S6_EEENSJ_IJSG_SG_EEENS0_18inequality_wrapperINSA_8equal_toIyEEEEPmJS6_EEE10hipError_tPvRmT3_T4_T5_T6_T7_T9_mT8_P12ihipStream_tbDpT10_ENKUlT_T0_E_clISt17integral_constantIbLb0EES1A_EEDaS15_S16_EUlS15_E_NS1_11comp_targetILNS1_3genE3ELNS1_11target_archE908ELNS1_3gpuE7ELNS1_3repE0EEENS1_30default_config_static_selectorELNS0_4arch9wavefront6targetE1EEEvT1_.has_dyn_sized_stack, 0
	.set _ZN7rocprim17ROCPRIM_400000_NS6detail17trampoline_kernelINS0_14default_configENS1_25partition_config_selectorILNS1_17partition_subalgoE8EyNS0_10empty_typeEbEEZZNS1_14partition_implILS5_8ELb0ES3_jN6thrust23THRUST_200600_302600_NS6detail15normal_iteratorINSA_10device_ptrIyEEEEPS6_PKS6_NS0_5tupleIJSF_S6_EEENSJ_IJSG_SG_EEENS0_18inequality_wrapperINSA_8equal_toIyEEEEPmJS6_EEE10hipError_tPvRmT3_T4_T5_T6_T7_T9_mT8_P12ihipStream_tbDpT10_ENKUlT_T0_E_clISt17integral_constantIbLb0EES1A_EEDaS15_S16_EUlS15_E_NS1_11comp_targetILNS1_3genE3ELNS1_11target_archE908ELNS1_3gpuE7ELNS1_3repE0EEENS1_30default_config_static_selectorELNS0_4arch9wavefront6targetE1EEEvT1_.has_recursion, 0
	.set _ZN7rocprim17ROCPRIM_400000_NS6detail17trampoline_kernelINS0_14default_configENS1_25partition_config_selectorILNS1_17partition_subalgoE8EyNS0_10empty_typeEbEEZZNS1_14partition_implILS5_8ELb0ES3_jN6thrust23THRUST_200600_302600_NS6detail15normal_iteratorINSA_10device_ptrIyEEEEPS6_PKS6_NS0_5tupleIJSF_S6_EEENSJ_IJSG_SG_EEENS0_18inequality_wrapperINSA_8equal_toIyEEEEPmJS6_EEE10hipError_tPvRmT3_T4_T5_T6_T7_T9_mT8_P12ihipStream_tbDpT10_ENKUlT_T0_E_clISt17integral_constantIbLb0EES1A_EEDaS15_S16_EUlS15_E_NS1_11comp_targetILNS1_3genE3ELNS1_11target_archE908ELNS1_3gpuE7ELNS1_3repE0EEENS1_30default_config_static_selectorELNS0_4arch9wavefront6targetE1EEEvT1_.has_indirect_call, 0
	.section	.AMDGPU.csdata,"",@progbits
; Kernel info:
; codeLenInByte = 0
; TotalNumSgprs: 4
; NumVgprs: 0
; ScratchSize: 0
; MemoryBound: 0
; FloatMode: 240
; IeeeMode: 1
; LDSByteSize: 0 bytes/workgroup (compile time only)
; SGPRBlocks: 0
; VGPRBlocks: 0
; NumSGPRsForWavesPerEU: 4
; NumVGPRsForWavesPerEU: 1
; Occupancy: 10
; WaveLimiterHint : 0
; COMPUTE_PGM_RSRC2:SCRATCH_EN: 0
; COMPUTE_PGM_RSRC2:USER_SGPR: 6
; COMPUTE_PGM_RSRC2:TRAP_HANDLER: 0
; COMPUTE_PGM_RSRC2:TGID_X_EN: 1
; COMPUTE_PGM_RSRC2:TGID_Y_EN: 0
; COMPUTE_PGM_RSRC2:TGID_Z_EN: 0
; COMPUTE_PGM_RSRC2:TIDIG_COMP_CNT: 0
	.section	.text._ZN7rocprim17ROCPRIM_400000_NS6detail17trampoline_kernelINS0_14default_configENS1_25partition_config_selectorILNS1_17partition_subalgoE8EyNS0_10empty_typeEbEEZZNS1_14partition_implILS5_8ELb0ES3_jN6thrust23THRUST_200600_302600_NS6detail15normal_iteratorINSA_10device_ptrIyEEEEPS6_PKS6_NS0_5tupleIJSF_S6_EEENSJ_IJSG_SG_EEENS0_18inequality_wrapperINSA_8equal_toIyEEEEPmJS6_EEE10hipError_tPvRmT3_T4_T5_T6_T7_T9_mT8_P12ihipStream_tbDpT10_ENKUlT_T0_E_clISt17integral_constantIbLb0EES1A_EEDaS15_S16_EUlS15_E_NS1_11comp_targetILNS1_3genE2ELNS1_11target_archE906ELNS1_3gpuE6ELNS1_3repE0EEENS1_30default_config_static_selectorELNS0_4arch9wavefront6targetE1EEEvT1_,"axG",@progbits,_ZN7rocprim17ROCPRIM_400000_NS6detail17trampoline_kernelINS0_14default_configENS1_25partition_config_selectorILNS1_17partition_subalgoE8EyNS0_10empty_typeEbEEZZNS1_14partition_implILS5_8ELb0ES3_jN6thrust23THRUST_200600_302600_NS6detail15normal_iteratorINSA_10device_ptrIyEEEEPS6_PKS6_NS0_5tupleIJSF_S6_EEENSJ_IJSG_SG_EEENS0_18inequality_wrapperINSA_8equal_toIyEEEEPmJS6_EEE10hipError_tPvRmT3_T4_T5_T6_T7_T9_mT8_P12ihipStream_tbDpT10_ENKUlT_T0_E_clISt17integral_constantIbLb0EES1A_EEDaS15_S16_EUlS15_E_NS1_11comp_targetILNS1_3genE2ELNS1_11target_archE906ELNS1_3gpuE6ELNS1_3repE0EEENS1_30default_config_static_selectorELNS0_4arch9wavefront6targetE1EEEvT1_,comdat
	.protected	_ZN7rocprim17ROCPRIM_400000_NS6detail17trampoline_kernelINS0_14default_configENS1_25partition_config_selectorILNS1_17partition_subalgoE8EyNS0_10empty_typeEbEEZZNS1_14partition_implILS5_8ELb0ES3_jN6thrust23THRUST_200600_302600_NS6detail15normal_iteratorINSA_10device_ptrIyEEEEPS6_PKS6_NS0_5tupleIJSF_S6_EEENSJ_IJSG_SG_EEENS0_18inequality_wrapperINSA_8equal_toIyEEEEPmJS6_EEE10hipError_tPvRmT3_T4_T5_T6_T7_T9_mT8_P12ihipStream_tbDpT10_ENKUlT_T0_E_clISt17integral_constantIbLb0EES1A_EEDaS15_S16_EUlS15_E_NS1_11comp_targetILNS1_3genE2ELNS1_11target_archE906ELNS1_3gpuE6ELNS1_3repE0EEENS1_30default_config_static_selectorELNS0_4arch9wavefront6targetE1EEEvT1_ ; -- Begin function _ZN7rocprim17ROCPRIM_400000_NS6detail17trampoline_kernelINS0_14default_configENS1_25partition_config_selectorILNS1_17partition_subalgoE8EyNS0_10empty_typeEbEEZZNS1_14partition_implILS5_8ELb0ES3_jN6thrust23THRUST_200600_302600_NS6detail15normal_iteratorINSA_10device_ptrIyEEEEPS6_PKS6_NS0_5tupleIJSF_S6_EEENSJ_IJSG_SG_EEENS0_18inequality_wrapperINSA_8equal_toIyEEEEPmJS6_EEE10hipError_tPvRmT3_T4_T5_T6_T7_T9_mT8_P12ihipStream_tbDpT10_ENKUlT_T0_E_clISt17integral_constantIbLb0EES1A_EEDaS15_S16_EUlS15_E_NS1_11comp_targetILNS1_3genE2ELNS1_11target_archE906ELNS1_3gpuE6ELNS1_3repE0EEENS1_30default_config_static_selectorELNS0_4arch9wavefront6targetE1EEEvT1_
	.globl	_ZN7rocprim17ROCPRIM_400000_NS6detail17trampoline_kernelINS0_14default_configENS1_25partition_config_selectorILNS1_17partition_subalgoE8EyNS0_10empty_typeEbEEZZNS1_14partition_implILS5_8ELb0ES3_jN6thrust23THRUST_200600_302600_NS6detail15normal_iteratorINSA_10device_ptrIyEEEEPS6_PKS6_NS0_5tupleIJSF_S6_EEENSJ_IJSG_SG_EEENS0_18inequality_wrapperINSA_8equal_toIyEEEEPmJS6_EEE10hipError_tPvRmT3_T4_T5_T6_T7_T9_mT8_P12ihipStream_tbDpT10_ENKUlT_T0_E_clISt17integral_constantIbLb0EES1A_EEDaS15_S16_EUlS15_E_NS1_11comp_targetILNS1_3genE2ELNS1_11target_archE906ELNS1_3gpuE6ELNS1_3repE0EEENS1_30default_config_static_selectorELNS0_4arch9wavefront6targetE1EEEvT1_
	.p2align	8
	.type	_ZN7rocprim17ROCPRIM_400000_NS6detail17trampoline_kernelINS0_14default_configENS1_25partition_config_selectorILNS1_17partition_subalgoE8EyNS0_10empty_typeEbEEZZNS1_14partition_implILS5_8ELb0ES3_jN6thrust23THRUST_200600_302600_NS6detail15normal_iteratorINSA_10device_ptrIyEEEEPS6_PKS6_NS0_5tupleIJSF_S6_EEENSJ_IJSG_SG_EEENS0_18inequality_wrapperINSA_8equal_toIyEEEEPmJS6_EEE10hipError_tPvRmT3_T4_T5_T6_T7_T9_mT8_P12ihipStream_tbDpT10_ENKUlT_T0_E_clISt17integral_constantIbLb0EES1A_EEDaS15_S16_EUlS15_E_NS1_11comp_targetILNS1_3genE2ELNS1_11target_archE906ELNS1_3gpuE6ELNS1_3repE0EEENS1_30default_config_static_selectorELNS0_4arch9wavefront6targetE1EEEvT1_,@function
_ZN7rocprim17ROCPRIM_400000_NS6detail17trampoline_kernelINS0_14default_configENS1_25partition_config_selectorILNS1_17partition_subalgoE8EyNS0_10empty_typeEbEEZZNS1_14partition_implILS5_8ELb0ES3_jN6thrust23THRUST_200600_302600_NS6detail15normal_iteratorINSA_10device_ptrIyEEEEPS6_PKS6_NS0_5tupleIJSF_S6_EEENSJ_IJSG_SG_EEENS0_18inequality_wrapperINSA_8equal_toIyEEEEPmJS6_EEE10hipError_tPvRmT3_T4_T5_T6_T7_T9_mT8_P12ihipStream_tbDpT10_ENKUlT_T0_E_clISt17integral_constantIbLb0EES1A_EEDaS15_S16_EUlS15_E_NS1_11comp_targetILNS1_3genE2ELNS1_11target_archE906ELNS1_3gpuE6ELNS1_3repE0EEENS1_30default_config_static_selectorELNS0_4arch9wavefront6targetE1EEEvT1_: ; @_ZN7rocprim17ROCPRIM_400000_NS6detail17trampoline_kernelINS0_14default_configENS1_25partition_config_selectorILNS1_17partition_subalgoE8EyNS0_10empty_typeEbEEZZNS1_14partition_implILS5_8ELb0ES3_jN6thrust23THRUST_200600_302600_NS6detail15normal_iteratorINSA_10device_ptrIyEEEEPS6_PKS6_NS0_5tupleIJSF_S6_EEENSJ_IJSG_SG_EEENS0_18inequality_wrapperINSA_8equal_toIyEEEEPmJS6_EEE10hipError_tPvRmT3_T4_T5_T6_T7_T9_mT8_P12ihipStream_tbDpT10_ENKUlT_T0_E_clISt17integral_constantIbLb0EES1A_EEDaS15_S16_EUlS15_E_NS1_11comp_targetILNS1_3genE2ELNS1_11target_archE906ELNS1_3gpuE6ELNS1_3repE0EEENS1_30default_config_static_selectorELNS0_4arch9wavefront6targetE1EEEvT1_
; %bb.0:
	s_load_dwordx4 s[0:3], s[4:5], 0x8
	s_load_dwordx4 s[24:27], s[4:5], 0x40
	s_load_dwordx2 s[8:9], s[4:5], 0x50
	s_load_dword s7, s[4:5], 0x68
	v_lshlrev_b32_e32 v31, 3, v0
	s_waitcnt lgkmcnt(0)
	s_lshl_b64 s[10:11], s[2:3], 3
	s_add_u32 s12, s0, s10
	s_addc_u32 s13, s1, s11
	s_mul_i32 s0, s7, 0x700
	s_add_i32 s1, s0, s2
	s_add_i32 s14, s7, -1
	s_sub_i32 s7, s8, s1
	s_add_u32 s0, s2, s0
	s_addc_u32 s1, s3, 0
	v_mov_b32_e32 v2, s1
	v_mov_b32_e32 v1, s0
	v_cmp_le_u64_e32 vcc, s[8:9], v[1:2]
	s_cmp_eq_u32 s6, s14
	s_load_dwordx2 s[22:23], s[26:27], 0x0
	s_cselect_b64 s[26:27], -1, 0
	s_mul_i32 s10, s6, 0x700
	s_mov_b32 s11, 0
	s_and_b64 s[16:17], s[26:27], vcc
	s_xor_b64 s[28:29], s[16:17], -1
	s_lshl_b64 s[8:9], s[10:11], 3
	s_add_u32 s8, s12, s8
	s_mov_b64 s[0:1], -1
	s_addc_u32 s9, s13, s9
	s_and_b64 vcc, exec, s[28:29]
	s_cbranch_vccz .LBB149_2
; %bb.1:
	v_lshlrev_b32_e32 v19, 3, v0
	v_mov_b32_e32 v2, s9
	v_add_co_u32_e32 v1, vcc, s8, v19
	v_addc_co_u32_e32 v2, vcc, 0, v2, vcc
	v_add_co_u32_e32 v3, vcc, 0x1000, v1
	v_addc_co_u32_e32 v4, vcc, 0, v2, vcc
	flat_load_dwordx2 v[5:6], v[1:2]
	flat_load_dwordx2 v[7:8], v[1:2] offset:2048
	flat_load_dwordx2 v[9:10], v[3:4]
	flat_load_dwordx2 v[11:12], v[3:4] offset:2048
	v_add_co_u32_e32 v3, vcc, 0x2000, v1
	v_addc_co_u32_e32 v4, vcc, 0, v2, vcc
	v_add_co_u32_e32 v1, vcc, 0x3000, v1
	v_addc_co_u32_e32 v2, vcc, 0, v2, vcc
	flat_load_dwordx2 v[13:14], v[3:4]
	flat_load_dwordx2 v[15:16], v[3:4] offset:2048
	flat_load_dwordx2 v[17:18], v[1:2]
	s_mov_b64 s[0:1], 0
	s_waitcnt vmcnt(0) lgkmcnt(0)
	ds_write2st64_b64 v19, v[5:6], v[7:8] offset1:4
	ds_write2st64_b64 v19, v[9:10], v[11:12] offset0:8 offset1:12
	ds_write2st64_b64 v19, v[13:14], v[15:16] offset0:16 offset1:20
	ds_write_b64 v19, v[17:18] offset:12288
	s_waitcnt lgkmcnt(0)
	s_barrier
.LBB149_2:
	s_andn2_b64 vcc, exec, s[0:1]
	s_addk_i32 s7, 0x700
	s_cbranch_vccnz .LBB149_18
; %bb.3:
	v_mov_b32_e32 v1, 0
	v_cmp_gt_u32_e32 vcc, s7, v0
	v_mov_b32_e32 v2, v1
	v_mov_b32_e32 v3, v1
	;; [unrolled: 1-line block ×13, first 2 shown]
	s_and_saveexec_b64 s[0:1], vcc
	s_cbranch_execz .LBB149_5
; %bb.4:
	v_lshlrev_b32_e32 v2, 3, v0
	v_mov_b32_e32 v3, s9
	v_add_co_u32_e32 v2, vcc, s8, v2
	v_addc_co_u32_e32 v3, vcc, 0, v3, vcc
	flat_load_dwordx2 v[2:3], v[2:3]
	v_mov_b32_e32 v4, v1
	v_mov_b32_e32 v5, v1
	v_mov_b32_e32 v6, v1
	v_mov_b32_e32 v7, v1
	v_mov_b32_e32 v8, v1
	v_mov_b32_e32 v9, v1
	v_mov_b32_e32 v10, v1
	v_mov_b32_e32 v11, v1
	v_mov_b32_e32 v12, v1
	v_mov_b32_e32 v13, v1
	v_mov_b32_e32 v14, v1
	v_mov_b32_e32 v15, v1
	s_waitcnt vmcnt(0) lgkmcnt(0)
	v_mov_b32_e32 v1, v2
	v_mov_b32_e32 v2, v3
	;; [unrolled: 1-line block ×16, first 2 shown]
.LBB149_5:
	s_or_b64 exec, exec, s[0:1]
	v_or_b32_e32 v15, 0x100, v0
	v_cmp_gt_u32_e32 vcc, s7, v15
	s_and_saveexec_b64 s[0:1], vcc
	s_cbranch_execz .LBB149_7
; %bb.6:
	v_lshlrev_b32_e32 v3, 3, v0
	v_mov_b32_e32 v4, s9
	v_add_co_u32_e32 v3, vcc, s8, v3
	v_addc_co_u32_e32 v4, vcc, 0, v4, vcc
	flat_load_dwordx2 v[3:4], v[3:4] offset:2048
.LBB149_7:
	s_or_b64 exec, exec, s[0:1]
	v_or_b32_e32 v15, 0x200, v0
	v_cmp_gt_u32_e32 vcc, s7, v15
	s_and_saveexec_b64 s[0:1], vcc
	s_cbranch_execz .LBB149_9
; %bb.8:
	v_lshlrev_b32_e32 v5, 3, v15
	v_mov_b32_e32 v6, s9
	v_add_co_u32_e32 v5, vcc, s8, v5
	v_addc_co_u32_e32 v6, vcc, 0, v6, vcc
	flat_load_dwordx2 v[5:6], v[5:6]
.LBB149_9:
	s_or_b64 exec, exec, s[0:1]
	v_or_b32_e32 v15, 0x300, v0
	v_cmp_gt_u32_e32 vcc, s7, v15
	s_and_saveexec_b64 s[0:1], vcc
	s_cbranch_execz .LBB149_11
; %bb.10:
	v_lshlrev_b32_e32 v7, 3, v15
	v_mov_b32_e32 v8, s9
	v_add_co_u32_e32 v7, vcc, s8, v7
	v_addc_co_u32_e32 v8, vcc, 0, v8, vcc
	flat_load_dwordx2 v[7:8], v[7:8]
.LBB149_11:
	;; [unrolled: 12-line block ×5, first 2 shown]
	s_or_b64 exec, exec, s[0:1]
	v_lshlrev_b32_e32 v15, 3, v0
	s_waitcnt vmcnt(0) lgkmcnt(0)
	ds_write2st64_b64 v15, v[1:2], v[3:4] offset1:4
	ds_write2st64_b64 v15, v[5:6], v[7:8] offset0:8 offset1:12
	ds_write2st64_b64 v15, v[9:10], v[11:12] offset0:16 offset1:20
	ds_write_b64 v15, v[13:14] offset:12288
	s_waitcnt lgkmcnt(0)
	s_barrier
.LBB149_18:
	v_mul_u32_u24_e32 v19, 7, v0
	v_lshlrev_b32_e32 v20, 3, v19
	s_waitcnt lgkmcnt(0)
	ds_read2_b64 v[9:12], v20 offset1:1
	ds_read2_b64 v[5:8], v20 offset0:2 offset1:3
	ds_read2_b64 v[1:4], v20 offset0:4 offset1:5
	ds_read_b64 v[13:14], v20 offset:48
	s_cmp_lg_u32 s6, 0
	s_cselect_b64 s[20:21], -1, 0
	s_cmp_lg_u64 s[2:3], 0
	s_cselect_b64 s[0:1], -1, 0
	s_or_b64 s[0:1], s[20:21], s[0:1]
	s_mov_b64 s[18:19], 0
	s_and_b64 vcc, exec, s[0:1]
	s_waitcnt lgkmcnt(0)
	s_barrier
	s_cbranch_vccz .LBB149_23
; %bb.19:
	v_mov_b32_e32 v16, s9
	v_add_co_u32_e64 v15, vcc, -8, s8
	v_addc_co_u32_e32 v16, vcc, -1, v16, vcc
	flat_load_dwordx2 v[15:16], v[15:16]
	v_lshlrev_b32_e32 v21, 3, v0
	s_and_b64 vcc, exec, s[28:29]
	ds_write_b64 v21, v[13:14]
	s_cbranch_vccz .LBB149_24
; %bb.20:
	s_waitcnt vmcnt(0) lgkmcnt(0)
	v_mov_b32_e32 v18, v16
	v_cmp_ne_u32_e32 vcc, 0, v0
	v_mov_b32_e32 v17, v15
	s_barrier
	s_and_saveexec_b64 s[0:1], vcc
; %bb.21:
	v_add_u32_e32 v17, -8, v21
	ds_read_b64 v[17:18], v17
; %bb.22:
	s_or_b64 exec, exec, s[0:1]
	v_cmp_ne_u64_e32 vcc, v[3:4], v[13:14]
	s_waitcnt lgkmcnt(0)
	v_cmp_ne_u64_e64 s[30:31], v[17:18], v[9:10]
	v_cndmask_b32_e64 v32, 0, 1, vcc
	v_cmp_ne_u64_e32 vcc, v[1:2], v[3:4]
	v_cndmask_b32_e64 v33, 0, 1, vcc
	v_cmp_ne_u64_e32 vcc, v[7:8], v[1:2]
	;; [unrolled: 2-line block ×5, first 2 shown]
	v_cndmask_b32_e64 v37, 0, 1, vcc
	s_branch .LBB149_28
.LBB149_23:
                                        ; implicit-def: $sgpr30_sgpr31
                                        ; implicit-def: $vgpr32
                                        ; implicit-def: $vgpr33
                                        ; implicit-def: $vgpr34
                                        ; implicit-def: $vgpr35
                                        ; implicit-def: $vgpr36
                                        ; implicit-def: $vgpr37
	s_branch .LBB149_29
.LBB149_24:
                                        ; implicit-def: $sgpr30_sgpr31
                                        ; implicit-def: $vgpr32
                                        ; implicit-def: $vgpr33
                                        ; implicit-def: $vgpr34
                                        ; implicit-def: $vgpr35
                                        ; implicit-def: $vgpr36
                                        ; implicit-def: $vgpr37
	s_cbranch_execz .LBB149_28
; %bb.25:
	v_cmp_ne_u32_e32 vcc, 0, v0
	s_waitcnt vmcnt(0) lgkmcnt(0)
	s_barrier
	s_and_saveexec_b64 s[0:1], vcc
; %bb.26:
	v_add_u32_e32 v15, -8, v21
	ds_read_b64 v[15:16], v15
; %bb.27:
	s_or_b64 exec, exec, s[0:1]
	v_add_u32_e32 v17, 6, v19
	v_cmp_ne_u64_e32 vcc, v[3:4], v[13:14]
	v_cmp_gt_u32_e64 s[0:1], s7, v17
	s_and_b64 s[0:1], s[0:1], vcc
	v_add_u32_e32 v17, 5, v19
	v_cmp_ne_u64_e32 vcc, v[1:2], v[3:4]
	v_cndmask_b32_e64 v32, 0, 1, s[0:1]
	v_cmp_gt_u32_e64 s[0:1], s7, v17
	s_and_b64 s[0:1], s[0:1], vcc
	v_add_u32_e32 v17, 4, v19
	v_cmp_ne_u64_e32 vcc, v[7:8], v[1:2]
	v_cndmask_b32_e64 v33, 0, 1, s[0:1]
	;; [unrolled: 5-line block ×5, first 2 shown]
	v_cmp_gt_u32_e64 s[0:1], s7, v17
	s_and_b64 s[0:1], s[0:1], vcc
	s_waitcnt lgkmcnt(0)
	v_cmp_ne_u64_e32 vcc, v[15:16], v[9:10]
	v_cndmask_b32_e64 v37, 0, 1, s[0:1]
	v_cmp_gt_u32_e64 s[0:1], s7, v19
	s_and_b64 s[30:31], s[0:1], vcc
.LBB149_28:
	s_mov_b64 s[18:19], -1
	s_cbranch_execnz .LBB149_37
.LBB149_29:
	s_movk_i32 s0, 0xffd0
	s_waitcnt vmcnt(0) lgkmcnt(0)
	v_mad_i32_i24 v15, v0, s0, v20
	v_cmp_ne_u64_e64 s[0:1], v[3:4], v[13:14]
	v_cmp_ne_u64_e64 s[2:3], v[1:2], v[3:4]
	;; [unrolled: 1-line block ×6, first 2 shown]
	s_and_b64 vcc, exec, s[28:29]
	ds_write_b64 v15, v[13:14]
	s_cbranch_vccz .LBB149_33
; %bb.30:
	v_cmp_ne_u32_e32 vcc, 0, v0
	s_waitcnt lgkmcnt(0)
	s_barrier
                                        ; implicit-def: $sgpr30_sgpr31
	s_and_saveexec_b64 s[34:35], vcc
	s_xor_b64 s[34:35], exec, s[34:35]
	s_cbranch_execz .LBB149_32
; %bb.31:
	v_add_u32_e32 v16, -8, v15
	ds_read_b64 v[16:17], v16
	s_or_b64 s[18:19], s[18:19], exec
	s_waitcnt lgkmcnt(0)
	v_cmp_ne_u64_e64 s[30:31], v[16:17], v[9:10]
.LBB149_32:
	s_or_b64 exec, exec, s[34:35]
	v_cndmask_b32_e64 v32, 0, 1, s[0:1]
	v_cndmask_b32_e64 v33, 0, 1, s[2:3]
	v_cndmask_b32_e64 v34, 0, 1, s[14:15]
	v_cndmask_b32_e64 v35, 0, 1, s[8:9]
	v_cndmask_b32_e64 v36, 0, 1, s[10:11]
	v_cndmask_b32_e64 v37, 0, 1, s[12:13]
	s_branch .LBB149_37
.LBB149_33:
                                        ; implicit-def: $sgpr30_sgpr31
                                        ; implicit-def: $vgpr32
                                        ; implicit-def: $vgpr33
                                        ; implicit-def: $vgpr34
                                        ; implicit-def: $vgpr35
                                        ; implicit-def: $vgpr36
                                        ; implicit-def: $vgpr37
	s_cbranch_execz .LBB149_37
; %bb.34:
	v_add_u32_e32 v16, 6, v19
	v_cmp_ne_u64_e32 vcc, v[3:4], v[13:14]
	v_cmp_gt_u32_e64 s[0:1], s7, v16
	s_and_b64 s[2:3], s[0:1], vcc
	v_add_u32_e32 v16, 5, v19
	v_cmp_ne_u64_e32 vcc, v[1:2], v[3:4]
	v_cmp_gt_u32_e64 s[0:1], s7, v16
	s_and_b64 s[8:9], s[0:1], vcc
	;; [unrolled: 4-line block ×6, first 2 shown]
	v_cmp_ne_u32_e32 vcc, 0, v0
	s_waitcnt lgkmcnt(0)
	s_barrier
                                        ; implicit-def: $sgpr30_sgpr31
	s_and_saveexec_b64 s[36:37], vcc
	s_cbranch_execz .LBB149_36
; %bb.35:
	v_add_u32_e32 v15, -8, v15
	ds_read_b64 v[15:16], v15
	v_cmp_gt_u32_e64 s[0:1], s7, v19
	s_or_b64 s[18:19], s[18:19], exec
	s_waitcnt lgkmcnt(0)
	v_cmp_ne_u64_e32 vcc, v[15:16], v[9:10]
	s_and_b64 s[30:31], s[0:1], vcc
.LBB149_36:
	s_or_b64 exec, exec, s[36:37]
	v_cndmask_b32_e64 v32, 0, 1, s[2:3]
	v_cndmask_b32_e64 v33, 0, 1, s[8:9]
	v_cndmask_b32_e64 v34, 0, 1, s[10:11]
	v_cndmask_b32_e64 v35, 0, 1, s[12:13]
	v_cndmask_b32_e64 v36, 0, 1, s[14:15]
	v_cndmask_b32_e64 v37, 0, 1, s[34:35]
.LBB149_37:
	v_mov_b32_e32 v26, 1
	s_and_saveexec_b64 s[0:1], s[18:19]
; %bb.38:
	v_cndmask_b32_e64 v26, 0, 1, s[30:31]
; %bb.39:
	s_or_b64 exec, exec, s[0:1]
	s_load_dwordx2 s[30:31], s[4:5], 0x60
	s_andn2_b64 vcc, exec, s[16:17]
	s_cbranch_vccnz .LBB149_41
; %bb.40:
	v_cmp_gt_u32_e32 vcc, s7, v19
	s_waitcnt vmcnt(0) lgkmcnt(0)
	v_add_u32_e32 v15, 1, v19
	v_cndmask_b32_e32 v26, 0, v26, vcc
	v_cmp_gt_u32_e32 vcc, s7, v15
	v_add_u32_e32 v15, 2, v19
	v_cndmask_b32_e32 v37, 0, v37, vcc
	v_cmp_gt_u32_e32 vcc, s7, v15
	;; [unrolled: 3-line block ×6, first 2 shown]
	v_cndmask_b32_e32 v32, 0, v32, vcc
.LBB149_41:
	v_and_b32_e32 v25, 0xffff, v26
	v_and_b32_e32 v27, 0xff, v37
	;; [unrolled: 1-line block ×5, first 2 shown]
	s_waitcnt vmcnt(0) lgkmcnt(0)
	v_add3_u32 v16, v27, v25, v28
	v_and_b32_e32 v39, 0xff, v33
	v_and_b32_e32 v15, 0xff, v32
	v_add3_u32 v16, v16, v30, v38
	v_add3_u32 v41, v16, v39, v15
	v_mbcnt_lo_u32_b32 v15, -1, 0
	v_mbcnt_hi_u32_b32 v29, -1, v15
	v_and_b32_e32 v15, 15, v29
	v_cmp_eq_u32_e64 s[14:15], 0, v15
	v_cmp_lt_u32_e64 s[12:13], 1, v15
	v_cmp_lt_u32_e64 s[10:11], 3, v15
	;; [unrolled: 1-line block ×3, first 2 shown]
	v_and_b32_e32 v15, 16, v29
	v_cmp_eq_u32_e64 s[18:19], 0, v15
	v_or_b32_e32 v15, 63, v0
	v_cmp_lt_u32_e64 s[0:1], 31, v29
	v_lshrrev_b32_e32 v40, 6, v0
	v_cmp_eq_u32_e64 s[2:3], v0, v15
	s_and_b64 vcc, exec, s[20:21]
	s_barrier
	s_cbranch_vccz .LBB149_63
; %bb.42:
	v_mov_b32_dpp v15, v41 row_shr:1 row_mask:0xf bank_mask:0xf
	v_cndmask_b32_e64 v15, v15, 0, s[14:15]
	v_add_u32_e32 v15, v15, v41
	s_nop 1
	v_mov_b32_dpp v16, v15 row_shr:2 row_mask:0xf bank_mask:0xf
	v_cndmask_b32_e64 v16, 0, v16, s[12:13]
	v_add_u32_e32 v15, v15, v16
	s_nop 1
	v_mov_b32_dpp v16, v15 row_shr:4 row_mask:0xf bank_mask:0xf
	v_cndmask_b32_e64 v16, 0, v16, s[10:11]
	v_add_u32_e32 v15, v15, v16
	s_nop 1
	v_mov_b32_dpp v16, v15 row_shr:8 row_mask:0xf bank_mask:0xf
	v_cndmask_b32_e64 v16, 0, v16, s[8:9]
	v_add_u32_e32 v15, v15, v16
	s_nop 1
	v_mov_b32_dpp v16, v15 row_bcast:15 row_mask:0xf bank_mask:0xf
	v_cndmask_b32_e64 v16, v16, 0, s[18:19]
	v_add_u32_e32 v15, v15, v16
	s_nop 1
	v_mov_b32_dpp v16, v15 row_bcast:31 row_mask:0xf bank_mask:0xf
	v_cndmask_b32_e64 v16, 0, v16, s[0:1]
	v_add_u32_e32 v15, v15, v16
	s_and_saveexec_b64 s[16:17], s[2:3]
; %bb.43:
	v_lshlrev_b32_e32 v16, 2, v40
	ds_write_b32 v16, v15
; %bb.44:
	s_or_b64 exec, exec, s[16:17]
	v_cmp_gt_u32_e32 vcc, 4, v0
	s_waitcnt lgkmcnt(0)
	s_barrier
	s_and_saveexec_b64 s[16:17], vcc
	s_cbranch_execz .LBB149_46
; %bb.45:
	v_lshlrev_b32_e32 v16, 2, v0
	ds_read_b32 v17, v16
	v_and_b32_e32 v18, 3, v29
	v_cmp_ne_u32_e32 vcc, 0, v18
	s_waitcnt lgkmcnt(0)
	v_mov_b32_dpp v19, v17 row_shr:1 row_mask:0xf bank_mask:0xf
	v_cndmask_b32_e32 v19, 0, v19, vcc
	v_add_u32_e32 v17, v19, v17
	v_cmp_lt_u32_e32 vcc, 1, v18
	s_nop 0
	v_mov_b32_dpp v19, v17 row_shr:2 row_mask:0xf bank_mask:0xf
	v_cndmask_b32_e32 v18, 0, v19, vcc
	v_add_u32_e32 v17, v17, v18
	ds_write_b32 v16, v17
.LBB149_46:
	s_or_b64 exec, exec, s[16:17]
	v_cmp_gt_u32_e32 vcc, 64, v0
	v_cmp_lt_u32_e64 s[16:17], 63, v0
	s_waitcnt lgkmcnt(0)
	s_barrier
                                        ; implicit-def: $vgpr42
	s_and_saveexec_b64 s[20:21], s[16:17]
	s_cbranch_execz .LBB149_48
; %bb.47:
	v_lshl_add_u32 v16, v40, 2, -4
	ds_read_b32 v42, v16
	s_waitcnt lgkmcnt(0)
	v_add_u32_e32 v15, v42, v15
.LBB149_48:
	s_or_b64 exec, exec, s[20:21]
	v_subrev_co_u32_e64 v16, s[16:17], 1, v29
	v_and_b32_e32 v17, 64, v29
	v_cmp_lt_i32_e64 s[20:21], v16, v17
	v_cndmask_b32_e64 v16, v16, v29, s[20:21]
	v_lshlrev_b32_e32 v16, 2, v16
	ds_bpermute_b32 v43, v16, v15
	s_and_saveexec_b64 s[20:21], vcc
	s_cbranch_execz .LBB149_68
; %bb.49:
	v_mov_b32_e32 v21, 0
	ds_read_b32 v15, v21 offset:12
	s_and_saveexec_b64 s[34:35], s[16:17]
	s_cbranch_execz .LBB149_51
; %bb.50:
	s_add_i32 s36, s6, 64
	s_mov_b32 s37, 0
	s_lshl_b64 s[36:37], s[36:37], 3
	s_add_u32 s36, s30, s36
	v_mov_b32_e32 v16, 1
	s_addc_u32 s37, s31, s37
	s_waitcnt lgkmcnt(0)
	global_store_dwordx2 v21, v[15:16], s[36:37]
.LBB149_51:
	s_or_b64 exec, exec, s[34:35]
	v_xad_u32 v17, v29, -1, s6
	v_add_u32_e32 v20, 64, v17
	v_lshlrev_b64 v[18:19], 3, v[20:21]
	v_mov_b32_e32 v16, s31
	v_add_co_u32_e32 v22, vcc, s30, v18
	v_addc_co_u32_e32 v23, vcc, v16, v19, vcc
	global_load_dwordx2 v[19:20], v[22:23], off glc
	s_waitcnt vmcnt(0)
	v_cmp_eq_u16_sdwa s[36:37], v20, v21 src0_sel:BYTE_0 src1_sel:DWORD
	s_and_saveexec_b64 s[34:35], s[36:37]
	s_cbranch_execz .LBB149_55
; %bb.52:
	s_mov_b64 s[36:37], 0
	v_mov_b32_e32 v16, 0
.LBB149_53:                             ; =>This Inner Loop Header: Depth=1
	global_load_dwordx2 v[19:20], v[22:23], off glc
	s_waitcnt vmcnt(0)
	v_cmp_ne_u16_sdwa s[38:39], v20, v16 src0_sel:BYTE_0 src1_sel:DWORD
	s_or_b64 s[36:37], s[38:39], s[36:37]
	s_andn2_b64 exec, exec, s[36:37]
	s_cbranch_execnz .LBB149_53
; %bb.54:
	s_or_b64 exec, exec, s[36:37]
.LBB149_55:
	s_or_b64 exec, exec, s[34:35]
	v_and_b32_e32 v45, 63, v29
	v_mov_b32_e32 v44, 2
	v_lshlrev_b64 v[21:22], v29, -1
	v_cmp_ne_u32_e32 vcc, 63, v45
	v_cmp_eq_u16_sdwa s[34:35], v20, v44 src0_sel:BYTE_0 src1_sel:DWORD
	v_addc_co_u32_e32 v23, vcc, 0, v29, vcc
	v_and_b32_e32 v16, s35, v22
	v_lshlrev_b32_e32 v46, 2, v23
	v_or_b32_e32 v16, 0x80000000, v16
	ds_bpermute_b32 v23, v46, v19
	v_and_b32_e32 v18, s34, v21
	v_ffbl_b32_e32 v16, v16
	v_add_u32_e32 v16, 32, v16
	v_ffbl_b32_e32 v18, v18
	v_min_u32_e32 v16, v18, v16
	v_cmp_lt_u32_e32 vcc, v45, v16
	s_waitcnt lgkmcnt(0)
	v_cndmask_b32_e32 v18, 0, v23, vcc
	v_cmp_gt_u32_e32 vcc, 62, v45
	v_add_u32_e32 v18, v18, v19
	v_cndmask_b32_e64 v19, 0, 2, vcc
	v_add_lshl_u32 v47, v19, v29, 2
	ds_bpermute_b32 v19, v47, v18
	v_add_u32_e32 v48, 2, v45
	v_cmp_le_u32_e32 vcc, v48, v16
	v_add_u32_e32 v50, 4, v45
	v_add_u32_e32 v52, 8, v45
	s_waitcnt lgkmcnt(0)
	v_cndmask_b32_e32 v19, 0, v19, vcc
	v_cmp_gt_u32_e32 vcc, 60, v45
	v_add_u32_e32 v18, v18, v19
	v_cndmask_b32_e64 v19, 0, 4, vcc
	v_add_lshl_u32 v49, v19, v29, 2
	ds_bpermute_b32 v19, v49, v18
	v_cmp_le_u32_e32 vcc, v50, v16
	v_add_u32_e32 v54, 16, v45
	v_add_u32_e32 v56, 32, v45
	s_waitcnt lgkmcnt(0)
	v_cndmask_b32_e32 v19, 0, v19, vcc
	v_cmp_gt_u32_e32 vcc, 56, v45
	v_add_u32_e32 v18, v18, v19
	v_cndmask_b32_e64 v19, 0, 8, vcc
	v_add_lshl_u32 v51, v19, v29, 2
	ds_bpermute_b32 v19, v51, v18
	v_cmp_le_u32_e32 vcc, v52, v16
	s_waitcnt lgkmcnt(0)
	v_cndmask_b32_e32 v19, 0, v19, vcc
	v_cmp_gt_u32_e32 vcc, 48, v45
	v_add_u32_e32 v18, v18, v19
	v_cndmask_b32_e64 v19, 0, 16, vcc
	v_add_lshl_u32 v53, v19, v29, 2
	ds_bpermute_b32 v19, v53, v18
	v_cmp_le_u32_e32 vcc, v54, v16
	s_waitcnt lgkmcnt(0)
	v_cndmask_b32_e32 v19, 0, v19, vcc
	v_add_u32_e32 v18, v18, v19
	v_mov_b32_e32 v19, 0x80
	v_lshl_or_b32 v55, v29, 2, v19
	ds_bpermute_b32 v19, v55, v18
	v_cmp_le_u32_e32 vcc, v56, v16
	s_waitcnt lgkmcnt(0)
	v_cndmask_b32_e32 v16, 0, v19, vcc
	v_add_u32_e32 v19, v18, v16
	v_mov_b32_e32 v18, 0
	s_branch .LBB149_58
.LBB149_56:                             ;   in Loop: Header=BB149_58 Depth=1
	s_or_b64 exec, exec, s[34:35]
	v_cmp_eq_u16_sdwa s[34:35], v20, v44 src0_sel:BYTE_0 src1_sel:DWORD
	v_and_b32_e32 v23, s35, v22
	v_or_b32_e32 v23, 0x80000000, v23
	ds_bpermute_b32 v57, v46, v19
	v_and_b32_e32 v24, s34, v21
	v_ffbl_b32_e32 v23, v23
	v_add_u32_e32 v23, 32, v23
	v_ffbl_b32_e32 v24, v24
	v_min_u32_e32 v23, v24, v23
	v_cmp_lt_u32_e32 vcc, v45, v23
	s_waitcnt lgkmcnt(0)
	v_cndmask_b32_e32 v24, 0, v57, vcc
	v_add_u32_e32 v19, v24, v19
	ds_bpermute_b32 v24, v47, v19
	v_cmp_le_u32_e32 vcc, v48, v23
	v_subrev_u32_e32 v17, 64, v17
	s_mov_b64 s[34:35], 0
	s_waitcnt lgkmcnt(0)
	v_cndmask_b32_e32 v24, 0, v24, vcc
	v_add_u32_e32 v19, v19, v24
	ds_bpermute_b32 v24, v49, v19
	v_cmp_le_u32_e32 vcc, v50, v23
	s_waitcnt lgkmcnt(0)
	v_cndmask_b32_e32 v24, 0, v24, vcc
	v_add_u32_e32 v19, v19, v24
	ds_bpermute_b32 v24, v51, v19
	v_cmp_le_u32_e32 vcc, v52, v23
	;; [unrolled: 5-line block ×4, first 2 shown]
	s_waitcnt lgkmcnt(0)
	v_cndmask_b32_e32 v23, 0, v24, vcc
	v_add3_u32 v19, v23, v16, v19
.LBB149_57:                             ;   in Loop: Header=BB149_58 Depth=1
	s_and_b64 vcc, exec, s[34:35]
	s_cbranch_vccnz .LBB149_64
.LBB149_58:                             ; =>This Loop Header: Depth=1
                                        ;     Child Loop BB149_61 Depth 2
	v_cmp_ne_u16_sdwa s[34:35], v20, v44 src0_sel:BYTE_0 src1_sel:DWORD
	v_mov_b32_e32 v16, v19
	s_cmp_lg_u64 s[34:35], exec
	s_mov_b64 s[34:35], -1
                                        ; implicit-def: $vgpr19
                                        ; implicit-def: $vgpr20
	s_cbranch_scc1 .LBB149_57
; %bb.59:                               ;   in Loop: Header=BB149_58 Depth=1
	v_lshlrev_b64 v[19:20], 3, v[17:18]
	v_mov_b32_e32 v24, s31
	v_add_co_u32_e32 v23, vcc, s30, v19
	v_addc_co_u32_e32 v24, vcc, v24, v20, vcc
	global_load_dwordx2 v[19:20], v[23:24], off glc
	s_waitcnt vmcnt(0)
	v_cmp_eq_u16_sdwa s[36:37], v20, v18 src0_sel:BYTE_0 src1_sel:DWORD
	s_and_saveexec_b64 s[34:35], s[36:37]
	s_cbranch_execz .LBB149_56
; %bb.60:                               ;   in Loop: Header=BB149_58 Depth=1
	s_mov_b64 s[36:37], 0
.LBB149_61:                             ;   Parent Loop BB149_58 Depth=1
                                        ; =>  This Inner Loop Header: Depth=2
	global_load_dwordx2 v[19:20], v[23:24], off glc
	s_waitcnt vmcnt(0)
	v_cmp_ne_u16_sdwa s[38:39], v20, v18 src0_sel:BYTE_0 src1_sel:DWORD
	s_or_b64 s[36:37], s[38:39], s[36:37]
	s_andn2_b64 exec, exec, s[36:37]
	s_cbranch_execnz .LBB149_61
; %bb.62:                               ;   in Loop: Header=BB149_58 Depth=1
	s_or_b64 exec, exec, s[36:37]
	s_branch .LBB149_56
.LBB149_63:
                                        ; implicit-def: $vgpr16
                                        ; implicit-def: $vgpr15
                                        ; implicit-def: $vgpr23
	s_load_dwordx2 s[4:5], s[4:5], 0x28
	s_cbranch_execnz .LBB149_69
	s_branch .LBB149_78
.LBB149_64:
	s_and_saveexec_b64 s[34:35], s[16:17]
	s_cbranch_execz .LBB149_66
; %bb.65:
	s_add_i32 s6, s6, 64
	s_mov_b32 s7, 0
	s_lshl_b64 s[6:7], s[6:7], 3
	s_add_u32 s6, s30, s6
	v_add_u32_e32 v17, v16, v15
	v_mov_b32_e32 v18, 2
	s_addc_u32 s7, s31, s7
	v_mov_b32_e32 v19, 0
	global_store_dwordx2 v19, v[17:18], s[6:7]
	ds_write_b64 v19, v[15:16] offset:14336
.LBB149_66:
	s_or_b64 exec, exec, s[34:35]
	v_cmp_eq_u32_e32 vcc, 0, v0
	s_and_b64 exec, exec, vcc
; %bb.67:
	v_mov_b32_e32 v15, 0
	ds_write_b32 v15, v16 offset:12
.LBB149_68:
	s_or_b64 exec, exec, s[20:21]
	v_mov_b32_e32 v15, 0
	s_waitcnt vmcnt(0) lgkmcnt(0)
	s_barrier
	ds_read_b32 v18, v15 offset:12
	s_waitcnt lgkmcnt(0)
	s_barrier
	ds_read_b64 v[15:16], v15 offset:14336
	v_cndmask_b32_e64 v17, v43, v42, s[16:17]
	v_cmp_ne_u32_e32 vcc, 0, v0
	v_cndmask_b32_e32 v17, 0, v17, vcc
	v_add_u32_e32 v23, v18, v17
	s_load_dwordx2 s[4:5], s[4:5], 0x28
	s_branch .LBB149_78
.LBB149_69:
	s_waitcnt lgkmcnt(0)
	v_mov_b32_dpp v15, v41 row_shr:1 row_mask:0xf bank_mask:0xf
	v_cndmask_b32_e64 v15, v15, 0, s[14:15]
	v_add_u32_e32 v15, v15, v41
	s_nop 1
	v_mov_b32_dpp v16, v15 row_shr:2 row_mask:0xf bank_mask:0xf
	v_cndmask_b32_e64 v16, 0, v16, s[12:13]
	v_add_u32_e32 v15, v15, v16
	s_nop 1
	;; [unrolled: 4-line block ×4, first 2 shown]
	v_mov_b32_dpp v16, v15 row_bcast:15 row_mask:0xf bank_mask:0xf
	v_cndmask_b32_e64 v16, v16, 0, s[18:19]
	v_add_u32_e32 v15, v15, v16
	s_nop 1
	v_mov_b32_dpp v16, v15 row_bcast:31 row_mask:0xf bank_mask:0xf
	v_cndmask_b32_e64 v16, 0, v16, s[0:1]
	v_add_u32_e32 v15, v15, v16
	s_and_saveexec_b64 s[0:1], s[2:3]
; %bb.70:
	v_lshlrev_b32_e32 v16, 2, v40
	ds_write_b32 v16, v15
; %bb.71:
	s_or_b64 exec, exec, s[0:1]
	v_cmp_gt_u32_e32 vcc, 4, v0
	s_waitcnt lgkmcnt(0)
	s_barrier
	s_and_saveexec_b64 s[0:1], vcc
	s_cbranch_execz .LBB149_73
; %bb.72:
	v_lshlrev_b32_e32 v16, 2, v0
	ds_read_b32 v17, v16
	v_and_b32_e32 v18, 3, v29
	v_cmp_ne_u32_e32 vcc, 0, v18
	s_waitcnt lgkmcnt(0)
	v_mov_b32_dpp v19, v17 row_shr:1 row_mask:0xf bank_mask:0xf
	v_cndmask_b32_e32 v19, 0, v19, vcc
	v_add_u32_e32 v17, v19, v17
	v_cmp_lt_u32_e32 vcc, 1, v18
	s_nop 0
	v_mov_b32_dpp v19, v17 row_shr:2 row_mask:0xf bank_mask:0xf
	v_cndmask_b32_e32 v18, 0, v19, vcc
	v_add_u32_e32 v17, v17, v18
	ds_write_b32 v16, v17
.LBB149_73:
	s_or_b64 exec, exec, s[0:1]
	v_cmp_lt_u32_e32 vcc, 63, v0
	v_mov_b32_e32 v16, 0
	v_mov_b32_e32 v17, 0
	s_waitcnt lgkmcnt(0)
	s_barrier
	s_and_saveexec_b64 s[0:1], vcc
; %bb.74:
	v_lshl_add_u32 v17, v40, 2, -4
	ds_read_b32 v17, v17
; %bb.75:
	s_or_b64 exec, exec, s[0:1]
	v_subrev_co_u32_e32 v18, vcc, 1, v29
	v_and_b32_e32 v19, 64, v29
	v_cmp_lt_i32_e64 s[0:1], v18, v19
	v_cndmask_b32_e64 v18, v18, v29, s[0:1]
	s_waitcnt lgkmcnt(0)
	v_add_u32_e32 v15, v17, v15
	v_lshlrev_b32_e32 v18, 2, v18
	ds_bpermute_b32 v18, v18, v15
	ds_read_b32 v15, v16 offset:12
	v_cmp_eq_u32_e64 s[0:1], 0, v0
	s_and_saveexec_b64 s[2:3], s[0:1]
	s_cbranch_execz .LBB149_77
; %bb.76:
	v_mov_b32_e32 v19, 0
	v_mov_b32_e32 v16, 2
	s_waitcnt lgkmcnt(0)
	global_store_dwordx2 v19, v[15:16], s[30:31] offset:512
.LBB149_77:
	s_or_b64 exec, exec, s[2:3]
	s_waitcnt lgkmcnt(1)
	v_cndmask_b32_e32 v16, v18, v17, vcc
	v_cndmask_b32_e64 v23, v16, 0, s[0:1]
	s_waitcnt vmcnt(0) lgkmcnt(0)
	s_barrier
	v_mov_b32_e32 v16, 0
.LBB149_78:
	v_add_u32_e32 v29, v23, v25
	v_add_u32_e32 v27, v29, v27
	;; [unrolled: 1-line block ×4, first 2 shown]
	s_movk_i32 s2, 0x101
	v_add_u32_e32 v19, v21, v38
	s_waitcnt lgkmcnt(0)
	v_cmp_gt_u32_e32 vcc, s2, v15
	v_add_u32_e32 v17, v19, v39
	s_mov_b64 s[0:1], -1
	v_and_b32_e32 v38, 1, v26
	s_cbranch_vccnz .LBB149_82
; %bb.79:
	s_and_b64 vcc, exec, s[0:1]
	s_cbranch_vccnz .LBB149_97
.LBB149_80:
	v_cmp_eq_u32_e32 vcc, 0, v0
	s_and_b64 s[0:1], vcc, s[26:27]
	s_and_saveexec_b64 s[2:3], s[0:1]
	s_cbranch_execnz .LBB149_114
.LBB149_81:
	s_endpgm
.LBB149_82:
	v_add_u32_e32 v18, v16, v15
	s_lshl_b64 s[0:1], s[22:23], 3
	s_add_u32 s2, s4, s0
	v_cmp_lt_u32_e32 vcc, v23, v18
	s_addc_u32 s3, s5, s1
	s_or_b64 s[0:1], s[28:29], vcc
	v_cmp_eq_u32_e32 vcc, 1, v38
	s_and_b64 s[6:7], s[0:1], vcc
	s_and_saveexec_b64 s[0:1], s[6:7]
	s_cbranch_execz .LBB149_84
; %bb.83:
	v_mov_b32_e32 v24, 0
	v_lshlrev_b64 v[39:40], 3, v[23:24]
	v_mov_b32_e32 v20, s3
	v_add_co_u32_e32 v39, vcc, s2, v39
	v_addc_co_u32_e32 v40, vcc, v20, v40, vcc
	global_store_dwordx2 v[39:40], v[9:10], off
.LBB149_84:
	s_or_b64 exec, exec, s[0:1]
	v_cmp_lt_u32_e32 vcc, v29, v18
	v_and_b32_e32 v20, 1, v37
	s_or_b64 s[0:1], s[28:29], vcc
	v_cmp_eq_u32_e32 vcc, 1, v20
	s_and_b64 s[6:7], s[0:1], vcc
	s_and_saveexec_b64 s[0:1], s[6:7]
	s_cbranch_execz .LBB149_86
; %bb.85:
	v_mov_b32_e32 v30, 0
	v_lshlrev_b64 v[39:40], 3, v[29:30]
	v_mov_b32_e32 v20, s3
	v_add_co_u32_e32 v39, vcc, s2, v39
	v_addc_co_u32_e32 v40, vcc, v20, v40, vcc
	global_store_dwordx2 v[39:40], v[11:12], off
.LBB149_86:
	s_or_b64 exec, exec, s[0:1]
	v_cmp_lt_u32_e32 vcc, v27, v18
	v_and_b32_e32 v20, 1, v36
	;; [unrolled: 16-line block ×6, first 2 shown]
	s_or_b64 s[0:1], s[28:29], vcc
	v_cmp_eq_u32_e32 vcc, 1, v18
	s_and_b64 s[6:7], s[0:1], vcc
	s_and_saveexec_b64 s[0:1], s[6:7]
	s_cbranch_execz .LBB149_96
; %bb.95:
	v_mov_b32_e32 v18, 0
	v_lshlrev_b64 v[39:40], 3, v[17:18]
	v_mov_b32_e32 v18, s3
	v_add_co_u32_e32 v39, vcc, s2, v39
	v_addc_co_u32_e32 v40, vcc, v18, v40, vcc
	global_store_dwordx2 v[39:40], v[13:14], off
.LBB149_96:
	s_or_b64 exec, exec, s[0:1]
	s_branch .LBB149_80
.LBB149_97:
	v_cmp_eq_u32_e32 vcc, 1, v38
	s_and_saveexec_b64 s[0:1], vcc
; %bb.98:
	v_sub_u32_e32 v18, v23, v16
	v_lshlrev_b32_e32 v18, 3, v18
	ds_write_b64 v18, v[9:10]
; %bb.99:
	s_or_b64 exec, exec, s[0:1]
	v_and_b32_e32 v9, 1, v37
	v_cmp_eq_u32_e32 vcc, 1, v9
	s_and_saveexec_b64 s[0:1], vcc
; %bb.100:
	v_sub_u32_e32 v9, v29, v16
	v_lshlrev_b32_e32 v9, 3, v9
	ds_write_b64 v9, v[11:12]
; %bb.101:
	s_or_b64 exec, exec, s[0:1]
	v_and_b32_e32 v9, 1, v36
	;; [unrolled: 9-line block ×6, first 2 shown]
	v_cmp_eq_u32_e32 vcc, 1, v1
	s_and_saveexec_b64 s[0:1], vcc
; %bb.110:
	v_sub_u32_e32 v1, v17, v16
	v_lshlrev_b32_e32 v1, 3, v1
	ds_write_b64 v1, v[13:14]
; %bb.111:
	s_or_b64 exec, exec, s[0:1]
	v_mov_b32_e32 v2, 0
	v_mov_b32_e32 v17, v2
	s_lshl_b64 s[0:1], s[22:23], 3
	s_add_u32 s0, s4, s0
	v_lshlrev_b64 v[3:4], 3, v[16:17]
	s_addc_u32 s1, s5, s1
	v_mov_b32_e32 v1, s1
	v_add_co_u32_e32 v3, vcc, s0, v3
	v_addc_co_u32_e32 v4, vcc, v1, v4, vcc
	s_mov_b64 s[2:3], 0
	v_mov_b32_e32 v1, v0
	s_waitcnt vmcnt(0) lgkmcnt(0)
	s_barrier
.LBB149_112:                            ; =>This Inner Loop Header: Depth=1
	ds_read_b64 v[7:8], v31
	v_lshlrev_b64 v[5:6], 3, v[1:2]
	v_add_u32_e32 v1, 0x100, v1
	v_cmp_ge_u32_e32 vcc, v1, v15
	v_add_co_u32_e64 v5, s[0:1], v3, v5
	v_add_u32_e32 v31, 0x800, v31
	v_addc_co_u32_e64 v6, s[0:1], v4, v6, s[0:1]
	s_or_b64 s[2:3], vcc, s[2:3]
	s_waitcnt lgkmcnt(0)
	global_store_dwordx2 v[5:6], v[7:8], off
	s_andn2_b64 exec, exec, s[2:3]
	s_cbranch_execnz .LBB149_112
; %bb.113:
	s_or_b64 exec, exec, s[2:3]
	v_cmp_eq_u32_e32 vcc, 0, v0
	s_and_b64 s[0:1], vcc, s[26:27]
	s_and_saveexec_b64 s[2:3], s[0:1]
	s_cbranch_execz .LBB149_81
.LBB149_114:
	v_mov_b32_e32 v0, s23
	v_add_co_u32_e32 v1, vcc, s22, v15
	v_addc_co_u32_e32 v3, vcc, 0, v0, vcc
	v_add_co_u32_e32 v0, vcc, v1, v16
	v_mov_b32_e32 v2, 0
	v_addc_co_u32_e32 v1, vcc, 0, v3, vcc
	global_store_dwordx2 v2, v[0:1], s[24:25]
	s_endpgm
	.section	.rodata,"a",@progbits
	.p2align	6, 0x0
	.amdhsa_kernel _ZN7rocprim17ROCPRIM_400000_NS6detail17trampoline_kernelINS0_14default_configENS1_25partition_config_selectorILNS1_17partition_subalgoE8EyNS0_10empty_typeEbEEZZNS1_14partition_implILS5_8ELb0ES3_jN6thrust23THRUST_200600_302600_NS6detail15normal_iteratorINSA_10device_ptrIyEEEEPS6_PKS6_NS0_5tupleIJSF_S6_EEENSJ_IJSG_SG_EEENS0_18inequality_wrapperINSA_8equal_toIyEEEEPmJS6_EEE10hipError_tPvRmT3_T4_T5_T6_T7_T9_mT8_P12ihipStream_tbDpT10_ENKUlT_T0_E_clISt17integral_constantIbLb0EES1A_EEDaS15_S16_EUlS15_E_NS1_11comp_targetILNS1_3genE2ELNS1_11target_archE906ELNS1_3gpuE6ELNS1_3repE0EEENS1_30default_config_static_selectorELNS0_4arch9wavefront6targetE1EEEvT1_
		.amdhsa_group_segment_fixed_size 14344
		.amdhsa_private_segment_fixed_size 0
		.amdhsa_kernarg_size 112
		.amdhsa_user_sgpr_count 6
		.amdhsa_user_sgpr_private_segment_buffer 1
		.amdhsa_user_sgpr_dispatch_ptr 0
		.amdhsa_user_sgpr_queue_ptr 0
		.amdhsa_user_sgpr_kernarg_segment_ptr 1
		.amdhsa_user_sgpr_dispatch_id 0
		.amdhsa_user_sgpr_flat_scratch_init 0
		.amdhsa_user_sgpr_private_segment_size 0
		.amdhsa_uses_dynamic_stack 0
		.amdhsa_system_sgpr_private_segment_wavefront_offset 0
		.amdhsa_system_sgpr_workgroup_id_x 1
		.amdhsa_system_sgpr_workgroup_id_y 0
		.amdhsa_system_sgpr_workgroup_id_z 0
		.amdhsa_system_sgpr_workgroup_info 0
		.amdhsa_system_vgpr_workitem_id 0
		.amdhsa_next_free_vgpr 58
		.amdhsa_next_free_sgpr 98
		.amdhsa_reserve_vcc 1
		.amdhsa_reserve_flat_scratch 0
		.amdhsa_float_round_mode_32 0
		.amdhsa_float_round_mode_16_64 0
		.amdhsa_float_denorm_mode_32 3
		.amdhsa_float_denorm_mode_16_64 3
		.amdhsa_dx10_clamp 1
		.amdhsa_ieee_mode 1
		.amdhsa_fp16_overflow 0
		.amdhsa_exception_fp_ieee_invalid_op 0
		.amdhsa_exception_fp_denorm_src 0
		.amdhsa_exception_fp_ieee_div_zero 0
		.amdhsa_exception_fp_ieee_overflow 0
		.amdhsa_exception_fp_ieee_underflow 0
		.amdhsa_exception_fp_ieee_inexact 0
		.amdhsa_exception_int_div_zero 0
	.end_amdhsa_kernel
	.section	.text._ZN7rocprim17ROCPRIM_400000_NS6detail17trampoline_kernelINS0_14default_configENS1_25partition_config_selectorILNS1_17partition_subalgoE8EyNS0_10empty_typeEbEEZZNS1_14partition_implILS5_8ELb0ES3_jN6thrust23THRUST_200600_302600_NS6detail15normal_iteratorINSA_10device_ptrIyEEEEPS6_PKS6_NS0_5tupleIJSF_S6_EEENSJ_IJSG_SG_EEENS0_18inequality_wrapperINSA_8equal_toIyEEEEPmJS6_EEE10hipError_tPvRmT3_T4_T5_T6_T7_T9_mT8_P12ihipStream_tbDpT10_ENKUlT_T0_E_clISt17integral_constantIbLb0EES1A_EEDaS15_S16_EUlS15_E_NS1_11comp_targetILNS1_3genE2ELNS1_11target_archE906ELNS1_3gpuE6ELNS1_3repE0EEENS1_30default_config_static_selectorELNS0_4arch9wavefront6targetE1EEEvT1_,"axG",@progbits,_ZN7rocprim17ROCPRIM_400000_NS6detail17trampoline_kernelINS0_14default_configENS1_25partition_config_selectorILNS1_17partition_subalgoE8EyNS0_10empty_typeEbEEZZNS1_14partition_implILS5_8ELb0ES3_jN6thrust23THRUST_200600_302600_NS6detail15normal_iteratorINSA_10device_ptrIyEEEEPS6_PKS6_NS0_5tupleIJSF_S6_EEENSJ_IJSG_SG_EEENS0_18inequality_wrapperINSA_8equal_toIyEEEEPmJS6_EEE10hipError_tPvRmT3_T4_T5_T6_T7_T9_mT8_P12ihipStream_tbDpT10_ENKUlT_T0_E_clISt17integral_constantIbLb0EES1A_EEDaS15_S16_EUlS15_E_NS1_11comp_targetILNS1_3genE2ELNS1_11target_archE906ELNS1_3gpuE6ELNS1_3repE0EEENS1_30default_config_static_selectorELNS0_4arch9wavefront6targetE1EEEvT1_,comdat
.Lfunc_end149:
	.size	_ZN7rocprim17ROCPRIM_400000_NS6detail17trampoline_kernelINS0_14default_configENS1_25partition_config_selectorILNS1_17partition_subalgoE8EyNS0_10empty_typeEbEEZZNS1_14partition_implILS5_8ELb0ES3_jN6thrust23THRUST_200600_302600_NS6detail15normal_iteratorINSA_10device_ptrIyEEEEPS6_PKS6_NS0_5tupleIJSF_S6_EEENSJ_IJSG_SG_EEENS0_18inequality_wrapperINSA_8equal_toIyEEEEPmJS6_EEE10hipError_tPvRmT3_T4_T5_T6_T7_T9_mT8_P12ihipStream_tbDpT10_ENKUlT_T0_E_clISt17integral_constantIbLb0EES1A_EEDaS15_S16_EUlS15_E_NS1_11comp_targetILNS1_3genE2ELNS1_11target_archE906ELNS1_3gpuE6ELNS1_3repE0EEENS1_30default_config_static_selectorELNS0_4arch9wavefront6targetE1EEEvT1_, .Lfunc_end149-_ZN7rocprim17ROCPRIM_400000_NS6detail17trampoline_kernelINS0_14default_configENS1_25partition_config_selectorILNS1_17partition_subalgoE8EyNS0_10empty_typeEbEEZZNS1_14partition_implILS5_8ELb0ES3_jN6thrust23THRUST_200600_302600_NS6detail15normal_iteratorINSA_10device_ptrIyEEEEPS6_PKS6_NS0_5tupleIJSF_S6_EEENSJ_IJSG_SG_EEENS0_18inequality_wrapperINSA_8equal_toIyEEEEPmJS6_EEE10hipError_tPvRmT3_T4_T5_T6_T7_T9_mT8_P12ihipStream_tbDpT10_ENKUlT_T0_E_clISt17integral_constantIbLb0EES1A_EEDaS15_S16_EUlS15_E_NS1_11comp_targetILNS1_3genE2ELNS1_11target_archE906ELNS1_3gpuE6ELNS1_3repE0EEENS1_30default_config_static_selectorELNS0_4arch9wavefront6targetE1EEEvT1_
                                        ; -- End function
	.set _ZN7rocprim17ROCPRIM_400000_NS6detail17trampoline_kernelINS0_14default_configENS1_25partition_config_selectorILNS1_17partition_subalgoE8EyNS0_10empty_typeEbEEZZNS1_14partition_implILS5_8ELb0ES3_jN6thrust23THRUST_200600_302600_NS6detail15normal_iteratorINSA_10device_ptrIyEEEEPS6_PKS6_NS0_5tupleIJSF_S6_EEENSJ_IJSG_SG_EEENS0_18inequality_wrapperINSA_8equal_toIyEEEEPmJS6_EEE10hipError_tPvRmT3_T4_T5_T6_T7_T9_mT8_P12ihipStream_tbDpT10_ENKUlT_T0_E_clISt17integral_constantIbLb0EES1A_EEDaS15_S16_EUlS15_E_NS1_11comp_targetILNS1_3genE2ELNS1_11target_archE906ELNS1_3gpuE6ELNS1_3repE0EEENS1_30default_config_static_selectorELNS0_4arch9wavefront6targetE1EEEvT1_.num_vgpr, 58
	.set _ZN7rocprim17ROCPRIM_400000_NS6detail17trampoline_kernelINS0_14default_configENS1_25partition_config_selectorILNS1_17partition_subalgoE8EyNS0_10empty_typeEbEEZZNS1_14partition_implILS5_8ELb0ES3_jN6thrust23THRUST_200600_302600_NS6detail15normal_iteratorINSA_10device_ptrIyEEEEPS6_PKS6_NS0_5tupleIJSF_S6_EEENSJ_IJSG_SG_EEENS0_18inequality_wrapperINSA_8equal_toIyEEEEPmJS6_EEE10hipError_tPvRmT3_T4_T5_T6_T7_T9_mT8_P12ihipStream_tbDpT10_ENKUlT_T0_E_clISt17integral_constantIbLb0EES1A_EEDaS15_S16_EUlS15_E_NS1_11comp_targetILNS1_3genE2ELNS1_11target_archE906ELNS1_3gpuE6ELNS1_3repE0EEENS1_30default_config_static_selectorELNS0_4arch9wavefront6targetE1EEEvT1_.num_agpr, 0
	.set _ZN7rocprim17ROCPRIM_400000_NS6detail17trampoline_kernelINS0_14default_configENS1_25partition_config_selectorILNS1_17partition_subalgoE8EyNS0_10empty_typeEbEEZZNS1_14partition_implILS5_8ELb0ES3_jN6thrust23THRUST_200600_302600_NS6detail15normal_iteratorINSA_10device_ptrIyEEEEPS6_PKS6_NS0_5tupleIJSF_S6_EEENSJ_IJSG_SG_EEENS0_18inequality_wrapperINSA_8equal_toIyEEEEPmJS6_EEE10hipError_tPvRmT3_T4_T5_T6_T7_T9_mT8_P12ihipStream_tbDpT10_ENKUlT_T0_E_clISt17integral_constantIbLb0EES1A_EEDaS15_S16_EUlS15_E_NS1_11comp_targetILNS1_3genE2ELNS1_11target_archE906ELNS1_3gpuE6ELNS1_3repE0EEENS1_30default_config_static_selectorELNS0_4arch9wavefront6targetE1EEEvT1_.numbered_sgpr, 40
	.set _ZN7rocprim17ROCPRIM_400000_NS6detail17trampoline_kernelINS0_14default_configENS1_25partition_config_selectorILNS1_17partition_subalgoE8EyNS0_10empty_typeEbEEZZNS1_14partition_implILS5_8ELb0ES3_jN6thrust23THRUST_200600_302600_NS6detail15normal_iteratorINSA_10device_ptrIyEEEEPS6_PKS6_NS0_5tupleIJSF_S6_EEENSJ_IJSG_SG_EEENS0_18inequality_wrapperINSA_8equal_toIyEEEEPmJS6_EEE10hipError_tPvRmT3_T4_T5_T6_T7_T9_mT8_P12ihipStream_tbDpT10_ENKUlT_T0_E_clISt17integral_constantIbLb0EES1A_EEDaS15_S16_EUlS15_E_NS1_11comp_targetILNS1_3genE2ELNS1_11target_archE906ELNS1_3gpuE6ELNS1_3repE0EEENS1_30default_config_static_selectorELNS0_4arch9wavefront6targetE1EEEvT1_.num_named_barrier, 0
	.set _ZN7rocprim17ROCPRIM_400000_NS6detail17trampoline_kernelINS0_14default_configENS1_25partition_config_selectorILNS1_17partition_subalgoE8EyNS0_10empty_typeEbEEZZNS1_14partition_implILS5_8ELb0ES3_jN6thrust23THRUST_200600_302600_NS6detail15normal_iteratorINSA_10device_ptrIyEEEEPS6_PKS6_NS0_5tupleIJSF_S6_EEENSJ_IJSG_SG_EEENS0_18inequality_wrapperINSA_8equal_toIyEEEEPmJS6_EEE10hipError_tPvRmT3_T4_T5_T6_T7_T9_mT8_P12ihipStream_tbDpT10_ENKUlT_T0_E_clISt17integral_constantIbLb0EES1A_EEDaS15_S16_EUlS15_E_NS1_11comp_targetILNS1_3genE2ELNS1_11target_archE906ELNS1_3gpuE6ELNS1_3repE0EEENS1_30default_config_static_selectorELNS0_4arch9wavefront6targetE1EEEvT1_.private_seg_size, 0
	.set _ZN7rocprim17ROCPRIM_400000_NS6detail17trampoline_kernelINS0_14default_configENS1_25partition_config_selectorILNS1_17partition_subalgoE8EyNS0_10empty_typeEbEEZZNS1_14partition_implILS5_8ELb0ES3_jN6thrust23THRUST_200600_302600_NS6detail15normal_iteratorINSA_10device_ptrIyEEEEPS6_PKS6_NS0_5tupleIJSF_S6_EEENSJ_IJSG_SG_EEENS0_18inequality_wrapperINSA_8equal_toIyEEEEPmJS6_EEE10hipError_tPvRmT3_T4_T5_T6_T7_T9_mT8_P12ihipStream_tbDpT10_ENKUlT_T0_E_clISt17integral_constantIbLb0EES1A_EEDaS15_S16_EUlS15_E_NS1_11comp_targetILNS1_3genE2ELNS1_11target_archE906ELNS1_3gpuE6ELNS1_3repE0EEENS1_30default_config_static_selectorELNS0_4arch9wavefront6targetE1EEEvT1_.uses_vcc, 1
	.set _ZN7rocprim17ROCPRIM_400000_NS6detail17trampoline_kernelINS0_14default_configENS1_25partition_config_selectorILNS1_17partition_subalgoE8EyNS0_10empty_typeEbEEZZNS1_14partition_implILS5_8ELb0ES3_jN6thrust23THRUST_200600_302600_NS6detail15normal_iteratorINSA_10device_ptrIyEEEEPS6_PKS6_NS0_5tupleIJSF_S6_EEENSJ_IJSG_SG_EEENS0_18inequality_wrapperINSA_8equal_toIyEEEEPmJS6_EEE10hipError_tPvRmT3_T4_T5_T6_T7_T9_mT8_P12ihipStream_tbDpT10_ENKUlT_T0_E_clISt17integral_constantIbLb0EES1A_EEDaS15_S16_EUlS15_E_NS1_11comp_targetILNS1_3genE2ELNS1_11target_archE906ELNS1_3gpuE6ELNS1_3repE0EEENS1_30default_config_static_selectorELNS0_4arch9wavefront6targetE1EEEvT1_.uses_flat_scratch, 0
	.set _ZN7rocprim17ROCPRIM_400000_NS6detail17trampoline_kernelINS0_14default_configENS1_25partition_config_selectorILNS1_17partition_subalgoE8EyNS0_10empty_typeEbEEZZNS1_14partition_implILS5_8ELb0ES3_jN6thrust23THRUST_200600_302600_NS6detail15normal_iteratorINSA_10device_ptrIyEEEEPS6_PKS6_NS0_5tupleIJSF_S6_EEENSJ_IJSG_SG_EEENS0_18inequality_wrapperINSA_8equal_toIyEEEEPmJS6_EEE10hipError_tPvRmT3_T4_T5_T6_T7_T9_mT8_P12ihipStream_tbDpT10_ENKUlT_T0_E_clISt17integral_constantIbLb0EES1A_EEDaS15_S16_EUlS15_E_NS1_11comp_targetILNS1_3genE2ELNS1_11target_archE906ELNS1_3gpuE6ELNS1_3repE0EEENS1_30default_config_static_selectorELNS0_4arch9wavefront6targetE1EEEvT1_.has_dyn_sized_stack, 0
	.set _ZN7rocprim17ROCPRIM_400000_NS6detail17trampoline_kernelINS0_14default_configENS1_25partition_config_selectorILNS1_17partition_subalgoE8EyNS0_10empty_typeEbEEZZNS1_14partition_implILS5_8ELb0ES3_jN6thrust23THRUST_200600_302600_NS6detail15normal_iteratorINSA_10device_ptrIyEEEEPS6_PKS6_NS0_5tupleIJSF_S6_EEENSJ_IJSG_SG_EEENS0_18inequality_wrapperINSA_8equal_toIyEEEEPmJS6_EEE10hipError_tPvRmT3_T4_T5_T6_T7_T9_mT8_P12ihipStream_tbDpT10_ENKUlT_T0_E_clISt17integral_constantIbLb0EES1A_EEDaS15_S16_EUlS15_E_NS1_11comp_targetILNS1_3genE2ELNS1_11target_archE906ELNS1_3gpuE6ELNS1_3repE0EEENS1_30default_config_static_selectorELNS0_4arch9wavefront6targetE1EEEvT1_.has_recursion, 0
	.set _ZN7rocprim17ROCPRIM_400000_NS6detail17trampoline_kernelINS0_14default_configENS1_25partition_config_selectorILNS1_17partition_subalgoE8EyNS0_10empty_typeEbEEZZNS1_14partition_implILS5_8ELb0ES3_jN6thrust23THRUST_200600_302600_NS6detail15normal_iteratorINSA_10device_ptrIyEEEEPS6_PKS6_NS0_5tupleIJSF_S6_EEENSJ_IJSG_SG_EEENS0_18inequality_wrapperINSA_8equal_toIyEEEEPmJS6_EEE10hipError_tPvRmT3_T4_T5_T6_T7_T9_mT8_P12ihipStream_tbDpT10_ENKUlT_T0_E_clISt17integral_constantIbLb0EES1A_EEDaS15_S16_EUlS15_E_NS1_11comp_targetILNS1_3genE2ELNS1_11target_archE906ELNS1_3gpuE6ELNS1_3repE0EEENS1_30default_config_static_selectorELNS0_4arch9wavefront6targetE1EEEvT1_.has_indirect_call, 0
	.section	.AMDGPU.csdata,"",@progbits
; Kernel info:
; codeLenInByte = 4812
; TotalNumSgprs: 44
; NumVgprs: 58
; ScratchSize: 0
; MemoryBound: 0
; FloatMode: 240
; IeeeMode: 1
; LDSByteSize: 14344 bytes/workgroup (compile time only)
; SGPRBlocks: 12
; VGPRBlocks: 14
; NumSGPRsForWavesPerEU: 102
; NumVGPRsForWavesPerEU: 58
; Occupancy: 4
; WaveLimiterHint : 1
; COMPUTE_PGM_RSRC2:SCRATCH_EN: 0
; COMPUTE_PGM_RSRC2:USER_SGPR: 6
; COMPUTE_PGM_RSRC2:TRAP_HANDLER: 0
; COMPUTE_PGM_RSRC2:TGID_X_EN: 1
; COMPUTE_PGM_RSRC2:TGID_Y_EN: 0
; COMPUTE_PGM_RSRC2:TGID_Z_EN: 0
; COMPUTE_PGM_RSRC2:TIDIG_COMP_CNT: 0
	.section	.text._ZN7rocprim17ROCPRIM_400000_NS6detail17trampoline_kernelINS0_14default_configENS1_25partition_config_selectorILNS1_17partition_subalgoE8EyNS0_10empty_typeEbEEZZNS1_14partition_implILS5_8ELb0ES3_jN6thrust23THRUST_200600_302600_NS6detail15normal_iteratorINSA_10device_ptrIyEEEEPS6_PKS6_NS0_5tupleIJSF_S6_EEENSJ_IJSG_SG_EEENS0_18inequality_wrapperINSA_8equal_toIyEEEEPmJS6_EEE10hipError_tPvRmT3_T4_T5_T6_T7_T9_mT8_P12ihipStream_tbDpT10_ENKUlT_T0_E_clISt17integral_constantIbLb0EES1A_EEDaS15_S16_EUlS15_E_NS1_11comp_targetILNS1_3genE10ELNS1_11target_archE1200ELNS1_3gpuE4ELNS1_3repE0EEENS1_30default_config_static_selectorELNS0_4arch9wavefront6targetE1EEEvT1_,"axG",@progbits,_ZN7rocprim17ROCPRIM_400000_NS6detail17trampoline_kernelINS0_14default_configENS1_25partition_config_selectorILNS1_17partition_subalgoE8EyNS0_10empty_typeEbEEZZNS1_14partition_implILS5_8ELb0ES3_jN6thrust23THRUST_200600_302600_NS6detail15normal_iteratorINSA_10device_ptrIyEEEEPS6_PKS6_NS0_5tupleIJSF_S6_EEENSJ_IJSG_SG_EEENS0_18inequality_wrapperINSA_8equal_toIyEEEEPmJS6_EEE10hipError_tPvRmT3_T4_T5_T6_T7_T9_mT8_P12ihipStream_tbDpT10_ENKUlT_T0_E_clISt17integral_constantIbLb0EES1A_EEDaS15_S16_EUlS15_E_NS1_11comp_targetILNS1_3genE10ELNS1_11target_archE1200ELNS1_3gpuE4ELNS1_3repE0EEENS1_30default_config_static_selectorELNS0_4arch9wavefront6targetE1EEEvT1_,comdat
	.protected	_ZN7rocprim17ROCPRIM_400000_NS6detail17trampoline_kernelINS0_14default_configENS1_25partition_config_selectorILNS1_17partition_subalgoE8EyNS0_10empty_typeEbEEZZNS1_14partition_implILS5_8ELb0ES3_jN6thrust23THRUST_200600_302600_NS6detail15normal_iteratorINSA_10device_ptrIyEEEEPS6_PKS6_NS0_5tupleIJSF_S6_EEENSJ_IJSG_SG_EEENS0_18inequality_wrapperINSA_8equal_toIyEEEEPmJS6_EEE10hipError_tPvRmT3_T4_T5_T6_T7_T9_mT8_P12ihipStream_tbDpT10_ENKUlT_T0_E_clISt17integral_constantIbLb0EES1A_EEDaS15_S16_EUlS15_E_NS1_11comp_targetILNS1_3genE10ELNS1_11target_archE1200ELNS1_3gpuE4ELNS1_3repE0EEENS1_30default_config_static_selectorELNS0_4arch9wavefront6targetE1EEEvT1_ ; -- Begin function _ZN7rocprim17ROCPRIM_400000_NS6detail17trampoline_kernelINS0_14default_configENS1_25partition_config_selectorILNS1_17partition_subalgoE8EyNS0_10empty_typeEbEEZZNS1_14partition_implILS5_8ELb0ES3_jN6thrust23THRUST_200600_302600_NS6detail15normal_iteratorINSA_10device_ptrIyEEEEPS6_PKS6_NS0_5tupleIJSF_S6_EEENSJ_IJSG_SG_EEENS0_18inequality_wrapperINSA_8equal_toIyEEEEPmJS6_EEE10hipError_tPvRmT3_T4_T5_T6_T7_T9_mT8_P12ihipStream_tbDpT10_ENKUlT_T0_E_clISt17integral_constantIbLb0EES1A_EEDaS15_S16_EUlS15_E_NS1_11comp_targetILNS1_3genE10ELNS1_11target_archE1200ELNS1_3gpuE4ELNS1_3repE0EEENS1_30default_config_static_selectorELNS0_4arch9wavefront6targetE1EEEvT1_
	.globl	_ZN7rocprim17ROCPRIM_400000_NS6detail17trampoline_kernelINS0_14default_configENS1_25partition_config_selectorILNS1_17partition_subalgoE8EyNS0_10empty_typeEbEEZZNS1_14partition_implILS5_8ELb0ES3_jN6thrust23THRUST_200600_302600_NS6detail15normal_iteratorINSA_10device_ptrIyEEEEPS6_PKS6_NS0_5tupleIJSF_S6_EEENSJ_IJSG_SG_EEENS0_18inequality_wrapperINSA_8equal_toIyEEEEPmJS6_EEE10hipError_tPvRmT3_T4_T5_T6_T7_T9_mT8_P12ihipStream_tbDpT10_ENKUlT_T0_E_clISt17integral_constantIbLb0EES1A_EEDaS15_S16_EUlS15_E_NS1_11comp_targetILNS1_3genE10ELNS1_11target_archE1200ELNS1_3gpuE4ELNS1_3repE0EEENS1_30default_config_static_selectorELNS0_4arch9wavefront6targetE1EEEvT1_
	.p2align	8
	.type	_ZN7rocprim17ROCPRIM_400000_NS6detail17trampoline_kernelINS0_14default_configENS1_25partition_config_selectorILNS1_17partition_subalgoE8EyNS0_10empty_typeEbEEZZNS1_14partition_implILS5_8ELb0ES3_jN6thrust23THRUST_200600_302600_NS6detail15normal_iteratorINSA_10device_ptrIyEEEEPS6_PKS6_NS0_5tupleIJSF_S6_EEENSJ_IJSG_SG_EEENS0_18inequality_wrapperINSA_8equal_toIyEEEEPmJS6_EEE10hipError_tPvRmT3_T4_T5_T6_T7_T9_mT8_P12ihipStream_tbDpT10_ENKUlT_T0_E_clISt17integral_constantIbLb0EES1A_EEDaS15_S16_EUlS15_E_NS1_11comp_targetILNS1_3genE10ELNS1_11target_archE1200ELNS1_3gpuE4ELNS1_3repE0EEENS1_30default_config_static_selectorELNS0_4arch9wavefront6targetE1EEEvT1_,@function
_ZN7rocprim17ROCPRIM_400000_NS6detail17trampoline_kernelINS0_14default_configENS1_25partition_config_selectorILNS1_17partition_subalgoE8EyNS0_10empty_typeEbEEZZNS1_14partition_implILS5_8ELb0ES3_jN6thrust23THRUST_200600_302600_NS6detail15normal_iteratorINSA_10device_ptrIyEEEEPS6_PKS6_NS0_5tupleIJSF_S6_EEENSJ_IJSG_SG_EEENS0_18inequality_wrapperINSA_8equal_toIyEEEEPmJS6_EEE10hipError_tPvRmT3_T4_T5_T6_T7_T9_mT8_P12ihipStream_tbDpT10_ENKUlT_T0_E_clISt17integral_constantIbLb0EES1A_EEDaS15_S16_EUlS15_E_NS1_11comp_targetILNS1_3genE10ELNS1_11target_archE1200ELNS1_3gpuE4ELNS1_3repE0EEENS1_30default_config_static_selectorELNS0_4arch9wavefront6targetE1EEEvT1_: ; @_ZN7rocprim17ROCPRIM_400000_NS6detail17trampoline_kernelINS0_14default_configENS1_25partition_config_selectorILNS1_17partition_subalgoE8EyNS0_10empty_typeEbEEZZNS1_14partition_implILS5_8ELb0ES3_jN6thrust23THRUST_200600_302600_NS6detail15normal_iteratorINSA_10device_ptrIyEEEEPS6_PKS6_NS0_5tupleIJSF_S6_EEENSJ_IJSG_SG_EEENS0_18inequality_wrapperINSA_8equal_toIyEEEEPmJS6_EEE10hipError_tPvRmT3_T4_T5_T6_T7_T9_mT8_P12ihipStream_tbDpT10_ENKUlT_T0_E_clISt17integral_constantIbLb0EES1A_EEDaS15_S16_EUlS15_E_NS1_11comp_targetILNS1_3genE10ELNS1_11target_archE1200ELNS1_3gpuE4ELNS1_3repE0EEENS1_30default_config_static_selectorELNS0_4arch9wavefront6targetE1EEEvT1_
; %bb.0:
	.section	.rodata,"a",@progbits
	.p2align	6, 0x0
	.amdhsa_kernel _ZN7rocprim17ROCPRIM_400000_NS6detail17trampoline_kernelINS0_14default_configENS1_25partition_config_selectorILNS1_17partition_subalgoE8EyNS0_10empty_typeEbEEZZNS1_14partition_implILS5_8ELb0ES3_jN6thrust23THRUST_200600_302600_NS6detail15normal_iteratorINSA_10device_ptrIyEEEEPS6_PKS6_NS0_5tupleIJSF_S6_EEENSJ_IJSG_SG_EEENS0_18inequality_wrapperINSA_8equal_toIyEEEEPmJS6_EEE10hipError_tPvRmT3_T4_T5_T6_T7_T9_mT8_P12ihipStream_tbDpT10_ENKUlT_T0_E_clISt17integral_constantIbLb0EES1A_EEDaS15_S16_EUlS15_E_NS1_11comp_targetILNS1_3genE10ELNS1_11target_archE1200ELNS1_3gpuE4ELNS1_3repE0EEENS1_30default_config_static_selectorELNS0_4arch9wavefront6targetE1EEEvT1_
		.amdhsa_group_segment_fixed_size 0
		.amdhsa_private_segment_fixed_size 0
		.amdhsa_kernarg_size 112
		.amdhsa_user_sgpr_count 6
		.amdhsa_user_sgpr_private_segment_buffer 1
		.amdhsa_user_sgpr_dispatch_ptr 0
		.amdhsa_user_sgpr_queue_ptr 0
		.amdhsa_user_sgpr_kernarg_segment_ptr 1
		.amdhsa_user_sgpr_dispatch_id 0
		.amdhsa_user_sgpr_flat_scratch_init 0
		.amdhsa_user_sgpr_private_segment_size 0
		.amdhsa_uses_dynamic_stack 0
		.amdhsa_system_sgpr_private_segment_wavefront_offset 0
		.amdhsa_system_sgpr_workgroup_id_x 1
		.amdhsa_system_sgpr_workgroup_id_y 0
		.amdhsa_system_sgpr_workgroup_id_z 0
		.amdhsa_system_sgpr_workgroup_info 0
		.amdhsa_system_vgpr_workitem_id 0
		.amdhsa_next_free_vgpr 1
		.amdhsa_next_free_sgpr 0
		.amdhsa_reserve_vcc 0
		.amdhsa_reserve_flat_scratch 0
		.amdhsa_float_round_mode_32 0
		.amdhsa_float_round_mode_16_64 0
		.amdhsa_float_denorm_mode_32 3
		.amdhsa_float_denorm_mode_16_64 3
		.amdhsa_dx10_clamp 1
		.amdhsa_ieee_mode 1
		.amdhsa_fp16_overflow 0
		.amdhsa_exception_fp_ieee_invalid_op 0
		.amdhsa_exception_fp_denorm_src 0
		.amdhsa_exception_fp_ieee_div_zero 0
		.amdhsa_exception_fp_ieee_overflow 0
		.amdhsa_exception_fp_ieee_underflow 0
		.amdhsa_exception_fp_ieee_inexact 0
		.amdhsa_exception_int_div_zero 0
	.end_amdhsa_kernel
	.section	.text._ZN7rocprim17ROCPRIM_400000_NS6detail17trampoline_kernelINS0_14default_configENS1_25partition_config_selectorILNS1_17partition_subalgoE8EyNS0_10empty_typeEbEEZZNS1_14partition_implILS5_8ELb0ES3_jN6thrust23THRUST_200600_302600_NS6detail15normal_iteratorINSA_10device_ptrIyEEEEPS6_PKS6_NS0_5tupleIJSF_S6_EEENSJ_IJSG_SG_EEENS0_18inequality_wrapperINSA_8equal_toIyEEEEPmJS6_EEE10hipError_tPvRmT3_T4_T5_T6_T7_T9_mT8_P12ihipStream_tbDpT10_ENKUlT_T0_E_clISt17integral_constantIbLb0EES1A_EEDaS15_S16_EUlS15_E_NS1_11comp_targetILNS1_3genE10ELNS1_11target_archE1200ELNS1_3gpuE4ELNS1_3repE0EEENS1_30default_config_static_selectorELNS0_4arch9wavefront6targetE1EEEvT1_,"axG",@progbits,_ZN7rocprim17ROCPRIM_400000_NS6detail17trampoline_kernelINS0_14default_configENS1_25partition_config_selectorILNS1_17partition_subalgoE8EyNS0_10empty_typeEbEEZZNS1_14partition_implILS5_8ELb0ES3_jN6thrust23THRUST_200600_302600_NS6detail15normal_iteratorINSA_10device_ptrIyEEEEPS6_PKS6_NS0_5tupleIJSF_S6_EEENSJ_IJSG_SG_EEENS0_18inequality_wrapperINSA_8equal_toIyEEEEPmJS6_EEE10hipError_tPvRmT3_T4_T5_T6_T7_T9_mT8_P12ihipStream_tbDpT10_ENKUlT_T0_E_clISt17integral_constantIbLb0EES1A_EEDaS15_S16_EUlS15_E_NS1_11comp_targetILNS1_3genE10ELNS1_11target_archE1200ELNS1_3gpuE4ELNS1_3repE0EEENS1_30default_config_static_selectorELNS0_4arch9wavefront6targetE1EEEvT1_,comdat
.Lfunc_end150:
	.size	_ZN7rocprim17ROCPRIM_400000_NS6detail17trampoline_kernelINS0_14default_configENS1_25partition_config_selectorILNS1_17partition_subalgoE8EyNS0_10empty_typeEbEEZZNS1_14partition_implILS5_8ELb0ES3_jN6thrust23THRUST_200600_302600_NS6detail15normal_iteratorINSA_10device_ptrIyEEEEPS6_PKS6_NS0_5tupleIJSF_S6_EEENSJ_IJSG_SG_EEENS0_18inequality_wrapperINSA_8equal_toIyEEEEPmJS6_EEE10hipError_tPvRmT3_T4_T5_T6_T7_T9_mT8_P12ihipStream_tbDpT10_ENKUlT_T0_E_clISt17integral_constantIbLb0EES1A_EEDaS15_S16_EUlS15_E_NS1_11comp_targetILNS1_3genE10ELNS1_11target_archE1200ELNS1_3gpuE4ELNS1_3repE0EEENS1_30default_config_static_selectorELNS0_4arch9wavefront6targetE1EEEvT1_, .Lfunc_end150-_ZN7rocprim17ROCPRIM_400000_NS6detail17trampoline_kernelINS0_14default_configENS1_25partition_config_selectorILNS1_17partition_subalgoE8EyNS0_10empty_typeEbEEZZNS1_14partition_implILS5_8ELb0ES3_jN6thrust23THRUST_200600_302600_NS6detail15normal_iteratorINSA_10device_ptrIyEEEEPS6_PKS6_NS0_5tupleIJSF_S6_EEENSJ_IJSG_SG_EEENS0_18inequality_wrapperINSA_8equal_toIyEEEEPmJS6_EEE10hipError_tPvRmT3_T4_T5_T6_T7_T9_mT8_P12ihipStream_tbDpT10_ENKUlT_T0_E_clISt17integral_constantIbLb0EES1A_EEDaS15_S16_EUlS15_E_NS1_11comp_targetILNS1_3genE10ELNS1_11target_archE1200ELNS1_3gpuE4ELNS1_3repE0EEENS1_30default_config_static_selectorELNS0_4arch9wavefront6targetE1EEEvT1_
                                        ; -- End function
	.set _ZN7rocprim17ROCPRIM_400000_NS6detail17trampoline_kernelINS0_14default_configENS1_25partition_config_selectorILNS1_17partition_subalgoE8EyNS0_10empty_typeEbEEZZNS1_14partition_implILS5_8ELb0ES3_jN6thrust23THRUST_200600_302600_NS6detail15normal_iteratorINSA_10device_ptrIyEEEEPS6_PKS6_NS0_5tupleIJSF_S6_EEENSJ_IJSG_SG_EEENS0_18inequality_wrapperINSA_8equal_toIyEEEEPmJS6_EEE10hipError_tPvRmT3_T4_T5_T6_T7_T9_mT8_P12ihipStream_tbDpT10_ENKUlT_T0_E_clISt17integral_constantIbLb0EES1A_EEDaS15_S16_EUlS15_E_NS1_11comp_targetILNS1_3genE10ELNS1_11target_archE1200ELNS1_3gpuE4ELNS1_3repE0EEENS1_30default_config_static_selectorELNS0_4arch9wavefront6targetE1EEEvT1_.num_vgpr, 0
	.set _ZN7rocprim17ROCPRIM_400000_NS6detail17trampoline_kernelINS0_14default_configENS1_25partition_config_selectorILNS1_17partition_subalgoE8EyNS0_10empty_typeEbEEZZNS1_14partition_implILS5_8ELb0ES3_jN6thrust23THRUST_200600_302600_NS6detail15normal_iteratorINSA_10device_ptrIyEEEEPS6_PKS6_NS0_5tupleIJSF_S6_EEENSJ_IJSG_SG_EEENS0_18inequality_wrapperINSA_8equal_toIyEEEEPmJS6_EEE10hipError_tPvRmT3_T4_T5_T6_T7_T9_mT8_P12ihipStream_tbDpT10_ENKUlT_T0_E_clISt17integral_constantIbLb0EES1A_EEDaS15_S16_EUlS15_E_NS1_11comp_targetILNS1_3genE10ELNS1_11target_archE1200ELNS1_3gpuE4ELNS1_3repE0EEENS1_30default_config_static_selectorELNS0_4arch9wavefront6targetE1EEEvT1_.num_agpr, 0
	.set _ZN7rocprim17ROCPRIM_400000_NS6detail17trampoline_kernelINS0_14default_configENS1_25partition_config_selectorILNS1_17partition_subalgoE8EyNS0_10empty_typeEbEEZZNS1_14partition_implILS5_8ELb0ES3_jN6thrust23THRUST_200600_302600_NS6detail15normal_iteratorINSA_10device_ptrIyEEEEPS6_PKS6_NS0_5tupleIJSF_S6_EEENSJ_IJSG_SG_EEENS0_18inequality_wrapperINSA_8equal_toIyEEEEPmJS6_EEE10hipError_tPvRmT3_T4_T5_T6_T7_T9_mT8_P12ihipStream_tbDpT10_ENKUlT_T0_E_clISt17integral_constantIbLb0EES1A_EEDaS15_S16_EUlS15_E_NS1_11comp_targetILNS1_3genE10ELNS1_11target_archE1200ELNS1_3gpuE4ELNS1_3repE0EEENS1_30default_config_static_selectorELNS0_4arch9wavefront6targetE1EEEvT1_.numbered_sgpr, 0
	.set _ZN7rocprim17ROCPRIM_400000_NS6detail17trampoline_kernelINS0_14default_configENS1_25partition_config_selectorILNS1_17partition_subalgoE8EyNS0_10empty_typeEbEEZZNS1_14partition_implILS5_8ELb0ES3_jN6thrust23THRUST_200600_302600_NS6detail15normal_iteratorINSA_10device_ptrIyEEEEPS6_PKS6_NS0_5tupleIJSF_S6_EEENSJ_IJSG_SG_EEENS0_18inequality_wrapperINSA_8equal_toIyEEEEPmJS6_EEE10hipError_tPvRmT3_T4_T5_T6_T7_T9_mT8_P12ihipStream_tbDpT10_ENKUlT_T0_E_clISt17integral_constantIbLb0EES1A_EEDaS15_S16_EUlS15_E_NS1_11comp_targetILNS1_3genE10ELNS1_11target_archE1200ELNS1_3gpuE4ELNS1_3repE0EEENS1_30default_config_static_selectorELNS0_4arch9wavefront6targetE1EEEvT1_.num_named_barrier, 0
	.set _ZN7rocprim17ROCPRIM_400000_NS6detail17trampoline_kernelINS0_14default_configENS1_25partition_config_selectorILNS1_17partition_subalgoE8EyNS0_10empty_typeEbEEZZNS1_14partition_implILS5_8ELb0ES3_jN6thrust23THRUST_200600_302600_NS6detail15normal_iteratorINSA_10device_ptrIyEEEEPS6_PKS6_NS0_5tupleIJSF_S6_EEENSJ_IJSG_SG_EEENS0_18inequality_wrapperINSA_8equal_toIyEEEEPmJS6_EEE10hipError_tPvRmT3_T4_T5_T6_T7_T9_mT8_P12ihipStream_tbDpT10_ENKUlT_T0_E_clISt17integral_constantIbLb0EES1A_EEDaS15_S16_EUlS15_E_NS1_11comp_targetILNS1_3genE10ELNS1_11target_archE1200ELNS1_3gpuE4ELNS1_3repE0EEENS1_30default_config_static_selectorELNS0_4arch9wavefront6targetE1EEEvT1_.private_seg_size, 0
	.set _ZN7rocprim17ROCPRIM_400000_NS6detail17trampoline_kernelINS0_14default_configENS1_25partition_config_selectorILNS1_17partition_subalgoE8EyNS0_10empty_typeEbEEZZNS1_14partition_implILS5_8ELb0ES3_jN6thrust23THRUST_200600_302600_NS6detail15normal_iteratorINSA_10device_ptrIyEEEEPS6_PKS6_NS0_5tupleIJSF_S6_EEENSJ_IJSG_SG_EEENS0_18inequality_wrapperINSA_8equal_toIyEEEEPmJS6_EEE10hipError_tPvRmT3_T4_T5_T6_T7_T9_mT8_P12ihipStream_tbDpT10_ENKUlT_T0_E_clISt17integral_constantIbLb0EES1A_EEDaS15_S16_EUlS15_E_NS1_11comp_targetILNS1_3genE10ELNS1_11target_archE1200ELNS1_3gpuE4ELNS1_3repE0EEENS1_30default_config_static_selectorELNS0_4arch9wavefront6targetE1EEEvT1_.uses_vcc, 0
	.set _ZN7rocprim17ROCPRIM_400000_NS6detail17trampoline_kernelINS0_14default_configENS1_25partition_config_selectorILNS1_17partition_subalgoE8EyNS0_10empty_typeEbEEZZNS1_14partition_implILS5_8ELb0ES3_jN6thrust23THRUST_200600_302600_NS6detail15normal_iteratorINSA_10device_ptrIyEEEEPS6_PKS6_NS0_5tupleIJSF_S6_EEENSJ_IJSG_SG_EEENS0_18inequality_wrapperINSA_8equal_toIyEEEEPmJS6_EEE10hipError_tPvRmT3_T4_T5_T6_T7_T9_mT8_P12ihipStream_tbDpT10_ENKUlT_T0_E_clISt17integral_constantIbLb0EES1A_EEDaS15_S16_EUlS15_E_NS1_11comp_targetILNS1_3genE10ELNS1_11target_archE1200ELNS1_3gpuE4ELNS1_3repE0EEENS1_30default_config_static_selectorELNS0_4arch9wavefront6targetE1EEEvT1_.uses_flat_scratch, 0
	.set _ZN7rocprim17ROCPRIM_400000_NS6detail17trampoline_kernelINS0_14default_configENS1_25partition_config_selectorILNS1_17partition_subalgoE8EyNS0_10empty_typeEbEEZZNS1_14partition_implILS5_8ELb0ES3_jN6thrust23THRUST_200600_302600_NS6detail15normal_iteratorINSA_10device_ptrIyEEEEPS6_PKS6_NS0_5tupleIJSF_S6_EEENSJ_IJSG_SG_EEENS0_18inequality_wrapperINSA_8equal_toIyEEEEPmJS6_EEE10hipError_tPvRmT3_T4_T5_T6_T7_T9_mT8_P12ihipStream_tbDpT10_ENKUlT_T0_E_clISt17integral_constantIbLb0EES1A_EEDaS15_S16_EUlS15_E_NS1_11comp_targetILNS1_3genE10ELNS1_11target_archE1200ELNS1_3gpuE4ELNS1_3repE0EEENS1_30default_config_static_selectorELNS0_4arch9wavefront6targetE1EEEvT1_.has_dyn_sized_stack, 0
	.set _ZN7rocprim17ROCPRIM_400000_NS6detail17trampoline_kernelINS0_14default_configENS1_25partition_config_selectorILNS1_17partition_subalgoE8EyNS0_10empty_typeEbEEZZNS1_14partition_implILS5_8ELb0ES3_jN6thrust23THRUST_200600_302600_NS6detail15normal_iteratorINSA_10device_ptrIyEEEEPS6_PKS6_NS0_5tupleIJSF_S6_EEENSJ_IJSG_SG_EEENS0_18inequality_wrapperINSA_8equal_toIyEEEEPmJS6_EEE10hipError_tPvRmT3_T4_T5_T6_T7_T9_mT8_P12ihipStream_tbDpT10_ENKUlT_T0_E_clISt17integral_constantIbLb0EES1A_EEDaS15_S16_EUlS15_E_NS1_11comp_targetILNS1_3genE10ELNS1_11target_archE1200ELNS1_3gpuE4ELNS1_3repE0EEENS1_30default_config_static_selectorELNS0_4arch9wavefront6targetE1EEEvT1_.has_recursion, 0
	.set _ZN7rocprim17ROCPRIM_400000_NS6detail17trampoline_kernelINS0_14default_configENS1_25partition_config_selectorILNS1_17partition_subalgoE8EyNS0_10empty_typeEbEEZZNS1_14partition_implILS5_8ELb0ES3_jN6thrust23THRUST_200600_302600_NS6detail15normal_iteratorINSA_10device_ptrIyEEEEPS6_PKS6_NS0_5tupleIJSF_S6_EEENSJ_IJSG_SG_EEENS0_18inequality_wrapperINSA_8equal_toIyEEEEPmJS6_EEE10hipError_tPvRmT3_T4_T5_T6_T7_T9_mT8_P12ihipStream_tbDpT10_ENKUlT_T0_E_clISt17integral_constantIbLb0EES1A_EEDaS15_S16_EUlS15_E_NS1_11comp_targetILNS1_3genE10ELNS1_11target_archE1200ELNS1_3gpuE4ELNS1_3repE0EEENS1_30default_config_static_selectorELNS0_4arch9wavefront6targetE1EEEvT1_.has_indirect_call, 0
	.section	.AMDGPU.csdata,"",@progbits
; Kernel info:
; codeLenInByte = 0
; TotalNumSgprs: 4
; NumVgprs: 0
; ScratchSize: 0
; MemoryBound: 0
; FloatMode: 240
; IeeeMode: 1
; LDSByteSize: 0 bytes/workgroup (compile time only)
; SGPRBlocks: 0
; VGPRBlocks: 0
; NumSGPRsForWavesPerEU: 4
; NumVGPRsForWavesPerEU: 1
; Occupancy: 10
; WaveLimiterHint : 0
; COMPUTE_PGM_RSRC2:SCRATCH_EN: 0
; COMPUTE_PGM_RSRC2:USER_SGPR: 6
; COMPUTE_PGM_RSRC2:TRAP_HANDLER: 0
; COMPUTE_PGM_RSRC2:TGID_X_EN: 1
; COMPUTE_PGM_RSRC2:TGID_Y_EN: 0
; COMPUTE_PGM_RSRC2:TGID_Z_EN: 0
; COMPUTE_PGM_RSRC2:TIDIG_COMP_CNT: 0
	.section	.text._ZN7rocprim17ROCPRIM_400000_NS6detail17trampoline_kernelINS0_14default_configENS1_25partition_config_selectorILNS1_17partition_subalgoE8EyNS0_10empty_typeEbEEZZNS1_14partition_implILS5_8ELb0ES3_jN6thrust23THRUST_200600_302600_NS6detail15normal_iteratorINSA_10device_ptrIyEEEEPS6_PKS6_NS0_5tupleIJSF_S6_EEENSJ_IJSG_SG_EEENS0_18inequality_wrapperINSA_8equal_toIyEEEEPmJS6_EEE10hipError_tPvRmT3_T4_T5_T6_T7_T9_mT8_P12ihipStream_tbDpT10_ENKUlT_T0_E_clISt17integral_constantIbLb0EES1A_EEDaS15_S16_EUlS15_E_NS1_11comp_targetILNS1_3genE9ELNS1_11target_archE1100ELNS1_3gpuE3ELNS1_3repE0EEENS1_30default_config_static_selectorELNS0_4arch9wavefront6targetE1EEEvT1_,"axG",@progbits,_ZN7rocprim17ROCPRIM_400000_NS6detail17trampoline_kernelINS0_14default_configENS1_25partition_config_selectorILNS1_17partition_subalgoE8EyNS0_10empty_typeEbEEZZNS1_14partition_implILS5_8ELb0ES3_jN6thrust23THRUST_200600_302600_NS6detail15normal_iteratorINSA_10device_ptrIyEEEEPS6_PKS6_NS0_5tupleIJSF_S6_EEENSJ_IJSG_SG_EEENS0_18inequality_wrapperINSA_8equal_toIyEEEEPmJS6_EEE10hipError_tPvRmT3_T4_T5_T6_T7_T9_mT8_P12ihipStream_tbDpT10_ENKUlT_T0_E_clISt17integral_constantIbLb0EES1A_EEDaS15_S16_EUlS15_E_NS1_11comp_targetILNS1_3genE9ELNS1_11target_archE1100ELNS1_3gpuE3ELNS1_3repE0EEENS1_30default_config_static_selectorELNS0_4arch9wavefront6targetE1EEEvT1_,comdat
	.protected	_ZN7rocprim17ROCPRIM_400000_NS6detail17trampoline_kernelINS0_14default_configENS1_25partition_config_selectorILNS1_17partition_subalgoE8EyNS0_10empty_typeEbEEZZNS1_14partition_implILS5_8ELb0ES3_jN6thrust23THRUST_200600_302600_NS6detail15normal_iteratorINSA_10device_ptrIyEEEEPS6_PKS6_NS0_5tupleIJSF_S6_EEENSJ_IJSG_SG_EEENS0_18inequality_wrapperINSA_8equal_toIyEEEEPmJS6_EEE10hipError_tPvRmT3_T4_T5_T6_T7_T9_mT8_P12ihipStream_tbDpT10_ENKUlT_T0_E_clISt17integral_constantIbLb0EES1A_EEDaS15_S16_EUlS15_E_NS1_11comp_targetILNS1_3genE9ELNS1_11target_archE1100ELNS1_3gpuE3ELNS1_3repE0EEENS1_30default_config_static_selectorELNS0_4arch9wavefront6targetE1EEEvT1_ ; -- Begin function _ZN7rocprim17ROCPRIM_400000_NS6detail17trampoline_kernelINS0_14default_configENS1_25partition_config_selectorILNS1_17partition_subalgoE8EyNS0_10empty_typeEbEEZZNS1_14partition_implILS5_8ELb0ES3_jN6thrust23THRUST_200600_302600_NS6detail15normal_iteratorINSA_10device_ptrIyEEEEPS6_PKS6_NS0_5tupleIJSF_S6_EEENSJ_IJSG_SG_EEENS0_18inequality_wrapperINSA_8equal_toIyEEEEPmJS6_EEE10hipError_tPvRmT3_T4_T5_T6_T7_T9_mT8_P12ihipStream_tbDpT10_ENKUlT_T0_E_clISt17integral_constantIbLb0EES1A_EEDaS15_S16_EUlS15_E_NS1_11comp_targetILNS1_3genE9ELNS1_11target_archE1100ELNS1_3gpuE3ELNS1_3repE0EEENS1_30default_config_static_selectorELNS0_4arch9wavefront6targetE1EEEvT1_
	.globl	_ZN7rocprim17ROCPRIM_400000_NS6detail17trampoline_kernelINS0_14default_configENS1_25partition_config_selectorILNS1_17partition_subalgoE8EyNS0_10empty_typeEbEEZZNS1_14partition_implILS5_8ELb0ES3_jN6thrust23THRUST_200600_302600_NS6detail15normal_iteratorINSA_10device_ptrIyEEEEPS6_PKS6_NS0_5tupleIJSF_S6_EEENSJ_IJSG_SG_EEENS0_18inequality_wrapperINSA_8equal_toIyEEEEPmJS6_EEE10hipError_tPvRmT3_T4_T5_T6_T7_T9_mT8_P12ihipStream_tbDpT10_ENKUlT_T0_E_clISt17integral_constantIbLb0EES1A_EEDaS15_S16_EUlS15_E_NS1_11comp_targetILNS1_3genE9ELNS1_11target_archE1100ELNS1_3gpuE3ELNS1_3repE0EEENS1_30default_config_static_selectorELNS0_4arch9wavefront6targetE1EEEvT1_
	.p2align	8
	.type	_ZN7rocprim17ROCPRIM_400000_NS6detail17trampoline_kernelINS0_14default_configENS1_25partition_config_selectorILNS1_17partition_subalgoE8EyNS0_10empty_typeEbEEZZNS1_14partition_implILS5_8ELb0ES3_jN6thrust23THRUST_200600_302600_NS6detail15normal_iteratorINSA_10device_ptrIyEEEEPS6_PKS6_NS0_5tupleIJSF_S6_EEENSJ_IJSG_SG_EEENS0_18inequality_wrapperINSA_8equal_toIyEEEEPmJS6_EEE10hipError_tPvRmT3_T4_T5_T6_T7_T9_mT8_P12ihipStream_tbDpT10_ENKUlT_T0_E_clISt17integral_constantIbLb0EES1A_EEDaS15_S16_EUlS15_E_NS1_11comp_targetILNS1_3genE9ELNS1_11target_archE1100ELNS1_3gpuE3ELNS1_3repE0EEENS1_30default_config_static_selectorELNS0_4arch9wavefront6targetE1EEEvT1_,@function
_ZN7rocprim17ROCPRIM_400000_NS6detail17trampoline_kernelINS0_14default_configENS1_25partition_config_selectorILNS1_17partition_subalgoE8EyNS0_10empty_typeEbEEZZNS1_14partition_implILS5_8ELb0ES3_jN6thrust23THRUST_200600_302600_NS6detail15normal_iteratorINSA_10device_ptrIyEEEEPS6_PKS6_NS0_5tupleIJSF_S6_EEENSJ_IJSG_SG_EEENS0_18inequality_wrapperINSA_8equal_toIyEEEEPmJS6_EEE10hipError_tPvRmT3_T4_T5_T6_T7_T9_mT8_P12ihipStream_tbDpT10_ENKUlT_T0_E_clISt17integral_constantIbLb0EES1A_EEDaS15_S16_EUlS15_E_NS1_11comp_targetILNS1_3genE9ELNS1_11target_archE1100ELNS1_3gpuE3ELNS1_3repE0EEENS1_30default_config_static_selectorELNS0_4arch9wavefront6targetE1EEEvT1_: ; @_ZN7rocprim17ROCPRIM_400000_NS6detail17trampoline_kernelINS0_14default_configENS1_25partition_config_selectorILNS1_17partition_subalgoE8EyNS0_10empty_typeEbEEZZNS1_14partition_implILS5_8ELb0ES3_jN6thrust23THRUST_200600_302600_NS6detail15normal_iteratorINSA_10device_ptrIyEEEEPS6_PKS6_NS0_5tupleIJSF_S6_EEENSJ_IJSG_SG_EEENS0_18inequality_wrapperINSA_8equal_toIyEEEEPmJS6_EEE10hipError_tPvRmT3_T4_T5_T6_T7_T9_mT8_P12ihipStream_tbDpT10_ENKUlT_T0_E_clISt17integral_constantIbLb0EES1A_EEDaS15_S16_EUlS15_E_NS1_11comp_targetILNS1_3genE9ELNS1_11target_archE1100ELNS1_3gpuE3ELNS1_3repE0EEENS1_30default_config_static_selectorELNS0_4arch9wavefront6targetE1EEEvT1_
; %bb.0:
	.section	.rodata,"a",@progbits
	.p2align	6, 0x0
	.amdhsa_kernel _ZN7rocprim17ROCPRIM_400000_NS6detail17trampoline_kernelINS0_14default_configENS1_25partition_config_selectorILNS1_17partition_subalgoE8EyNS0_10empty_typeEbEEZZNS1_14partition_implILS5_8ELb0ES3_jN6thrust23THRUST_200600_302600_NS6detail15normal_iteratorINSA_10device_ptrIyEEEEPS6_PKS6_NS0_5tupleIJSF_S6_EEENSJ_IJSG_SG_EEENS0_18inequality_wrapperINSA_8equal_toIyEEEEPmJS6_EEE10hipError_tPvRmT3_T4_T5_T6_T7_T9_mT8_P12ihipStream_tbDpT10_ENKUlT_T0_E_clISt17integral_constantIbLb0EES1A_EEDaS15_S16_EUlS15_E_NS1_11comp_targetILNS1_3genE9ELNS1_11target_archE1100ELNS1_3gpuE3ELNS1_3repE0EEENS1_30default_config_static_selectorELNS0_4arch9wavefront6targetE1EEEvT1_
		.amdhsa_group_segment_fixed_size 0
		.amdhsa_private_segment_fixed_size 0
		.amdhsa_kernarg_size 112
		.amdhsa_user_sgpr_count 6
		.amdhsa_user_sgpr_private_segment_buffer 1
		.amdhsa_user_sgpr_dispatch_ptr 0
		.amdhsa_user_sgpr_queue_ptr 0
		.amdhsa_user_sgpr_kernarg_segment_ptr 1
		.amdhsa_user_sgpr_dispatch_id 0
		.amdhsa_user_sgpr_flat_scratch_init 0
		.amdhsa_user_sgpr_private_segment_size 0
		.amdhsa_uses_dynamic_stack 0
		.amdhsa_system_sgpr_private_segment_wavefront_offset 0
		.amdhsa_system_sgpr_workgroup_id_x 1
		.amdhsa_system_sgpr_workgroup_id_y 0
		.amdhsa_system_sgpr_workgroup_id_z 0
		.amdhsa_system_sgpr_workgroup_info 0
		.amdhsa_system_vgpr_workitem_id 0
		.amdhsa_next_free_vgpr 1
		.amdhsa_next_free_sgpr 0
		.amdhsa_reserve_vcc 0
		.amdhsa_reserve_flat_scratch 0
		.amdhsa_float_round_mode_32 0
		.amdhsa_float_round_mode_16_64 0
		.amdhsa_float_denorm_mode_32 3
		.amdhsa_float_denorm_mode_16_64 3
		.amdhsa_dx10_clamp 1
		.amdhsa_ieee_mode 1
		.amdhsa_fp16_overflow 0
		.amdhsa_exception_fp_ieee_invalid_op 0
		.amdhsa_exception_fp_denorm_src 0
		.amdhsa_exception_fp_ieee_div_zero 0
		.amdhsa_exception_fp_ieee_overflow 0
		.amdhsa_exception_fp_ieee_underflow 0
		.amdhsa_exception_fp_ieee_inexact 0
		.amdhsa_exception_int_div_zero 0
	.end_amdhsa_kernel
	.section	.text._ZN7rocprim17ROCPRIM_400000_NS6detail17trampoline_kernelINS0_14default_configENS1_25partition_config_selectorILNS1_17partition_subalgoE8EyNS0_10empty_typeEbEEZZNS1_14partition_implILS5_8ELb0ES3_jN6thrust23THRUST_200600_302600_NS6detail15normal_iteratorINSA_10device_ptrIyEEEEPS6_PKS6_NS0_5tupleIJSF_S6_EEENSJ_IJSG_SG_EEENS0_18inequality_wrapperINSA_8equal_toIyEEEEPmJS6_EEE10hipError_tPvRmT3_T4_T5_T6_T7_T9_mT8_P12ihipStream_tbDpT10_ENKUlT_T0_E_clISt17integral_constantIbLb0EES1A_EEDaS15_S16_EUlS15_E_NS1_11comp_targetILNS1_3genE9ELNS1_11target_archE1100ELNS1_3gpuE3ELNS1_3repE0EEENS1_30default_config_static_selectorELNS0_4arch9wavefront6targetE1EEEvT1_,"axG",@progbits,_ZN7rocprim17ROCPRIM_400000_NS6detail17trampoline_kernelINS0_14default_configENS1_25partition_config_selectorILNS1_17partition_subalgoE8EyNS0_10empty_typeEbEEZZNS1_14partition_implILS5_8ELb0ES3_jN6thrust23THRUST_200600_302600_NS6detail15normal_iteratorINSA_10device_ptrIyEEEEPS6_PKS6_NS0_5tupleIJSF_S6_EEENSJ_IJSG_SG_EEENS0_18inequality_wrapperINSA_8equal_toIyEEEEPmJS6_EEE10hipError_tPvRmT3_T4_T5_T6_T7_T9_mT8_P12ihipStream_tbDpT10_ENKUlT_T0_E_clISt17integral_constantIbLb0EES1A_EEDaS15_S16_EUlS15_E_NS1_11comp_targetILNS1_3genE9ELNS1_11target_archE1100ELNS1_3gpuE3ELNS1_3repE0EEENS1_30default_config_static_selectorELNS0_4arch9wavefront6targetE1EEEvT1_,comdat
.Lfunc_end151:
	.size	_ZN7rocprim17ROCPRIM_400000_NS6detail17trampoline_kernelINS0_14default_configENS1_25partition_config_selectorILNS1_17partition_subalgoE8EyNS0_10empty_typeEbEEZZNS1_14partition_implILS5_8ELb0ES3_jN6thrust23THRUST_200600_302600_NS6detail15normal_iteratorINSA_10device_ptrIyEEEEPS6_PKS6_NS0_5tupleIJSF_S6_EEENSJ_IJSG_SG_EEENS0_18inequality_wrapperINSA_8equal_toIyEEEEPmJS6_EEE10hipError_tPvRmT3_T4_T5_T6_T7_T9_mT8_P12ihipStream_tbDpT10_ENKUlT_T0_E_clISt17integral_constantIbLb0EES1A_EEDaS15_S16_EUlS15_E_NS1_11comp_targetILNS1_3genE9ELNS1_11target_archE1100ELNS1_3gpuE3ELNS1_3repE0EEENS1_30default_config_static_selectorELNS0_4arch9wavefront6targetE1EEEvT1_, .Lfunc_end151-_ZN7rocprim17ROCPRIM_400000_NS6detail17trampoline_kernelINS0_14default_configENS1_25partition_config_selectorILNS1_17partition_subalgoE8EyNS0_10empty_typeEbEEZZNS1_14partition_implILS5_8ELb0ES3_jN6thrust23THRUST_200600_302600_NS6detail15normal_iteratorINSA_10device_ptrIyEEEEPS6_PKS6_NS0_5tupleIJSF_S6_EEENSJ_IJSG_SG_EEENS0_18inequality_wrapperINSA_8equal_toIyEEEEPmJS6_EEE10hipError_tPvRmT3_T4_T5_T6_T7_T9_mT8_P12ihipStream_tbDpT10_ENKUlT_T0_E_clISt17integral_constantIbLb0EES1A_EEDaS15_S16_EUlS15_E_NS1_11comp_targetILNS1_3genE9ELNS1_11target_archE1100ELNS1_3gpuE3ELNS1_3repE0EEENS1_30default_config_static_selectorELNS0_4arch9wavefront6targetE1EEEvT1_
                                        ; -- End function
	.set _ZN7rocprim17ROCPRIM_400000_NS6detail17trampoline_kernelINS0_14default_configENS1_25partition_config_selectorILNS1_17partition_subalgoE8EyNS0_10empty_typeEbEEZZNS1_14partition_implILS5_8ELb0ES3_jN6thrust23THRUST_200600_302600_NS6detail15normal_iteratorINSA_10device_ptrIyEEEEPS6_PKS6_NS0_5tupleIJSF_S6_EEENSJ_IJSG_SG_EEENS0_18inequality_wrapperINSA_8equal_toIyEEEEPmJS6_EEE10hipError_tPvRmT3_T4_T5_T6_T7_T9_mT8_P12ihipStream_tbDpT10_ENKUlT_T0_E_clISt17integral_constantIbLb0EES1A_EEDaS15_S16_EUlS15_E_NS1_11comp_targetILNS1_3genE9ELNS1_11target_archE1100ELNS1_3gpuE3ELNS1_3repE0EEENS1_30default_config_static_selectorELNS0_4arch9wavefront6targetE1EEEvT1_.num_vgpr, 0
	.set _ZN7rocprim17ROCPRIM_400000_NS6detail17trampoline_kernelINS0_14default_configENS1_25partition_config_selectorILNS1_17partition_subalgoE8EyNS0_10empty_typeEbEEZZNS1_14partition_implILS5_8ELb0ES3_jN6thrust23THRUST_200600_302600_NS6detail15normal_iteratorINSA_10device_ptrIyEEEEPS6_PKS6_NS0_5tupleIJSF_S6_EEENSJ_IJSG_SG_EEENS0_18inequality_wrapperINSA_8equal_toIyEEEEPmJS6_EEE10hipError_tPvRmT3_T4_T5_T6_T7_T9_mT8_P12ihipStream_tbDpT10_ENKUlT_T0_E_clISt17integral_constantIbLb0EES1A_EEDaS15_S16_EUlS15_E_NS1_11comp_targetILNS1_3genE9ELNS1_11target_archE1100ELNS1_3gpuE3ELNS1_3repE0EEENS1_30default_config_static_selectorELNS0_4arch9wavefront6targetE1EEEvT1_.num_agpr, 0
	.set _ZN7rocprim17ROCPRIM_400000_NS6detail17trampoline_kernelINS0_14default_configENS1_25partition_config_selectorILNS1_17partition_subalgoE8EyNS0_10empty_typeEbEEZZNS1_14partition_implILS5_8ELb0ES3_jN6thrust23THRUST_200600_302600_NS6detail15normal_iteratorINSA_10device_ptrIyEEEEPS6_PKS6_NS0_5tupleIJSF_S6_EEENSJ_IJSG_SG_EEENS0_18inequality_wrapperINSA_8equal_toIyEEEEPmJS6_EEE10hipError_tPvRmT3_T4_T5_T6_T7_T9_mT8_P12ihipStream_tbDpT10_ENKUlT_T0_E_clISt17integral_constantIbLb0EES1A_EEDaS15_S16_EUlS15_E_NS1_11comp_targetILNS1_3genE9ELNS1_11target_archE1100ELNS1_3gpuE3ELNS1_3repE0EEENS1_30default_config_static_selectorELNS0_4arch9wavefront6targetE1EEEvT1_.numbered_sgpr, 0
	.set _ZN7rocprim17ROCPRIM_400000_NS6detail17trampoline_kernelINS0_14default_configENS1_25partition_config_selectorILNS1_17partition_subalgoE8EyNS0_10empty_typeEbEEZZNS1_14partition_implILS5_8ELb0ES3_jN6thrust23THRUST_200600_302600_NS6detail15normal_iteratorINSA_10device_ptrIyEEEEPS6_PKS6_NS0_5tupleIJSF_S6_EEENSJ_IJSG_SG_EEENS0_18inequality_wrapperINSA_8equal_toIyEEEEPmJS6_EEE10hipError_tPvRmT3_T4_T5_T6_T7_T9_mT8_P12ihipStream_tbDpT10_ENKUlT_T0_E_clISt17integral_constantIbLb0EES1A_EEDaS15_S16_EUlS15_E_NS1_11comp_targetILNS1_3genE9ELNS1_11target_archE1100ELNS1_3gpuE3ELNS1_3repE0EEENS1_30default_config_static_selectorELNS0_4arch9wavefront6targetE1EEEvT1_.num_named_barrier, 0
	.set _ZN7rocprim17ROCPRIM_400000_NS6detail17trampoline_kernelINS0_14default_configENS1_25partition_config_selectorILNS1_17partition_subalgoE8EyNS0_10empty_typeEbEEZZNS1_14partition_implILS5_8ELb0ES3_jN6thrust23THRUST_200600_302600_NS6detail15normal_iteratorINSA_10device_ptrIyEEEEPS6_PKS6_NS0_5tupleIJSF_S6_EEENSJ_IJSG_SG_EEENS0_18inequality_wrapperINSA_8equal_toIyEEEEPmJS6_EEE10hipError_tPvRmT3_T4_T5_T6_T7_T9_mT8_P12ihipStream_tbDpT10_ENKUlT_T0_E_clISt17integral_constantIbLb0EES1A_EEDaS15_S16_EUlS15_E_NS1_11comp_targetILNS1_3genE9ELNS1_11target_archE1100ELNS1_3gpuE3ELNS1_3repE0EEENS1_30default_config_static_selectorELNS0_4arch9wavefront6targetE1EEEvT1_.private_seg_size, 0
	.set _ZN7rocprim17ROCPRIM_400000_NS6detail17trampoline_kernelINS0_14default_configENS1_25partition_config_selectorILNS1_17partition_subalgoE8EyNS0_10empty_typeEbEEZZNS1_14partition_implILS5_8ELb0ES3_jN6thrust23THRUST_200600_302600_NS6detail15normal_iteratorINSA_10device_ptrIyEEEEPS6_PKS6_NS0_5tupleIJSF_S6_EEENSJ_IJSG_SG_EEENS0_18inequality_wrapperINSA_8equal_toIyEEEEPmJS6_EEE10hipError_tPvRmT3_T4_T5_T6_T7_T9_mT8_P12ihipStream_tbDpT10_ENKUlT_T0_E_clISt17integral_constantIbLb0EES1A_EEDaS15_S16_EUlS15_E_NS1_11comp_targetILNS1_3genE9ELNS1_11target_archE1100ELNS1_3gpuE3ELNS1_3repE0EEENS1_30default_config_static_selectorELNS0_4arch9wavefront6targetE1EEEvT1_.uses_vcc, 0
	.set _ZN7rocprim17ROCPRIM_400000_NS6detail17trampoline_kernelINS0_14default_configENS1_25partition_config_selectorILNS1_17partition_subalgoE8EyNS0_10empty_typeEbEEZZNS1_14partition_implILS5_8ELb0ES3_jN6thrust23THRUST_200600_302600_NS6detail15normal_iteratorINSA_10device_ptrIyEEEEPS6_PKS6_NS0_5tupleIJSF_S6_EEENSJ_IJSG_SG_EEENS0_18inequality_wrapperINSA_8equal_toIyEEEEPmJS6_EEE10hipError_tPvRmT3_T4_T5_T6_T7_T9_mT8_P12ihipStream_tbDpT10_ENKUlT_T0_E_clISt17integral_constantIbLb0EES1A_EEDaS15_S16_EUlS15_E_NS1_11comp_targetILNS1_3genE9ELNS1_11target_archE1100ELNS1_3gpuE3ELNS1_3repE0EEENS1_30default_config_static_selectorELNS0_4arch9wavefront6targetE1EEEvT1_.uses_flat_scratch, 0
	.set _ZN7rocprim17ROCPRIM_400000_NS6detail17trampoline_kernelINS0_14default_configENS1_25partition_config_selectorILNS1_17partition_subalgoE8EyNS0_10empty_typeEbEEZZNS1_14partition_implILS5_8ELb0ES3_jN6thrust23THRUST_200600_302600_NS6detail15normal_iteratorINSA_10device_ptrIyEEEEPS6_PKS6_NS0_5tupleIJSF_S6_EEENSJ_IJSG_SG_EEENS0_18inequality_wrapperINSA_8equal_toIyEEEEPmJS6_EEE10hipError_tPvRmT3_T4_T5_T6_T7_T9_mT8_P12ihipStream_tbDpT10_ENKUlT_T0_E_clISt17integral_constantIbLb0EES1A_EEDaS15_S16_EUlS15_E_NS1_11comp_targetILNS1_3genE9ELNS1_11target_archE1100ELNS1_3gpuE3ELNS1_3repE0EEENS1_30default_config_static_selectorELNS0_4arch9wavefront6targetE1EEEvT1_.has_dyn_sized_stack, 0
	.set _ZN7rocprim17ROCPRIM_400000_NS6detail17trampoline_kernelINS0_14default_configENS1_25partition_config_selectorILNS1_17partition_subalgoE8EyNS0_10empty_typeEbEEZZNS1_14partition_implILS5_8ELb0ES3_jN6thrust23THRUST_200600_302600_NS6detail15normal_iteratorINSA_10device_ptrIyEEEEPS6_PKS6_NS0_5tupleIJSF_S6_EEENSJ_IJSG_SG_EEENS0_18inequality_wrapperINSA_8equal_toIyEEEEPmJS6_EEE10hipError_tPvRmT3_T4_T5_T6_T7_T9_mT8_P12ihipStream_tbDpT10_ENKUlT_T0_E_clISt17integral_constantIbLb0EES1A_EEDaS15_S16_EUlS15_E_NS1_11comp_targetILNS1_3genE9ELNS1_11target_archE1100ELNS1_3gpuE3ELNS1_3repE0EEENS1_30default_config_static_selectorELNS0_4arch9wavefront6targetE1EEEvT1_.has_recursion, 0
	.set _ZN7rocprim17ROCPRIM_400000_NS6detail17trampoline_kernelINS0_14default_configENS1_25partition_config_selectorILNS1_17partition_subalgoE8EyNS0_10empty_typeEbEEZZNS1_14partition_implILS5_8ELb0ES3_jN6thrust23THRUST_200600_302600_NS6detail15normal_iteratorINSA_10device_ptrIyEEEEPS6_PKS6_NS0_5tupleIJSF_S6_EEENSJ_IJSG_SG_EEENS0_18inequality_wrapperINSA_8equal_toIyEEEEPmJS6_EEE10hipError_tPvRmT3_T4_T5_T6_T7_T9_mT8_P12ihipStream_tbDpT10_ENKUlT_T0_E_clISt17integral_constantIbLb0EES1A_EEDaS15_S16_EUlS15_E_NS1_11comp_targetILNS1_3genE9ELNS1_11target_archE1100ELNS1_3gpuE3ELNS1_3repE0EEENS1_30default_config_static_selectorELNS0_4arch9wavefront6targetE1EEEvT1_.has_indirect_call, 0
	.section	.AMDGPU.csdata,"",@progbits
; Kernel info:
; codeLenInByte = 0
; TotalNumSgprs: 4
; NumVgprs: 0
; ScratchSize: 0
; MemoryBound: 0
; FloatMode: 240
; IeeeMode: 1
; LDSByteSize: 0 bytes/workgroup (compile time only)
; SGPRBlocks: 0
; VGPRBlocks: 0
; NumSGPRsForWavesPerEU: 4
; NumVGPRsForWavesPerEU: 1
; Occupancy: 10
; WaveLimiterHint : 0
; COMPUTE_PGM_RSRC2:SCRATCH_EN: 0
; COMPUTE_PGM_RSRC2:USER_SGPR: 6
; COMPUTE_PGM_RSRC2:TRAP_HANDLER: 0
; COMPUTE_PGM_RSRC2:TGID_X_EN: 1
; COMPUTE_PGM_RSRC2:TGID_Y_EN: 0
; COMPUTE_PGM_RSRC2:TGID_Z_EN: 0
; COMPUTE_PGM_RSRC2:TIDIG_COMP_CNT: 0
	.section	.text._ZN7rocprim17ROCPRIM_400000_NS6detail17trampoline_kernelINS0_14default_configENS1_25partition_config_selectorILNS1_17partition_subalgoE8EyNS0_10empty_typeEbEEZZNS1_14partition_implILS5_8ELb0ES3_jN6thrust23THRUST_200600_302600_NS6detail15normal_iteratorINSA_10device_ptrIyEEEEPS6_PKS6_NS0_5tupleIJSF_S6_EEENSJ_IJSG_SG_EEENS0_18inequality_wrapperINSA_8equal_toIyEEEEPmJS6_EEE10hipError_tPvRmT3_T4_T5_T6_T7_T9_mT8_P12ihipStream_tbDpT10_ENKUlT_T0_E_clISt17integral_constantIbLb0EES1A_EEDaS15_S16_EUlS15_E_NS1_11comp_targetILNS1_3genE8ELNS1_11target_archE1030ELNS1_3gpuE2ELNS1_3repE0EEENS1_30default_config_static_selectorELNS0_4arch9wavefront6targetE1EEEvT1_,"axG",@progbits,_ZN7rocprim17ROCPRIM_400000_NS6detail17trampoline_kernelINS0_14default_configENS1_25partition_config_selectorILNS1_17partition_subalgoE8EyNS0_10empty_typeEbEEZZNS1_14partition_implILS5_8ELb0ES3_jN6thrust23THRUST_200600_302600_NS6detail15normal_iteratorINSA_10device_ptrIyEEEEPS6_PKS6_NS0_5tupleIJSF_S6_EEENSJ_IJSG_SG_EEENS0_18inequality_wrapperINSA_8equal_toIyEEEEPmJS6_EEE10hipError_tPvRmT3_T4_T5_T6_T7_T9_mT8_P12ihipStream_tbDpT10_ENKUlT_T0_E_clISt17integral_constantIbLb0EES1A_EEDaS15_S16_EUlS15_E_NS1_11comp_targetILNS1_3genE8ELNS1_11target_archE1030ELNS1_3gpuE2ELNS1_3repE0EEENS1_30default_config_static_selectorELNS0_4arch9wavefront6targetE1EEEvT1_,comdat
	.protected	_ZN7rocprim17ROCPRIM_400000_NS6detail17trampoline_kernelINS0_14default_configENS1_25partition_config_selectorILNS1_17partition_subalgoE8EyNS0_10empty_typeEbEEZZNS1_14partition_implILS5_8ELb0ES3_jN6thrust23THRUST_200600_302600_NS6detail15normal_iteratorINSA_10device_ptrIyEEEEPS6_PKS6_NS0_5tupleIJSF_S6_EEENSJ_IJSG_SG_EEENS0_18inequality_wrapperINSA_8equal_toIyEEEEPmJS6_EEE10hipError_tPvRmT3_T4_T5_T6_T7_T9_mT8_P12ihipStream_tbDpT10_ENKUlT_T0_E_clISt17integral_constantIbLb0EES1A_EEDaS15_S16_EUlS15_E_NS1_11comp_targetILNS1_3genE8ELNS1_11target_archE1030ELNS1_3gpuE2ELNS1_3repE0EEENS1_30default_config_static_selectorELNS0_4arch9wavefront6targetE1EEEvT1_ ; -- Begin function _ZN7rocprim17ROCPRIM_400000_NS6detail17trampoline_kernelINS0_14default_configENS1_25partition_config_selectorILNS1_17partition_subalgoE8EyNS0_10empty_typeEbEEZZNS1_14partition_implILS5_8ELb0ES3_jN6thrust23THRUST_200600_302600_NS6detail15normal_iteratorINSA_10device_ptrIyEEEEPS6_PKS6_NS0_5tupleIJSF_S6_EEENSJ_IJSG_SG_EEENS0_18inequality_wrapperINSA_8equal_toIyEEEEPmJS6_EEE10hipError_tPvRmT3_T4_T5_T6_T7_T9_mT8_P12ihipStream_tbDpT10_ENKUlT_T0_E_clISt17integral_constantIbLb0EES1A_EEDaS15_S16_EUlS15_E_NS1_11comp_targetILNS1_3genE8ELNS1_11target_archE1030ELNS1_3gpuE2ELNS1_3repE0EEENS1_30default_config_static_selectorELNS0_4arch9wavefront6targetE1EEEvT1_
	.globl	_ZN7rocprim17ROCPRIM_400000_NS6detail17trampoline_kernelINS0_14default_configENS1_25partition_config_selectorILNS1_17partition_subalgoE8EyNS0_10empty_typeEbEEZZNS1_14partition_implILS5_8ELb0ES3_jN6thrust23THRUST_200600_302600_NS6detail15normal_iteratorINSA_10device_ptrIyEEEEPS6_PKS6_NS0_5tupleIJSF_S6_EEENSJ_IJSG_SG_EEENS0_18inequality_wrapperINSA_8equal_toIyEEEEPmJS6_EEE10hipError_tPvRmT3_T4_T5_T6_T7_T9_mT8_P12ihipStream_tbDpT10_ENKUlT_T0_E_clISt17integral_constantIbLb0EES1A_EEDaS15_S16_EUlS15_E_NS1_11comp_targetILNS1_3genE8ELNS1_11target_archE1030ELNS1_3gpuE2ELNS1_3repE0EEENS1_30default_config_static_selectorELNS0_4arch9wavefront6targetE1EEEvT1_
	.p2align	8
	.type	_ZN7rocprim17ROCPRIM_400000_NS6detail17trampoline_kernelINS0_14default_configENS1_25partition_config_selectorILNS1_17partition_subalgoE8EyNS0_10empty_typeEbEEZZNS1_14partition_implILS5_8ELb0ES3_jN6thrust23THRUST_200600_302600_NS6detail15normal_iteratorINSA_10device_ptrIyEEEEPS6_PKS6_NS0_5tupleIJSF_S6_EEENSJ_IJSG_SG_EEENS0_18inequality_wrapperINSA_8equal_toIyEEEEPmJS6_EEE10hipError_tPvRmT3_T4_T5_T6_T7_T9_mT8_P12ihipStream_tbDpT10_ENKUlT_T0_E_clISt17integral_constantIbLb0EES1A_EEDaS15_S16_EUlS15_E_NS1_11comp_targetILNS1_3genE8ELNS1_11target_archE1030ELNS1_3gpuE2ELNS1_3repE0EEENS1_30default_config_static_selectorELNS0_4arch9wavefront6targetE1EEEvT1_,@function
_ZN7rocprim17ROCPRIM_400000_NS6detail17trampoline_kernelINS0_14default_configENS1_25partition_config_selectorILNS1_17partition_subalgoE8EyNS0_10empty_typeEbEEZZNS1_14partition_implILS5_8ELb0ES3_jN6thrust23THRUST_200600_302600_NS6detail15normal_iteratorINSA_10device_ptrIyEEEEPS6_PKS6_NS0_5tupleIJSF_S6_EEENSJ_IJSG_SG_EEENS0_18inequality_wrapperINSA_8equal_toIyEEEEPmJS6_EEE10hipError_tPvRmT3_T4_T5_T6_T7_T9_mT8_P12ihipStream_tbDpT10_ENKUlT_T0_E_clISt17integral_constantIbLb0EES1A_EEDaS15_S16_EUlS15_E_NS1_11comp_targetILNS1_3genE8ELNS1_11target_archE1030ELNS1_3gpuE2ELNS1_3repE0EEENS1_30default_config_static_selectorELNS0_4arch9wavefront6targetE1EEEvT1_: ; @_ZN7rocprim17ROCPRIM_400000_NS6detail17trampoline_kernelINS0_14default_configENS1_25partition_config_selectorILNS1_17partition_subalgoE8EyNS0_10empty_typeEbEEZZNS1_14partition_implILS5_8ELb0ES3_jN6thrust23THRUST_200600_302600_NS6detail15normal_iteratorINSA_10device_ptrIyEEEEPS6_PKS6_NS0_5tupleIJSF_S6_EEENSJ_IJSG_SG_EEENS0_18inequality_wrapperINSA_8equal_toIyEEEEPmJS6_EEE10hipError_tPvRmT3_T4_T5_T6_T7_T9_mT8_P12ihipStream_tbDpT10_ENKUlT_T0_E_clISt17integral_constantIbLb0EES1A_EEDaS15_S16_EUlS15_E_NS1_11comp_targetILNS1_3genE8ELNS1_11target_archE1030ELNS1_3gpuE2ELNS1_3repE0EEENS1_30default_config_static_selectorELNS0_4arch9wavefront6targetE1EEEvT1_
; %bb.0:
	.section	.rodata,"a",@progbits
	.p2align	6, 0x0
	.amdhsa_kernel _ZN7rocprim17ROCPRIM_400000_NS6detail17trampoline_kernelINS0_14default_configENS1_25partition_config_selectorILNS1_17partition_subalgoE8EyNS0_10empty_typeEbEEZZNS1_14partition_implILS5_8ELb0ES3_jN6thrust23THRUST_200600_302600_NS6detail15normal_iteratorINSA_10device_ptrIyEEEEPS6_PKS6_NS0_5tupleIJSF_S6_EEENSJ_IJSG_SG_EEENS0_18inequality_wrapperINSA_8equal_toIyEEEEPmJS6_EEE10hipError_tPvRmT3_T4_T5_T6_T7_T9_mT8_P12ihipStream_tbDpT10_ENKUlT_T0_E_clISt17integral_constantIbLb0EES1A_EEDaS15_S16_EUlS15_E_NS1_11comp_targetILNS1_3genE8ELNS1_11target_archE1030ELNS1_3gpuE2ELNS1_3repE0EEENS1_30default_config_static_selectorELNS0_4arch9wavefront6targetE1EEEvT1_
		.amdhsa_group_segment_fixed_size 0
		.amdhsa_private_segment_fixed_size 0
		.amdhsa_kernarg_size 112
		.amdhsa_user_sgpr_count 6
		.amdhsa_user_sgpr_private_segment_buffer 1
		.amdhsa_user_sgpr_dispatch_ptr 0
		.amdhsa_user_sgpr_queue_ptr 0
		.amdhsa_user_sgpr_kernarg_segment_ptr 1
		.amdhsa_user_sgpr_dispatch_id 0
		.amdhsa_user_sgpr_flat_scratch_init 0
		.amdhsa_user_sgpr_private_segment_size 0
		.amdhsa_uses_dynamic_stack 0
		.amdhsa_system_sgpr_private_segment_wavefront_offset 0
		.amdhsa_system_sgpr_workgroup_id_x 1
		.amdhsa_system_sgpr_workgroup_id_y 0
		.amdhsa_system_sgpr_workgroup_id_z 0
		.amdhsa_system_sgpr_workgroup_info 0
		.amdhsa_system_vgpr_workitem_id 0
		.amdhsa_next_free_vgpr 1
		.amdhsa_next_free_sgpr 0
		.amdhsa_reserve_vcc 0
		.amdhsa_reserve_flat_scratch 0
		.amdhsa_float_round_mode_32 0
		.amdhsa_float_round_mode_16_64 0
		.amdhsa_float_denorm_mode_32 3
		.amdhsa_float_denorm_mode_16_64 3
		.amdhsa_dx10_clamp 1
		.amdhsa_ieee_mode 1
		.amdhsa_fp16_overflow 0
		.amdhsa_exception_fp_ieee_invalid_op 0
		.amdhsa_exception_fp_denorm_src 0
		.amdhsa_exception_fp_ieee_div_zero 0
		.amdhsa_exception_fp_ieee_overflow 0
		.amdhsa_exception_fp_ieee_underflow 0
		.amdhsa_exception_fp_ieee_inexact 0
		.amdhsa_exception_int_div_zero 0
	.end_amdhsa_kernel
	.section	.text._ZN7rocprim17ROCPRIM_400000_NS6detail17trampoline_kernelINS0_14default_configENS1_25partition_config_selectorILNS1_17partition_subalgoE8EyNS0_10empty_typeEbEEZZNS1_14partition_implILS5_8ELb0ES3_jN6thrust23THRUST_200600_302600_NS6detail15normal_iteratorINSA_10device_ptrIyEEEEPS6_PKS6_NS0_5tupleIJSF_S6_EEENSJ_IJSG_SG_EEENS0_18inequality_wrapperINSA_8equal_toIyEEEEPmJS6_EEE10hipError_tPvRmT3_T4_T5_T6_T7_T9_mT8_P12ihipStream_tbDpT10_ENKUlT_T0_E_clISt17integral_constantIbLb0EES1A_EEDaS15_S16_EUlS15_E_NS1_11comp_targetILNS1_3genE8ELNS1_11target_archE1030ELNS1_3gpuE2ELNS1_3repE0EEENS1_30default_config_static_selectorELNS0_4arch9wavefront6targetE1EEEvT1_,"axG",@progbits,_ZN7rocprim17ROCPRIM_400000_NS6detail17trampoline_kernelINS0_14default_configENS1_25partition_config_selectorILNS1_17partition_subalgoE8EyNS0_10empty_typeEbEEZZNS1_14partition_implILS5_8ELb0ES3_jN6thrust23THRUST_200600_302600_NS6detail15normal_iteratorINSA_10device_ptrIyEEEEPS6_PKS6_NS0_5tupleIJSF_S6_EEENSJ_IJSG_SG_EEENS0_18inequality_wrapperINSA_8equal_toIyEEEEPmJS6_EEE10hipError_tPvRmT3_T4_T5_T6_T7_T9_mT8_P12ihipStream_tbDpT10_ENKUlT_T0_E_clISt17integral_constantIbLb0EES1A_EEDaS15_S16_EUlS15_E_NS1_11comp_targetILNS1_3genE8ELNS1_11target_archE1030ELNS1_3gpuE2ELNS1_3repE0EEENS1_30default_config_static_selectorELNS0_4arch9wavefront6targetE1EEEvT1_,comdat
.Lfunc_end152:
	.size	_ZN7rocprim17ROCPRIM_400000_NS6detail17trampoline_kernelINS0_14default_configENS1_25partition_config_selectorILNS1_17partition_subalgoE8EyNS0_10empty_typeEbEEZZNS1_14partition_implILS5_8ELb0ES3_jN6thrust23THRUST_200600_302600_NS6detail15normal_iteratorINSA_10device_ptrIyEEEEPS6_PKS6_NS0_5tupleIJSF_S6_EEENSJ_IJSG_SG_EEENS0_18inequality_wrapperINSA_8equal_toIyEEEEPmJS6_EEE10hipError_tPvRmT3_T4_T5_T6_T7_T9_mT8_P12ihipStream_tbDpT10_ENKUlT_T0_E_clISt17integral_constantIbLb0EES1A_EEDaS15_S16_EUlS15_E_NS1_11comp_targetILNS1_3genE8ELNS1_11target_archE1030ELNS1_3gpuE2ELNS1_3repE0EEENS1_30default_config_static_selectorELNS0_4arch9wavefront6targetE1EEEvT1_, .Lfunc_end152-_ZN7rocprim17ROCPRIM_400000_NS6detail17trampoline_kernelINS0_14default_configENS1_25partition_config_selectorILNS1_17partition_subalgoE8EyNS0_10empty_typeEbEEZZNS1_14partition_implILS5_8ELb0ES3_jN6thrust23THRUST_200600_302600_NS6detail15normal_iteratorINSA_10device_ptrIyEEEEPS6_PKS6_NS0_5tupleIJSF_S6_EEENSJ_IJSG_SG_EEENS0_18inequality_wrapperINSA_8equal_toIyEEEEPmJS6_EEE10hipError_tPvRmT3_T4_T5_T6_T7_T9_mT8_P12ihipStream_tbDpT10_ENKUlT_T0_E_clISt17integral_constantIbLb0EES1A_EEDaS15_S16_EUlS15_E_NS1_11comp_targetILNS1_3genE8ELNS1_11target_archE1030ELNS1_3gpuE2ELNS1_3repE0EEENS1_30default_config_static_selectorELNS0_4arch9wavefront6targetE1EEEvT1_
                                        ; -- End function
	.set _ZN7rocprim17ROCPRIM_400000_NS6detail17trampoline_kernelINS0_14default_configENS1_25partition_config_selectorILNS1_17partition_subalgoE8EyNS0_10empty_typeEbEEZZNS1_14partition_implILS5_8ELb0ES3_jN6thrust23THRUST_200600_302600_NS6detail15normal_iteratorINSA_10device_ptrIyEEEEPS6_PKS6_NS0_5tupleIJSF_S6_EEENSJ_IJSG_SG_EEENS0_18inequality_wrapperINSA_8equal_toIyEEEEPmJS6_EEE10hipError_tPvRmT3_T4_T5_T6_T7_T9_mT8_P12ihipStream_tbDpT10_ENKUlT_T0_E_clISt17integral_constantIbLb0EES1A_EEDaS15_S16_EUlS15_E_NS1_11comp_targetILNS1_3genE8ELNS1_11target_archE1030ELNS1_3gpuE2ELNS1_3repE0EEENS1_30default_config_static_selectorELNS0_4arch9wavefront6targetE1EEEvT1_.num_vgpr, 0
	.set _ZN7rocprim17ROCPRIM_400000_NS6detail17trampoline_kernelINS0_14default_configENS1_25partition_config_selectorILNS1_17partition_subalgoE8EyNS0_10empty_typeEbEEZZNS1_14partition_implILS5_8ELb0ES3_jN6thrust23THRUST_200600_302600_NS6detail15normal_iteratorINSA_10device_ptrIyEEEEPS6_PKS6_NS0_5tupleIJSF_S6_EEENSJ_IJSG_SG_EEENS0_18inequality_wrapperINSA_8equal_toIyEEEEPmJS6_EEE10hipError_tPvRmT3_T4_T5_T6_T7_T9_mT8_P12ihipStream_tbDpT10_ENKUlT_T0_E_clISt17integral_constantIbLb0EES1A_EEDaS15_S16_EUlS15_E_NS1_11comp_targetILNS1_3genE8ELNS1_11target_archE1030ELNS1_3gpuE2ELNS1_3repE0EEENS1_30default_config_static_selectorELNS0_4arch9wavefront6targetE1EEEvT1_.num_agpr, 0
	.set _ZN7rocprim17ROCPRIM_400000_NS6detail17trampoline_kernelINS0_14default_configENS1_25partition_config_selectorILNS1_17partition_subalgoE8EyNS0_10empty_typeEbEEZZNS1_14partition_implILS5_8ELb0ES3_jN6thrust23THRUST_200600_302600_NS6detail15normal_iteratorINSA_10device_ptrIyEEEEPS6_PKS6_NS0_5tupleIJSF_S6_EEENSJ_IJSG_SG_EEENS0_18inequality_wrapperINSA_8equal_toIyEEEEPmJS6_EEE10hipError_tPvRmT3_T4_T5_T6_T7_T9_mT8_P12ihipStream_tbDpT10_ENKUlT_T0_E_clISt17integral_constantIbLb0EES1A_EEDaS15_S16_EUlS15_E_NS1_11comp_targetILNS1_3genE8ELNS1_11target_archE1030ELNS1_3gpuE2ELNS1_3repE0EEENS1_30default_config_static_selectorELNS0_4arch9wavefront6targetE1EEEvT1_.numbered_sgpr, 0
	.set _ZN7rocprim17ROCPRIM_400000_NS6detail17trampoline_kernelINS0_14default_configENS1_25partition_config_selectorILNS1_17partition_subalgoE8EyNS0_10empty_typeEbEEZZNS1_14partition_implILS5_8ELb0ES3_jN6thrust23THRUST_200600_302600_NS6detail15normal_iteratorINSA_10device_ptrIyEEEEPS6_PKS6_NS0_5tupleIJSF_S6_EEENSJ_IJSG_SG_EEENS0_18inequality_wrapperINSA_8equal_toIyEEEEPmJS6_EEE10hipError_tPvRmT3_T4_T5_T6_T7_T9_mT8_P12ihipStream_tbDpT10_ENKUlT_T0_E_clISt17integral_constantIbLb0EES1A_EEDaS15_S16_EUlS15_E_NS1_11comp_targetILNS1_3genE8ELNS1_11target_archE1030ELNS1_3gpuE2ELNS1_3repE0EEENS1_30default_config_static_selectorELNS0_4arch9wavefront6targetE1EEEvT1_.num_named_barrier, 0
	.set _ZN7rocprim17ROCPRIM_400000_NS6detail17trampoline_kernelINS0_14default_configENS1_25partition_config_selectorILNS1_17partition_subalgoE8EyNS0_10empty_typeEbEEZZNS1_14partition_implILS5_8ELb0ES3_jN6thrust23THRUST_200600_302600_NS6detail15normal_iteratorINSA_10device_ptrIyEEEEPS6_PKS6_NS0_5tupleIJSF_S6_EEENSJ_IJSG_SG_EEENS0_18inequality_wrapperINSA_8equal_toIyEEEEPmJS6_EEE10hipError_tPvRmT3_T4_T5_T6_T7_T9_mT8_P12ihipStream_tbDpT10_ENKUlT_T0_E_clISt17integral_constantIbLb0EES1A_EEDaS15_S16_EUlS15_E_NS1_11comp_targetILNS1_3genE8ELNS1_11target_archE1030ELNS1_3gpuE2ELNS1_3repE0EEENS1_30default_config_static_selectorELNS0_4arch9wavefront6targetE1EEEvT1_.private_seg_size, 0
	.set _ZN7rocprim17ROCPRIM_400000_NS6detail17trampoline_kernelINS0_14default_configENS1_25partition_config_selectorILNS1_17partition_subalgoE8EyNS0_10empty_typeEbEEZZNS1_14partition_implILS5_8ELb0ES3_jN6thrust23THRUST_200600_302600_NS6detail15normal_iteratorINSA_10device_ptrIyEEEEPS6_PKS6_NS0_5tupleIJSF_S6_EEENSJ_IJSG_SG_EEENS0_18inequality_wrapperINSA_8equal_toIyEEEEPmJS6_EEE10hipError_tPvRmT3_T4_T5_T6_T7_T9_mT8_P12ihipStream_tbDpT10_ENKUlT_T0_E_clISt17integral_constantIbLb0EES1A_EEDaS15_S16_EUlS15_E_NS1_11comp_targetILNS1_3genE8ELNS1_11target_archE1030ELNS1_3gpuE2ELNS1_3repE0EEENS1_30default_config_static_selectorELNS0_4arch9wavefront6targetE1EEEvT1_.uses_vcc, 0
	.set _ZN7rocprim17ROCPRIM_400000_NS6detail17trampoline_kernelINS0_14default_configENS1_25partition_config_selectorILNS1_17partition_subalgoE8EyNS0_10empty_typeEbEEZZNS1_14partition_implILS5_8ELb0ES3_jN6thrust23THRUST_200600_302600_NS6detail15normal_iteratorINSA_10device_ptrIyEEEEPS6_PKS6_NS0_5tupleIJSF_S6_EEENSJ_IJSG_SG_EEENS0_18inequality_wrapperINSA_8equal_toIyEEEEPmJS6_EEE10hipError_tPvRmT3_T4_T5_T6_T7_T9_mT8_P12ihipStream_tbDpT10_ENKUlT_T0_E_clISt17integral_constantIbLb0EES1A_EEDaS15_S16_EUlS15_E_NS1_11comp_targetILNS1_3genE8ELNS1_11target_archE1030ELNS1_3gpuE2ELNS1_3repE0EEENS1_30default_config_static_selectorELNS0_4arch9wavefront6targetE1EEEvT1_.uses_flat_scratch, 0
	.set _ZN7rocprim17ROCPRIM_400000_NS6detail17trampoline_kernelINS0_14default_configENS1_25partition_config_selectorILNS1_17partition_subalgoE8EyNS0_10empty_typeEbEEZZNS1_14partition_implILS5_8ELb0ES3_jN6thrust23THRUST_200600_302600_NS6detail15normal_iteratorINSA_10device_ptrIyEEEEPS6_PKS6_NS0_5tupleIJSF_S6_EEENSJ_IJSG_SG_EEENS0_18inequality_wrapperINSA_8equal_toIyEEEEPmJS6_EEE10hipError_tPvRmT3_T4_T5_T6_T7_T9_mT8_P12ihipStream_tbDpT10_ENKUlT_T0_E_clISt17integral_constantIbLb0EES1A_EEDaS15_S16_EUlS15_E_NS1_11comp_targetILNS1_3genE8ELNS1_11target_archE1030ELNS1_3gpuE2ELNS1_3repE0EEENS1_30default_config_static_selectorELNS0_4arch9wavefront6targetE1EEEvT1_.has_dyn_sized_stack, 0
	.set _ZN7rocprim17ROCPRIM_400000_NS6detail17trampoline_kernelINS0_14default_configENS1_25partition_config_selectorILNS1_17partition_subalgoE8EyNS0_10empty_typeEbEEZZNS1_14partition_implILS5_8ELb0ES3_jN6thrust23THRUST_200600_302600_NS6detail15normal_iteratorINSA_10device_ptrIyEEEEPS6_PKS6_NS0_5tupleIJSF_S6_EEENSJ_IJSG_SG_EEENS0_18inequality_wrapperINSA_8equal_toIyEEEEPmJS6_EEE10hipError_tPvRmT3_T4_T5_T6_T7_T9_mT8_P12ihipStream_tbDpT10_ENKUlT_T0_E_clISt17integral_constantIbLb0EES1A_EEDaS15_S16_EUlS15_E_NS1_11comp_targetILNS1_3genE8ELNS1_11target_archE1030ELNS1_3gpuE2ELNS1_3repE0EEENS1_30default_config_static_selectorELNS0_4arch9wavefront6targetE1EEEvT1_.has_recursion, 0
	.set _ZN7rocprim17ROCPRIM_400000_NS6detail17trampoline_kernelINS0_14default_configENS1_25partition_config_selectorILNS1_17partition_subalgoE8EyNS0_10empty_typeEbEEZZNS1_14partition_implILS5_8ELb0ES3_jN6thrust23THRUST_200600_302600_NS6detail15normal_iteratorINSA_10device_ptrIyEEEEPS6_PKS6_NS0_5tupleIJSF_S6_EEENSJ_IJSG_SG_EEENS0_18inequality_wrapperINSA_8equal_toIyEEEEPmJS6_EEE10hipError_tPvRmT3_T4_T5_T6_T7_T9_mT8_P12ihipStream_tbDpT10_ENKUlT_T0_E_clISt17integral_constantIbLb0EES1A_EEDaS15_S16_EUlS15_E_NS1_11comp_targetILNS1_3genE8ELNS1_11target_archE1030ELNS1_3gpuE2ELNS1_3repE0EEENS1_30default_config_static_selectorELNS0_4arch9wavefront6targetE1EEEvT1_.has_indirect_call, 0
	.section	.AMDGPU.csdata,"",@progbits
; Kernel info:
; codeLenInByte = 0
; TotalNumSgprs: 4
; NumVgprs: 0
; ScratchSize: 0
; MemoryBound: 0
; FloatMode: 240
; IeeeMode: 1
; LDSByteSize: 0 bytes/workgroup (compile time only)
; SGPRBlocks: 0
; VGPRBlocks: 0
; NumSGPRsForWavesPerEU: 4
; NumVGPRsForWavesPerEU: 1
; Occupancy: 10
; WaveLimiterHint : 0
; COMPUTE_PGM_RSRC2:SCRATCH_EN: 0
; COMPUTE_PGM_RSRC2:USER_SGPR: 6
; COMPUTE_PGM_RSRC2:TRAP_HANDLER: 0
; COMPUTE_PGM_RSRC2:TGID_X_EN: 1
; COMPUTE_PGM_RSRC2:TGID_Y_EN: 0
; COMPUTE_PGM_RSRC2:TGID_Z_EN: 0
; COMPUTE_PGM_RSRC2:TIDIG_COMP_CNT: 0
	.section	.text._ZN7rocprim17ROCPRIM_400000_NS6detail17trampoline_kernelINS0_14default_configENS1_25partition_config_selectorILNS1_17partition_subalgoE8EyNS0_10empty_typeEbEEZZNS1_14partition_implILS5_8ELb0ES3_jN6thrust23THRUST_200600_302600_NS6detail15normal_iteratorINSA_10device_ptrIyEEEEPS6_PKS6_NS0_5tupleIJSF_S6_EEENSJ_IJSG_SG_EEENS0_18inequality_wrapperINSA_8equal_toIyEEEEPmJS6_EEE10hipError_tPvRmT3_T4_T5_T6_T7_T9_mT8_P12ihipStream_tbDpT10_ENKUlT_T0_E_clISt17integral_constantIbLb1EES1A_EEDaS15_S16_EUlS15_E_NS1_11comp_targetILNS1_3genE0ELNS1_11target_archE4294967295ELNS1_3gpuE0ELNS1_3repE0EEENS1_30default_config_static_selectorELNS0_4arch9wavefront6targetE1EEEvT1_,"axG",@progbits,_ZN7rocprim17ROCPRIM_400000_NS6detail17trampoline_kernelINS0_14default_configENS1_25partition_config_selectorILNS1_17partition_subalgoE8EyNS0_10empty_typeEbEEZZNS1_14partition_implILS5_8ELb0ES3_jN6thrust23THRUST_200600_302600_NS6detail15normal_iteratorINSA_10device_ptrIyEEEEPS6_PKS6_NS0_5tupleIJSF_S6_EEENSJ_IJSG_SG_EEENS0_18inequality_wrapperINSA_8equal_toIyEEEEPmJS6_EEE10hipError_tPvRmT3_T4_T5_T6_T7_T9_mT8_P12ihipStream_tbDpT10_ENKUlT_T0_E_clISt17integral_constantIbLb1EES1A_EEDaS15_S16_EUlS15_E_NS1_11comp_targetILNS1_3genE0ELNS1_11target_archE4294967295ELNS1_3gpuE0ELNS1_3repE0EEENS1_30default_config_static_selectorELNS0_4arch9wavefront6targetE1EEEvT1_,comdat
	.protected	_ZN7rocprim17ROCPRIM_400000_NS6detail17trampoline_kernelINS0_14default_configENS1_25partition_config_selectorILNS1_17partition_subalgoE8EyNS0_10empty_typeEbEEZZNS1_14partition_implILS5_8ELb0ES3_jN6thrust23THRUST_200600_302600_NS6detail15normal_iteratorINSA_10device_ptrIyEEEEPS6_PKS6_NS0_5tupleIJSF_S6_EEENSJ_IJSG_SG_EEENS0_18inequality_wrapperINSA_8equal_toIyEEEEPmJS6_EEE10hipError_tPvRmT3_T4_T5_T6_T7_T9_mT8_P12ihipStream_tbDpT10_ENKUlT_T0_E_clISt17integral_constantIbLb1EES1A_EEDaS15_S16_EUlS15_E_NS1_11comp_targetILNS1_3genE0ELNS1_11target_archE4294967295ELNS1_3gpuE0ELNS1_3repE0EEENS1_30default_config_static_selectorELNS0_4arch9wavefront6targetE1EEEvT1_ ; -- Begin function _ZN7rocprim17ROCPRIM_400000_NS6detail17trampoline_kernelINS0_14default_configENS1_25partition_config_selectorILNS1_17partition_subalgoE8EyNS0_10empty_typeEbEEZZNS1_14partition_implILS5_8ELb0ES3_jN6thrust23THRUST_200600_302600_NS6detail15normal_iteratorINSA_10device_ptrIyEEEEPS6_PKS6_NS0_5tupleIJSF_S6_EEENSJ_IJSG_SG_EEENS0_18inequality_wrapperINSA_8equal_toIyEEEEPmJS6_EEE10hipError_tPvRmT3_T4_T5_T6_T7_T9_mT8_P12ihipStream_tbDpT10_ENKUlT_T0_E_clISt17integral_constantIbLb1EES1A_EEDaS15_S16_EUlS15_E_NS1_11comp_targetILNS1_3genE0ELNS1_11target_archE4294967295ELNS1_3gpuE0ELNS1_3repE0EEENS1_30default_config_static_selectorELNS0_4arch9wavefront6targetE1EEEvT1_
	.globl	_ZN7rocprim17ROCPRIM_400000_NS6detail17trampoline_kernelINS0_14default_configENS1_25partition_config_selectorILNS1_17partition_subalgoE8EyNS0_10empty_typeEbEEZZNS1_14partition_implILS5_8ELb0ES3_jN6thrust23THRUST_200600_302600_NS6detail15normal_iteratorINSA_10device_ptrIyEEEEPS6_PKS6_NS0_5tupleIJSF_S6_EEENSJ_IJSG_SG_EEENS0_18inequality_wrapperINSA_8equal_toIyEEEEPmJS6_EEE10hipError_tPvRmT3_T4_T5_T6_T7_T9_mT8_P12ihipStream_tbDpT10_ENKUlT_T0_E_clISt17integral_constantIbLb1EES1A_EEDaS15_S16_EUlS15_E_NS1_11comp_targetILNS1_3genE0ELNS1_11target_archE4294967295ELNS1_3gpuE0ELNS1_3repE0EEENS1_30default_config_static_selectorELNS0_4arch9wavefront6targetE1EEEvT1_
	.p2align	8
	.type	_ZN7rocprim17ROCPRIM_400000_NS6detail17trampoline_kernelINS0_14default_configENS1_25partition_config_selectorILNS1_17partition_subalgoE8EyNS0_10empty_typeEbEEZZNS1_14partition_implILS5_8ELb0ES3_jN6thrust23THRUST_200600_302600_NS6detail15normal_iteratorINSA_10device_ptrIyEEEEPS6_PKS6_NS0_5tupleIJSF_S6_EEENSJ_IJSG_SG_EEENS0_18inequality_wrapperINSA_8equal_toIyEEEEPmJS6_EEE10hipError_tPvRmT3_T4_T5_T6_T7_T9_mT8_P12ihipStream_tbDpT10_ENKUlT_T0_E_clISt17integral_constantIbLb1EES1A_EEDaS15_S16_EUlS15_E_NS1_11comp_targetILNS1_3genE0ELNS1_11target_archE4294967295ELNS1_3gpuE0ELNS1_3repE0EEENS1_30default_config_static_selectorELNS0_4arch9wavefront6targetE1EEEvT1_,@function
_ZN7rocprim17ROCPRIM_400000_NS6detail17trampoline_kernelINS0_14default_configENS1_25partition_config_selectorILNS1_17partition_subalgoE8EyNS0_10empty_typeEbEEZZNS1_14partition_implILS5_8ELb0ES3_jN6thrust23THRUST_200600_302600_NS6detail15normal_iteratorINSA_10device_ptrIyEEEEPS6_PKS6_NS0_5tupleIJSF_S6_EEENSJ_IJSG_SG_EEENS0_18inequality_wrapperINSA_8equal_toIyEEEEPmJS6_EEE10hipError_tPvRmT3_T4_T5_T6_T7_T9_mT8_P12ihipStream_tbDpT10_ENKUlT_T0_E_clISt17integral_constantIbLb1EES1A_EEDaS15_S16_EUlS15_E_NS1_11comp_targetILNS1_3genE0ELNS1_11target_archE4294967295ELNS1_3gpuE0ELNS1_3repE0EEENS1_30default_config_static_selectorELNS0_4arch9wavefront6targetE1EEEvT1_: ; @_ZN7rocprim17ROCPRIM_400000_NS6detail17trampoline_kernelINS0_14default_configENS1_25partition_config_selectorILNS1_17partition_subalgoE8EyNS0_10empty_typeEbEEZZNS1_14partition_implILS5_8ELb0ES3_jN6thrust23THRUST_200600_302600_NS6detail15normal_iteratorINSA_10device_ptrIyEEEEPS6_PKS6_NS0_5tupleIJSF_S6_EEENSJ_IJSG_SG_EEENS0_18inequality_wrapperINSA_8equal_toIyEEEEPmJS6_EEE10hipError_tPvRmT3_T4_T5_T6_T7_T9_mT8_P12ihipStream_tbDpT10_ENKUlT_T0_E_clISt17integral_constantIbLb1EES1A_EEDaS15_S16_EUlS15_E_NS1_11comp_targetILNS1_3genE0ELNS1_11target_archE4294967295ELNS1_3gpuE0ELNS1_3repE0EEENS1_30default_config_static_selectorELNS0_4arch9wavefront6targetE1EEEvT1_
; %bb.0:
	.section	.rodata,"a",@progbits
	.p2align	6, 0x0
	.amdhsa_kernel _ZN7rocprim17ROCPRIM_400000_NS6detail17trampoline_kernelINS0_14default_configENS1_25partition_config_selectorILNS1_17partition_subalgoE8EyNS0_10empty_typeEbEEZZNS1_14partition_implILS5_8ELb0ES3_jN6thrust23THRUST_200600_302600_NS6detail15normal_iteratorINSA_10device_ptrIyEEEEPS6_PKS6_NS0_5tupleIJSF_S6_EEENSJ_IJSG_SG_EEENS0_18inequality_wrapperINSA_8equal_toIyEEEEPmJS6_EEE10hipError_tPvRmT3_T4_T5_T6_T7_T9_mT8_P12ihipStream_tbDpT10_ENKUlT_T0_E_clISt17integral_constantIbLb1EES1A_EEDaS15_S16_EUlS15_E_NS1_11comp_targetILNS1_3genE0ELNS1_11target_archE4294967295ELNS1_3gpuE0ELNS1_3repE0EEENS1_30default_config_static_selectorELNS0_4arch9wavefront6targetE1EEEvT1_
		.amdhsa_group_segment_fixed_size 0
		.amdhsa_private_segment_fixed_size 0
		.amdhsa_kernarg_size 128
		.amdhsa_user_sgpr_count 6
		.amdhsa_user_sgpr_private_segment_buffer 1
		.amdhsa_user_sgpr_dispatch_ptr 0
		.amdhsa_user_sgpr_queue_ptr 0
		.amdhsa_user_sgpr_kernarg_segment_ptr 1
		.amdhsa_user_sgpr_dispatch_id 0
		.amdhsa_user_sgpr_flat_scratch_init 0
		.amdhsa_user_sgpr_private_segment_size 0
		.amdhsa_uses_dynamic_stack 0
		.amdhsa_system_sgpr_private_segment_wavefront_offset 0
		.amdhsa_system_sgpr_workgroup_id_x 1
		.amdhsa_system_sgpr_workgroup_id_y 0
		.amdhsa_system_sgpr_workgroup_id_z 0
		.amdhsa_system_sgpr_workgroup_info 0
		.amdhsa_system_vgpr_workitem_id 0
		.amdhsa_next_free_vgpr 1
		.amdhsa_next_free_sgpr 0
		.amdhsa_reserve_vcc 0
		.amdhsa_reserve_flat_scratch 0
		.amdhsa_float_round_mode_32 0
		.amdhsa_float_round_mode_16_64 0
		.amdhsa_float_denorm_mode_32 3
		.amdhsa_float_denorm_mode_16_64 3
		.amdhsa_dx10_clamp 1
		.amdhsa_ieee_mode 1
		.amdhsa_fp16_overflow 0
		.amdhsa_exception_fp_ieee_invalid_op 0
		.amdhsa_exception_fp_denorm_src 0
		.amdhsa_exception_fp_ieee_div_zero 0
		.amdhsa_exception_fp_ieee_overflow 0
		.amdhsa_exception_fp_ieee_underflow 0
		.amdhsa_exception_fp_ieee_inexact 0
		.amdhsa_exception_int_div_zero 0
	.end_amdhsa_kernel
	.section	.text._ZN7rocprim17ROCPRIM_400000_NS6detail17trampoline_kernelINS0_14default_configENS1_25partition_config_selectorILNS1_17partition_subalgoE8EyNS0_10empty_typeEbEEZZNS1_14partition_implILS5_8ELb0ES3_jN6thrust23THRUST_200600_302600_NS6detail15normal_iteratorINSA_10device_ptrIyEEEEPS6_PKS6_NS0_5tupleIJSF_S6_EEENSJ_IJSG_SG_EEENS0_18inequality_wrapperINSA_8equal_toIyEEEEPmJS6_EEE10hipError_tPvRmT3_T4_T5_T6_T7_T9_mT8_P12ihipStream_tbDpT10_ENKUlT_T0_E_clISt17integral_constantIbLb1EES1A_EEDaS15_S16_EUlS15_E_NS1_11comp_targetILNS1_3genE0ELNS1_11target_archE4294967295ELNS1_3gpuE0ELNS1_3repE0EEENS1_30default_config_static_selectorELNS0_4arch9wavefront6targetE1EEEvT1_,"axG",@progbits,_ZN7rocprim17ROCPRIM_400000_NS6detail17trampoline_kernelINS0_14default_configENS1_25partition_config_selectorILNS1_17partition_subalgoE8EyNS0_10empty_typeEbEEZZNS1_14partition_implILS5_8ELb0ES3_jN6thrust23THRUST_200600_302600_NS6detail15normal_iteratorINSA_10device_ptrIyEEEEPS6_PKS6_NS0_5tupleIJSF_S6_EEENSJ_IJSG_SG_EEENS0_18inequality_wrapperINSA_8equal_toIyEEEEPmJS6_EEE10hipError_tPvRmT3_T4_T5_T6_T7_T9_mT8_P12ihipStream_tbDpT10_ENKUlT_T0_E_clISt17integral_constantIbLb1EES1A_EEDaS15_S16_EUlS15_E_NS1_11comp_targetILNS1_3genE0ELNS1_11target_archE4294967295ELNS1_3gpuE0ELNS1_3repE0EEENS1_30default_config_static_selectorELNS0_4arch9wavefront6targetE1EEEvT1_,comdat
.Lfunc_end153:
	.size	_ZN7rocprim17ROCPRIM_400000_NS6detail17trampoline_kernelINS0_14default_configENS1_25partition_config_selectorILNS1_17partition_subalgoE8EyNS0_10empty_typeEbEEZZNS1_14partition_implILS5_8ELb0ES3_jN6thrust23THRUST_200600_302600_NS6detail15normal_iteratorINSA_10device_ptrIyEEEEPS6_PKS6_NS0_5tupleIJSF_S6_EEENSJ_IJSG_SG_EEENS0_18inequality_wrapperINSA_8equal_toIyEEEEPmJS6_EEE10hipError_tPvRmT3_T4_T5_T6_T7_T9_mT8_P12ihipStream_tbDpT10_ENKUlT_T0_E_clISt17integral_constantIbLb1EES1A_EEDaS15_S16_EUlS15_E_NS1_11comp_targetILNS1_3genE0ELNS1_11target_archE4294967295ELNS1_3gpuE0ELNS1_3repE0EEENS1_30default_config_static_selectorELNS0_4arch9wavefront6targetE1EEEvT1_, .Lfunc_end153-_ZN7rocprim17ROCPRIM_400000_NS6detail17trampoline_kernelINS0_14default_configENS1_25partition_config_selectorILNS1_17partition_subalgoE8EyNS0_10empty_typeEbEEZZNS1_14partition_implILS5_8ELb0ES3_jN6thrust23THRUST_200600_302600_NS6detail15normal_iteratorINSA_10device_ptrIyEEEEPS6_PKS6_NS0_5tupleIJSF_S6_EEENSJ_IJSG_SG_EEENS0_18inequality_wrapperINSA_8equal_toIyEEEEPmJS6_EEE10hipError_tPvRmT3_T4_T5_T6_T7_T9_mT8_P12ihipStream_tbDpT10_ENKUlT_T0_E_clISt17integral_constantIbLb1EES1A_EEDaS15_S16_EUlS15_E_NS1_11comp_targetILNS1_3genE0ELNS1_11target_archE4294967295ELNS1_3gpuE0ELNS1_3repE0EEENS1_30default_config_static_selectorELNS0_4arch9wavefront6targetE1EEEvT1_
                                        ; -- End function
	.set _ZN7rocprim17ROCPRIM_400000_NS6detail17trampoline_kernelINS0_14default_configENS1_25partition_config_selectorILNS1_17partition_subalgoE8EyNS0_10empty_typeEbEEZZNS1_14partition_implILS5_8ELb0ES3_jN6thrust23THRUST_200600_302600_NS6detail15normal_iteratorINSA_10device_ptrIyEEEEPS6_PKS6_NS0_5tupleIJSF_S6_EEENSJ_IJSG_SG_EEENS0_18inequality_wrapperINSA_8equal_toIyEEEEPmJS6_EEE10hipError_tPvRmT3_T4_T5_T6_T7_T9_mT8_P12ihipStream_tbDpT10_ENKUlT_T0_E_clISt17integral_constantIbLb1EES1A_EEDaS15_S16_EUlS15_E_NS1_11comp_targetILNS1_3genE0ELNS1_11target_archE4294967295ELNS1_3gpuE0ELNS1_3repE0EEENS1_30default_config_static_selectorELNS0_4arch9wavefront6targetE1EEEvT1_.num_vgpr, 0
	.set _ZN7rocprim17ROCPRIM_400000_NS6detail17trampoline_kernelINS0_14default_configENS1_25partition_config_selectorILNS1_17partition_subalgoE8EyNS0_10empty_typeEbEEZZNS1_14partition_implILS5_8ELb0ES3_jN6thrust23THRUST_200600_302600_NS6detail15normal_iteratorINSA_10device_ptrIyEEEEPS6_PKS6_NS0_5tupleIJSF_S6_EEENSJ_IJSG_SG_EEENS0_18inequality_wrapperINSA_8equal_toIyEEEEPmJS6_EEE10hipError_tPvRmT3_T4_T5_T6_T7_T9_mT8_P12ihipStream_tbDpT10_ENKUlT_T0_E_clISt17integral_constantIbLb1EES1A_EEDaS15_S16_EUlS15_E_NS1_11comp_targetILNS1_3genE0ELNS1_11target_archE4294967295ELNS1_3gpuE0ELNS1_3repE0EEENS1_30default_config_static_selectorELNS0_4arch9wavefront6targetE1EEEvT1_.num_agpr, 0
	.set _ZN7rocprim17ROCPRIM_400000_NS6detail17trampoline_kernelINS0_14default_configENS1_25partition_config_selectorILNS1_17partition_subalgoE8EyNS0_10empty_typeEbEEZZNS1_14partition_implILS5_8ELb0ES3_jN6thrust23THRUST_200600_302600_NS6detail15normal_iteratorINSA_10device_ptrIyEEEEPS6_PKS6_NS0_5tupleIJSF_S6_EEENSJ_IJSG_SG_EEENS0_18inequality_wrapperINSA_8equal_toIyEEEEPmJS6_EEE10hipError_tPvRmT3_T4_T5_T6_T7_T9_mT8_P12ihipStream_tbDpT10_ENKUlT_T0_E_clISt17integral_constantIbLb1EES1A_EEDaS15_S16_EUlS15_E_NS1_11comp_targetILNS1_3genE0ELNS1_11target_archE4294967295ELNS1_3gpuE0ELNS1_3repE0EEENS1_30default_config_static_selectorELNS0_4arch9wavefront6targetE1EEEvT1_.numbered_sgpr, 0
	.set _ZN7rocprim17ROCPRIM_400000_NS6detail17trampoline_kernelINS0_14default_configENS1_25partition_config_selectorILNS1_17partition_subalgoE8EyNS0_10empty_typeEbEEZZNS1_14partition_implILS5_8ELb0ES3_jN6thrust23THRUST_200600_302600_NS6detail15normal_iteratorINSA_10device_ptrIyEEEEPS6_PKS6_NS0_5tupleIJSF_S6_EEENSJ_IJSG_SG_EEENS0_18inequality_wrapperINSA_8equal_toIyEEEEPmJS6_EEE10hipError_tPvRmT3_T4_T5_T6_T7_T9_mT8_P12ihipStream_tbDpT10_ENKUlT_T0_E_clISt17integral_constantIbLb1EES1A_EEDaS15_S16_EUlS15_E_NS1_11comp_targetILNS1_3genE0ELNS1_11target_archE4294967295ELNS1_3gpuE0ELNS1_3repE0EEENS1_30default_config_static_selectorELNS0_4arch9wavefront6targetE1EEEvT1_.num_named_barrier, 0
	.set _ZN7rocprim17ROCPRIM_400000_NS6detail17trampoline_kernelINS0_14default_configENS1_25partition_config_selectorILNS1_17partition_subalgoE8EyNS0_10empty_typeEbEEZZNS1_14partition_implILS5_8ELb0ES3_jN6thrust23THRUST_200600_302600_NS6detail15normal_iteratorINSA_10device_ptrIyEEEEPS6_PKS6_NS0_5tupleIJSF_S6_EEENSJ_IJSG_SG_EEENS0_18inequality_wrapperINSA_8equal_toIyEEEEPmJS6_EEE10hipError_tPvRmT3_T4_T5_T6_T7_T9_mT8_P12ihipStream_tbDpT10_ENKUlT_T0_E_clISt17integral_constantIbLb1EES1A_EEDaS15_S16_EUlS15_E_NS1_11comp_targetILNS1_3genE0ELNS1_11target_archE4294967295ELNS1_3gpuE0ELNS1_3repE0EEENS1_30default_config_static_selectorELNS0_4arch9wavefront6targetE1EEEvT1_.private_seg_size, 0
	.set _ZN7rocprim17ROCPRIM_400000_NS6detail17trampoline_kernelINS0_14default_configENS1_25partition_config_selectorILNS1_17partition_subalgoE8EyNS0_10empty_typeEbEEZZNS1_14partition_implILS5_8ELb0ES3_jN6thrust23THRUST_200600_302600_NS6detail15normal_iteratorINSA_10device_ptrIyEEEEPS6_PKS6_NS0_5tupleIJSF_S6_EEENSJ_IJSG_SG_EEENS0_18inequality_wrapperINSA_8equal_toIyEEEEPmJS6_EEE10hipError_tPvRmT3_T4_T5_T6_T7_T9_mT8_P12ihipStream_tbDpT10_ENKUlT_T0_E_clISt17integral_constantIbLb1EES1A_EEDaS15_S16_EUlS15_E_NS1_11comp_targetILNS1_3genE0ELNS1_11target_archE4294967295ELNS1_3gpuE0ELNS1_3repE0EEENS1_30default_config_static_selectorELNS0_4arch9wavefront6targetE1EEEvT1_.uses_vcc, 0
	.set _ZN7rocprim17ROCPRIM_400000_NS6detail17trampoline_kernelINS0_14default_configENS1_25partition_config_selectorILNS1_17partition_subalgoE8EyNS0_10empty_typeEbEEZZNS1_14partition_implILS5_8ELb0ES3_jN6thrust23THRUST_200600_302600_NS6detail15normal_iteratorINSA_10device_ptrIyEEEEPS6_PKS6_NS0_5tupleIJSF_S6_EEENSJ_IJSG_SG_EEENS0_18inequality_wrapperINSA_8equal_toIyEEEEPmJS6_EEE10hipError_tPvRmT3_T4_T5_T6_T7_T9_mT8_P12ihipStream_tbDpT10_ENKUlT_T0_E_clISt17integral_constantIbLb1EES1A_EEDaS15_S16_EUlS15_E_NS1_11comp_targetILNS1_3genE0ELNS1_11target_archE4294967295ELNS1_3gpuE0ELNS1_3repE0EEENS1_30default_config_static_selectorELNS0_4arch9wavefront6targetE1EEEvT1_.uses_flat_scratch, 0
	.set _ZN7rocprim17ROCPRIM_400000_NS6detail17trampoline_kernelINS0_14default_configENS1_25partition_config_selectorILNS1_17partition_subalgoE8EyNS0_10empty_typeEbEEZZNS1_14partition_implILS5_8ELb0ES3_jN6thrust23THRUST_200600_302600_NS6detail15normal_iteratorINSA_10device_ptrIyEEEEPS6_PKS6_NS0_5tupleIJSF_S6_EEENSJ_IJSG_SG_EEENS0_18inequality_wrapperINSA_8equal_toIyEEEEPmJS6_EEE10hipError_tPvRmT3_T4_T5_T6_T7_T9_mT8_P12ihipStream_tbDpT10_ENKUlT_T0_E_clISt17integral_constantIbLb1EES1A_EEDaS15_S16_EUlS15_E_NS1_11comp_targetILNS1_3genE0ELNS1_11target_archE4294967295ELNS1_3gpuE0ELNS1_3repE0EEENS1_30default_config_static_selectorELNS0_4arch9wavefront6targetE1EEEvT1_.has_dyn_sized_stack, 0
	.set _ZN7rocprim17ROCPRIM_400000_NS6detail17trampoline_kernelINS0_14default_configENS1_25partition_config_selectorILNS1_17partition_subalgoE8EyNS0_10empty_typeEbEEZZNS1_14partition_implILS5_8ELb0ES3_jN6thrust23THRUST_200600_302600_NS6detail15normal_iteratorINSA_10device_ptrIyEEEEPS6_PKS6_NS0_5tupleIJSF_S6_EEENSJ_IJSG_SG_EEENS0_18inequality_wrapperINSA_8equal_toIyEEEEPmJS6_EEE10hipError_tPvRmT3_T4_T5_T6_T7_T9_mT8_P12ihipStream_tbDpT10_ENKUlT_T0_E_clISt17integral_constantIbLb1EES1A_EEDaS15_S16_EUlS15_E_NS1_11comp_targetILNS1_3genE0ELNS1_11target_archE4294967295ELNS1_3gpuE0ELNS1_3repE0EEENS1_30default_config_static_selectorELNS0_4arch9wavefront6targetE1EEEvT1_.has_recursion, 0
	.set _ZN7rocprim17ROCPRIM_400000_NS6detail17trampoline_kernelINS0_14default_configENS1_25partition_config_selectorILNS1_17partition_subalgoE8EyNS0_10empty_typeEbEEZZNS1_14partition_implILS5_8ELb0ES3_jN6thrust23THRUST_200600_302600_NS6detail15normal_iteratorINSA_10device_ptrIyEEEEPS6_PKS6_NS0_5tupleIJSF_S6_EEENSJ_IJSG_SG_EEENS0_18inequality_wrapperINSA_8equal_toIyEEEEPmJS6_EEE10hipError_tPvRmT3_T4_T5_T6_T7_T9_mT8_P12ihipStream_tbDpT10_ENKUlT_T0_E_clISt17integral_constantIbLb1EES1A_EEDaS15_S16_EUlS15_E_NS1_11comp_targetILNS1_3genE0ELNS1_11target_archE4294967295ELNS1_3gpuE0ELNS1_3repE0EEENS1_30default_config_static_selectorELNS0_4arch9wavefront6targetE1EEEvT1_.has_indirect_call, 0
	.section	.AMDGPU.csdata,"",@progbits
; Kernel info:
; codeLenInByte = 0
; TotalNumSgprs: 4
; NumVgprs: 0
; ScratchSize: 0
; MemoryBound: 0
; FloatMode: 240
; IeeeMode: 1
; LDSByteSize: 0 bytes/workgroup (compile time only)
; SGPRBlocks: 0
; VGPRBlocks: 0
; NumSGPRsForWavesPerEU: 4
; NumVGPRsForWavesPerEU: 1
; Occupancy: 10
; WaveLimiterHint : 0
; COMPUTE_PGM_RSRC2:SCRATCH_EN: 0
; COMPUTE_PGM_RSRC2:USER_SGPR: 6
; COMPUTE_PGM_RSRC2:TRAP_HANDLER: 0
; COMPUTE_PGM_RSRC2:TGID_X_EN: 1
; COMPUTE_PGM_RSRC2:TGID_Y_EN: 0
; COMPUTE_PGM_RSRC2:TGID_Z_EN: 0
; COMPUTE_PGM_RSRC2:TIDIG_COMP_CNT: 0
	.section	.text._ZN7rocprim17ROCPRIM_400000_NS6detail17trampoline_kernelINS0_14default_configENS1_25partition_config_selectorILNS1_17partition_subalgoE8EyNS0_10empty_typeEbEEZZNS1_14partition_implILS5_8ELb0ES3_jN6thrust23THRUST_200600_302600_NS6detail15normal_iteratorINSA_10device_ptrIyEEEEPS6_PKS6_NS0_5tupleIJSF_S6_EEENSJ_IJSG_SG_EEENS0_18inequality_wrapperINSA_8equal_toIyEEEEPmJS6_EEE10hipError_tPvRmT3_T4_T5_T6_T7_T9_mT8_P12ihipStream_tbDpT10_ENKUlT_T0_E_clISt17integral_constantIbLb1EES1A_EEDaS15_S16_EUlS15_E_NS1_11comp_targetILNS1_3genE5ELNS1_11target_archE942ELNS1_3gpuE9ELNS1_3repE0EEENS1_30default_config_static_selectorELNS0_4arch9wavefront6targetE1EEEvT1_,"axG",@progbits,_ZN7rocprim17ROCPRIM_400000_NS6detail17trampoline_kernelINS0_14default_configENS1_25partition_config_selectorILNS1_17partition_subalgoE8EyNS0_10empty_typeEbEEZZNS1_14partition_implILS5_8ELb0ES3_jN6thrust23THRUST_200600_302600_NS6detail15normal_iteratorINSA_10device_ptrIyEEEEPS6_PKS6_NS0_5tupleIJSF_S6_EEENSJ_IJSG_SG_EEENS0_18inequality_wrapperINSA_8equal_toIyEEEEPmJS6_EEE10hipError_tPvRmT3_T4_T5_T6_T7_T9_mT8_P12ihipStream_tbDpT10_ENKUlT_T0_E_clISt17integral_constantIbLb1EES1A_EEDaS15_S16_EUlS15_E_NS1_11comp_targetILNS1_3genE5ELNS1_11target_archE942ELNS1_3gpuE9ELNS1_3repE0EEENS1_30default_config_static_selectorELNS0_4arch9wavefront6targetE1EEEvT1_,comdat
	.protected	_ZN7rocprim17ROCPRIM_400000_NS6detail17trampoline_kernelINS0_14default_configENS1_25partition_config_selectorILNS1_17partition_subalgoE8EyNS0_10empty_typeEbEEZZNS1_14partition_implILS5_8ELb0ES3_jN6thrust23THRUST_200600_302600_NS6detail15normal_iteratorINSA_10device_ptrIyEEEEPS6_PKS6_NS0_5tupleIJSF_S6_EEENSJ_IJSG_SG_EEENS0_18inequality_wrapperINSA_8equal_toIyEEEEPmJS6_EEE10hipError_tPvRmT3_T4_T5_T6_T7_T9_mT8_P12ihipStream_tbDpT10_ENKUlT_T0_E_clISt17integral_constantIbLb1EES1A_EEDaS15_S16_EUlS15_E_NS1_11comp_targetILNS1_3genE5ELNS1_11target_archE942ELNS1_3gpuE9ELNS1_3repE0EEENS1_30default_config_static_selectorELNS0_4arch9wavefront6targetE1EEEvT1_ ; -- Begin function _ZN7rocprim17ROCPRIM_400000_NS6detail17trampoline_kernelINS0_14default_configENS1_25partition_config_selectorILNS1_17partition_subalgoE8EyNS0_10empty_typeEbEEZZNS1_14partition_implILS5_8ELb0ES3_jN6thrust23THRUST_200600_302600_NS6detail15normal_iteratorINSA_10device_ptrIyEEEEPS6_PKS6_NS0_5tupleIJSF_S6_EEENSJ_IJSG_SG_EEENS0_18inequality_wrapperINSA_8equal_toIyEEEEPmJS6_EEE10hipError_tPvRmT3_T4_T5_T6_T7_T9_mT8_P12ihipStream_tbDpT10_ENKUlT_T0_E_clISt17integral_constantIbLb1EES1A_EEDaS15_S16_EUlS15_E_NS1_11comp_targetILNS1_3genE5ELNS1_11target_archE942ELNS1_3gpuE9ELNS1_3repE0EEENS1_30default_config_static_selectorELNS0_4arch9wavefront6targetE1EEEvT1_
	.globl	_ZN7rocprim17ROCPRIM_400000_NS6detail17trampoline_kernelINS0_14default_configENS1_25partition_config_selectorILNS1_17partition_subalgoE8EyNS0_10empty_typeEbEEZZNS1_14partition_implILS5_8ELb0ES3_jN6thrust23THRUST_200600_302600_NS6detail15normal_iteratorINSA_10device_ptrIyEEEEPS6_PKS6_NS0_5tupleIJSF_S6_EEENSJ_IJSG_SG_EEENS0_18inequality_wrapperINSA_8equal_toIyEEEEPmJS6_EEE10hipError_tPvRmT3_T4_T5_T6_T7_T9_mT8_P12ihipStream_tbDpT10_ENKUlT_T0_E_clISt17integral_constantIbLb1EES1A_EEDaS15_S16_EUlS15_E_NS1_11comp_targetILNS1_3genE5ELNS1_11target_archE942ELNS1_3gpuE9ELNS1_3repE0EEENS1_30default_config_static_selectorELNS0_4arch9wavefront6targetE1EEEvT1_
	.p2align	8
	.type	_ZN7rocprim17ROCPRIM_400000_NS6detail17trampoline_kernelINS0_14default_configENS1_25partition_config_selectorILNS1_17partition_subalgoE8EyNS0_10empty_typeEbEEZZNS1_14partition_implILS5_8ELb0ES3_jN6thrust23THRUST_200600_302600_NS6detail15normal_iteratorINSA_10device_ptrIyEEEEPS6_PKS6_NS0_5tupleIJSF_S6_EEENSJ_IJSG_SG_EEENS0_18inequality_wrapperINSA_8equal_toIyEEEEPmJS6_EEE10hipError_tPvRmT3_T4_T5_T6_T7_T9_mT8_P12ihipStream_tbDpT10_ENKUlT_T0_E_clISt17integral_constantIbLb1EES1A_EEDaS15_S16_EUlS15_E_NS1_11comp_targetILNS1_3genE5ELNS1_11target_archE942ELNS1_3gpuE9ELNS1_3repE0EEENS1_30default_config_static_selectorELNS0_4arch9wavefront6targetE1EEEvT1_,@function
_ZN7rocprim17ROCPRIM_400000_NS6detail17trampoline_kernelINS0_14default_configENS1_25partition_config_selectorILNS1_17partition_subalgoE8EyNS0_10empty_typeEbEEZZNS1_14partition_implILS5_8ELb0ES3_jN6thrust23THRUST_200600_302600_NS6detail15normal_iteratorINSA_10device_ptrIyEEEEPS6_PKS6_NS0_5tupleIJSF_S6_EEENSJ_IJSG_SG_EEENS0_18inequality_wrapperINSA_8equal_toIyEEEEPmJS6_EEE10hipError_tPvRmT3_T4_T5_T6_T7_T9_mT8_P12ihipStream_tbDpT10_ENKUlT_T0_E_clISt17integral_constantIbLb1EES1A_EEDaS15_S16_EUlS15_E_NS1_11comp_targetILNS1_3genE5ELNS1_11target_archE942ELNS1_3gpuE9ELNS1_3repE0EEENS1_30default_config_static_selectorELNS0_4arch9wavefront6targetE1EEEvT1_: ; @_ZN7rocprim17ROCPRIM_400000_NS6detail17trampoline_kernelINS0_14default_configENS1_25partition_config_selectorILNS1_17partition_subalgoE8EyNS0_10empty_typeEbEEZZNS1_14partition_implILS5_8ELb0ES3_jN6thrust23THRUST_200600_302600_NS6detail15normal_iteratorINSA_10device_ptrIyEEEEPS6_PKS6_NS0_5tupleIJSF_S6_EEENSJ_IJSG_SG_EEENS0_18inequality_wrapperINSA_8equal_toIyEEEEPmJS6_EEE10hipError_tPvRmT3_T4_T5_T6_T7_T9_mT8_P12ihipStream_tbDpT10_ENKUlT_T0_E_clISt17integral_constantIbLb1EES1A_EEDaS15_S16_EUlS15_E_NS1_11comp_targetILNS1_3genE5ELNS1_11target_archE942ELNS1_3gpuE9ELNS1_3repE0EEENS1_30default_config_static_selectorELNS0_4arch9wavefront6targetE1EEEvT1_
; %bb.0:
	.section	.rodata,"a",@progbits
	.p2align	6, 0x0
	.amdhsa_kernel _ZN7rocprim17ROCPRIM_400000_NS6detail17trampoline_kernelINS0_14default_configENS1_25partition_config_selectorILNS1_17partition_subalgoE8EyNS0_10empty_typeEbEEZZNS1_14partition_implILS5_8ELb0ES3_jN6thrust23THRUST_200600_302600_NS6detail15normal_iteratorINSA_10device_ptrIyEEEEPS6_PKS6_NS0_5tupleIJSF_S6_EEENSJ_IJSG_SG_EEENS0_18inequality_wrapperINSA_8equal_toIyEEEEPmJS6_EEE10hipError_tPvRmT3_T4_T5_T6_T7_T9_mT8_P12ihipStream_tbDpT10_ENKUlT_T0_E_clISt17integral_constantIbLb1EES1A_EEDaS15_S16_EUlS15_E_NS1_11comp_targetILNS1_3genE5ELNS1_11target_archE942ELNS1_3gpuE9ELNS1_3repE0EEENS1_30default_config_static_selectorELNS0_4arch9wavefront6targetE1EEEvT1_
		.amdhsa_group_segment_fixed_size 0
		.amdhsa_private_segment_fixed_size 0
		.amdhsa_kernarg_size 128
		.amdhsa_user_sgpr_count 6
		.amdhsa_user_sgpr_private_segment_buffer 1
		.amdhsa_user_sgpr_dispatch_ptr 0
		.amdhsa_user_sgpr_queue_ptr 0
		.amdhsa_user_sgpr_kernarg_segment_ptr 1
		.amdhsa_user_sgpr_dispatch_id 0
		.amdhsa_user_sgpr_flat_scratch_init 0
		.amdhsa_user_sgpr_private_segment_size 0
		.amdhsa_uses_dynamic_stack 0
		.amdhsa_system_sgpr_private_segment_wavefront_offset 0
		.amdhsa_system_sgpr_workgroup_id_x 1
		.amdhsa_system_sgpr_workgroup_id_y 0
		.amdhsa_system_sgpr_workgroup_id_z 0
		.amdhsa_system_sgpr_workgroup_info 0
		.amdhsa_system_vgpr_workitem_id 0
		.amdhsa_next_free_vgpr 1
		.amdhsa_next_free_sgpr 0
		.amdhsa_reserve_vcc 0
		.amdhsa_reserve_flat_scratch 0
		.amdhsa_float_round_mode_32 0
		.amdhsa_float_round_mode_16_64 0
		.amdhsa_float_denorm_mode_32 3
		.amdhsa_float_denorm_mode_16_64 3
		.amdhsa_dx10_clamp 1
		.amdhsa_ieee_mode 1
		.amdhsa_fp16_overflow 0
		.amdhsa_exception_fp_ieee_invalid_op 0
		.amdhsa_exception_fp_denorm_src 0
		.amdhsa_exception_fp_ieee_div_zero 0
		.amdhsa_exception_fp_ieee_overflow 0
		.amdhsa_exception_fp_ieee_underflow 0
		.amdhsa_exception_fp_ieee_inexact 0
		.amdhsa_exception_int_div_zero 0
	.end_amdhsa_kernel
	.section	.text._ZN7rocprim17ROCPRIM_400000_NS6detail17trampoline_kernelINS0_14default_configENS1_25partition_config_selectorILNS1_17partition_subalgoE8EyNS0_10empty_typeEbEEZZNS1_14partition_implILS5_8ELb0ES3_jN6thrust23THRUST_200600_302600_NS6detail15normal_iteratorINSA_10device_ptrIyEEEEPS6_PKS6_NS0_5tupleIJSF_S6_EEENSJ_IJSG_SG_EEENS0_18inequality_wrapperINSA_8equal_toIyEEEEPmJS6_EEE10hipError_tPvRmT3_T4_T5_T6_T7_T9_mT8_P12ihipStream_tbDpT10_ENKUlT_T0_E_clISt17integral_constantIbLb1EES1A_EEDaS15_S16_EUlS15_E_NS1_11comp_targetILNS1_3genE5ELNS1_11target_archE942ELNS1_3gpuE9ELNS1_3repE0EEENS1_30default_config_static_selectorELNS0_4arch9wavefront6targetE1EEEvT1_,"axG",@progbits,_ZN7rocprim17ROCPRIM_400000_NS6detail17trampoline_kernelINS0_14default_configENS1_25partition_config_selectorILNS1_17partition_subalgoE8EyNS0_10empty_typeEbEEZZNS1_14partition_implILS5_8ELb0ES3_jN6thrust23THRUST_200600_302600_NS6detail15normal_iteratorINSA_10device_ptrIyEEEEPS6_PKS6_NS0_5tupleIJSF_S6_EEENSJ_IJSG_SG_EEENS0_18inequality_wrapperINSA_8equal_toIyEEEEPmJS6_EEE10hipError_tPvRmT3_T4_T5_T6_T7_T9_mT8_P12ihipStream_tbDpT10_ENKUlT_T0_E_clISt17integral_constantIbLb1EES1A_EEDaS15_S16_EUlS15_E_NS1_11comp_targetILNS1_3genE5ELNS1_11target_archE942ELNS1_3gpuE9ELNS1_3repE0EEENS1_30default_config_static_selectorELNS0_4arch9wavefront6targetE1EEEvT1_,comdat
.Lfunc_end154:
	.size	_ZN7rocprim17ROCPRIM_400000_NS6detail17trampoline_kernelINS0_14default_configENS1_25partition_config_selectorILNS1_17partition_subalgoE8EyNS0_10empty_typeEbEEZZNS1_14partition_implILS5_8ELb0ES3_jN6thrust23THRUST_200600_302600_NS6detail15normal_iteratorINSA_10device_ptrIyEEEEPS6_PKS6_NS0_5tupleIJSF_S6_EEENSJ_IJSG_SG_EEENS0_18inequality_wrapperINSA_8equal_toIyEEEEPmJS6_EEE10hipError_tPvRmT3_T4_T5_T6_T7_T9_mT8_P12ihipStream_tbDpT10_ENKUlT_T0_E_clISt17integral_constantIbLb1EES1A_EEDaS15_S16_EUlS15_E_NS1_11comp_targetILNS1_3genE5ELNS1_11target_archE942ELNS1_3gpuE9ELNS1_3repE0EEENS1_30default_config_static_selectorELNS0_4arch9wavefront6targetE1EEEvT1_, .Lfunc_end154-_ZN7rocprim17ROCPRIM_400000_NS6detail17trampoline_kernelINS0_14default_configENS1_25partition_config_selectorILNS1_17partition_subalgoE8EyNS0_10empty_typeEbEEZZNS1_14partition_implILS5_8ELb0ES3_jN6thrust23THRUST_200600_302600_NS6detail15normal_iteratorINSA_10device_ptrIyEEEEPS6_PKS6_NS0_5tupleIJSF_S6_EEENSJ_IJSG_SG_EEENS0_18inequality_wrapperINSA_8equal_toIyEEEEPmJS6_EEE10hipError_tPvRmT3_T4_T5_T6_T7_T9_mT8_P12ihipStream_tbDpT10_ENKUlT_T0_E_clISt17integral_constantIbLb1EES1A_EEDaS15_S16_EUlS15_E_NS1_11comp_targetILNS1_3genE5ELNS1_11target_archE942ELNS1_3gpuE9ELNS1_3repE0EEENS1_30default_config_static_selectorELNS0_4arch9wavefront6targetE1EEEvT1_
                                        ; -- End function
	.set _ZN7rocprim17ROCPRIM_400000_NS6detail17trampoline_kernelINS0_14default_configENS1_25partition_config_selectorILNS1_17partition_subalgoE8EyNS0_10empty_typeEbEEZZNS1_14partition_implILS5_8ELb0ES3_jN6thrust23THRUST_200600_302600_NS6detail15normal_iteratorINSA_10device_ptrIyEEEEPS6_PKS6_NS0_5tupleIJSF_S6_EEENSJ_IJSG_SG_EEENS0_18inequality_wrapperINSA_8equal_toIyEEEEPmJS6_EEE10hipError_tPvRmT3_T4_T5_T6_T7_T9_mT8_P12ihipStream_tbDpT10_ENKUlT_T0_E_clISt17integral_constantIbLb1EES1A_EEDaS15_S16_EUlS15_E_NS1_11comp_targetILNS1_3genE5ELNS1_11target_archE942ELNS1_3gpuE9ELNS1_3repE0EEENS1_30default_config_static_selectorELNS0_4arch9wavefront6targetE1EEEvT1_.num_vgpr, 0
	.set _ZN7rocprim17ROCPRIM_400000_NS6detail17trampoline_kernelINS0_14default_configENS1_25partition_config_selectorILNS1_17partition_subalgoE8EyNS0_10empty_typeEbEEZZNS1_14partition_implILS5_8ELb0ES3_jN6thrust23THRUST_200600_302600_NS6detail15normal_iteratorINSA_10device_ptrIyEEEEPS6_PKS6_NS0_5tupleIJSF_S6_EEENSJ_IJSG_SG_EEENS0_18inequality_wrapperINSA_8equal_toIyEEEEPmJS6_EEE10hipError_tPvRmT3_T4_T5_T6_T7_T9_mT8_P12ihipStream_tbDpT10_ENKUlT_T0_E_clISt17integral_constantIbLb1EES1A_EEDaS15_S16_EUlS15_E_NS1_11comp_targetILNS1_3genE5ELNS1_11target_archE942ELNS1_3gpuE9ELNS1_3repE0EEENS1_30default_config_static_selectorELNS0_4arch9wavefront6targetE1EEEvT1_.num_agpr, 0
	.set _ZN7rocprim17ROCPRIM_400000_NS6detail17trampoline_kernelINS0_14default_configENS1_25partition_config_selectorILNS1_17partition_subalgoE8EyNS0_10empty_typeEbEEZZNS1_14partition_implILS5_8ELb0ES3_jN6thrust23THRUST_200600_302600_NS6detail15normal_iteratorINSA_10device_ptrIyEEEEPS6_PKS6_NS0_5tupleIJSF_S6_EEENSJ_IJSG_SG_EEENS0_18inequality_wrapperINSA_8equal_toIyEEEEPmJS6_EEE10hipError_tPvRmT3_T4_T5_T6_T7_T9_mT8_P12ihipStream_tbDpT10_ENKUlT_T0_E_clISt17integral_constantIbLb1EES1A_EEDaS15_S16_EUlS15_E_NS1_11comp_targetILNS1_3genE5ELNS1_11target_archE942ELNS1_3gpuE9ELNS1_3repE0EEENS1_30default_config_static_selectorELNS0_4arch9wavefront6targetE1EEEvT1_.numbered_sgpr, 0
	.set _ZN7rocprim17ROCPRIM_400000_NS6detail17trampoline_kernelINS0_14default_configENS1_25partition_config_selectorILNS1_17partition_subalgoE8EyNS0_10empty_typeEbEEZZNS1_14partition_implILS5_8ELb0ES3_jN6thrust23THRUST_200600_302600_NS6detail15normal_iteratorINSA_10device_ptrIyEEEEPS6_PKS6_NS0_5tupleIJSF_S6_EEENSJ_IJSG_SG_EEENS0_18inequality_wrapperINSA_8equal_toIyEEEEPmJS6_EEE10hipError_tPvRmT3_T4_T5_T6_T7_T9_mT8_P12ihipStream_tbDpT10_ENKUlT_T0_E_clISt17integral_constantIbLb1EES1A_EEDaS15_S16_EUlS15_E_NS1_11comp_targetILNS1_3genE5ELNS1_11target_archE942ELNS1_3gpuE9ELNS1_3repE0EEENS1_30default_config_static_selectorELNS0_4arch9wavefront6targetE1EEEvT1_.num_named_barrier, 0
	.set _ZN7rocprim17ROCPRIM_400000_NS6detail17trampoline_kernelINS0_14default_configENS1_25partition_config_selectorILNS1_17partition_subalgoE8EyNS0_10empty_typeEbEEZZNS1_14partition_implILS5_8ELb0ES3_jN6thrust23THRUST_200600_302600_NS6detail15normal_iteratorINSA_10device_ptrIyEEEEPS6_PKS6_NS0_5tupleIJSF_S6_EEENSJ_IJSG_SG_EEENS0_18inequality_wrapperINSA_8equal_toIyEEEEPmJS6_EEE10hipError_tPvRmT3_T4_T5_T6_T7_T9_mT8_P12ihipStream_tbDpT10_ENKUlT_T0_E_clISt17integral_constantIbLb1EES1A_EEDaS15_S16_EUlS15_E_NS1_11comp_targetILNS1_3genE5ELNS1_11target_archE942ELNS1_3gpuE9ELNS1_3repE0EEENS1_30default_config_static_selectorELNS0_4arch9wavefront6targetE1EEEvT1_.private_seg_size, 0
	.set _ZN7rocprim17ROCPRIM_400000_NS6detail17trampoline_kernelINS0_14default_configENS1_25partition_config_selectorILNS1_17partition_subalgoE8EyNS0_10empty_typeEbEEZZNS1_14partition_implILS5_8ELb0ES3_jN6thrust23THRUST_200600_302600_NS6detail15normal_iteratorINSA_10device_ptrIyEEEEPS6_PKS6_NS0_5tupleIJSF_S6_EEENSJ_IJSG_SG_EEENS0_18inequality_wrapperINSA_8equal_toIyEEEEPmJS6_EEE10hipError_tPvRmT3_T4_T5_T6_T7_T9_mT8_P12ihipStream_tbDpT10_ENKUlT_T0_E_clISt17integral_constantIbLb1EES1A_EEDaS15_S16_EUlS15_E_NS1_11comp_targetILNS1_3genE5ELNS1_11target_archE942ELNS1_3gpuE9ELNS1_3repE0EEENS1_30default_config_static_selectorELNS0_4arch9wavefront6targetE1EEEvT1_.uses_vcc, 0
	.set _ZN7rocprim17ROCPRIM_400000_NS6detail17trampoline_kernelINS0_14default_configENS1_25partition_config_selectorILNS1_17partition_subalgoE8EyNS0_10empty_typeEbEEZZNS1_14partition_implILS5_8ELb0ES3_jN6thrust23THRUST_200600_302600_NS6detail15normal_iteratorINSA_10device_ptrIyEEEEPS6_PKS6_NS0_5tupleIJSF_S6_EEENSJ_IJSG_SG_EEENS0_18inequality_wrapperINSA_8equal_toIyEEEEPmJS6_EEE10hipError_tPvRmT3_T4_T5_T6_T7_T9_mT8_P12ihipStream_tbDpT10_ENKUlT_T0_E_clISt17integral_constantIbLb1EES1A_EEDaS15_S16_EUlS15_E_NS1_11comp_targetILNS1_3genE5ELNS1_11target_archE942ELNS1_3gpuE9ELNS1_3repE0EEENS1_30default_config_static_selectorELNS0_4arch9wavefront6targetE1EEEvT1_.uses_flat_scratch, 0
	.set _ZN7rocprim17ROCPRIM_400000_NS6detail17trampoline_kernelINS0_14default_configENS1_25partition_config_selectorILNS1_17partition_subalgoE8EyNS0_10empty_typeEbEEZZNS1_14partition_implILS5_8ELb0ES3_jN6thrust23THRUST_200600_302600_NS6detail15normal_iteratorINSA_10device_ptrIyEEEEPS6_PKS6_NS0_5tupleIJSF_S6_EEENSJ_IJSG_SG_EEENS0_18inequality_wrapperINSA_8equal_toIyEEEEPmJS6_EEE10hipError_tPvRmT3_T4_T5_T6_T7_T9_mT8_P12ihipStream_tbDpT10_ENKUlT_T0_E_clISt17integral_constantIbLb1EES1A_EEDaS15_S16_EUlS15_E_NS1_11comp_targetILNS1_3genE5ELNS1_11target_archE942ELNS1_3gpuE9ELNS1_3repE0EEENS1_30default_config_static_selectorELNS0_4arch9wavefront6targetE1EEEvT1_.has_dyn_sized_stack, 0
	.set _ZN7rocprim17ROCPRIM_400000_NS6detail17trampoline_kernelINS0_14default_configENS1_25partition_config_selectorILNS1_17partition_subalgoE8EyNS0_10empty_typeEbEEZZNS1_14partition_implILS5_8ELb0ES3_jN6thrust23THRUST_200600_302600_NS6detail15normal_iteratorINSA_10device_ptrIyEEEEPS6_PKS6_NS0_5tupleIJSF_S6_EEENSJ_IJSG_SG_EEENS0_18inequality_wrapperINSA_8equal_toIyEEEEPmJS6_EEE10hipError_tPvRmT3_T4_T5_T6_T7_T9_mT8_P12ihipStream_tbDpT10_ENKUlT_T0_E_clISt17integral_constantIbLb1EES1A_EEDaS15_S16_EUlS15_E_NS1_11comp_targetILNS1_3genE5ELNS1_11target_archE942ELNS1_3gpuE9ELNS1_3repE0EEENS1_30default_config_static_selectorELNS0_4arch9wavefront6targetE1EEEvT1_.has_recursion, 0
	.set _ZN7rocprim17ROCPRIM_400000_NS6detail17trampoline_kernelINS0_14default_configENS1_25partition_config_selectorILNS1_17partition_subalgoE8EyNS0_10empty_typeEbEEZZNS1_14partition_implILS5_8ELb0ES3_jN6thrust23THRUST_200600_302600_NS6detail15normal_iteratorINSA_10device_ptrIyEEEEPS6_PKS6_NS0_5tupleIJSF_S6_EEENSJ_IJSG_SG_EEENS0_18inequality_wrapperINSA_8equal_toIyEEEEPmJS6_EEE10hipError_tPvRmT3_T4_T5_T6_T7_T9_mT8_P12ihipStream_tbDpT10_ENKUlT_T0_E_clISt17integral_constantIbLb1EES1A_EEDaS15_S16_EUlS15_E_NS1_11comp_targetILNS1_3genE5ELNS1_11target_archE942ELNS1_3gpuE9ELNS1_3repE0EEENS1_30default_config_static_selectorELNS0_4arch9wavefront6targetE1EEEvT1_.has_indirect_call, 0
	.section	.AMDGPU.csdata,"",@progbits
; Kernel info:
; codeLenInByte = 0
; TotalNumSgprs: 4
; NumVgprs: 0
; ScratchSize: 0
; MemoryBound: 0
; FloatMode: 240
; IeeeMode: 1
; LDSByteSize: 0 bytes/workgroup (compile time only)
; SGPRBlocks: 0
; VGPRBlocks: 0
; NumSGPRsForWavesPerEU: 4
; NumVGPRsForWavesPerEU: 1
; Occupancy: 10
; WaveLimiterHint : 0
; COMPUTE_PGM_RSRC2:SCRATCH_EN: 0
; COMPUTE_PGM_RSRC2:USER_SGPR: 6
; COMPUTE_PGM_RSRC2:TRAP_HANDLER: 0
; COMPUTE_PGM_RSRC2:TGID_X_EN: 1
; COMPUTE_PGM_RSRC2:TGID_Y_EN: 0
; COMPUTE_PGM_RSRC2:TGID_Z_EN: 0
; COMPUTE_PGM_RSRC2:TIDIG_COMP_CNT: 0
	.section	.text._ZN7rocprim17ROCPRIM_400000_NS6detail17trampoline_kernelINS0_14default_configENS1_25partition_config_selectorILNS1_17partition_subalgoE8EyNS0_10empty_typeEbEEZZNS1_14partition_implILS5_8ELb0ES3_jN6thrust23THRUST_200600_302600_NS6detail15normal_iteratorINSA_10device_ptrIyEEEEPS6_PKS6_NS0_5tupleIJSF_S6_EEENSJ_IJSG_SG_EEENS0_18inequality_wrapperINSA_8equal_toIyEEEEPmJS6_EEE10hipError_tPvRmT3_T4_T5_T6_T7_T9_mT8_P12ihipStream_tbDpT10_ENKUlT_T0_E_clISt17integral_constantIbLb1EES1A_EEDaS15_S16_EUlS15_E_NS1_11comp_targetILNS1_3genE4ELNS1_11target_archE910ELNS1_3gpuE8ELNS1_3repE0EEENS1_30default_config_static_selectorELNS0_4arch9wavefront6targetE1EEEvT1_,"axG",@progbits,_ZN7rocprim17ROCPRIM_400000_NS6detail17trampoline_kernelINS0_14default_configENS1_25partition_config_selectorILNS1_17partition_subalgoE8EyNS0_10empty_typeEbEEZZNS1_14partition_implILS5_8ELb0ES3_jN6thrust23THRUST_200600_302600_NS6detail15normal_iteratorINSA_10device_ptrIyEEEEPS6_PKS6_NS0_5tupleIJSF_S6_EEENSJ_IJSG_SG_EEENS0_18inequality_wrapperINSA_8equal_toIyEEEEPmJS6_EEE10hipError_tPvRmT3_T4_T5_T6_T7_T9_mT8_P12ihipStream_tbDpT10_ENKUlT_T0_E_clISt17integral_constantIbLb1EES1A_EEDaS15_S16_EUlS15_E_NS1_11comp_targetILNS1_3genE4ELNS1_11target_archE910ELNS1_3gpuE8ELNS1_3repE0EEENS1_30default_config_static_selectorELNS0_4arch9wavefront6targetE1EEEvT1_,comdat
	.protected	_ZN7rocprim17ROCPRIM_400000_NS6detail17trampoline_kernelINS0_14default_configENS1_25partition_config_selectorILNS1_17partition_subalgoE8EyNS0_10empty_typeEbEEZZNS1_14partition_implILS5_8ELb0ES3_jN6thrust23THRUST_200600_302600_NS6detail15normal_iteratorINSA_10device_ptrIyEEEEPS6_PKS6_NS0_5tupleIJSF_S6_EEENSJ_IJSG_SG_EEENS0_18inequality_wrapperINSA_8equal_toIyEEEEPmJS6_EEE10hipError_tPvRmT3_T4_T5_T6_T7_T9_mT8_P12ihipStream_tbDpT10_ENKUlT_T0_E_clISt17integral_constantIbLb1EES1A_EEDaS15_S16_EUlS15_E_NS1_11comp_targetILNS1_3genE4ELNS1_11target_archE910ELNS1_3gpuE8ELNS1_3repE0EEENS1_30default_config_static_selectorELNS0_4arch9wavefront6targetE1EEEvT1_ ; -- Begin function _ZN7rocprim17ROCPRIM_400000_NS6detail17trampoline_kernelINS0_14default_configENS1_25partition_config_selectorILNS1_17partition_subalgoE8EyNS0_10empty_typeEbEEZZNS1_14partition_implILS5_8ELb0ES3_jN6thrust23THRUST_200600_302600_NS6detail15normal_iteratorINSA_10device_ptrIyEEEEPS6_PKS6_NS0_5tupleIJSF_S6_EEENSJ_IJSG_SG_EEENS0_18inequality_wrapperINSA_8equal_toIyEEEEPmJS6_EEE10hipError_tPvRmT3_T4_T5_T6_T7_T9_mT8_P12ihipStream_tbDpT10_ENKUlT_T0_E_clISt17integral_constantIbLb1EES1A_EEDaS15_S16_EUlS15_E_NS1_11comp_targetILNS1_3genE4ELNS1_11target_archE910ELNS1_3gpuE8ELNS1_3repE0EEENS1_30default_config_static_selectorELNS0_4arch9wavefront6targetE1EEEvT1_
	.globl	_ZN7rocprim17ROCPRIM_400000_NS6detail17trampoline_kernelINS0_14default_configENS1_25partition_config_selectorILNS1_17partition_subalgoE8EyNS0_10empty_typeEbEEZZNS1_14partition_implILS5_8ELb0ES3_jN6thrust23THRUST_200600_302600_NS6detail15normal_iteratorINSA_10device_ptrIyEEEEPS6_PKS6_NS0_5tupleIJSF_S6_EEENSJ_IJSG_SG_EEENS0_18inequality_wrapperINSA_8equal_toIyEEEEPmJS6_EEE10hipError_tPvRmT3_T4_T5_T6_T7_T9_mT8_P12ihipStream_tbDpT10_ENKUlT_T0_E_clISt17integral_constantIbLb1EES1A_EEDaS15_S16_EUlS15_E_NS1_11comp_targetILNS1_3genE4ELNS1_11target_archE910ELNS1_3gpuE8ELNS1_3repE0EEENS1_30default_config_static_selectorELNS0_4arch9wavefront6targetE1EEEvT1_
	.p2align	8
	.type	_ZN7rocprim17ROCPRIM_400000_NS6detail17trampoline_kernelINS0_14default_configENS1_25partition_config_selectorILNS1_17partition_subalgoE8EyNS0_10empty_typeEbEEZZNS1_14partition_implILS5_8ELb0ES3_jN6thrust23THRUST_200600_302600_NS6detail15normal_iteratorINSA_10device_ptrIyEEEEPS6_PKS6_NS0_5tupleIJSF_S6_EEENSJ_IJSG_SG_EEENS0_18inequality_wrapperINSA_8equal_toIyEEEEPmJS6_EEE10hipError_tPvRmT3_T4_T5_T6_T7_T9_mT8_P12ihipStream_tbDpT10_ENKUlT_T0_E_clISt17integral_constantIbLb1EES1A_EEDaS15_S16_EUlS15_E_NS1_11comp_targetILNS1_3genE4ELNS1_11target_archE910ELNS1_3gpuE8ELNS1_3repE0EEENS1_30default_config_static_selectorELNS0_4arch9wavefront6targetE1EEEvT1_,@function
_ZN7rocprim17ROCPRIM_400000_NS6detail17trampoline_kernelINS0_14default_configENS1_25partition_config_selectorILNS1_17partition_subalgoE8EyNS0_10empty_typeEbEEZZNS1_14partition_implILS5_8ELb0ES3_jN6thrust23THRUST_200600_302600_NS6detail15normal_iteratorINSA_10device_ptrIyEEEEPS6_PKS6_NS0_5tupleIJSF_S6_EEENSJ_IJSG_SG_EEENS0_18inequality_wrapperINSA_8equal_toIyEEEEPmJS6_EEE10hipError_tPvRmT3_T4_T5_T6_T7_T9_mT8_P12ihipStream_tbDpT10_ENKUlT_T0_E_clISt17integral_constantIbLb1EES1A_EEDaS15_S16_EUlS15_E_NS1_11comp_targetILNS1_3genE4ELNS1_11target_archE910ELNS1_3gpuE8ELNS1_3repE0EEENS1_30default_config_static_selectorELNS0_4arch9wavefront6targetE1EEEvT1_: ; @_ZN7rocprim17ROCPRIM_400000_NS6detail17trampoline_kernelINS0_14default_configENS1_25partition_config_selectorILNS1_17partition_subalgoE8EyNS0_10empty_typeEbEEZZNS1_14partition_implILS5_8ELb0ES3_jN6thrust23THRUST_200600_302600_NS6detail15normal_iteratorINSA_10device_ptrIyEEEEPS6_PKS6_NS0_5tupleIJSF_S6_EEENSJ_IJSG_SG_EEENS0_18inequality_wrapperINSA_8equal_toIyEEEEPmJS6_EEE10hipError_tPvRmT3_T4_T5_T6_T7_T9_mT8_P12ihipStream_tbDpT10_ENKUlT_T0_E_clISt17integral_constantIbLb1EES1A_EEDaS15_S16_EUlS15_E_NS1_11comp_targetILNS1_3genE4ELNS1_11target_archE910ELNS1_3gpuE8ELNS1_3repE0EEENS1_30default_config_static_selectorELNS0_4arch9wavefront6targetE1EEEvT1_
; %bb.0:
	.section	.rodata,"a",@progbits
	.p2align	6, 0x0
	.amdhsa_kernel _ZN7rocprim17ROCPRIM_400000_NS6detail17trampoline_kernelINS0_14default_configENS1_25partition_config_selectorILNS1_17partition_subalgoE8EyNS0_10empty_typeEbEEZZNS1_14partition_implILS5_8ELb0ES3_jN6thrust23THRUST_200600_302600_NS6detail15normal_iteratorINSA_10device_ptrIyEEEEPS6_PKS6_NS0_5tupleIJSF_S6_EEENSJ_IJSG_SG_EEENS0_18inequality_wrapperINSA_8equal_toIyEEEEPmJS6_EEE10hipError_tPvRmT3_T4_T5_T6_T7_T9_mT8_P12ihipStream_tbDpT10_ENKUlT_T0_E_clISt17integral_constantIbLb1EES1A_EEDaS15_S16_EUlS15_E_NS1_11comp_targetILNS1_3genE4ELNS1_11target_archE910ELNS1_3gpuE8ELNS1_3repE0EEENS1_30default_config_static_selectorELNS0_4arch9wavefront6targetE1EEEvT1_
		.amdhsa_group_segment_fixed_size 0
		.amdhsa_private_segment_fixed_size 0
		.amdhsa_kernarg_size 128
		.amdhsa_user_sgpr_count 6
		.amdhsa_user_sgpr_private_segment_buffer 1
		.amdhsa_user_sgpr_dispatch_ptr 0
		.amdhsa_user_sgpr_queue_ptr 0
		.amdhsa_user_sgpr_kernarg_segment_ptr 1
		.amdhsa_user_sgpr_dispatch_id 0
		.amdhsa_user_sgpr_flat_scratch_init 0
		.amdhsa_user_sgpr_private_segment_size 0
		.amdhsa_uses_dynamic_stack 0
		.amdhsa_system_sgpr_private_segment_wavefront_offset 0
		.amdhsa_system_sgpr_workgroup_id_x 1
		.amdhsa_system_sgpr_workgroup_id_y 0
		.amdhsa_system_sgpr_workgroup_id_z 0
		.amdhsa_system_sgpr_workgroup_info 0
		.amdhsa_system_vgpr_workitem_id 0
		.amdhsa_next_free_vgpr 1
		.amdhsa_next_free_sgpr 0
		.amdhsa_reserve_vcc 0
		.amdhsa_reserve_flat_scratch 0
		.amdhsa_float_round_mode_32 0
		.amdhsa_float_round_mode_16_64 0
		.amdhsa_float_denorm_mode_32 3
		.amdhsa_float_denorm_mode_16_64 3
		.amdhsa_dx10_clamp 1
		.amdhsa_ieee_mode 1
		.amdhsa_fp16_overflow 0
		.amdhsa_exception_fp_ieee_invalid_op 0
		.amdhsa_exception_fp_denorm_src 0
		.amdhsa_exception_fp_ieee_div_zero 0
		.amdhsa_exception_fp_ieee_overflow 0
		.amdhsa_exception_fp_ieee_underflow 0
		.amdhsa_exception_fp_ieee_inexact 0
		.amdhsa_exception_int_div_zero 0
	.end_amdhsa_kernel
	.section	.text._ZN7rocprim17ROCPRIM_400000_NS6detail17trampoline_kernelINS0_14default_configENS1_25partition_config_selectorILNS1_17partition_subalgoE8EyNS0_10empty_typeEbEEZZNS1_14partition_implILS5_8ELb0ES3_jN6thrust23THRUST_200600_302600_NS6detail15normal_iteratorINSA_10device_ptrIyEEEEPS6_PKS6_NS0_5tupleIJSF_S6_EEENSJ_IJSG_SG_EEENS0_18inequality_wrapperINSA_8equal_toIyEEEEPmJS6_EEE10hipError_tPvRmT3_T4_T5_T6_T7_T9_mT8_P12ihipStream_tbDpT10_ENKUlT_T0_E_clISt17integral_constantIbLb1EES1A_EEDaS15_S16_EUlS15_E_NS1_11comp_targetILNS1_3genE4ELNS1_11target_archE910ELNS1_3gpuE8ELNS1_3repE0EEENS1_30default_config_static_selectorELNS0_4arch9wavefront6targetE1EEEvT1_,"axG",@progbits,_ZN7rocprim17ROCPRIM_400000_NS6detail17trampoline_kernelINS0_14default_configENS1_25partition_config_selectorILNS1_17partition_subalgoE8EyNS0_10empty_typeEbEEZZNS1_14partition_implILS5_8ELb0ES3_jN6thrust23THRUST_200600_302600_NS6detail15normal_iteratorINSA_10device_ptrIyEEEEPS6_PKS6_NS0_5tupleIJSF_S6_EEENSJ_IJSG_SG_EEENS0_18inequality_wrapperINSA_8equal_toIyEEEEPmJS6_EEE10hipError_tPvRmT3_T4_T5_T6_T7_T9_mT8_P12ihipStream_tbDpT10_ENKUlT_T0_E_clISt17integral_constantIbLb1EES1A_EEDaS15_S16_EUlS15_E_NS1_11comp_targetILNS1_3genE4ELNS1_11target_archE910ELNS1_3gpuE8ELNS1_3repE0EEENS1_30default_config_static_selectorELNS0_4arch9wavefront6targetE1EEEvT1_,comdat
.Lfunc_end155:
	.size	_ZN7rocprim17ROCPRIM_400000_NS6detail17trampoline_kernelINS0_14default_configENS1_25partition_config_selectorILNS1_17partition_subalgoE8EyNS0_10empty_typeEbEEZZNS1_14partition_implILS5_8ELb0ES3_jN6thrust23THRUST_200600_302600_NS6detail15normal_iteratorINSA_10device_ptrIyEEEEPS6_PKS6_NS0_5tupleIJSF_S6_EEENSJ_IJSG_SG_EEENS0_18inequality_wrapperINSA_8equal_toIyEEEEPmJS6_EEE10hipError_tPvRmT3_T4_T5_T6_T7_T9_mT8_P12ihipStream_tbDpT10_ENKUlT_T0_E_clISt17integral_constantIbLb1EES1A_EEDaS15_S16_EUlS15_E_NS1_11comp_targetILNS1_3genE4ELNS1_11target_archE910ELNS1_3gpuE8ELNS1_3repE0EEENS1_30default_config_static_selectorELNS0_4arch9wavefront6targetE1EEEvT1_, .Lfunc_end155-_ZN7rocprim17ROCPRIM_400000_NS6detail17trampoline_kernelINS0_14default_configENS1_25partition_config_selectorILNS1_17partition_subalgoE8EyNS0_10empty_typeEbEEZZNS1_14partition_implILS5_8ELb0ES3_jN6thrust23THRUST_200600_302600_NS6detail15normal_iteratorINSA_10device_ptrIyEEEEPS6_PKS6_NS0_5tupleIJSF_S6_EEENSJ_IJSG_SG_EEENS0_18inequality_wrapperINSA_8equal_toIyEEEEPmJS6_EEE10hipError_tPvRmT3_T4_T5_T6_T7_T9_mT8_P12ihipStream_tbDpT10_ENKUlT_T0_E_clISt17integral_constantIbLb1EES1A_EEDaS15_S16_EUlS15_E_NS1_11comp_targetILNS1_3genE4ELNS1_11target_archE910ELNS1_3gpuE8ELNS1_3repE0EEENS1_30default_config_static_selectorELNS0_4arch9wavefront6targetE1EEEvT1_
                                        ; -- End function
	.set _ZN7rocprim17ROCPRIM_400000_NS6detail17trampoline_kernelINS0_14default_configENS1_25partition_config_selectorILNS1_17partition_subalgoE8EyNS0_10empty_typeEbEEZZNS1_14partition_implILS5_8ELb0ES3_jN6thrust23THRUST_200600_302600_NS6detail15normal_iteratorINSA_10device_ptrIyEEEEPS6_PKS6_NS0_5tupleIJSF_S6_EEENSJ_IJSG_SG_EEENS0_18inequality_wrapperINSA_8equal_toIyEEEEPmJS6_EEE10hipError_tPvRmT3_T4_T5_T6_T7_T9_mT8_P12ihipStream_tbDpT10_ENKUlT_T0_E_clISt17integral_constantIbLb1EES1A_EEDaS15_S16_EUlS15_E_NS1_11comp_targetILNS1_3genE4ELNS1_11target_archE910ELNS1_3gpuE8ELNS1_3repE0EEENS1_30default_config_static_selectorELNS0_4arch9wavefront6targetE1EEEvT1_.num_vgpr, 0
	.set _ZN7rocprim17ROCPRIM_400000_NS6detail17trampoline_kernelINS0_14default_configENS1_25partition_config_selectorILNS1_17partition_subalgoE8EyNS0_10empty_typeEbEEZZNS1_14partition_implILS5_8ELb0ES3_jN6thrust23THRUST_200600_302600_NS6detail15normal_iteratorINSA_10device_ptrIyEEEEPS6_PKS6_NS0_5tupleIJSF_S6_EEENSJ_IJSG_SG_EEENS0_18inequality_wrapperINSA_8equal_toIyEEEEPmJS6_EEE10hipError_tPvRmT3_T4_T5_T6_T7_T9_mT8_P12ihipStream_tbDpT10_ENKUlT_T0_E_clISt17integral_constantIbLb1EES1A_EEDaS15_S16_EUlS15_E_NS1_11comp_targetILNS1_3genE4ELNS1_11target_archE910ELNS1_3gpuE8ELNS1_3repE0EEENS1_30default_config_static_selectorELNS0_4arch9wavefront6targetE1EEEvT1_.num_agpr, 0
	.set _ZN7rocprim17ROCPRIM_400000_NS6detail17trampoline_kernelINS0_14default_configENS1_25partition_config_selectorILNS1_17partition_subalgoE8EyNS0_10empty_typeEbEEZZNS1_14partition_implILS5_8ELb0ES3_jN6thrust23THRUST_200600_302600_NS6detail15normal_iteratorINSA_10device_ptrIyEEEEPS6_PKS6_NS0_5tupleIJSF_S6_EEENSJ_IJSG_SG_EEENS0_18inequality_wrapperINSA_8equal_toIyEEEEPmJS6_EEE10hipError_tPvRmT3_T4_T5_T6_T7_T9_mT8_P12ihipStream_tbDpT10_ENKUlT_T0_E_clISt17integral_constantIbLb1EES1A_EEDaS15_S16_EUlS15_E_NS1_11comp_targetILNS1_3genE4ELNS1_11target_archE910ELNS1_3gpuE8ELNS1_3repE0EEENS1_30default_config_static_selectorELNS0_4arch9wavefront6targetE1EEEvT1_.numbered_sgpr, 0
	.set _ZN7rocprim17ROCPRIM_400000_NS6detail17trampoline_kernelINS0_14default_configENS1_25partition_config_selectorILNS1_17partition_subalgoE8EyNS0_10empty_typeEbEEZZNS1_14partition_implILS5_8ELb0ES3_jN6thrust23THRUST_200600_302600_NS6detail15normal_iteratorINSA_10device_ptrIyEEEEPS6_PKS6_NS0_5tupleIJSF_S6_EEENSJ_IJSG_SG_EEENS0_18inequality_wrapperINSA_8equal_toIyEEEEPmJS6_EEE10hipError_tPvRmT3_T4_T5_T6_T7_T9_mT8_P12ihipStream_tbDpT10_ENKUlT_T0_E_clISt17integral_constantIbLb1EES1A_EEDaS15_S16_EUlS15_E_NS1_11comp_targetILNS1_3genE4ELNS1_11target_archE910ELNS1_3gpuE8ELNS1_3repE0EEENS1_30default_config_static_selectorELNS0_4arch9wavefront6targetE1EEEvT1_.num_named_barrier, 0
	.set _ZN7rocprim17ROCPRIM_400000_NS6detail17trampoline_kernelINS0_14default_configENS1_25partition_config_selectorILNS1_17partition_subalgoE8EyNS0_10empty_typeEbEEZZNS1_14partition_implILS5_8ELb0ES3_jN6thrust23THRUST_200600_302600_NS6detail15normal_iteratorINSA_10device_ptrIyEEEEPS6_PKS6_NS0_5tupleIJSF_S6_EEENSJ_IJSG_SG_EEENS0_18inequality_wrapperINSA_8equal_toIyEEEEPmJS6_EEE10hipError_tPvRmT3_T4_T5_T6_T7_T9_mT8_P12ihipStream_tbDpT10_ENKUlT_T0_E_clISt17integral_constantIbLb1EES1A_EEDaS15_S16_EUlS15_E_NS1_11comp_targetILNS1_3genE4ELNS1_11target_archE910ELNS1_3gpuE8ELNS1_3repE0EEENS1_30default_config_static_selectorELNS0_4arch9wavefront6targetE1EEEvT1_.private_seg_size, 0
	.set _ZN7rocprim17ROCPRIM_400000_NS6detail17trampoline_kernelINS0_14default_configENS1_25partition_config_selectorILNS1_17partition_subalgoE8EyNS0_10empty_typeEbEEZZNS1_14partition_implILS5_8ELb0ES3_jN6thrust23THRUST_200600_302600_NS6detail15normal_iteratorINSA_10device_ptrIyEEEEPS6_PKS6_NS0_5tupleIJSF_S6_EEENSJ_IJSG_SG_EEENS0_18inequality_wrapperINSA_8equal_toIyEEEEPmJS6_EEE10hipError_tPvRmT3_T4_T5_T6_T7_T9_mT8_P12ihipStream_tbDpT10_ENKUlT_T0_E_clISt17integral_constantIbLb1EES1A_EEDaS15_S16_EUlS15_E_NS1_11comp_targetILNS1_3genE4ELNS1_11target_archE910ELNS1_3gpuE8ELNS1_3repE0EEENS1_30default_config_static_selectorELNS0_4arch9wavefront6targetE1EEEvT1_.uses_vcc, 0
	.set _ZN7rocprim17ROCPRIM_400000_NS6detail17trampoline_kernelINS0_14default_configENS1_25partition_config_selectorILNS1_17partition_subalgoE8EyNS0_10empty_typeEbEEZZNS1_14partition_implILS5_8ELb0ES3_jN6thrust23THRUST_200600_302600_NS6detail15normal_iteratorINSA_10device_ptrIyEEEEPS6_PKS6_NS0_5tupleIJSF_S6_EEENSJ_IJSG_SG_EEENS0_18inequality_wrapperINSA_8equal_toIyEEEEPmJS6_EEE10hipError_tPvRmT3_T4_T5_T6_T7_T9_mT8_P12ihipStream_tbDpT10_ENKUlT_T0_E_clISt17integral_constantIbLb1EES1A_EEDaS15_S16_EUlS15_E_NS1_11comp_targetILNS1_3genE4ELNS1_11target_archE910ELNS1_3gpuE8ELNS1_3repE0EEENS1_30default_config_static_selectorELNS0_4arch9wavefront6targetE1EEEvT1_.uses_flat_scratch, 0
	.set _ZN7rocprim17ROCPRIM_400000_NS6detail17trampoline_kernelINS0_14default_configENS1_25partition_config_selectorILNS1_17partition_subalgoE8EyNS0_10empty_typeEbEEZZNS1_14partition_implILS5_8ELb0ES3_jN6thrust23THRUST_200600_302600_NS6detail15normal_iteratorINSA_10device_ptrIyEEEEPS6_PKS6_NS0_5tupleIJSF_S6_EEENSJ_IJSG_SG_EEENS0_18inequality_wrapperINSA_8equal_toIyEEEEPmJS6_EEE10hipError_tPvRmT3_T4_T5_T6_T7_T9_mT8_P12ihipStream_tbDpT10_ENKUlT_T0_E_clISt17integral_constantIbLb1EES1A_EEDaS15_S16_EUlS15_E_NS1_11comp_targetILNS1_3genE4ELNS1_11target_archE910ELNS1_3gpuE8ELNS1_3repE0EEENS1_30default_config_static_selectorELNS0_4arch9wavefront6targetE1EEEvT1_.has_dyn_sized_stack, 0
	.set _ZN7rocprim17ROCPRIM_400000_NS6detail17trampoline_kernelINS0_14default_configENS1_25partition_config_selectorILNS1_17partition_subalgoE8EyNS0_10empty_typeEbEEZZNS1_14partition_implILS5_8ELb0ES3_jN6thrust23THRUST_200600_302600_NS6detail15normal_iteratorINSA_10device_ptrIyEEEEPS6_PKS6_NS0_5tupleIJSF_S6_EEENSJ_IJSG_SG_EEENS0_18inequality_wrapperINSA_8equal_toIyEEEEPmJS6_EEE10hipError_tPvRmT3_T4_T5_T6_T7_T9_mT8_P12ihipStream_tbDpT10_ENKUlT_T0_E_clISt17integral_constantIbLb1EES1A_EEDaS15_S16_EUlS15_E_NS1_11comp_targetILNS1_3genE4ELNS1_11target_archE910ELNS1_3gpuE8ELNS1_3repE0EEENS1_30default_config_static_selectorELNS0_4arch9wavefront6targetE1EEEvT1_.has_recursion, 0
	.set _ZN7rocprim17ROCPRIM_400000_NS6detail17trampoline_kernelINS0_14default_configENS1_25partition_config_selectorILNS1_17partition_subalgoE8EyNS0_10empty_typeEbEEZZNS1_14partition_implILS5_8ELb0ES3_jN6thrust23THRUST_200600_302600_NS6detail15normal_iteratorINSA_10device_ptrIyEEEEPS6_PKS6_NS0_5tupleIJSF_S6_EEENSJ_IJSG_SG_EEENS0_18inequality_wrapperINSA_8equal_toIyEEEEPmJS6_EEE10hipError_tPvRmT3_T4_T5_T6_T7_T9_mT8_P12ihipStream_tbDpT10_ENKUlT_T0_E_clISt17integral_constantIbLb1EES1A_EEDaS15_S16_EUlS15_E_NS1_11comp_targetILNS1_3genE4ELNS1_11target_archE910ELNS1_3gpuE8ELNS1_3repE0EEENS1_30default_config_static_selectorELNS0_4arch9wavefront6targetE1EEEvT1_.has_indirect_call, 0
	.section	.AMDGPU.csdata,"",@progbits
; Kernel info:
; codeLenInByte = 0
; TotalNumSgprs: 4
; NumVgprs: 0
; ScratchSize: 0
; MemoryBound: 0
; FloatMode: 240
; IeeeMode: 1
; LDSByteSize: 0 bytes/workgroup (compile time only)
; SGPRBlocks: 0
; VGPRBlocks: 0
; NumSGPRsForWavesPerEU: 4
; NumVGPRsForWavesPerEU: 1
; Occupancy: 10
; WaveLimiterHint : 0
; COMPUTE_PGM_RSRC2:SCRATCH_EN: 0
; COMPUTE_PGM_RSRC2:USER_SGPR: 6
; COMPUTE_PGM_RSRC2:TRAP_HANDLER: 0
; COMPUTE_PGM_RSRC2:TGID_X_EN: 1
; COMPUTE_PGM_RSRC2:TGID_Y_EN: 0
; COMPUTE_PGM_RSRC2:TGID_Z_EN: 0
; COMPUTE_PGM_RSRC2:TIDIG_COMP_CNT: 0
	.section	.text._ZN7rocprim17ROCPRIM_400000_NS6detail17trampoline_kernelINS0_14default_configENS1_25partition_config_selectorILNS1_17partition_subalgoE8EyNS0_10empty_typeEbEEZZNS1_14partition_implILS5_8ELb0ES3_jN6thrust23THRUST_200600_302600_NS6detail15normal_iteratorINSA_10device_ptrIyEEEEPS6_PKS6_NS0_5tupleIJSF_S6_EEENSJ_IJSG_SG_EEENS0_18inequality_wrapperINSA_8equal_toIyEEEEPmJS6_EEE10hipError_tPvRmT3_T4_T5_T6_T7_T9_mT8_P12ihipStream_tbDpT10_ENKUlT_T0_E_clISt17integral_constantIbLb1EES1A_EEDaS15_S16_EUlS15_E_NS1_11comp_targetILNS1_3genE3ELNS1_11target_archE908ELNS1_3gpuE7ELNS1_3repE0EEENS1_30default_config_static_selectorELNS0_4arch9wavefront6targetE1EEEvT1_,"axG",@progbits,_ZN7rocprim17ROCPRIM_400000_NS6detail17trampoline_kernelINS0_14default_configENS1_25partition_config_selectorILNS1_17partition_subalgoE8EyNS0_10empty_typeEbEEZZNS1_14partition_implILS5_8ELb0ES3_jN6thrust23THRUST_200600_302600_NS6detail15normal_iteratorINSA_10device_ptrIyEEEEPS6_PKS6_NS0_5tupleIJSF_S6_EEENSJ_IJSG_SG_EEENS0_18inequality_wrapperINSA_8equal_toIyEEEEPmJS6_EEE10hipError_tPvRmT3_T4_T5_T6_T7_T9_mT8_P12ihipStream_tbDpT10_ENKUlT_T0_E_clISt17integral_constantIbLb1EES1A_EEDaS15_S16_EUlS15_E_NS1_11comp_targetILNS1_3genE3ELNS1_11target_archE908ELNS1_3gpuE7ELNS1_3repE0EEENS1_30default_config_static_selectorELNS0_4arch9wavefront6targetE1EEEvT1_,comdat
	.protected	_ZN7rocprim17ROCPRIM_400000_NS6detail17trampoline_kernelINS0_14default_configENS1_25partition_config_selectorILNS1_17partition_subalgoE8EyNS0_10empty_typeEbEEZZNS1_14partition_implILS5_8ELb0ES3_jN6thrust23THRUST_200600_302600_NS6detail15normal_iteratorINSA_10device_ptrIyEEEEPS6_PKS6_NS0_5tupleIJSF_S6_EEENSJ_IJSG_SG_EEENS0_18inequality_wrapperINSA_8equal_toIyEEEEPmJS6_EEE10hipError_tPvRmT3_T4_T5_T6_T7_T9_mT8_P12ihipStream_tbDpT10_ENKUlT_T0_E_clISt17integral_constantIbLb1EES1A_EEDaS15_S16_EUlS15_E_NS1_11comp_targetILNS1_3genE3ELNS1_11target_archE908ELNS1_3gpuE7ELNS1_3repE0EEENS1_30default_config_static_selectorELNS0_4arch9wavefront6targetE1EEEvT1_ ; -- Begin function _ZN7rocprim17ROCPRIM_400000_NS6detail17trampoline_kernelINS0_14default_configENS1_25partition_config_selectorILNS1_17partition_subalgoE8EyNS0_10empty_typeEbEEZZNS1_14partition_implILS5_8ELb0ES3_jN6thrust23THRUST_200600_302600_NS6detail15normal_iteratorINSA_10device_ptrIyEEEEPS6_PKS6_NS0_5tupleIJSF_S6_EEENSJ_IJSG_SG_EEENS0_18inequality_wrapperINSA_8equal_toIyEEEEPmJS6_EEE10hipError_tPvRmT3_T4_T5_T6_T7_T9_mT8_P12ihipStream_tbDpT10_ENKUlT_T0_E_clISt17integral_constantIbLb1EES1A_EEDaS15_S16_EUlS15_E_NS1_11comp_targetILNS1_3genE3ELNS1_11target_archE908ELNS1_3gpuE7ELNS1_3repE0EEENS1_30default_config_static_selectorELNS0_4arch9wavefront6targetE1EEEvT1_
	.globl	_ZN7rocprim17ROCPRIM_400000_NS6detail17trampoline_kernelINS0_14default_configENS1_25partition_config_selectorILNS1_17partition_subalgoE8EyNS0_10empty_typeEbEEZZNS1_14partition_implILS5_8ELb0ES3_jN6thrust23THRUST_200600_302600_NS6detail15normal_iteratorINSA_10device_ptrIyEEEEPS6_PKS6_NS0_5tupleIJSF_S6_EEENSJ_IJSG_SG_EEENS0_18inequality_wrapperINSA_8equal_toIyEEEEPmJS6_EEE10hipError_tPvRmT3_T4_T5_T6_T7_T9_mT8_P12ihipStream_tbDpT10_ENKUlT_T0_E_clISt17integral_constantIbLb1EES1A_EEDaS15_S16_EUlS15_E_NS1_11comp_targetILNS1_3genE3ELNS1_11target_archE908ELNS1_3gpuE7ELNS1_3repE0EEENS1_30default_config_static_selectorELNS0_4arch9wavefront6targetE1EEEvT1_
	.p2align	8
	.type	_ZN7rocprim17ROCPRIM_400000_NS6detail17trampoline_kernelINS0_14default_configENS1_25partition_config_selectorILNS1_17partition_subalgoE8EyNS0_10empty_typeEbEEZZNS1_14partition_implILS5_8ELb0ES3_jN6thrust23THRUST_200600_302600_NS6detail15normal_iteratorINSA_10device_ptrIyEEEEPS6_PKS6_NS0_5tupleIJSF_S6_EEENSJ_IJSG_SG_EEENS0_18inequality_wrapperINSA_8equal_toIyEEEEPmJS6_EEE10hipError_tPvRmT3_T4_T5_T6_T7_T9_mT8_P12ihipStream_tbDpT10_ENKUlT_T0_E_clISt17integral_constantIbLb1EES1A_EEDaS15_S16_EUlS15_E_NS1_11comp_targetILNS1_3genE3ELNS1_11target_archE908ELNS1_3gpuE7ELNS1_3repE0EEENS1_30default_config_static_selectorELNS0_4arch9wavefront6targetE1EEEvT1_,@function
_ZN7rocprim17ROCPRIM_400000_NS6detail17trampoline_kernelINS0_14default_configENS1_25partition_config_selectorILNS1_17partition_subalgoE8EyNS0_10empty_typeEbEEZZNS1_14partition_implILS5_8ELb0ES3_jN6thrust23THRUST_200600_302600_NS6detail15normal_iteratorINSA_10device_ptrIyEEEEPS6_PKS6_NS0_5tupleIJSF_S6_EEENSJ_IJSG_SG_EEENS0_18inequality_wrapperINSA_8equal_toIyEEEEPmJS6_EEE10hipError_tPvRmT3_T4_T5_T6_T7_T9_mT8_P12ihipStream_tbDpT10_ENKUlT_T0_E_clISt17integral_constantIbLb1EES1A_EEDaS15_S16_EUlS15_E_NS1_11comp_targetILNS1_3genE3ELNS1_11target_archE908ELNS1_3gpuE7ELNS1_3repE0EEENS1_30default_config_static_selectorELNS0_4arch9wavefront6targetE1EEEvT1_: ; @_ZN7rocprim17ROCPRIM_400000_NS6detail17trampoline_kernelINS0_14default_configENS1_25partition_config_selectorILNS1_17partition_subalgoE8EyNS0_10empty_typeEbEEZZNS1_14partition_implILS5_8ELb0ES3_jN6thrust23THRUST_200600_302600_NS6detail15normal_iteratorINSA_10device_ptrIyEEEEPS6_PKS6_NS0_5tupleIJSF_S6_EEENSJ_IJSG_SG_EEENS0_18inequality_wrapperINSA_8equal_toIyEEEEPmJS6_EEE10hipError_tPvRmT3_T4_T5_T6_T7_T9_mT8_P12ihipStream_tbDpT10_ENKUlT_T0_E_clISt17integral_constantIbLb1EES1A_EEDaS15_S16_EUlS15_E_NS1_11comp_targetILNS1_3genE3ELNS1_11target_archE908ELNS1_3gpuE7ELNS1_3repE0EEENS1_30default_config_static_selectorELNS0_4arch9wavefront6targetE1EEEvT1_
; %bb.0:
	.section	.rodata,"a",@progbits
	.p2align	6, 0x0
	.amdhsa_kernel _ZN7rocprim17ROCPRIM_400000_NS6detail17trampoline_kernelINS0_14default_configENS1_25partition_config_selectorILNS1_17partition_subalgoE8EyNS0_10empty_typeEbEEZZNS1_14partition_implILS5_8ELb0ES3_jN6thrust23THRUST_200600_302600_NS6detail15normal_iteratorINSA_10device_ptrIyEEEEPS6_PKS6_NS0_5tupleIJSF_S6_EEENSJ_IJSG_SG_EEENS0_18inequality_wrapperINSA_8equal_toIyEEEEPmJS6_EEE10hipError_tPvRmT3_T4_T5_T6_T7_T9_mT8_P12ihipStream_tbDpT10_ENKUlT_T0_E_clISt17integral_constantIbLb1EES1A_EEDaS15_S16_EUlS15_E_NS1_11comp_targetILNS1_3genE3ELNS1_11target_archE908ELNS1_3gpuE7ELNS1_3repE0EEENS1_30default_config_static_selectorELNS0_4arch9wavefront6targetE1EEEvT1_
		.amdhsa_group_segment_fixed_size 0
		.amdhsa_private_segment_fixed_size 0
		.amdhsa_kernarg_size 128
		.amdhsa_user_sgpr_count 6
		.amdhsa_user_sgpr_private_segment_buffer 1
		.amdhsa_user_sgpr_dispatch_ptr 0
		.amdhsa_user_sgpr_queue_ptr 0
		.amdhsa_user_sgpr_kernarg_segment_ptr 1
		.amdhsa_user_sgpr_dispatch_id 0
		.amdhsa_user_sgpr_flat_scratch_init 0
		.amdhsa_user_sgpr_private_segment_size 0
		.amdhsa_uses_dynamic_stack 0
		.amdhsa_system_sgpr_private_segment_wavefront_offset 0
		.amdhsa_system_sgpr_workgroup_id_x 1
		.amdhsa_system_sgpr_workgroup_id_y 0
		.amdhsa_system_sgpr_workgroup_id_z 0
		.amdhsa_system_sgpr_workgroup_info 0
		.amdhsa_system_vgpr_workitem_id 0
		.amdhsa_next_free_vgpr 1
		.amdhsa_next_free_sgpr 0
		.amdhsa_reserve_vcc 0
		.amdhsa_reserve_flat_scratch 0
		.amdhsa_float_round_mode_32 0
		.amdhsa_float_round_mode_16_64 0
		.amdhsa_float_denorm_mode_32 3
		.amdhsa_float_denorm_mode_16_64 3
		.amdhsa_dx10_clamp 1
		.amdhsa_ieee_mode 1
		.amdhsa_fp16_overflow 0
		.amdhsa_exception_fp_ieee_invalid_op 0
		.amdhsa_exception_fp_denorm_src 0
		.amdhsa_exception_fp_ieee_div_zero 0
		.amdhsa_exception_fp_ieee_overflow 0
		.amdhsa_exception_fp_ieee_underflow 0
		.amdhsa_exception_fp_ieee_inexact 0
		.amdhsa_exception_int_div_zero 0
	.end_amdhsa_kernel
	.section	.text._ZN7rocprim17ROCPRIM_400000_NS6detail17trampoline_kernelINS0_14default_configENS1_25partition_config_selectorILNS1_17partition_subalgoE8EyNS0_10empty_typeEbEEZZNS1_14partition_implILS5_8ELb0ES3_jN6thrust23THRUST_200600_302600_NS6detail15normal_iteratorINSA_10device_ptrIyEEEEPS6_PKS6_NS0_5tupleIJSF_S6_EEENSJ_IJSG_SG_EEENS0_18inequality_wrapperINSA_8equal_toIyEEEEPmJS6_EEE10hipError_tPvRmT3_T4_T5_T6_T7_T9_mT8_P12ihipStream_tbDpT10_ENKUlT_T0_E_clISt17integral_constantIbLb1EES1A_EEDaS15_S16_EUlS15_E_NS1_11comp_targetILNS1_3genE3ELNS1_11target_archE908ELNS1_3gpuE7ELNS1_3repE0EEENS1_30default_config_static_selectorELNS0_4arch9wavefront6targetE1EEEvT1_,"axG",@progbits,_ZN7rocprim17ROCPRIM_400000_NS6detail17trampoline_kernelINS0_14default_configENS1_25partition_config_selectorILNS1_17partition_subalgoE8EyNS0_10empty_typeEbEEZZNS1_14partition_implILS5_8ELb0ES3_jN6thrust23THRUST_200600_302600_NS6detail15normal_iteratorINSA_10device_ptrIyEEEEPS6_PKS6_NS0_5tupleIJSF_S6_EEENSJ_IJSG_SG_EEENS0_18inequality_wrapperINSA_8equal_toIyEEEEPmJS6_EEE10hipError_tPvRmT3_T4_T5_T6_T7_T9_mT8_P12ihipStream_tbDpT10_ENKUlT_T0_E_clISt17integral_constantIbLb1EES1A_EEDaS15_S16_EUlS15_E_NS1_11comp_targetILNS1_3genE3ELNS1_11target_archE908ELNS1_3gpuE7ELNS1_3repE0EEENS1_30default_config_static_selectorELNS0_4arch9wavefront6targetE1EEEvT1_,comdat
.Lfunc_end156:
	.size	_ZN7rocprim17ROCPRIM_400000_NS6detail17trampoline_kernelINS0_14default_configENS1_25partition_config_selectorILNS1_17partition_subalgoE8EyNS0_10empty_typeEbEEZZNS1_14partition_implILS5_8ELb0ES3_jN6thrust23THRUST_200600_302600_NS6detail15normal_iteratorINSA_10device_ptrIyEEEEPS6_PKS6_NS0_5tupleIJSF_S6_EEENSJ_IJSG_SG_EEENS0_18inequality_wrapperINSA_8equal_toIyEEEEPmJS6_EEE10hipError_tPvRmT3_T4_T5_T6_T7_T9_mT8_P12ihipStream_tbDpT10_ENKUlT_T0_E_clISt17integral_constantIbLb1EES1A_EEDaS15_S16_EUlS15_E_NS1_11comp_targetILNS1_3genE3ELNS1_11target_archE908ELNS1_3gpuE7ELNS1_3repE0EEENS1_30default_config_static_selectorELNS0_4arch9wavefront6targetE1EEEvT1_, .Lfunc_end156-_ZN7rocprim17ROCPRIM_400000_NS6detail17trampoline_kernelINS0_14default_configENS1_25partition_config_selectorILNS1_17partition_subalgoE8EyNS0_10empty_typeEbEEZZNS1_14partition_implILS5_8ELb0ES3_jN6thrust23THRUST_200600_302600_NS6detail15normal_iteratorINSA_10device_ptrIyEEEEPS6_PKS6_NS0_5tupleIJSF_S6_EEENSJ_IJSG_SG_EEENS0_18inequality_wrapperINSA_8equal_toIyEEEEPmJS6_EEE10hipError_tPvRmT3_T4_T5_T6_T7_T9_mT8_P12ihipStream_tbDpT10_ENKUlT_T0_E_clISt17integral_constantIbLb1EES1A_EEDaS15_S16_EUlS15_E_NS1_11comp_targetILNS1_3genE3ELNS1_11target_archE908ELNS1_3gpuE7ELNS1_3repE0EEENS1_30default_config_static_selectorELNS0_4arch9wavefront6targetE1EEEvT1_
                                        ; -- End function
	.set _ZN7rocprim17ROCPRIM_400000_NS6detail17trampoline_kernelINS0_14default_configENS1_25partition_config_selectorILNS1_17partition_subalgoE8EyNS0_10empty_typeEbEEZZNS1_14partition_implILS5_8ELb0ES3_jN6thrust23THRUST_200600_302600_NS6detail15normal_iteratorINSA_10device_ptrIyEEEEPS6_PKS6_NS0_5tupleIJSF_S6_EEENSJ_IJSG_SG_EEENS0_18inequality_wrapperINSA_8equal_toIyEEEEPmJS6_EEE10hipError_tPvRmT3_T4_T5_T6_T7_T9_mT8_P12ihipStream_tbDpT10_ENKUlT_T0_E_clISt17integral_constantIbLb1EES1A_EEDaS15_S16_EUlS15_E_NS1_11comp_targetILNS1_3genE3ELNS1_11target_archE908ELNS1_3gpuE7ELNS1_3repE0EEENS1_30default_config_static_selectorELNS0_4arch9wavefront6targetE1EEEvT1_.num_vgpr, 0
	.set _ZN7rocprim17ROCPRIM_400000_NS6detail17trampoline_kernelINS0_14default_configENS1_25partition_config_selectorILNS1_17partition_subalgoE8EyNS0_10empty_typeEbEEZZNS1_14partition_implILS5_8ELb0ES3_jN6thrust23THRUST_200600_302600_NS6detail15normal_iteratorINSA_10device_ptrIyEEEEPS6_PKS6_NS0_5tupleIJSF_S6_EEENSJ_IJSG_SG_EEENS0_18inequality_wrapperINSA_8equal_toIyEEEEPmJS6_EEE10hipError_tPvRmT3_T4_T5_T6_T7_T9_mT8_P12ihipStream_tbDpT10_ENKUlT_T0_E_clISt17integral_constantIbLb1EES1A_EEDaS15_S16_EUlS15_E_NS1_11comp_targetILNS1_3genE3ELNS1_11target_archE908ELNS1_3gpuE7ELNS1_3repE0EEENS1_30default_config_static_selectorELNS0_4arch9wavefront6targetE1EEEvT1_.num_agpr, 0
	.set _ZN7rocprim17ROCPRIM_400000_NS6detail17trampoline_kernelINS0_14default_configENS1_25partition_config_selectorILNS1_17partition_subalgoE8EyNS0_10empty_typeEbEEZZNS1_14partition_implILS5_8ELb0ES3_jN6thrust23THRUST_200600_302600_NS6detail15normal_iteratorINSA_10device_ptrIyEEEEPS6_PKS6_NS0_5tupleIJSF_S6_EEENSJ_IJSG_SG_EEENS0_18inequality_wrapperINSA_8equal_toIyEEEEPmJS6_EEE10hipError_tPvRmT3_T4_T5_T6_T7_T9_mT8_P12ihipStream_tbDpT10_ENKUlT_T0_E_clISt17integral_constantIbLb1EES1A_EEDaS15_S16_EUlS15_E_NS1_11comp_targetILNS1_3genE3ELNS1_11target_archE908ELNS1_3gpuE7ELNS1_3repE0EEENS1_30default_config_static_selectorELNS0_4arch9wavefront6targetE1EEEvT1_.numbered_sgpr, 0
	.set _ZN7rocprim17ROCPRIM_400000_NS6detail17trampoline_kernelINS0_14default_configENS1_25partition_config_selectorILNS1_17partition_subalgoE8EyNS0_10empty_typeEbEEZZNS1_14partition_implILS5_8ELb0ES3_jN6thrust23THRUST_200600_302600_NS6detail15normal_iteratorINSA_10device_ptrIyEEEEPS6_PKS6_NS0_5tupleIJSF_S6_EEENSJ_IJSG_SG_EEENS0_18inequality_wrapperINSA_8equal_toIyEEEEPmJS6_EEE10hipError_tPvRmT3_T4_T5_T6_T7_T9_mT8_P12ihipStream_tbDpT10_ENKUlT_T0_E_clISt17integral_constantIbLb1EES1A_EEDaS15_S16_EUlS15_E_NS1_11comp_targetILNS1_3genE3ELNS1_11target_archE908ELNS1_3gpuE7ELNS1_3repE0EEENS1_30default_config_static_selectorELNS0_4arch9wavefront6targetE1EEEvT1_.num_named_barrier, 0
	.set _ZN7rocprim17ROCPRIM_400000_NS6detail17trampoline_kernelINS0_14default_configENS1_25partition_config_selectorILNS1_17partition_subalgoE8EyNS0_10empty_typeEbEEZZNS1_14partition_implILS5_8ELb0ES3_jN6thrust23THRUST_200600_302600_NS6detail15normal_iteratorINSA_10device_ptrIyEEEEPS6_PKS6_NS0_5tupleIJSF_S6_EEENSJ_IJSG_SG_EEENS0_18inequality_wrapperINSA_8equal_toIyEEEEPmJS6_EEE10hipError_tPvRmT3_T4_T5_T6_T7_T9_mT8_P12ihipStream_tbDpT10_ENKUlT_T0_E_clISt17integral_constantIbLb1EES1A_EEDaS15_S16_EUlS15_E_NS1_11comp_targetILNS1_3genE3ELNS1_11target_archE908ELNS1_3gpuE7ELNS1_3repE0EEENS1_30default_config_static_selectorELNS0_4arch9wavefront6targetE1EEEvT1_.private_seg_size, 0
	.set _ZN7rocprim17ROCPRIM_400000_NS6detail17trampoline_kernelINS0_14default_configENS1_25partition_config_selectorILNS1_17partition_subalgoE8EyNS0_10empty_typeEbEEZZNS1_14partition_implILS5_8ELb0ES3_jN6thrust23THRUST_200600_302600_NS6detail15normal_iteratorINSA_10device_ptrIyEEEEPS6_PKS6_NS0_5tupleIJSF_S6_EEENSJ_IJSG_SG_EEENS0_18inequality_wrapperINSA_8equal_toIyEEEEPmJS6_EEE10hipError_tPvRmT3_T4_T5_T6_T7_T9_mT8_P12ihipStream_tbDpT10_ENKUlT_T0_E_clISt17integral_constantIbLb1EES1A_EEDaS15_S16_EUlS15_E_NS1_11comp_targetILNS1_3genE3ELNS1_11target_archE908ELNS1_3gpuE7ELNS1_3repE0EEENS1_30default_config_static_selectorELNS0_4arch9wavefront6targetE1EEEvT1_.uses_vcc, 0
	.set _ZN7rocprim17ROCPRIM_400000_NS6detail17trampoline_kernelINS0_14default_configENS1_25partition_config_selectorILNS1_17partition_subalgoE8EyNS0_10empty_typeEbEEZZNS1_14partition_implILS5_8ELb0ES3_jN6thrust23THRUST_200600_302600_NS6detail15normal_iteratorINSA_10device_ptrIyEEEEPS6_PKS6_NS0_5tupleIJSF_S6_EEENSJ_IJSG_SG_EEENS0_18inequality_wrapperINSA_8equal_toIyEEEEPmJS6_EEE10hipError_tPvRmT3_T4_T5_T6_T7_T9_mT8_P12ihipStream_tbDpT10_ENKUlT_T0_E_clISt17integral_constantIbLb1EES1A_EEDaS15_S16_EUlS15_E_NS1_11comp_targetILNS1_3genE3ELNS1_11target_archE908ELNS1_3gpuE7ELNS1_3repE0EEENS1_30default_config_static_selectorELNS0_4arch9wavefront6targetE1EEEvT1_.uses_flat_scratch, 0
	.set _ZN7rocprim17ROCPRIM_400000_NS6detail17trampoline_kernelINS0_14default_configENS1_25partition_config_selectorILNS1_17partition_subalgoE8EyNS0_10empty_typeEbEEZZNS1_14partition_implILS5_8ELb0ES3_jN6thrust23THRUST_200600_302600_NS6detail15normal_iteratorINSA_10device_ptrIyEEEEPS6_PKS6_NS0_5tupleIJSF_S6_EEENSJ_IJSG_SG_EEENS0_18inequality_wrapperINSA_8equal_toIyEEEEPmJS6_EEE10hipError_tPvRmT3_T4_T5_T6_T7_T9_mT8_P12ihipStream_tbDpT10_ENKUlT_T0_E_clISt17integral_constantIbLb1EES1A_EEDaS15_S16_EUlS15_E_NS1_11comp_targetILNS1_3genE3ELNS1_11target_archE908ELNS1_3gpuE7ELNS1_3repE0EEENS1_30default_config_static_selectorELNS0_4arch9wavefront6targetE1EEEvT1_.has_dyn_sized_stack, 0
	.set _ZN7rocprim17ROCPRIM_400000_NS6detail17trampoline_kernelINS0_14default_configENS1_25partition_config_selectorILNS1_17partition_subalgoE8EyNS0_10empty_typeEbEEZZNS1_14partition_implILS5_8ELb0ES3_jN6thrust23THRUST_200600_302600_NS6detail15normal_iteratorINSA_10device_ptrIyEEEEPS6_PKS6_NS0_5tupleIJSF_S6_EEENSJ_IJSG_SG_EEENS0_18inequality_wrapperINSA_8equal_toIyEEEEPmJS6_EEE10hipError_tPvRmT3_T4_T5_T6_T7_T9_mT8_P12ihipStream_tbDpT10_ENKUlT_T0_E_clISt17integral_constantIbLb1EES1A_EEDaS15_S16_EUlS15_E_NS1_11comp_targetILNS1_3genE3ELNS1_11target_archE908ELNS1_3gpuE7ELNS1_3repE0EEENS1_30default_config_static_selectorELNS0_4arch9wavefront6targetE1EEEvT1_.has_recursion, 0
	.set _ZN7rocprim17ROCPRIM_400000_NS6detail17trampoline_kernelINS0_14default_configENS1_25partition_config_selectorILNS1_17partition_subalgoE8EyNS0_10empty_typeEbEEZZNS1_14partition_implILS5_8ELb0ES3_jN6thrust23THRUST_200600_302600_NS6detail15normal_iteratorINSA_10device_ptrIyEEEEPS6_PKS6_NS0_5tupleIJSF_S6_EEENSJ_IJSG_SG_EEENS0_18inequality_wrapperINSA_8equal_toIyEEEEPmJS6_EEE10hipError_tPvRmT3_T4_T5_T6_T7_T9_mT8_P12ihipStream_tbDpT10_ENKUlT_T0_E_clISt17integral_constantIbLb1EES1A_EEDaS15_S16_EUlS15_E_NS1_11comp_targetILNS1_3genE3ELNS1_11target_archE908ELNS1_3gpuE7ELNS1_3repE0EEENS1_30default_config_static_selectorELNS0_4arch9wavefront6targetE1EEEvT1_.has_indirect_call, 0
	.section	.AMDGPU.csdata,"",@progbits
; Kernel info:
; codeLenInByte = 0
; TotalNumSgprs: 4
; NumVgprs: 0
; ScratchSize: 0
; MemoryBound: 0
; FloatMode: 240
; IeeeMode: 1
; LDSByteSize: 0 bytes/workgroup (compile time only)
; SGPRBlocks: 0
; VGPRBlocks: 0
; NumSGPRsForWavesPerEU: 4
; NumVGPRsForWavesPerEU: 1
; Occupancy: 10
; WaveLimiterHint : 0
; COMPUTE_PGM_RSRC2:SCRATCH_EN: 0
; COMPUTE_PGM_RSRC2:USER_SGPR: 6
; COMPUTE_PGM_RSRC2:TRAP_HANDLER: 0
; COMPUTE_PGM_RSRC2:TGID_X_EN: 1
; COMPUTE_PGM_RSRC2:TGID_Y_EN: 0
; COMPUTE_PGM_RSRC2:TGID_Z_EN: 0
; COMPUTE_PGM_RSRC2:TIDIG_COMP_CNT: 0
	.section	.text._ZN7rocprim17ROCPRIM_400000_NS6detail17trampoline_kernelINS0_14default_configENS1_25partition_config_selectorILNS1_17partition_subalgoE8EyNS0_10empty_typeEbEEZZNS1_14partition_implILS5_8ELb0ES3_jN6thrust23THRUST_200600_302600_NS6detail15normal_iteratorINSA_10device_ptrIyEEEEPS6_PKS6_NS0_5tupleIJSF_S6_EEENSJ_IJSG_SG_EEENS0_18inequality_wrapperINSA_8equal_toIyEEEEPmJS6_EEE10hipError_tPvRmT3_T4_T5_T6_T7_T9_mT8_P12ihipStream_tbDpT10_ENKUlT_T0_E_clISt17integral_constantIbLb1EES1A_EEDaS15_S16_EUlS15_E_NS1_11comp_targetILNS1_3genE2ELNS1_11target_archE906ELNS1_3gpuE6ELNS1_3repE0EEENS1_30default_config_static_selectorELNS0_4arch9wavefront6targetE1EEEvT1_,"axG",@progbits,_ZN7rocprim17ROCPRIM_400000_NS6detail17trampoline_kernelINS0_14default_configENS1_25partition_config_selectorILNS1_17partition_subalgoE8EyNS0_10empty_typeEbEEZZNS1_14partition_implILS5_8ELb0ES3_jN6thrust23THRUST_200600_302600_NS6detail15normal_iteratorINSA_10device_ptrIyEEEEPS6_PKS6_NS0_5tupleIJSF_S6_EEENSJ_IJSG_SG_EEENS0_18inequality_wrapperINSA_8equal_toIyEEEEPmJS6_EEE10hipError_tPvRmT3_T4_T5_T6_T7_T9_mT8_P12ihipStream_tbDpT10_ENKUlT_T0_E_clISt17integral_constantIbLb1EES1A_EEDaS15_S16_EUlS15_E_NS1_11comp_targetILNS1_3genE2ELNS1_11target_archE906ELNS1_3gpuE6ELNS1_3repE0EEENS1_30default_config_static_selectorELNS0_4arch9wavefront6targetE1EEEvT1_,comdat
	.protected	_ZN7rocprim17ROCPRIM_400000_NS6detail17trampoline_kernelINS0_14default_configENS1_25partition_config_selectorILNS1_17partition_subalgoE8EyNS0_10empty_typeEbEEZZNS1_14partition_implILS5_8ELb0ES3_jN6thrust23THRUST_200600_302600_NS6detail15normal_iteratorINSA_10device_ptrIyEEEEPS6_PKS6_NS0_5tupleIJSF_S6_EEENSJ_IJSG_SG_EEENS0_18inequality_wrapperINSA_8equal_toIyEEEEPmJS6_EEE10hipError_tPvRmT3_T4_T5_T6_T7_T9_mT8_P12ihipStream_tbDpT10_ENKUlT_T0_E_clISt17integral_constantIbLb1EES1A_EEDaS15_S16_EUlS15_E_NS1_11comp_targetILNS1_3genE2ELNS1_11target_archE906ELNS1_3gpuE6ELNS1_3repE0EEENS1_30default_config_static_selectorELNS0_4arch9wavefront6targetE1EEEvT1_ ; -- Begin function _ZN7rocprim17ROCPRIM_400000_NS6detail17trampoline_kernelINS0_14default_configENS1_25partition_config_selectorILNS1_17partition_subalgoE8EyNS0_10empty_typeEbEEZZNS1_14partition_implILS5_8ELb0ES3_jN6thrust23THRUST_200600_302600_NS6detail15normal_iteratorINSA_10device_ptrIyEEEEPS6_PKS6_NS0_5tupleIJSF_S6_EEENSJ_IJSG_SG_EEENS0_18inequality_wrapperINSA_8equal_toIyEEEEPmJS6_EEE10hipError_tPvRmT3_T4_T5_T6_T7_T9_mT8_P12ihipStream_tbDpT10_ENKUlT_T0_E_clISt17integral_constantIbLb1EES1A_EEDaS15_S16_EUlS15_E_NS1_11comp_targetILNS1_3genE2ELNS1_11target_archE906ELNS1_3gpuE6ELNS1_3repE0EEENS1_30default_config_static_selectorELNS0_4arch9wavefront6targetE1EEEvT1_
	.globl	_ZN7rocprim17ROCPRIM_400000_NS6detail17trampoline_kernelINS0_14default_configENS1_25partition_config_selectorILNS1_17partition_subalgoE8EyNS0_10empty_typeEbEEZZNS1_14partition_implILS5_8ELb0ES3_jN6thrust23THRUST_200600_302600_NS6detail15normal_iteratorINSA_10device_ptrIyEEEEPS6_PKS6_NS0_5tupleIJSF_S6_EEENSJ_IJSG_SG_EEENS0_18inequality_wrapperINSA_8equal_toIyEEEEPmJS6_EEE10hipError_tPvRmT3_T4_T5_T6_T7_T9_mT8_P12ihipStream_tbDpT10_ENKUlT_T0_E_clISt17integral_constantIbLb1EES1A_EEDaS15_S16_EUlS15_E_NS1_11comp_targetILNS1_3genE2ELNS1_11target_archE906ELNS1_3gpuE6ELNS1_3repE0EEENS1_30default_config_static_selectorELNS0_4arch9wavefront6targetE1EEEvT1_
	.p2align	8
	.type	_ZN7rocprim17ROCPRIM_400000_NS6detail17trampoline_kernelINS0_14default_configENS1_25partition_config_selectorILNS1_17partition_subalgoE8EyNS0_10empty_typeEbEEZZNS1_14partition_implILS5_8ELb0ES3_jN6thrust23THRUST_200600_302600_NS6detail15normal_iteratorINSA_10device_ptrIyEEEEPS6_PKS6_NS0_5tupleIJSF_S6_EEENSJ_IJSG_SG_EEENS0_18inequality_wrapperINSA_8equal_toIyEEEEPmJS6_EEE10hipError_tPvRmT3_T4_T5_T6_T7_T9_mT8_P12ihipStream_tbDpT10_ENKUlT_T0_E_clISt17integral_constantIbLb1EES1A_EEDaS15_S16_EUlS15_E_NS1_11comp_targetILNS1_3genE2ELNS1_11target_archE906ELNS1_3gpuE6ELNS1_3repE0EEENS1_30default_config_static_selectorELNS0_4arch9wavefront6targetE1EEEvT1_,@function
_ZN7rocprim17ROCPRIM_400000_NS6detail17trampoline_kernelINS0_14default_configENS1_25partition_config_selectorILNS1_17partition_subalgoE8EyNS0_10empty_typeEbEEZZNS1_14partition_implILS5_8ELb0ES3_jN6thrust23THRUST_200600_302600_NS6detail15normal_iteratorINSA_10device_ptrIyEEEEPS6_PKS6_NS0_5tupleIJSF_S6_EEENSJ_IJSG_SG_EEENS0_18inequality_wrapperINSA_8equal_toIyEEEEPmJS6_EEE10hipError_tPvRmT3_T4_T5_T6_T7_T9_mT8_P12ihipStream_tbDpT10_ENKUlT_T0_E_clISt17integral_constantIbLb1EES1A_EEDaS15_S16_EUlS15_E_NS1_11comp_targetILNS1_3genE2ELNS1_11target_archE906ELNS1_3gpuE6ELNS1_3repE0EEENS1_30default_config_static_selectorELNS0_4arch9wavefront6targetE1EEEvT1_: ; @_ZN7rocprim17ROCPRIM_400000_NS6detail17trampoline_kernelINS0_14default_configENS1_25partition_config_selectorILNS1_17partition_subalgoE8EyNS0_10empty_typeEbEEZZNS1_14partition_implILS5_8ELb0ES3_jN6thrust23THRUST_200600_302600_NS6detail15normal_iteratorINSA_10device_ptrIyEEEEPS6_PKS6_NS0_5tupleIJSF_S6_EEENSJ_IJSG_SG_EEENS0_18inequality_wrapperINSA_8equal_toIyEEEEPmJS6_EEE10hipError_tPvRmT3_T4_T5_T6_T7_T9_mT8_P12ihipStream_tbDpT10_ENKUlT_T0_E_clISt17integral_constantIbLb1EES1A_EEDaS15_S16_EUlS15_E_NS1_11comp_targetILNS1_3genE2ELNS1_11target_archE906ELNS1_3gpuE6ELNS1_3repE0EEENS1_30default_config_static_selectorELNS0_4arch9wavefront6targetE1EEEvT1_
; %bb.0:
	s_endpgm
	.section	.rodata,"a",@progbits
	.p2align	6, 0x0
	.amdhsa_kernel _ZN7rocprim17ROCPRIM_400000_NS6detail17trampoline_kernelINS0_14default_configENS1_25partition_config_selectorILNS1_17partition_subalgoE8EyNS0_10empty_typeEbEEZZNS1_14partition_implILS5_8ELb0ES3_jN6thrust23THRUST_200600_302600_NS6detail15normal_iteratorINSA_10device_ptrIyEEEEPS6_PKS6_NS0_5tupleIJSF_S6_EEENSJ_IJSG_SG_EEENS0_18inequality_wrapperINSA_8equal_toIyEEEEPmJS6_EEE10hipError_tPvRmT3_T4_T5_T6_T7_T9_mT8_P12ihipStream_tbDpT10_ENKUlT_T0_E_clISt17integral_constantIbLb1EES1A_EEDaS15_S16_EUlS15_E_NS1_11comp_targetILNS1_3genE2ELNS1_11target_archE906ELNS1_3gpuE6ELNS1_3repE0EEENS1_30default_config_static_selectorELNS0_4arch9wavefront6targetE1EEEvT1_
		.amdhsa_group_segment_fixed_size 0
		.amdhsa_private_segment_fixed_size 0
		.amdhsa_kernarg_size 128
		.amdhsa_user_sgpr_count 6
		.amdhsa_user_sgpr_private_segment_buffer 1
		.amdhsa_user_sgpr_dispatch_ptr 0
		.amdhsa_user_sgpr_queue_ptr 0
		.amdhsa_user_sgpr_kernarg_segment_ptr 1
		.amdhsa_user_sgpr_dispatch_id 0
		.amdhsa_user_sgpr_flat_scratch_init 0
		.amdhsa_user_sgpr_private_segment_size 0
		.amdhsa_uses_dynamic_stack 0
		.amdhsa_system_sgpr_private_segment_wavefront_offset 0
		.amdhsa_system_sgpr_workgroup_id_x 1
		.amdhsa_system_sgpr_workgroup_id_y 0
		.amdhsa_system_sgpr_workgroup_id_z 0
		.amdhsa_system_sgpr_workgroup_info 0
		.amdhsa_system_vgpr_workitem_id 0
		.amdhsa_next_free_vgpr 1
		.amdhsa_next_free_sgpr 0
		.amdhsa_reserve_vcc 0
		.amdhsa_reserve_flat_scratch 0
		.amdhsa_float_round_mode_32 0
		.amdhsa_float_round_mode_16_64 0
		.amdhsa_float_denorm_mode_32 3
		.amdhsa_float_denorm_mode_16_64 3
		.amdhsa_dx10_clamp 1
		.amdhsa_ieee_mode 1
		.amdhsa_fp16_overflow 0
		.amdhsa_exception_fp_ieee_invalid_op 0
		.amdhsa_exception_fp_denorm_src 0
		.amdhsa_exception_fp_ieee_div_zero 0
		.amdhsa_exception_fp_ieee_overflow 0
		.amdhsa_exception_fp_ieee_underflow 0
		.amdhsa_exception_fp_ieee_inexact 0
		.amdhsa_exception_int_div_zero 0
	.end_amdhsa_kernel
	.section	.text._ZN7rocprim17ROCPRIM_400000_NS6detail17trampoline_kernelINS0_14default_configENS1_25partition_config_selectorILNS1_17partition_subalgoE8EyNS0_10empty_typeEbEEZZNS1_14partition_implILS5_8ELb0ES3_jN6thrust23THRUST_200600_302600_NS6detail15normal_iteratorINSA_10device_ptrIyEEEEPS6_PKS6_NS0_5tupleIJSF_S6_EEENSJ_IJSG_SG_EEENS0_18inequality_wrapperINSA_8equal_toIyEEEEPmJS6_EEE10hipError_tPvRmT3_T4_T5_T6_T7_T9_mT8_P12ihipStream_tbDpT10_ENKUlT_T0_E_clISt17integral_constantIbLb1EES1A_EEDaS15_S16_EUlS15_E_NS1_11comp_targetILNS1_3genE2ELNS1_11target_archE906ELNS1_3gpuE6ELNS1_3repE0EEENS1_30default_config_static_selectorELNS0_4arch9wavefront6targetE1EEEvT1_,"axG",@progbits,_ZN7rocprim17ROCPRIM_400000_NS6detail17trampoline_kernelINS0_14default_configENS1_25partition_config_selectorILNS1_17partition_subalgoE8EyNS0_10empty_typeEbEEZZNS1_14partition_implILS5_8ELb0ES3_jN6thrust23THRUST_200600_302600_NS6detail15normal_iteratorINSA_10device_ptrIyEEEEPS6_PKS6_NS0_5tupleIJSF_S6_EEENSJ_IJSG_SG_EEENS0_18inequality_wrapperINSA_8equal_toIyEEEEPmJS6_EEE10hipError_tPvRmT3_T4_T5_T6_T7_T9_mT8_P12ihipStream_tbDpT10_ENKUlT_T0_E_clISt17integral_constantIbLb1EES1A_EEDaS15_S16_EUlS15_E_NS1_11comp_targetILNS1_3genE2ELNS1_11target_archE906ELNS1_3gpuE6ELNS1_3repE0EEENS1_30default_config_static_selectorELNS0_4arch9wavefront6targetE1EEEvT1_,comdat
.Lfunc_end157:
	.size	_ZN7rocprim17ROCPRIM_400000_NS6detail17trampoline_kernelINS0_14default_configENS1_25partition_config_selectorILNS1_17partition_subalgoE8EyNS0_10empty_typeEbEEZZNS1_14partition_implILS5_8ELb0ES3_jN6thrust23THRUST_200600_302600_NS6detail15normal_iteratorINSA_10device_ptrIyEEEEPS6_PKS6_NS0_5tupleIJSF_S6_EEENSJ_IJSG_SG_EEENS0_18inequality_wrapperINSA_8equal_toIyEEEEPmJS6_EEE10hipError_tPvRmT3_T4_T5_T6_T7_T9_mT8_P12ihipStream_tbDpT10_ENKUlT_T0_E_clISt17integral_constantIbLb1EES1A_EEDaS15_S16_EUlS15_E_NS1_11comp_targetILNS1_3genE2ELNS1_11target_archE906ELNS1_3gpuE6ELNS1_3repE0EEENS1_30default_config_static_selectorELNS0_4arch9wavefront6targetE1EEEvT1_, .Lfunc_end157-_ZN7rocprim17ROCPRIM_400000_NS6detail17trampoline_kernelINS0_14default_configENS1_25partition_config_selectorILNS1_17partition_subalgoE8EyNS0_10empty_typeEbEEZZNS1_14partition_implILS5_8ELb0ES3_jN6thrust23THRUST_200600_302600_NS6detail15normal_iteratorINSA_10device_ptrIyEEEEPS6_PKS6_NS0_5tupleIJSF_S6_EEENSJ_IJSG_SG_EEENS0_18inequality_wrapperINSA_8equal_toIyEEEEPmJS6_EEE10hipError_tPvRmT3_T4_T5_T6_T7_T9_mT8_P12ihipStream_tbDpT10_ENKUlT_T0_E_clISt17integral_constantIbLb1EES1A_EEDaS15_S16_EUlS15_E_NS1_11comp_targetILNS1_3genE2ELNS1_11target_archE906ELNS1_3gpuE6ELNS1_3repE0EEENS1_30default_config_static_selectorELNS0_4arch9wavefront6targetE1EEEvT1_
                                        ; -- End function
	.set _ZN7rocprim17ROCPRIM_400000_NS6detail17trampoline_kernelINS0_14default_configENS1_25partition_config_selectorILNS1_17partition_subalgoE8EyNS0_10empty_typeEbEEZZNS1_14partition_implILS5_8ELb0ES3_jN6thrust23THRUST_200600_302600_NS6detail15normal_iteratorINSA_10device_ptrIyEEEEPS6_PKS6_NS0_5tupleIJSF_S6_EEENSJ_IJSG_SG_EEENS0_18inequality_wrapperINSA_8equal_toIyEEEEPmJS6_EEE10hipError_tPvRmT3_T4_T5_T6_T7_T9_mT8_P12ihipStream_tbDpT10_ENKUlT_T0_E_clISt17integral_constantIbLb1EES1A_EEDaS15_S16_EUlS15_E_NS1_11comp_targetILNS1_3genE2ELNS1_11target_archE906ELNS1_3gpuE6ELNS1_3repE0EEENS1_30default_config_static_selectorELNS0_4arch9wavefront6targetE1EEEvT1_.num_vgpr, 0
	.set _ZN7rocprim17ROCPRIM_400000_NS6detail17trampoline_kernelINS0_14default_configENS1_25partition_config_selectorILNS1_17partition_subalgoE8EyNS0_10empty_typeEbEEZZNS1_14partition_implILS5_8ELb0ES3_jN6thrust23THRUST_200600_302600_NS6detail15normal_iteratorINSA_10device_ptrIyEEEEPS6_PKS6_NS0_5tupleIJSF_S6_EEENSJ_IJSG_SG_EEENS0_18inequality_wrapperINSA_8equal_toIyEEEEPmJS6_EEE10hipError_tPvRmT3_T4_T5_T6_T7_T9_mT8_P12ihipStream_tbDpT10_ENKUlT_T0_E_clISt17integral_constantIbLb1EES1A_EEDaS15_S16_EUlS15_E_NS1_11comp_targetILNS1_3genE2ELNS1_11target_archE906ELNS1_3gpuE6ELNS1_3repE0EEENS1_30default_config_static_selectorELNS0_4arch9wavefront6targetE1EEEvT1_.num_agpr, 0
	.set _ZN7rocprim17ROCPRIM_400000_NS6detail17trampoline_kernelINS0_14default_configENS1_25partition_config_selectorILNS1_17partition_subalgoE8EyNS0_10empty_typeEbEEZZNS1_14partition_implILS5_8ELb0ES3_jN6thrust23THRUST_200600_302600_NS6detail15normal_iteratorINSA_10device_ptrIyEEEEPS6_PKS6_NS0_5tupleIJSF_S6_EEENSJ_IJSG_SG_EEENS0_18inequality_wrapperINSA_8equal_toIyEEEEPmJS6_EEE10hipError_tPvRmT3_T4_T5_T6_T7_T9_mT8_P12ihipStream_tbDpT10_ENKUlT_T0_E_clISt17integral_constantIbLb1EES1A_EEDaS15_S16_EUlS15_E_NS1_11comp_targetILNS1_3genE2ELNS1_11target_archE906ELNS1_3gpuE6ELNS1_3repE0EEENS1_30default_config_static_selectorELNS0_4arch9wavefront6targetE1EEEvT1_.numbered_sgpr, 0
	.set _ZN7rocprim17ROCPRIM_400000_NS6detail17trampoline_kernelINS0_14default_configENS1_25partition_config_selectorILNS1_17partition_subalgoE8EyNS0_10empty_typeEbEEZZNS1_14partition_implILS5_8ELb0ES3_jN6thrust23THRUST_200600_302600_NS6detail15normal_iteratorINSA_10device_ptrIyEEEEPS6_PKS6_NS0_5tupleIJSF_S6_EEENSJ_IJSG_SG_EEENS0_18inequality_wrapperINSA_8equal_toIyEEEEPmJS6_EEE10hipError_tPvRmT3_T4_T5_T6_T7_T9_mT8_P12ihipStream_tbDpT10_ENKUlT_T0_E_clISt17integral_constantIbLb1EES1A_EEDaS15_S16_EUlS15_E_NS1_11comp_targetILNS1_3genE2ELNS1_11target_archE906ELNS1_3gpuE6ELNS1_3repE0EEENS1_30default_config_static_selectorELNS0_4arch9wavefront6targetE1EEEvT1_.num_named_barrier, 0
	.set _ZN7rocprim17ROCPRIM_400000_NS6detail17trampoline_kernelINS0_14default_configENS1_25partition_config_selectorILNS1_17partition_subalgoE8EyNS0_10empty_typeEbEEZZNS1_14partition_implILS5_8ELb0ES3_jN6thrust23THRUST_200600_302600_NS6detail15normal_iteratorINSA_10device_ptrIyEEEEPS6_PKS6_NS0_5tupleIJSF_S6_EEENSJ_IJSG_SG_EEENS0_18inequality_wrapperINSA_8equal_toIyEEEEPmJS6_EEE10hipError_tPvRmT3_T4_T5_T6_T7_T9_mT8_P12ihipStream_tbDpT10_ENKUlT_T0_E_clISt17integral_constantIbLb1EES1A_EEDaS15_S16_EUlS15_E_NS1_11comp_targetILNS1_3genE2ELNS1_11target_archE906ELNS1_3gpuE6ELNS1_3repE0EEENS1_30default_config_static_selectorELNS0_4arch9wavefront6targetE1EEEvT1_.private_seg_size, 0
	.set _ZN7rocprim17ROCPRIM_400000_NS6detail17trampoline_kernelINS0_14default_configENS1_25partition_config_selectorILNS1_17partition_subalgoE8EyNS0_10empty_typeEbEEZZNS1_14partition_implILS5_8ELb0ES3_jN6thrust23THRUST_200600_302600_NS6detail15normal_iteratorINSA_10device_ptrIyEEEEPS6_PKS6_NS0_5tupleIJSF_S6_EEENSJ_IJSG_SG_EEENS0_18inequality_wrapperINSA_8equal_toIyEEEEPmJS6_EEE10hipError_tPvRmT3_T4_T5_T6_T7_T9_mT8_P12ihipStream_tbDpT10_ENKUlT_T0_E_clISt17integral_constantIbLb1EES1A_EEDaS15_S16_EUlS15_E_NS1_11comp_targetILNS1_3genE2ELNS1_11target_archE906ELNS1_3gpuE6ELNS1_3repE0EEENS1_30default_config_static_selectorELNS0_4arch9wavefront6targetE1EEEvT1_.uses_vcc, 0
	.set _ZN7rocprim17ROCPRIM_400000_NS6detail17trampoline_kernelINS0_14default_configENS1_25partition_config_selectorILNS1_17partition_subalgoE8EyNS0_10empty_typeEbEEZZNS1_14partition_implILS5_8ELb0ES3_jN6thrust23THRUST_200600_302600_NS6detail15normal_iteratorINSA_10device_ptrIyEEEEPS6_PKS6_NS0_5tupleIJSF_S6_EEENSJ_IJSG_SG_EEENS0_18inequality_wrapperINSA_8equal_toIyEEEEPmJS6_EEE10hipError_tPvRmT3_T4_T5_T6_T7_T9_mT8_P12ihipStream_tbDpT10_ENKUlT_T0_E_clISt17integral_constantIbLb1EES1A_EEDaS15_S16_EUlS15_E_NS1_11comp_targetILNS1_3genE2ELNS1_11target_archE906ELNS1_3gpuE6ELNS1_3repE0EEENS1_30default_config_static_selectorELNS0_4arch9wavefront6targetE1EEEvT1_.uses_flat_scratch, 0
	.set _ZN7rocprim17ROCPRIM_400000_NS6detail17trampoline_kernelINS0_14default_configENS1_25partition_config_selectorILNS1_17partition_subalgoE8EyNS0_10empty_typeEbEEZZNS1_14partition_implILS5_8ELb0ES3_jN6thrust23THRUST_200600_302600_NS6detail15normal_iteratorINSA_10device_ptrIyEEEEPS6_PKS6_NS0_5tupleIJSF_S6_EEENSJ_IJSG_SG_EEENS0_18inequality_wrapperINSA_8equal_toIyEEEEPmJS6_EEE10hipError_tPvRmT3_T4_T5_T6_T7_T9_mT8_P12ihipStream_tbDpT10_ENKUlT_T0_E_clISt17integral_constantIbLb1EES1A_EEDaS15_S16_EUlS15_E_NS1_11comp_targetILNS1_3genE2ELNS1_11target_archE906ELNS1_3gpuE6ELNS1_3repE0EEENS1_30default_config_static_selectorELNS0_4arch9wavefront6targetE1EEEvT1_.has_dyn_sized_stack, 0
	.set _ZN7rocprim17ROCPRIM_400000_NS6detail17trampoline_kernelINS0_14default_configENS1_25partition_config_selectorILNS1_17partition_subalgoE8EyNS0_10empty_typeEbEEZZNS1_14partition_implILS5_8ELb0ES3_jN6thrust23THRUST_200600_302600_NS6detail15normal_iteratorINSA_10device_ptrIyEEEEPS6_PKS6_NS0_5tupleIJSF_S6_EEENSJ_IJSG_SG_EEENS0_18inequality_wrapperINSA_8equal_toIyEEEEPmJS6_EEE10hipError_tPvRmT3_T4_T5_T6_T7_T9_mT8_P12ihipStream_tbDpT10_ENKUlT_T0_E_clISt17integral_constantIbLb1EES1A_EEDaS15_S16_EUlS15_E_NS1_11comp_targetILNS1_3genE2ELNS1_11target_archE906ELNS1_3gpuE6ELNS1_3repE0EEENS1_30default_config_static_selectorELNS0_4arch9wavefront6targetE1EEEvT1_.has_recursion, 0
	.set _ZN7rocprim17ROCPRIM_400000_NS6detail17trampoline_kernelINS0_14default_configENS1_25partition_config_selectorILNS1_17partition_subalgoE8EyNS0_10empty_typeEbEEZZNS1_14partition_implILS5_8ELb0ES3_jN6thrust23THRUST_200600_302600_NS6detail15normal_iteratorINSA_10device_ptrIyEEEEPS6_PKS6_NS0_5tupleIJSF_S6_EEENSJ_IJSG_SG_EEENS0_18inequality_wrapperINSA_8equal_toIyEEEEPmJS6_EEE10hipError_tPvRmT3_T4_T5_T6_T7_T9_mT8_P12ihipStream_tbDpT10_ENKUlT_T0_E_clISt17integral_constantIbLb1EES1A_EEDaS15_S16_EUlS15_E_NS1_11comp_targetILNS1_3genE2ELNS1_11target_archE906ELNS1_3gpuE6ELNS1_3repE0EEENS1_30default_config_static_selectorELNS0_4arch9wavefront6targetE1EEEvT1_.has_indirect_call, 0
	.section	.AMDGPU.csdata,"",@progbits
; Kernel info:
; codeLenInByte = 4
; TotalNumSgprs: 4
; NumVgprs: 0
; ScratchSize: 0
; MemoryBound: 0
; FloatMode: 240
; IeeeMode: 1
; LDSByteSize: 0 bytes/workgroup (compile time only)
; SGPRBlocks: 0
; VGPRBlocks: 0
; NumSGPRsForWavesPerEU: 4
; NumVGPRsForWavesPerEU: 1
; Occupancy: 10
; WaveLimiterHint : 0
; COMPUTE_PGM_RSRC2:SCRATCH_EN: 0
; COMPUTE_PGM_RSRC2:USER_SGPR: 6
; COMPUTE_PGM_RSRC2:TRAP_HANDLER: 0
; COMPUTE_PGM_RSRC2:TGID_X_EN: 1
; COMPUTE_PGM_RSRC2:TGID_Y_EN: 0
; COMPUTE_PGM_RSRC2:TGID_Z_EN: 0
; COMPUTE_PGM_RSRC2:TIDIG_COMP_CNT: 0
	.section	.text._ZN7rocprim17ROCPRIM_400000_NS6detail17trampoline_kernelINS0_14default_configENS1_25partition_config_selectorILNS1_17partition_subalgoE8EyNS0_10empty_typeEbEEZZNS1_14partition_implILS5_8ELb0ES3_jN6thrust23THRUST_200600_302600_NS6detail15normal_iteratorINSA_10device_ptrIyEEEEPS6_PKS6_NS0_5tupleIJSF_S6_EEENSJ_IJSG_SG_EEENS0_18inequality_wrapperINSA_8equal_toIyEEEEPmJS6_EEE10hipError_tPvRmT3_T4_T5_T6_T7_T9_mT8_P12ihipStream_tbDpT10_ENKUlT_T0_E_clISt17integral_constantIbLb1EES1A_EEDaS15_S16_EUlS15_E_NS1_11comp_targetILNS1_3genE10ELNS1_11target_archE1200ELNS1_3gpuE4ELNS1_3repE0EEENS1_30default_config_static_selectorELNS0_4arch9wavefront6targetE1EEEvT1_,"axG",@progbits,_ZN7rocprim17ROCPRIM_400000_NS6detail17trampoline_kernelINS0_14default_configENS1_25partition_config_selectorILNS1_17partition_subalgoE8EyNS0_10empty_typeEbEEZZNS1_14partition_implILS5_8ELb0ES3_jN6thrust23THRUST_200600_302600_NS6detail15normal_iteratorINSA_10device_ptrIyEEEEPS6_PKS6_NS0_5tupleIJSF_S6_EEENSJ_IJSG_SG_EEENS0_18inequality_wrapperINSA_8equal_toIyEEEEPmJS6_EEE10hipError_tPvRmT3_T4_T5_T6_T7_T9_mT8_P12ihipStream_tbDpT10_ENKUlT_T0_E_clISt17integral_constantIbLb1EES1A_EEDaS15_S16_EUlS15_E_NS1_11comp_targetILNS1_3genE10ELNS1_11target_archE1200ELNS1_3gpuE4ELNS1_3repE0EEENS1_30default_config_static_selectorELNS0_4arch9wavefront6targetE1EEEvT1_,comdat
	.protected	_ZN7rocprim17ROCPRIM_400000_NS6detail17trampoline_kernelINS0_14default_configENS1_25partition_config_selectorILNS1_17partition_subalgoE8EyNS0_10empty_typeEbEEZZNS1_14partition_implILS5_8ELb0ES3_jN6thrust23THRUST_200600_302600_NS6detail15normal_iteratorINSA_10device_ptrIyEEEEPS6_PKS6_NS0_5tupleIJSF_S6_EEENSJ_IJSG_SG_EEENS0_18inequality_wrapperINSA_8equal_toIyEEEEPmJS6_EEE10hipError_tPvRmT3_T4_T5_T6_T7_T9_mT8_P12ihipStream_tbDpT10_ENKUlT_T0_E_clISt17integral_constantIbLb1EES1A_EEDaS15_S16_EUlS15_E_NS1_11comp_targetILNS1_3genE10ELNS1_11target_archE1200ELNS1_3gpuE4ELNS1_3repE0EEENS1_30default_config_static_selectorELNS0_4arch9wavefront6targetE1EEEvT1_ ; -- Begin function _ZN7rocprim17ROCPRIM_400000_NS6detail17trampoline_kernelINS0_14default_configENS1_25partition_config_selectorILNS1_17partition_subalgoE8EyNS0_10empty_typeEbEEZZNS1_14partition_implILS5_8ELb0ES3_jN6thrust23THRUST_200600_302600_NS6detail15normal_iteratorINSA_10device_ptrIyEEEEPS6_PKS6_NS0_5tupleIJSF_S6_EEENSJ_IJSG_SG_EEENS0_18inequality_wrapperINSA_8equal_toIyEEEEPmJS6_EEE10hipError_tPvRmT3_T4_T5_T6_T7_T9_mT8_P12ihipStream_tbDpT10_ENKUlT_T0_E_clISt17integral_constantIbLb1EES1A_EEDaS15_S16_EUlS15_E_NS1_11comp_targetILNS1_3genE10ELNS1_11target_archE1200ELNS1_3gpuE4ELNS1_3repE0EEENS1_30default_config_static_selectorELNS0_4arch9wavefront6targetE1EEEvT1_
	.globl	_ZN7rocprim17ROCPRIM_400000_NS6detail17trampoline_kernelINS0_14default_configENS1_25partition_config_selectorILNS1_17partition_subalgoE8EyNS0_10empty_typeEbEEZZNS1_14partition_implILS5_8ELb0ES3_jN6thrust23THRUST_200600_302600_NS6detail15normal_iteratorINSA_10device_ptrIyEEEEPS6_PKS6_NS0_5tupleIJSF_S6_EEENSJ_IJSG_SG_EEENS0_18inequality_wrapperINSA_8equal_toIyEEEEPmJS6_EEE10hipError_tPvRmT3_T4_T5_T6_T7_T9_mT8_P12ihipStream_tbDpT10_ENKUlT_T0_E_clISt17integral_constantIbLb1EES1A_EEDaS15_S16_EUlS15_E_NS1_11comp_targetILNS1_3genE10ELNS1_11target_archE1200ELNS1_3gpuE4ELNS1_3repE0EEENS1_30default_config_static_selectorELNS0_4arch9wavefront6targetE1EEEvT1_
	.p2align	8
	.type	_ZN7rocprim17ROCPRIM_400000_NS6detail17trampoline_kernelINS0_14default_configENS1_25partition_config_selectorILNS1_17partition_subalgoE8EyNS0_10empty_typeEbEEZZNS1_14partition_implILS5_8ELb0ES3_jN6thrust23THRUST_200600_302600_NS6detail15normal_iteratorINSA_10device_ptrIyEEEEPS6_PKS6_NS0_5tupleIJSF_S6_EEENSJ_IJSG_SG_EEENS0_18inequality_wrapperINSA_8equal_toIyEEEEPmJS6_EEE10hipError_tPvRmT3_T4_T5_T6_T7_T9_mT8_P12ihipStream_tbDpT10_ENKUlT_T0_E_clISt17integral_constantIbLb1EES1A_EEDaS15_S16_EUlS15_E_NS1_11comp_targetILNS1_3genE10ELNS1_11target_archE1200ELNS1_3gpuE4ELNS1_3repE0EEENS1_30default_config_static_selectorELNS0_4arch9wavefront6targetE1EEEvT1_,@function
_ZN7rocprim17ROCPRIM_400000_NS6detail17trampoline_kernelINS0_14default_configENS1_25partition_config_selectorILNS1_17partition_subalgoE8EyNS0_10empty_typeEbEEZZNS1_14partition_implILS5_8ELb0ES3_jN6thrust23THRUST_200600_302600_NS6detail15normal_iteratorINSA_10device_ptrIyEEEEPS6_PKS6_NS0_5tupleIJSF_S6_EEENSJ_IJSG_SG_EEENS0_18inequality_wrapperINSA_8equal_toIyEEEEPmJS6_EEE10hipError_tPvRmT3_T4_T5_T6_T7_T9_mT8_P12ihipStream_tbDpT10_ENKUlT_T0_E_clISt17integral_constantIbLb1EES1A_EEDaS15_S16_EUlS15_E_NS1_11comp_targetILNS1_3genE10ELNS1_11target_archE1200ELNS1_3gpuE4ELNS1_3repE0EEENS1_30default_config_static_selectorELNS0_4arch9wavefront6targetE1EEEvT1_: ; @_ZN7rocprim17ROCPRIM_400000_NS6detail17trampoline_kernelINS0_14default_configENS1_25partition_config_selectorILNS1_17partition_subalgoE8EyNS0_10empty_typeEbEEZZNS1_14partition_implILS5_8ELb0ES3_jN6thrust23THRUST_200600_302600_NS6detail15normal_iteratorINSA_10device_ptrIyEEEEPS6_PKS6_NS0_5tupleIJSF_S6_EEENSJ_IJSG_SG_EEENS0_18inequality_wrapperINSA_8equal_toIyEEEEPmJS6_EEE10hipError_tPvRmT3_T4_T5_T6_T7_T9_mT8_P12ihipStream_tbDpT10_ENKUlT_T0_E_clISt17integral_constantIbLb1EES1A_EEDaS15_S16_EUlS15_E_NS1_11comp_targetILNS1_3genE10ELNS1_11target_archE1200ELNS1_3gpuE4ELNS1_3repE0EEENS1_30default_config_static_selectorELNS0_4arch9wavefront6targetE1EEEvT1_
; %bb.0:
	.section	.rodata,"a",@progbits
	.p2align	6, 0x0
	.amdhsa_kernel _ZN7rocprim17ROCPRIM_400000_NS6detail17trampoline_kernelINS0_14default_configENS1_25partition_config_selectorILNS1_17partition_subalgoE8EyNS0_10empty_typeEbEEZZNS1_14partition_implILS5_8ELb0ES3_jN6thrust23THRUST_200600_302600_NS6detail15normal_iteratorINSA_10device_ptrIyEEEEPS6_PKS6_NS0_5tupleIJSF_S6_EEENSJ_IJSG_SG_EEENS0_18inequality_wrapperINSA_8equal_toIyEEEEPmJS6_EEE10hipError_tPvRmT3_T4_T5_T6_T7_T9_mT8_P12ihipStream_tbDpT10_ENKUlT_T0_E_clISt17integral_constantIbLb1EES1A_EEDaS15_S16_EUlS15_E_NS1_11comp_targetILNS1_3genE10ELNS1_11target_archE1200ELNS1_3gpuE4ELNS1_3repE0EEENS1_30default_config_static_selectorELNS0_4arch9wavefront6targetE1EEEvT1_
		.amdhsa_group_segment_fixed_size 0
		.amdhsa_private_segment_fixed_size 0
		.amdhsa_kernarg_size 128
		.amdhsa_user_sgpr_count 6
		.amdhsa_user_sgpr_private_segment_buffer 1
		.amdhsa_user_sgpr_dispatch_ptr 0
		.amdhsa_user_sgpr_queue_ptr 0
		.amdhsa_user_sgpr_kernarg_segment_ptr 1
		.amdhsa_user_sgpr_dispatch_id 0
		.amdhsa_user_sgpr_flat_scratch_init 0
		.amdhsa_user_sgpr_private_segment_size 0
		.amdhsa_uses_dynamic_stack 0
		.amdhsa_system_sgpr_private_segment_wavefront_offset 0
		.amdhsa_system_sgpr_workgroup_id_x 1
		.amdhsa_system_sgpr_workgroup_id_y 0
		.amdhsa_system_sgpr_workgroup_id_z 0
		.amdhsa_system_sgpr_workgroup_info 0
		.amdhsa_system_vgpr_workitem_id 0
		.amdhsa_next_free_vgpr 1
		.amdhsa_next_free_sgpr 0
		.amdhsa_reserve_vcc 0
		.amdhsa_reserve_flat_scratch 0
		.amdhsa_float_round_mode_32 0
		.amdhsa_float_round_mode_16_64 0
		.amdhsa_float_denorm_mode_32 3
		.amdhsa_float_denorm_mode_16_64 3
		.amdhsa_dx10_clamp 1
		.amdhsa_ieee_mode 1
		.amdhsa_fp16_overflow 0
		.amdhsa_exception_fp_ieee_invalid_op 0
		.amdhsa_exception_fp_denorm_src 0
		.amdhsa_exception_fp_ieee_div_zero 0
		.amdhsa_exception_fp_ieee_overflow 0
		.amdhsa_exception_fp_ieee_underflow 0
		.amdhsa_exception_fp_ieee_inexact 0
		.amdhsa_exception_int_div_zero 0
	.end_amdhsa_kernel
	.section	.text._ZN7rocprim17ROCPRIM_400000_NS6detail17trampoline_kernelINS0_14default_configENS1_25partition_config_selectorILNS1_17partition_subalgoE8EyNS0_10empty_typeEbEEZZNS1_14partition_implILS5_8ELb0ES3_jN6thrust23THRUST_200600_302600_NS6detail15normal_iteratorINSA_10device_ptrIyEEEEPS6_PKS6_NS0_5tupleIJSF_S6_EEENSJ_IJSG_SG_EEENS0_18inequality_wrapperINSA_8equal_toIyEEEEPmJS6_EEE10hipError_tPvRmT3_T4_T5_T6_T7_T9_mT8_P12ihipStream_tbDpT10_ENKUlT_T0_E_clISt17integral_constantIbLb1EES1A_EEDaS15_S16_EUlS15_E_NS1_11comp_targetILNS1_3genE10ELNS1_11target_archE1200ELNS1_3gpuE4ELNS1_3repE0EEENS1_30default_config_static_selectorELNS0_4arch9wavefront6targetE1EEEvT1_,"axG",@progbits,_ZN7rocprim17ROCPRIM_400000_NS6detail17trampoline_kernelINS0_14default_configENS1_25partition_config_selectorILNS1_17partition_subalgoE8EyNS0_10empty_typeEbEEZZNS1_14partition_implILS5_8ELb0ES3_jN6thrust23THRUST_200600_302600_NS6detail15normal_iteratorINSA_10device_ptrIyEEEEPS6_PKS6_NS0_5tupleIJSF_S6_EEENSJ_IJSG_SG_EEENS0_18inequality_wrapperINSA_8equal_toIyEEEEPmJS6_EEE10hipError_tPvRmT3_T4_T5_T6_T7_T9_mT8_P12ihipStream_tbDpT10_ENKUlT_T0_E_clISt17integral_constantIbLb1EES1A_EEDaS15_S16_EUlS15_E_NS1_11comp_targetILNS1_3genE10ELNS1_11target_archE1200ELNS1_3gpuE4ELNS1_3repE0EEENS1_30default_config_static_selectorELNS0_4arch9wavefront6targetE1EEEvT1_,comdat
.Lfunc_end158:
	.size	_ZN7rocprim17ROCPRIM_400000_NS6detail17trampoline_kernelINS0_14default_configENS1_25partition_config_selectorILNS1_17partition_subalgoE8EyNS0_10empty_typeEbEEZZNS1_14partition_implILS5_8ELb0ES3_jN6thrust23THRUST_200600_302600_NS6detail15normal_iteratorINSA_10device_ptrIyEEEEPS6_PKS6_NS0_5tupleIJSF_S6_EEENSJ_IJSG_SG_EEENS0_18inequality_wrapperINSA_8equal_toIyEEEEPmJS6_EEE10hipError_tPvRmT3_T4_T5_T6_T7_T9_mT8_P12ihipStream_tbDpT10_ENKUlT_T0_E_clISt17integral_constantIbLb1EES1A_EEDaS15_S16_EUlS15_E_NS1_11comp_targetILNS1_3genE10ELNS1_11target_archE1200ELNS1_3gpuE4ELNS1_3repE0EEENS1_30default_config_static_selectorELNS0_4arch9wavefront6targetE1EEEvT1_, .Lfunc_end158-_ZN7rocprim17ROCPRIM_400000_NS6detail17trampoline_kernelINS0_14default_configENS1_25partition_config_selectorILNS1_17partition_subalgoE8EyNS0_10empty_typeEbEEZZNS1_14partition_implILS5_8ELb0ES3_jN6thrust23THRUST_200600_302600_NS6detail15normal_iteratorINSA_10device_ptrIyEEEEPS6_PKS6_NS0_5tupleIJSF_S6_EEENSJ_IJSG_SG_EEENS0_18inequality_wrapperINSA_8equal_toIyEEEEPmJS6_EEE10hipError_tPvRmT3_T4_T5_T6_T7_T9_mT8_P12ihipStream_tbDpT10_ENKUlT_T0_E_clISt17integral_constantIbLb1EES1A_EEDaS15_S16_EUlS15_E_NS1_11comp_targetILNS1_3genE10ELNS1_11target_archE1200ELNS1_3gpuE4ELNS1_3repE0EEENS1_30default_config_static_selectorELNS0_4arch9wavefront6targetE1EEEvT1_
                                        ; -- End function
	.set _ZN7rocprim17ROCPRIM_400000_NS6detail17trampoline_kernelINS0_14default_configENS1_25partition_config_selectorILNS1_17partition_subalgoE8EyNS0_10empty_typeEbEEZZNS1_14partition_implILS5_8ELb0ES3_jN6thrust23THRUST_200600_302600_NS6detail15normal_iteratorINSA_10device_ptrIyEEEEPS6_PKS6_NS0_5tupleIJSF_S6_EEENSJ_IJSG_SG_EEENS0_18inequality_wrapperINSA_8equal_toIyEEEEPmJS6_EEE10hipError_tPvRmT3_T4_T5_T6_T7_T9_mT8_P12ihipStream_tbDpT10_ENKUlT_T0_E_clISt17integral_constantIbLb1EES1A_EEDaS15_S16_EUlS15_E_NS1_11comp_targetILNS1_3genE10ELNS1_11target_archE1200ELNS1_3gpuE4ELNS1_3repE0EEENS1_30default_config_static_selectorELNS0_4arch9wavefront6targetE1EEEvT1_.num_vgpr, 0
	.set _ZN7rocprim17ROCPRIM_400000_NS6detail17trampoline_kernelINS0_14default_configENS1_25partition_config_selectorILNS1_17partition_subalgoE8EyNS0_10empty_typeEbEEZZNS1_14partition_implILS5_8ELb0ES3_jN6thrust23THRUST_200600_302600_NS6detail15normal_iteratorINSA_10device_ptrIyEEEEPS6_PKS6_NS0_5tupleIJSF_S6_EEENSJ_IJSG_SG_EEENS0_18inequality_wrapperINSA_8equal_toIyEEEEPmJS6_EEE10hipError_tPvRmT3_T4_T5_T6_T7_T9_mT8_P12ihipStream_tbDpT10_ENKUlT_T0_E_clISt17integral_constantIbLb1EES1A_EEDaS15_S16_EUlS15_E_NS1_11comp_targetILNS1_3genE10ELNS1_11target_archE1200ELNS1_3gpuE4ELNS1_3repE0EEENS1_30default_config_static_selectorELNS0_4arch9wavefront6targetE1EEEvT1_.num_agpr, 0
	.set _ZN7rocprim17ROCPRIM_400000_NS6detail17trampoline_kernelINS0_14default_configENS1_25partition_config_selectorILNS1_17partition_subalgoE8EyNS0_10empty_typeEbEEZZNS1_14partition_implILS5_8ELb0ES3_jN6thrust23THRUST_200600_302600_NS6detail15normal_iteratorINSA_10device_ptrIyEEEEPS6_PKS6_NS0_5tupleIJSF_S6_EEENSJ_IJSG_SG_EEENS0_18inequality_wrapperINSA_8equal_toIyEEEEPmJS6_EEE10hipError_tPvRmT3_T4_T5_T6_T7_T9_mT8_P12ihipStream_tbDpT10_ENKUlT_T0_E_clISt17integral_constantIbLb1EES1A_EEDaS15_S16_EUlS15_E_NS1_11comp_targetILNS1_3genE10ELNS1_11target_archE1200ELNS1_3gpuE4ELNS1_3repE0EEENS1_30default_config_static_selectorELNS0_4arch9wavefront6targetE1EEEvT1_.numbered_sgpr, 0
	.set _ZN7rocprim17ROCPRIM_400000_NS6detail17trampoline_kernelINS0_14default_configENS1_25partition_config_selectorILNS1_17partition_subalgoE8EyNS0_10empty_typeEbEEZZNS1_14partition_implILS5_8ELb0ES3_jN6thrust23THRUST_200600_302600_NS6detail15normal_iteratorINSA_10device_ptrIyEEEEPS6_PKS6_NS0_5tupleIJSF_S6_EEENSJ_IJSG_SG_EEENS0_18inequality_wrapperINSA_8equal_toIyEEEEPmJS6_EEE10hipError_tPvRmT3_T4_T5_T6_T7_T9_mT8_P12ihipStream_tbDpT10_ENKUlT_T0_E_clISt17integral_constantIbLb1EES1A_EEDaS15_S16_EUlS15_E_NS1_11comp_targetILNS1_3genE10ELNS1_11target_archE1200ELNS1_3gpuE4ELNS1_3repE0EEENS1_30default_config_static_selectorELNS0_4arch9wavefront6targetE1EEEvT1_.num_named_barrier, 0
	.set _ZN7rocprim17ROCPRIM_400000_NS6detail17trampoline_kernelINS0_14default_configENS1_25partition_config_selectorILNS1_17partition_subalgoE8EyNS0_10empty_typeEbEEZZNS1_14partition_implILS5_8ELb0ES3_jN6thrust23THRUST_200600_302600_NS6detail15normal_iteratorINSA_10device_ptrIyEEEEPS6_PKS6_NS0_5tupleIJSF_S6_EEENSJ_IJSG_SG_EEENS0_18inequality_wrapperINSA_8equal_toIyEEEEPmJS6_EEE10hipError_tPvRmT3_T4_T5_T6_T7_T9_mT8_P12ihipStream_tbDpT10_ENKUlT_T0_E_clISt17integral_constantIbLb1EES1A_EEDaS15_S16_EUlS15_E_NS1_11comp_targetILNS1_3genE10ELNS1_11target_archE1200ELNS1_3gpuE4ELNS1_3repE0EEENS1_30default_config_static_selectorELNS0_4arch9wavefront6targetE1EEEvT1_.private_seg_size, 0
	.set _ZN7rocprim17ROCPRIM_400000_NS6detail17trampoline_kernelINS0_14default_configENS1_25partition_config_selectorILNS1_17partition_subalgoE8EyNS0_10empty_typeEbEEZZNS1_14partition_implILS5_8ELb0ES3_jN6thrust23THRUST_200600_302600_NS6detail15normal_iteratorINSA_10device_ptrIyEEEEPS6_PKS6_NS0_5tupleIJSF_S6_EEENSJ_IJSG_SG_EEENS0_18inequality_wrapperINSA_8equal_toIyEEEEPmJS6_EEE10hipError_tPvRmT3_T4_T5_T6_T7_T9_mT8_P12ihipStream_tbDpT10_ENKUlT_T0_E_clISt17integral_constantIbLb1EES1A_EEDaS15_S16_EUlS15_E_NS1_11comp_targetILNS1_3genE10ELNS1_11target_archE1200ELNS1_3gpuE4ELNS1_3repE0EEENS1_30default_config_static_selectorELNS0_4arch9wavefront6targetE1EEEvT1_.uses_vcc, 0
	.set _ZN7rocprim17ROCPRIM_400000_NS6detail17trampoline_kernelINS0_14default_configENS1_25partition_config_selectorILNS1_17partition_subalgoE8EyNS0_10empty_typeEbEEZZNS1_14partition_implILS5_8ELb0ES3_jN6thrust23THRUST_200600_302600_NS6detail15normal_iteratorINSA_10device_ptrIyEEEEPS6_PKS6_NS0_5tupleIJSF_S6_EEENSJ_IJSG_SG_EEENS0_18inequality_wrapperINSA_8equal_toIyEEEEPmJS6_EEE10hipError_tPvRmT3_T4_T5_T6_T7_T9_mT8_P12ihipStream_tbDpT10_ENKUlT_T0_E_clISt17integral_constantIbLb1EES1A_EEDaS15_S16_EUlS15_E_NS1_11comp_targetILNS1_3genE10ELNS1_11target_archE1200ELNS1_3gpuE4ELNS1_3repE0EEENS1_30default_config_static_selectorELNS0_4arch9wavefront6targetE1EEEvT1_.uses_flat_scratch, 0
	.set _ZN7rocprim17ROCPRIM_400000_NS6detail17trampoline_kernelINS0_14default_configENS1_25partition_config_selectorILNS1_17partition_subalgoE8EyNS0_10empty_typeEbEEZZNS1_14partition_implILS5_8ELb0ES3_jN6thrust23THRUST_200600_302600_NS6detail15normal_iteratorINSA_10device_ptrIyEEEEPS6_PKS6_NS0_5tupleIJSF_S6_EEENSJ_IJSG_SG_EEENS0_18inequality_wrapperINSA_8equal_toIyEEEEPmJS6_EEE10hipError_tPvRmT3_T4_T5_T6_T7_T9_mT8_P12ihipStream_tbDpT10_ENKUlT_T0_E_clISt17integral_constantIbLb1EES1A_EEDaS15_S16_EUlS15_E_NS1_11comp_targetILNS1_3genE10ELNS1_11target_archE1200ELNS1_3gpuE4ELNS1_3repE0EEENS1_30default_config_static_selectorELNS0_4arch9wavefront6targetE1EEEvT1_.has_dyn_sized_stack, 0
	.set _ZN7rocprim17ROCPRIM_400000_NS6detail17trampoline_kernelINS0_14default_configENS1_25partition_config_selectorILNS1_17partition_subalgoE8EyNS0_10empty_typeEbEEZZNS1_14partition_implILS5_8ELb0ES3_jN6thrust23THRUST_200600_302600_NS6detail15normal_iteratorINSA_10device_ptrIyEEEEPS6_PKS6_NS0_5tupleIJSF_S6_EEENSJ_IJSG_SG_EEENS0_18inequality_wrapperINSA_8equal_toIyEEEEPmJS6_EEE10hipError_tPvRmT3_T4_T5_T6_T7_T9_mT8_P12ihipStream_tbDpT10_ENKUlT_T0_E_clISt17integral_constantIbLb1EES1A_EEDaS15_S16_EUlS15_E_NS1_11comp_targetILNS1_3genE10ELNS1_11target_archE1200ELNS1_3gpuE4ELNS1_3repE0EEENS1_30default_config_static_selectorELNS0_4arch9wavefront6targetE1EEEvT1_.has_recursion, 0
	.set _ZN7rocprim17ROCPRIM_400000_NS6detail17trampoline_kernelINS0_14default_configENS1_25partition_config_selectorILNS1_17partition_subalgoE8EyNS0_10empty_typeEbEEZZNS1_14partition_implILS5_8ELb0ES3_jN6thrust23THRUST_200600_302600_NS6detail15normal_iteratorINSA_10device_ptrIyEEEEPS6_PKS6_NS0_5tupleIJSF_S6_EEENSJ_IJSG_SG_EEENS0_18inequality_wrapperINSA_8equal_toIyEEEEPmJS6_EEE10hipError_tPvRmT3_T4_T5_T6_T7_T9_mT8_P12ihipStream_tbDpT10_ENKUlT_T0_E_clISt17integral_constantIbLb1EES1A_EEDaS15_S16_EUlS15_E_NS1_11comp_targetILNS1_3genE10ELNS1_11target_archE1200ELNS1_3gpuE4ELNS1_3repE0EEENS1_30default_config_static_selectorELNS0_4arch9wavefront6targetE1EEEvT1_.has_indirect_call, 0
	.section	.AMDGPU.csdata,"",@progbits
; Kernel info:
; codeLenInByte = 0
; TotalNumSgprs: 4
; NumVgprs: 0
; ScratchSize: 0
; MemoryBound: 0
; FloatMode: 240
; IeeeMode: 1
; LDSByteSize: 0 bytes/workgroup (compile time only)
; SGPRBlocks: 0
; VGPRBlocks: 0
; NumSGPRsForWavesPerEU: 4
; NumVGPRsForWavesPerEU: 1
; Occupancy: 10
; WaveLimiterHint : 0
; COMPUTE_PGM_RSRC2:SCRATCH_EN: 0
; COMPUTE_PGM_RSRC2:USER_SGPR: 6
; COMPUTE_PGM_RSRC2:TRAP_HANDLER: 0
; COMPUTE_PGM_RSRC2:TGID_X_EN: 1
; COMPUTE_PGM_RSRC2:TGID_Y_EN: 0
; COMPUTE_PGM_RSRC2:TGID_Z_EN: 0
; COMPUTE_PGM_RSRC2:TIDIG_COMP_CNT: 0
	.section	.text._ZN7rocprim17ROCPRIM_400000_NS6detail17trampoline_kernelINS0_14default_configENS1_25partition_config_selectorILNS1_17partition_subalgoE8EyNS0_10empty_typeEbEEZZNS1_14partition_implILS5_8ELb0ES3_jN6thrust23THRUST_200600_302600_NS6detail15normal_iteratorINSA_10device_ptrIyEEEEPS6_PKS6_NS0_5tupleIJSF_S6_EEENSJ_IJSG_SG_EEENS0_18inequality_wrapperINSA_8equal_toIyEEEEPmJS6_EEE10hipError_tPvRmT3_T4_T5_T6_T7_T9_mT8_P12ihipStream_tbDpT10_ENKUlT_T0_E_clISt17integral_constantIbLb1EES1A_EEDaS15_S16_EUlS15_E_NS1_11comp_targetILNS1_3genE9ELNS1_11target_archE1100ELNS1_3gpuE3ELNS1_3repE0EEENS1_30default_config_static_selectorELNS0_4arch9wavefront6targetE1EEEvT1_,"axG",@progbits,_ZN7rocprim17ROCPRIM_400000_NS6detail17trampoline_kernelINS0_14default_configENS1_25partition_config_selectorILNS1_17partition_subalgoE8EyNS0_10empty_typeEbEEZZNS1_14partition_implILS5_8ELb0ES3_jN6thrust23THRUST_200600_302600_NS6detail15normal_iteratorINSA_10device_ptrIyEEEEPS6_PKS6_NS0_5tupleIJSF_S6_EEENSJ_IJSG_SG_EEENS0_18inequality_wrapperINSA_8equal_toIyEEEEPmJS6_EEE10hipError_tPvRmT3_T4_T5_T6_T7_T9_mT8_P12ihipStream_tbDpT10_ENKUlT_T0_E_clISt17integral_constantIbLb1EES1A_EEDaS15_S16_EUlS15_E_NS1_11comp_targetILNS1_3genE9ELNS1_11target_archE1100ELNS1_3gpuE3ELNS1_3repE0EEENS1_30default_config_static_selectorELNS0_4arch9wavefront6targetE1EEEvT1_,comdat
	.protected	_ZN7rocprim17ROCPRIM_400000_NS6detail17trampoline_kernelINS0_14default_configENS1_25partition_config_selectorILNS1_17partition_subalgoE8EyNS0_10empty_typeEbEEZZNS1_14partition_implILS5_8ELb0ES3_jN6thrust23THRUST_200600_302600_NS6detail15normal_iteratorINSA_10device_ptrIyEEEEPS6_PKS6_NS0_5tupleIJSF_S6_EEENSJ_IJSG_SG_EEENS0_18inequality_wrapperINSA_8equal_toIyEEEEPmJS6_EEE10hipError_tPvRmT3_T4_T5_T6_T7_T9_mT8_P12ihipStream_tbDpT10_ENKUlT_T0_E_clISt17integral_constantIbLb1EES1A_EEDaS15_S16_EUlS15_E_NS1_11comp_targetILNS1_3genE9ELNS1_11target_archE1100ELNS1_3gpuE3ELNS1_3repE0EEENS1_30default_config_static_selectorELNS0_4arch9wavefront6targetE1EEEvT1_ ; -- Begin function _ZN7rocprim17ROCPRIM_400000_NS6detail17trampoline_kernelINS0_14default_configENS1_25partition_config_selectorILNS1_17partition_subalgoE8EyNS0_10empty_typeEbEEZZNS1_14partition_implILS5_8ELb0ES3_jN6thrust23THRUST_200600_302600_NS6detail15normal_iteratorINSA_10device_ptrIyEEEEPS6_PKS6_NS0_5tupleIJSF_S6_EEENSJ_IJSG_SG_EEENS0_18inequality_wrapperINSA_8equal_toIyEEEEPmJS6_EEE10hipError_tPvRmT3_T4_T5_T6_T7_T9_mT8_P12ihipStream_tbDpT10_ENKUlT_T0_E_clISt17integral_constantIbLb1EES1A_EEDaS15_S16_EUlS15_E_NS1_11comp_targetILNS1_3genE9ELNS1_11target_archE1100ELNS1_3gpuE3ELNS1_3repE0EEENS1_30default_config_static_selectorELNS0_4arch9wavefront6targetE1EEEvT1_
	.globl	_ZN7rocprim17ROCPRIM_400000_NS6detail17trampoline_kernelINS0_14default_configENS1_25partition_config_selectorILNS1_17partition_subalgoE8EyNS0_10empty_typeEbEEZZNS1_14partition_implILS5_8ELb0ES3_jN6thrust23THRUST_200600_302600_NS6detail15normal_iteratorINSA_10device_ptrIyEEEEPS6_PKS6_NS0_5tupleIJSF_S6_EEENSJ_IJSG_SG_EEENS0_18inequality_wrapperINSA_8equal_toIyEEEEPmJS6_EEE10hipError_tPvRmT3_T4_T5_T6_T7_T9_mT8_P12ihipStream_tbDpT10_ENKUlT_T0_E_clISt17integral_constantIbLb1EES1A_EEDaS15_S16_EUlS15_E_NS1_11comp_targetILNS1_3genE9ELNS1_11target_archE1100ELNS1_3gpuE3ELNS1_3repE0EEENS1_30default_config_static_selectorELNS0_4arch9wavefront6targetE1EEEvT1_
	.p2align	8
	.type	_ZN7rocprim17ROCPRIM_400000_NS6detail17trampoline_kernelINS0_14default_configENS1_25partition_config_selectorILNS1_17partition_subalgoE8EyNS0_10empty_typeEbEEZZNS1_14partition_implILS5_8ELb0ES3_jN6thrust23THRUST_200600_302600_NS6detail15normal_iteratorINSA_10device_ptrIyEEEEPS6_PKS6_NS0_5tupleIJSF_S6_EEENSJ_IJSG_SG_EEENS0_18inequality_wrapperINSA_8equal_toIyEEEEPmJS6_EEE10hipError_tPvRmT3_T4_T5_T6_T7_T9_mT8_P12ihipStream_tbDpT10_ENKUlT_T0_E_clISt17integral_constantIbLb1EES1A_EEDaS15_S16_EUlS15_E_NS1_11comp_targetILNS1_3genE9ELNS1_11target_archE1100ELNS1_3gpuE3ELNS1_3repE0EEENS1_30default_config_static_selectorELNS0_4arch9wavefront6targetE1EEEvT1_,@function
_ZN7rocprim17ROCPRIM_400000_NS6detail17trampoline_kernelINS0_14default_configENS1_25partition_config_selectorILNS1_17partition_subalgoE8EyNS0_10empty_typeEbEEZZNS1_14partition_implILS5_8ELb0ES3_jN6thrust23THRUST_200600_302600_NS6detail15normal_iteratorINSA_10device_ptrIyEEEEPS6_PKS6_NS0_5tupleIJSF_S6_EEENSJ_IJSG_SG_EEENS0_18inequality_wrapperINSA_8equal_toIyEEEEPmJS6_EEE10hipError_tPvRmT3_T4_T5_T6_T7_T9_mT8_P12ihipStream_tbDpT10_ENKUlT_T0_E_clISt17integral_constantIbLb1EES1A_EEDaS15_S16_EUlS15_E_NS1_11comp_targetILNS1_3genE9ELNS1_11target_archE1100ELNS1_3gpuE3ELNS1_3repE0EEENS1_30default_config_static_selectorELNS0_4arch9wavefront6targetE1EEEvT1_: ; @_ZN7rocprim17ROCPRIM_400000_NS6detail17trampoline_kernelINS0_14default_configENS1_25partition_config_selectorILNS1_17partition_subalgoE8EyNS0_10empty_typeEbEEZZNS1_14partition_implILS5_8ELb0ES3_jN6thrust23THRUST_200600_302600_NS6detail15normal_iteratorINSA_10device_ptrIyEEEEPS6_PKS6_NS0_5tupleIJSF_S6_EEENSJ_IJSG_SG_EEENS0_18inequality_wrapperINSA_8equal_toIyEEEEPmJS6_EEE10hipError_tPvRmT3_T4_T5_T6_T7_T9_mT8_P12ihipStream_tbDpT10_ENKUlT_T0_E_clISt17integral_constantIbLb1EES1A_EEDaS15_S16_EUlS15_E_NS1_11comp_targetILNS1_3genE9ELNS1_11target_archE1100ELNS1_3gpuE3ELNS1_3repE0EEENS1_30default_config_static_selectorELNS0_4arch9wavefront6targetE1EEEvT1_
; %bb.0:
	.section	.rodata,"a",@progbits
	.p2align	6, 0x0
	.amdhsa_kernel _ZN7rocprim17ROCPRIM_400000_NS6detail17trampoline_kernelINS0_14default_configENS1_25partition_config_selectorILNS1_17partition_subalgoE8EyNS0_10empty_typeEbEEZZNS1_14partition_implILS5_8ELb0ES3_jN6thrust23THRUST_200600_302600_NS6detail15normal_iteratorINSA_10device_ptrIyEEEEPS6_PKS6_NS0_5tupleIJSF_S6_EEENSJ_IJSG_SG_EEENS0_18inequality_wrapperINSA_8equal_toIyEEEEPmJS6_EEE10hipError_tPvRmT3_T4_T5_T6_T7_T9_mT8_P12ihipStream_tbDpT10_ENKUlT_T0_E_clISt17integral_constantIbLb1EES1A_EEDaS15_S16_EUlS15_E_NS1_11comp_targetILNS1_3genE9ELNS1_11target_archE1100ELNS1_3gpuE3ELNS1_3repE0EEENS1_30default_config_static_selectorELNS0_4arch9wavefront6targetE1EEEvT1_
		.amdhsa_group_segment_fixed_size 0
		.amdhsa_private_segment_fixed_size 0
		.amdhsa_kernarg_size 128
		.amdhsa_user_sgpr_count 6
		.amdhsa_user_sgpr_private_segment_buffer 1
		.amdhsa_user_sgpr_dispatch_ptr 0
		.amdhsa_user_sgpr_queue_ptr 0
		.amdhsa_user_sgpr_kernarg_segment_ptr 1
		.amdhsa_user_sgpr_dispatch_id 0
		.amdhsa_user_sgpr_flat_scratch_init 0
		.amdhsa_user_sgpr_private_segment_size 0
		.amdhsa_uses_dynamic_stack 0
		.amdhsa_system_sgpr_private_segment_wavefront_offset 0
		.amdhsa_system_sgpr_workgroup_id_x 1
		.amdhsa_system_sgpr_workgroup_id_y 0
		.amdhsa_system_sgpr_workgroup_id_z 0
		.amdhsa_system_sgpr_workgroup_info 0
		.amdhsa_system_vgpr_workitem_id 0
		.amdhsa_next_free_vgpr 1
		.amdhsa_next_free_sgpr 0
		.amdhsa_reserve_vcc 0
		.amdhsa_reserve_flat_scratch 0
		.amdhsa_float_round_mode_32 0
		.amdhsa_float_round_mode_16_64 0
		.amdhsa_float_denorm_mode_32 3
		.amdhsa_float_denorm_mode_16_64 3
		.amdhsa_dx10_clamp 1
		.amdhsa_ieee_mode 1
		.amdhsa_fp16_overflow 0
		.amdhsa_exception_fp_ieee_invalid_op 0
		.amdhsa_exception_fp_denorm_src 0
		.amdhsa_exception_fp_ieee_div_zero 0
		.amdhsa_exception_fp_ieee_overflow 0
		.amdhsa_exception_fp_ieee_underflow 0
		.amdhsa_exception_fp_ieee_inexact 0
		.amdhsa_exception_int_div_zero 0
	.end_amdhsa_kernel
	.section	.text._ZN7rocprim17ROCPRIM_400000_NS6detail17trampoline_kernelINS0_14default_configENS1_25partition_config_selectorILNS1_17partition_subalgoE8EyNS0_10empty_typeEbEEZZNS1_14partition_implILS5_8ELb0ES3_jN6thrust23THRUST_200600_302600_NS6detail15normal_iteratorINSA_10device_ptrIyEEEEPS6_PKS6_NS0_5tupleIJSF_S6_EEENSJ_IJSG_SG_EEENS0_18inequality_wrapperINSA_8equal_toIyEEEEPmJS6_EEE10hipError_tPvRmT3_T4_T5_T6_T7_T9_mT8_P12ihipStream_tbDpT10_ENKUlT_T0_E_clISt17integral_constantIbLb1EES1A_EEDaS15_S16_EUlS15_E_NS1_11comp_targetILNS1_3genE9ELNS1_11target_archE1100ELNS1_3gpuE3ELNS1_3repE0EEENS1_30default_config_static_selectorELNS0_4arch9wavefront6targetE1EEEvT1_,"axG",@progbits,_ZN7rocprim17ROCPRIM_400000_NS6detail17trampoline_kernelINS0_14default_configENS1_25partition_config_selectorILNS1_17partition_subalgoE8EyNS0_10empty_typeEbEEZZNS1_14partition_implILS5_8ELb0ES3_jN6thrust23THRUST_200600_302600_NS6detail15normal_iteratorINSA_10device_ptrIyEEEEPS6_PKS6_NS0_5tupleIJSF_S6_EEENSJ_IJSG_SG_EEENS0_18inequality_wrapperINSA_8equal_toIyEEEEPmJS6_EEE10hipError_tPvRmT3_T4_T5_T6_T7_T9_mT8_P12ihipStream_tbDpT10_ENKUlT_T0_E_clISt17integral_constantIbLb1EES1A_EEDaS15_S16_EUlS15_E_NS1_11comp_targetILNS1_3genE9ELNS1_11target_archE1100ELNS1_3gpuE3ELNS1_3repE0EEENS1_30default_config_static_selectorELNS0_4arch9wavefront6targetE1EEEvT1_,comdat
.Lfunc_end159:
	.size	_ZN7rocprim17ROCPRIM_400000_NS6detail17trampoline_kernelINS0_14default_configENS1_25partition_config_selectorILNS1_17partition_subalgoE8EyNS0_10empty_typeEbEEZZNS1_14partition_implILS5_8ELb0ES3_jN6thrust23THRUST_200600_302600_NS6detail15normal_iteratorINSA_10device_ptrIyEEEEPS6_PKS6_NS0_5tupleIJSF_S6_EEENSJ_IJSG_SG_EEENS0_18inequality_wrapperINSA_8equal_toIyEEEEPmJS6_EEE10hipError_tPvRmT3_T4_T5_T6_T7_T9_mT8_P12ihipStream_tbDpT10_ENKUlT_T0_E_clISt17integral_constantIbLb1EES1A_EEDaS15_S16_EUlS15_E_NS1_11comp_targetILNS1_3genE9ELNS1_11target_archE1100ELNS1_3gpuE3ELNS1_3repE0EEENS1_30default_config_static_selectorELNS0_4arch9wavefront6targetE1EEEvT1_, .Lfunc_end159-_ZN7rocprim17ROCPRIM_400000_NS6detail17trampoline_kernelINS0_14default_configENS1_25partition_config_selectorILNS1_17partition_subalgoE8EyNS0_10empty_typeEbEEZZNS1_14partition_implILS5_8ELb0ES3_jN6thrust23THRUST_200600_302600_NS6detail15normal_iteratorINSA_10device_ptrIyEEEEPS6_PKS6_NS0_5tupleIJSF_S6_EEENSJ_IJSG_SG_EEENS0_18inequality_wrapperINSA_8equal_toIyEEEEPmJS6_EEE10hipError_tPvRmT3_T4_T5_T6_T7_T9_mT8_P12ihipStream_tbDpT10_ENKUlT_T0_E_clISt17integral_constantIbLb1EES1A_EEDaS15_S16_EUlS15_E_NS1_11comp_targetILNS1_3genE9ELNS1_11target_archE1100ELNS1_3gpuE3ELNS1_3repE0EEENS1_30default_config_static_selectorELNS0_4arch9wavefront6targetE1EEEvT1_
                                        ; -- End function
	.set _ZN7rocprim17ROCPRIM_400000_NS6detail17trampoline_kernelINS0_14default_configENS1_25partition_config_selectorILNS1_17partition_subalgoE8EyNS0_10empty_typeEbEEZZNS1_14partition_implILS5_8ELb0ES3_jN6thrust23THRUST_200600_302600_NS6detail15normal_iteratorINSA_10device_ptrIyEEEEPS6_PKS6_NS0_5tupleIJSF_S6_EEENSJ_IJSG_SG_EEENS0_18inequality_wrapperINSA_8equal_toIyEEEEPmJS6_EEE10hipError_tPvRmT3_T4_T5_T6_T7_T9_mT8_P12ihipStream_tbDpT10_ENKUlT_T0_E_clISt17integral_constantIbLb1EES1A_EEDaS15_S16_EUlS15_E_NS1_11comp_targetILNS1_3genE9ELNS1_11target_archE1100ELNS1_3gpuE3ELNS1_3repE0EEENS1_30default_config_static_selectorELNS0_4arch9wavefront6targetE1EEEvT1_.num_vgpr, 0
	.set _ZN7rocprim17ROCPRIM_400000_NS6detail17trampoline_kernelINS0_14default_configENS1_25partition_config_selectorILNS1_17partition_subalgoE8EyNS0_10empty_typeEbEEZZNS1_14partition_implILS5_8ELb0ES3_jN6thrust23THRUST_200600_302600_NS6detail15normal_iteratorINSA_10device_ptrIyEEEEPS6_PKS6_NS0_5tupleIJSF_S6_EEENSJ_IJSG_SG_EEENS0_18inequality_wrapperINSA_8equal_toIyEEEEPmJS6_EEE10hipError_tPvRmT3_T4_T5_T6_T7_T9_mT8_P12ihipStream_tbDpT10_ENKUlT_T0_E_clISt17integral_constantIbLb1EES1A_EEDaS15_S16_EUlS15_E_NS1_11comp_targetILNS1_3genE9ELNS1_11target_archE1100ELNS1_3gpuE3ELNS1_3repE0EEENS1_30default_config_static_selectorELNS0_4arch9wavefront6targetE1EEEvT1_.num_agpr, 0
	.set _ZN7rocprim17ROCPRIM_400000_NS6detail17trampoline_kernelINS0_14default_configENS1_25partition_config_selectorILNS1_17partition_subalgoE8EyNS0_10empty_typeEbEEZZNS1_14partition_implILS5_8ELb0ES3_jN6thrust23THRUST_200600_302600_NS6detail15normal_iteratorINSA_10device_ptrIyEEEEPS6_PKS6_NS0_5tupleIJSF_S6_EEENSJ_IJSG_SG_EEENS0_18inequality_wrapperINSA_8equal_toIyEEEEPmJS6_EEE10hipError_tPvRmT3_T4_T5_T6_T7_T9_mT8_P12ihipStream_tbDpT10_ENKUlT_T0_E_clISt17integral_constantIbLb1EES1A_EEDaS15_S16_EUlS15_E_NS1_11comp_targetILNS1_3genE9ELNS1_11target_archE1100ELNS1_3gpuE3ELNS1_3repE0EEENS1_30default_config_static_selectorELNS0_4arch9wavefront6targetE1EEEvT1_.numbered_sgpr, 0
	.set _ZN7rocprim17ROCPRIM_400000_NS6detail17trampoline_kernelINS0_14default_configENS1_25partition_config_selectorILNS1_17partition_subalgoE8EyNS0_10empty_typeEbEEZZNS1_14partition_implILS5_8ELb0ES3_jN6thrust23THRUST_200600_302600_NS6detail15normal_iteratorINSA_10device_ptrIyEEEEPS6_PKS6_NS0_5tupleIJSF_S6_EEENSJ_IJSG_SG_EEENS0_18inequality_wrapperINSA_8equal_toIyEEEEPmJS6_EEE10hipError_tPvRmT3_T4_T5_T6_T7_T9_mT8_P12ihipStream_tbDpT10_ENKUlT_T0_E_clISt17integral_constantIbLb1EES1A_EEDaS15_S16_EUlS15_E_NS1_11comp_targetILNS1_3genE9ELNS1_11target_archE1100ELNS1_3gpuE3ELNS1_3repE0EEENS1_30default_config_static_selectorELNS0_4arch9wavefront6targetE1EEEvT1_.num_named_barrier, 0
	.set _ZN7rocprim17ROCPRIM_400000_NS6detail17trampoline_kernelINS0_14default_configENS1_25partition_config_selectorILNS1_17partition_subalgoE8EyNS0_10empty_typeEbEEZZNS1_14partition_implILS5_8ELb0ES3_jN6thrust23THRUST_200600_302600_NS6detail15normal_iteratorINSA_10device_ptrIyEEEEPS6_PKS6_NS0_5tupleIJSF_S6_EEENSJ_IJSG_SG_EEENS0_18inequality_wrapperINSA_8equal_toIyEEEEPmJS6_EEE10hipError_tPvRmT3_T4_T5_T6_T7_T9_mT8_P12ihipStream_tbDpT10_ENKUlT_T0_E_clISt17integral_constantIbLb1EES1A_EEDaS15_S16_EUlS15_E_NS1_11comp_targetILNS1_3genE9ELNS1_11target_archE1100ELNS1_3gpuE3ELNS1_3repE0EEENS1_30default_config_static_selectorELNS0_4arch9wavefront6targetE1EEEvT1_.private_seg_size, 0
	.set _ZN7rocprim17ROCPRIM_400000_NS6detail17trampoline_kernelINS0_14default_configENS1_25partition_config_selectorILNS1_17partition_subalgoE8EyNS0_10empty_typeEbEEZZNS1_14partition_implILS5_8ELb0ES3_jN6thrust23THRUST_200600_302600_NS6detail15normal_iteratorINSA_10device_ptrIyEEEEPS6_PKS6_NS0_5tupleIJSF_S6_EEENSJ_IJSG_SG_EEENS0_18inequality_wrapperINSA_8equal_toIyEEEEPmJS6_EEE10hipError_tPvRmT3_T4_T5_T6_T7_T9_mT8_P12ihipStream_tbDpT10_ENKUlT_T0_E_clISt17integral_constantIbLb1EES1A_EEDaS15_S16_EUlS15_E_NS1_11comp_targetILNS1_3genE9ELNS1_11target_archE1100ELNS1_3gpuE3ELNS1_3repE0EEENS1_30default_config_static_selectorELNS0_4arch9wavefront6targetE1EEEvT1_.uses_vcc, 0
	.set _ZN7rocprim17ROCPRIM_400000_NS6detail17trampoline_kernelINS0_14default_configENS1_25partition_config_selectorILNS1_17partition_subalgoE8EyNS0_10empty_typeEbEEZZNS1_14partition_implILS5_8ELb0ES3_jN6thrust23THRUST_200600_302600_NS6detail15normal_iteratorINSA_10device_ptrIyEEEEPS6_PKS6_NS0_5tupleIJSF_S6_EEENSJ_IJSG_SG_EEENS0_18inequality_wrapperINSA_8equal_toIyEEEEPmJS6_EEE10hipError_tPvRmT3_T4_T5_T6_T7_T9_mT8_P12ihipStream_tbDpT10_ENKUlT_T0_E_clISt17integral_constantIbLb1EES1A_EEDaS15_S16_EUlS15_E_NS1_11comp_targetILNS1_3genE9ELNS1_11target_archE1100ELNS1_3gpuE3ELNS1_3repE0EEENS1_30default_config_static_selectorELNS0_4arch9wavefront6targetE1EEEvT1_.uses_flat_scratch, 0
	.set _ZN7rocprim17ROCPRIM_400000_NS6detail17trampoline_kernelINS0_14default_configENS1_25partition_config_selectorILNS1_17partition_subalgoE8EyNS0_10empty_typeEbEEZZNS1_14partition_implILS5_8ELb0ES3_jN6thrust23THRUST_200600_302600_NS6detail15normal_iteratorINSA_10device_ptrIyEEEEPS6_PKS6_NS0_5tupleIJSF_S6_EEENSJ_IJSG_SG_EEENS0_18inequality_wrapperINSA_8equal_toIyEEEEPmJS6_EEE10hipError_tPvRmT3_T4_T5_T6_T7_T9_mT8_P12ihipStream_tbDpT10_ENKUlT_T0_E_clISt17integral_constantIbLb1EES1A_EEDaS15_S16_EUlS15_E_NS1_11comp_targetILNS1_3genE9ELNS1_11target_archE1100ELNS1_3gpuE3ELNS1_3repE0EEENS1_30default_config_static_selectorELNS0_4arch9wavefront6targetE1EEEvT1_.has_dyn_sized_stack, 0
	.set _ZN7rocprim17ROCPRIM_400000_NS6detail17trampoline_kernelINS0_14default_configENS1_25partition_config_selectorILNS1_17partition_subalgoE8EyNS0_10empty_typeEbEEZZNS1_14partition_implILS5_8ELb0ES3_jN6thrust23THRUST_200600_302600_NS6detail15normal_iteratorINSA_10device_ptrIyEEEEPS6_PKS6_NS0_5tupleIJSF_S6_EEENSJ_IJSG_SG_EEENS0_18inequality_wrapperINSA_8equal_toIyEEEEPmJS6_EEE10hipError_tPvRmT3_T4_T5_T6_T7_T9_mT8_P12ihipStream_tbDpT10_ENKUlT_T0_E_clISt17integral_constantIbLb1EES1A_EEDaS15_S16_EUlS15_E_NS1_11comp_targetILNS1_3genE9ELNS1_11target_archE1100ELNS1_3gpuE3ELNS1_3repE0EEENS1_30default_config_static_selectorELNS0_4arch9wavefront6targetE1EEEvT1_.has_recursion, 0
	.set _ZN7rocprim17ROCPRIM_400000_NS6detail17trampoline_kernelINS0_14default_configENS1_25partition_config_selectorILNS1_17partition_subalgoE8EyNS0_10empty_typeEbEEZZNS1_14partition_implILS5_8ELb0ES3_jN6thrust23THRUST_200600_302600_NS6detail15normal_iteratorINSA_10device_ptrIyEEEEPS6_PKS6_NS0_5tupleIJSF_S6_EEENSJ_IJSG_SG_EEENS0_18inequality_wrapperINSA_8equal_toIyEEEEPmJS6_EEE10hipError_tPvRmT3_T4_T5_T6_T7_T9_mT8_P12ihipStream_tbDpT10_ENKUlT_T0_E_clISt17integral_constantIbLb1EES1A_EEDaS15_S16_EUlS15_E_NS1_11comp_targetILNS1_3genE9ELNS1_11target_archE1100ELNS1_3gpuE3ELNS1_3repE0EEENS1_30default_config_static_selectorELNS0_4arch9wavefront6targetE1EEEvT1_.has_indirect_call, 0
	.section	.AMDGPU.csdata,"",@progbits
; Kernel info:
; codeLenInByte = 0
; TotalNumSgprs: 4
; NumVgprs: 0
; ScratchSize: 0
; MemoryBound: 0
; FloatMode: 240
; IeeeMode: 1
; LDSByteSize: 0 bytes/workgroup (compile time only)
; SGPRBlocks: 0
; VGPRBlocks: 0
; NumSGPRsForWavesPerEU: 4
; NumVGPRsForWavesPerEU: 1
; Occupancy: 10
; WaveLimiterHint : 0
; COMPUTE_PGM_RSRC2:SCRATCH_EN: 0
; COMPUTE_PGM_RSRC2:USER_SGPR: 6
; COMPUTE_PGM_RSRC2:TRAP_HANDLER: 0
; COMPUTE_PGM_RSRC2:TGID_X_EN: 1
; COMPUTE_PGM_RSRC2:TGID_Y_EN: 0
; COMPUTE_PGM_RSRC2:TGID_Z_EN: 0
; COMPUTE_PGM_RSRC2:TIDIG_COMP_CNT: 0
	.section	.text._ZN7rocprim17ROCPRIM_400000_NS6detail17trampoline_kernelINS0_14default_configENS1_25partition_config_selectorILNS1_17partition_subalgoE8EyNS0_10empty_typeEbEEZZNS1_14partition_implILS5_8ELb0ES3_jN6thrust23THRUST_200600_302600_NS6detail15normal_iteratorINSA_10device_ptrIyEEEEPS6_PKS6_NS0_5tupleIJSF_S6_EEENSJ_IJSG_SG_EEENS0_18inequality_wrapperINSA_8equal_toIyEEEEPmJS6_EEE10hipError_tPvRmT3_T4_T5_T6_T7_T9_mT8_P12ihipStream_tbDpT10_ENKUlT_T0_E_clISt17integral_constantIbLb1EES1A_EEDaS15_S16_EUlS15_E_NS1_11comp_targetILNS1_3genE8ELNS1_11target_archE1030ELNS1_3gpuE2ELNS1_3repE0EEENS1_30default_config_static_selectorELNS0_4arch9wavefront6targetE1EEEvT1_,"axG",@progbits,_ZN7rocprim17ROCPRIM_400000_NS6detail17trampoline_kernelINS0_14default_configENS1_25partition_config_selectorILNS1_17partition_subalgoE8EyNS0_10empty_typeEbEEZZNS1_14partition_implILS5_8ELb0ES3_jN6thrust23THRUST_200600_302600_NS6detail15normal_iteratorINSA_10device_ptrIyEEEEPS6_PKS6_NS0_5tupleIJSF_S6_EEENSJ_IJSG_SG_EEENS0_18inequality_wrapperINSA_8equal_toIyEEEEPmJS6_EEE10hipError_tPvRmT3_T4_T5_T6_T7_T9_mT8_P12ihipStream_tbDpT10_ENKUlT_T0_E_clISt17integral_constantIbLb1EES1A_EEDaS15_S16_EUlS15_E_NS1_11comp_targetILNS1_3genE8ELNS1_11target_archE1030ELNS1_3gpuE2ELNS1_3repE0EEENS1_30default_config_static_selectorELNS0_4arch9wavefront6targetE1EEEvT1_,comdat
	.protected	_ZN7rocprim17ROCPRIM_400000_NS6detail17trampoline_kernelINS0_14default_configENS1_25partition_config_selectorILNS1_17partition_subalgoE8EyNS0_10empty_typeEbEEZZNS1_14partition_implILS5_8ELb0ES3_jN6thrust23THRUST_200600_302600_NS6detail15normal_iteratorINSA_10device_ptrIyEEEEPS6_PKS6_NS0_5tupleIJSF_S6_EEENSJ_IJSG_SG_EEENS0_18inequality_wrapperINSA_8equal_toIyEEEEPmJS6_EEE10hipError_tPvRmT3_T4_T5_T6_T7_T9_mT8_P12ihipStream_tbDpT10_ENKUlT_T0_E_clISt17integral_constantIbLb1EES1A_EEDaS15_S16_EUlS15_E_NS1_11comp_targetILNS1_3genE8ELNS1_11target_archE1030ELNS1_3gpuE2ELNS1_3repE0EEENS1_30default_config_static_selectorELNS0_4arch9wavefront6targetE1EEEvT1_ ; -- Begin function _ZN7rocprim17ROCPRIM_400000_NS6detail17trampoline_kernelINS0_14default_configENS1_25partition_config_selectorILNS1_17partition_subalgoE8EyNS0_10empty_typeEbEEZZNS1_14partition_implILS5_8ELb0ES3_jN6thrust23THRUST_200600_302600_NS6detail15normal_iteratorINSA_10device_ptrIyEEEEPS6_PKS6_NS0_5tupleIJSF_S6_EEENSJ_IJSG_SG_EEENS0_18inequality_wrapperINSA_8equal_toIyEEEEPmJS6_EEE10hipError_tPvRmT3_T4_T5_T6_T7_T9_mT8_P12ihipStream_tbDpT10_ENKUlT_T0_E_clISt17integral_constantIbLb1EES1A_EEDaS15_S16_EUlS15_E_NS1_11comp_targetILNS1_3genE8ELNS1_11target_archE1030ELNS1_3gpuE2ELNS1_3repE0EEENS1_30default_config_static_selectorELNS0_4arch9wavefront6targetE1EEEvT1_
	.globl	_ZN7rocprim17ROCPRIM_400000_NS6detail17trampoline_kernelINS0_14default_configENS1_25partition_config_selectorILNS1_17partition_subalgoE8EyNS0_10empty_typeEbEEZZNS1_14partition_implILS5_8ELb0ES3_jN6thrust23THRUST_200600_302600_NS6detail15normal_iteratorINSA_10device_ptrIyEEEEPS6_PKS6_NS0_5tupleIJSF_S6_EEENSJ_IJSG_SG_EEENS0_18inequality_wrapperINSA_8equal_toIyEEEEPmJS6_EEE10hipError_tPvRmT3_T4_T5_T6_T7_T9_mT8_P12ihipStream_tbDpT10_ENKUlT_T0_E_clISt17integral_constantIbLb1EES1A_EEDaS15_S16_EUlS15_E_NS1_11comp_targetILNS1_3genE8ELNS1_11target_archE1030ELNS1_3gpuE2ELNS1_3repE0EEENS1_30default_config_static_selectorELNS0_4arch9wavefront6targetE1EEEvT1_
	.p2align	8
	.type	_ZN7rocprim17ROCPRIM_400000_NS6detail17trampoline_kernelINS0_14default_configENS1_25partition_config_selectorILNS1_17partition_subalgoE8EyNS0_10empty_typeEbEEZZNS1_14partition_implILS5_8ELb0ES3_jN6thrust23THRUST_200600_302600_NS6detail15normal_iteratorINSA_10device_ptrIyEEEEPS6_PKS6_NS0_5tupleIJSF_S6_EEENSJ_IJSG_SG_EEENS0_18inequality_wrapperINSA_8equal_toIyEEEEPmJS6_EEE10hipError_tPvRmT3_T4_T5_T6_T7_T9_mT8_P12ihipStream_tbDpT10_ENKUlT_T0_E_clISt17integral_constantIbLb1EES1A_EEDaS15_S16_EUlS15_E_NS1_11comp_targetILNS1_3genE8ELNS1_11target_archE1030ELNS1_3gpuE2ELNS1_3repE0EEENS1_30default_config_static_selectorELNS0_4arch9wavefront6targetE1EEEvT1_,@function
_ZN7rocprim17ROCPRIM_400000_NS6detail17trampoline_kernelINS0_14default_configENS1_25partition_config_selectorILNS1_17partition_subalgoE8EyNS0_10empty_typeEbEEZZNS1_14partition_implILS5_8ELb0ES3_jN6thrust23THRUST_200600_302600_NS6detail15normal_iteratorINSA_10device_ptrIyEEEEPS6_PKS6_NS0_5tupleIJSF_S6_EEENSJ_IJSG_SG_EEENS0_18inequality_wrapperINSA_8equal_toIyEEEEPmJS6_EEE10hipError_tPvRmT3_T4_T5_T6_T7_T9_mT8_P12ihipStream_tbDpT10_ENKUlT_T0_E_clISt17integral_constantIbLb1EES1A_EEDaS15_S16_EUlS15_E_NS1_11comp_targetILNS1_3genE8ELNS1_11target_archE1030ELNS1_3gpuE2ELNS1_3repE0EEENS1_30default_config_static_selectorELNS0_4arch9wavefront6targetE1EEEvT1_: ; @_ZN7rocprim17ROCPRIM_400000_NS6detail17trampoline_kernelINS0_14default_configENS1_25partition_config_selectorILNS1_17partition_subalgoE8EyNS0_10empty_typeEbEEZZNS1_14partition_implILS5_8ELb0ES3_jN6thrust23THRUST_200600_302600_NS6detail15normal_iteratorINSA_10device_ptrIyEEEEPS6_PKS6_NS0_5tupleIJSF_S6_EEENSJ_IJSG_SG_EEENS0_18inequality_wrapperINSA_8equal_toIyEEEEPmJS6_EEE10hipError_tPvRmT3_T4_T5_T6_T7_T9_mT8_P12ihipStream_tbDpT10_ENKUlT_T0_E_clISt17integral_constantIbLb1EES1A_EEDaS15_S16_EUlS15_E_NS1_11comp_targetILNS1_3genE8ELNS1_11target_archE1030ELNS1_3gpuE2ELNS1_3repE0EEENS1_30default_config_static_selectorELNS0_4arch9wavefront6targetE1EEEvT1_
; %bb.0:
	.section	.rodata,"a",@progbits
	.p2align	6, 0x0
	.amdhsa_kernel _ZN7rocprim17ROCPRIM_400000_NS6detail17trampoline_kernelINS0_14default_configENS1_25partition_config_selectorILNS1_17partition_subalgoE8EyNS0_10empty_typeEbEEZZNS1_14partition_implILS5_8ELb0ES3_jN6thrust23THRUST_200600_302600_NS6detail15normal_iteratorINSA_10device_ptrIyEEEEPS6_PKS6_NS0_5tupleIJSF_S6_EEENSJ_IJSG_SG_EEENS0_18inequality_wrapperINSA_8equal_toIyEEEEPmJS6_EEE10hipError_tPvRmT3_T4_T5_T6_T7_T9_mT8_P12ihipStream_tbDpT10_ENKUlT_T0_E_clISt17integral_constantIbLb1EES1A_EEDaS15_S16_EUlS15_E_NS1_11comp_targetILNS1_3genE8ELNS1_11target_archE1030ELNS1_3gpuE2ELNS1_3repE0EEENS1_30default_config_static_selectorELNS0_4arch9wavefront6targetE1EEEvT1_
		.amdhsa_group_segment_fixed_size 0
		.amdhsa_private_segment_fixed_size 0
		.amdhsa_kernarg_size 128
		.amdhsa_user_sgpr_count 6
		.amdhsa_user_sgpr_private_segment_buffer 1
		.amdhsa_user_sgpr_dispatch_ptr 0
		.amdhsa_user_sgpr_queue_ptr 0
		.amdhsa_user_sgpr_kernarg_segment_ptr 1
		.amdhsa_user_sgpr_dispatch_id 0
		.amdhsa_user_sgpr_flat_scratch_init 0
		.amdhsa_user_sgpr_private_segment_size 0
		.amdhsa_uses_dynamic_stack 0
		.amdhsa_system_sgpr_private_segment_wavefront_offset 0
		.amdhsa_system_sgpr_workgroup_id_x 1
		.amdhsa_system_sgpr_workgroup_id_y 0
		.amdhsa_system_sgpr_workgroup_id_z 0
		.amdhsa_system_sgpr_workgroup_info 0
		.amdhsa_system_vgpr_workitem_id 0
		.amdhsa_next_free_vgpr 1
		.amdhsa_next_free_sgpr 0
		.amdhsa_reserve_vcc 0
		.amdhsa_reserve_flat_scratch 0
		.amdhsa_float_round_mode_32 0
		.amdhsa_float_round_mode_16_64 0
		.amdhsa_float_denorm_mode_32 3
		.amdhsa_float_denorm_mode_16_64 3
		.amdhsa_dx10_clamp 1
		.amdhsa_ieee_mode 1
		.amdhsa_fp16_overflow 0
		.amdhsa_exception_fp_ieee_invalid_op 0
		.amdhsa_exception_fp_denorm_src 0
		.amdhsa_exception_fp_ieee_div_zero 0
		.amdhsa_exception_fp_ieee_overflow 0
		.amdhsa_exception_fp_ieee_underflow 0
		.amdhsa_exception_fp_ieee_inexact 0
		.amdhsa_exception_int_div_zero 0
	.end_amdhsa_kernel
	.section	.text._ZN7rocprim17ROCPRIM_400000_NS6detail17trampoline_kernelINS0_14default_configENS1_25partition_config_selectorILNS1_17partition_subalgoE8EyNS0_10empty_typeEbEEZZNS1_14partition_implILS5_8ELb0ES3_jN6thrust23THRUST_200600_302600_NS6detail15normal_iteratorINSA_10device_ptrIyEEEEPS6_PKS6_NS0_5tupleIJSF_S6_EEENSJ_IJSG_SG_EEENS0_18inequality_wrapperINSA_8equal_toIyEEEEPmJS6_EEE10hipError_tPvRmT3_T4_T5_T6_T7_T9_mT8_P12ihipStream_tbDpT10_ENKUlT_T0_E_clISt17integral_constantIbLb1EES1A_EEDaS15_S16_EUlS15_E_NS1_11comp_targetILNS1_3genE8ELNS1_11target_archE1030ELNS1_3gpuE2ELNS1_3repE0EEENS1_30default_config_static_selectorELNS0_4arch9wavefront6targetE1EEEvT1_,"axG",@progbits,_ZN7rocprim17ROCPRIM_400000_NS6detail17trampoline_kernelINS0_14default_configENS1_25partition_config_selectorILNS1_17partition_subalgoE8EyNS0_10empty_typeEbEEZZNS1_14partition_implILS5_8ELb0ES3_jN6thrust23THRUST_200600_302600_NS6detail15normal_iteratorINSA_10device_ptrIyEEEEPS6_PKS6_NS0_5tupleIJSF_S6_EEENSJ_IJSG_SG_EEENS0_18inequality_wrapperINSA_8equal_toIyEEEEPmJS6_EEE10hipError_tPvRmT3_T4_T5_T6_T7_T9_mT8_P12ihipStream_tbDpT10_ENKUlT_T0_E_clISt17integral_constantIbLb1EES1A_EEDaS15_S16_EUlS15_E_NS1_11comp_targetILNS1_3genE8ELNS1_11target_archE1030ELNS1_3gpuE2ELNS1_3repE0EEENS1_30default_config_static_selectorELNS0_4arch9wavefront6targetE1EEEvT1_,comdat
.Lfunc_end160:
	.size	_ZN7rocprim17ROCPRIM_400000_NS6detail17trampoline_kernelINS0_14default_configENS1_25partition_config_selectorILNS1_17partition_subalgoE8EyNS0_10empty_typeEbEEZZNS1_14partition_implILS5_8ELb0ES3_jN6thrust23THRUST_200600_302600_NS6detail15normal_iteratorINSA_10device_ptrIyEEEEPS6_PKS6_NS0_5tupleIJSF_S6_EEENSJ_IJSG_SG_EEENS0_18inequality_wrapperINSA_8equal_toIyEEEEPmJS6_EEE10hipError_tPvRmT3_T4_T5_T6_T7_T9_mT8_P12ihipStream_tbDpT10_ENKUlT_T0_E_clISt17integral_constantIbLb1EES1A_EEDaS15_S16_EUlS15_E_NS1_11comp_targetILNS1_3genE8ELNS1_11target_archE1030ELNS1_3gpuE2ELNS1_3repE0EEENS1_30default_config_static_selectorELNS0_4arch9wavefront6targetE1EEEvT1_, .Lfunc_end160-_ZN7rocprim17ROCPRIM_400000_NS6detail17trampoline_kernelINS0_14default_configENS1_25partition_config_selectorILNS1_17partition_subalgoE8EyNS0_10empty_typeEbEEZZNS1_14partition_implILS5_8ELb0ES3_jN6thrust23THRUST_200600_302600_NS6detail15normal_iteratorINSA_10device_ptrIyEEEEPS6_PKS6_NS0_5tupleIJSF_S6_EEENSJ_IJSG_SG_EEENS0_18inequality_wrapperINSA_8equal_toIyEEEEPmJS6_EEE10hipError_tPvRmT3_T4_T5_T6_T7_T9_mT8_P12ihipStream_tbDpT10_ENKUlT_T0_E_clISt17integral_constantIbLb1EES1A_EEDaS15_S16_EUlS15_E_NS1_11comp_targetILNS1_3genE8ELNS1_11target_archE1030ELNS1_3gpuE2ELNS1_3repE0EEENS1_30default_config_static_selectorELNS0_4arch9wavefront6targetE1EEEvT1_
                                        ; -- End function
	.set _ZN7rocprim17ROCPRIM_400000_NS6detail17trampoline_kernelINS0_14default_configENS1_25partition_config_selectorILNS1_17partition_subalgoE8EyNS0_10empty_typeEbEEZZNS1_14partition_implILS5_8ELb0ES3_jN6thrust23THRUST_200600_302600_NS6detail15normal_iteratorINSA_10device_ptrIyEEEEPS6_PKS6_NS0_5tupleIJSF_S6_EEENSJ_IJSG_SG_EEENS0_18inequality_wrapperINSA_8equal_toIyEEEEPmJS6_EEE10hipError_tPvRmT3_T4_T5_T6_T7_T9_mT8_P12ihipStream_tbDpT10_ENKUlT_T0_E_clISt17integral_constantIbLb1EES1A_EEDaS15_S16_EUlS15_E_NS1_11comp_targetILNS1_3genE8ELNS1_11target_archE1030ELNS1_3gpuE2ELNS1_3repE0EEENS1_30default_config_static_selectorELNS0_4arch9wavefront6targetE1EEEvT1_.num_vgpr, 0
	.set _ZN7rocprim17ROCPRIM_400000_NS6detail17trampoline_kernelINS0_14default_configENS1_25partition_config_selectorILNS1_17partition_subalgoE8EyNS0_10empty_typeEbEEZZNS1_14partition_implILS5_8ELb0ES3_jN6thrust23THRUST_200600_302600_NS6detail15normal_iteratorINSA_10device_ptrIyEEEEPS6_PKS6_NS0_5tupleIJSF_S6_EEENSJ_IJSG_SG_EEENS0_18inequality_wrapperINSA_8equal_toIyEEEEPmJS6_EEE10hipError_tPvRmT3_T4_T5_T6_T7_T9_mT8_P12ihipStream_tbDpT10_ENKUlT_T0_E_clISt17integral_constantIbLb1EES1A_EEDaS15_S16_EUlS15_E_NS1_11comp_targetILNS1_3genE8ELNS1_11target_archE1030ELNS1_3gpuE2ELNS1_3repE0EEENS1_30default_config_static_selectorELNS0_4arch9wavefront6targetE1EEEvT1_.num_agpr, 0
	.set _ZN7rocprim17ROCPRIM_400000_NS6detail17trampoline_kernelINS0_14default_configENS1_25partition_config_selectorILNS1_17partition_subalgoE8EyNS0_10empty_typeEbEEZZNS1_14partition_implILS5_8ELb0ES3_jN6thrust23THRUST_200600_302600_NS6detail15normal_iteratorINSA_10device_ptrIyEEEEPS6_PKS6_NS0_5tupleIJSF_S6_EEENSJ_IJSG_SG_EEENS0_18inequality_wrapperINSA_8equal_toIyEEEEPmJS6_EEE10hipError_tPvRmT3_T4_T5_T6_T7_T9_mT8_P12ihipStream_tbDpT10_ENKUlT_T0_E_clISt17integral_constantIbLb1EES1A_EEDaS15_S16_EUlS15_E_NS1_11comp_targetILNS1_3genE8ELNS1_11target_archE1030ELNS1_3gpuE2ELNS1_3repE0EEENS1_30default_config_static_selectorELNS0_4arch9wavefront6targetE1EEEvT1_.numbered_sgpr, 0
	.set _ZN7rocprim17ROCPRIM_400000_NS6detail17trampoline_kernelINS0_14default_configENS1_25partition_config_selectorILNS1_17partition_subalgoE8EyNS0_10empty_typeEbEEZZNS1_14partition_implILS5_8ELb0ES3_jN6thrust23THRUST_200600_302600_NS6detail15normal_iteratorINSA_10device_ptrIyEEEEPS6_PKS6_NS0_5tupleIJSF_S6_EEENSJ_IJSG_SG_EEENS0_18inequality_wrapperINSA_8equal_toIyEEEEPmJS6_EEE10hipError_tPvRmT3_T4_T5_T6_T7_T9_mT8_P12ihipStream_tbDpT10_ENKUlT_T0_E_clISt17integral_constantIbLb1EES1A_EEDaS15_S16_EUlS15_E_NS1_11comp_targetILNS1_3genE8ELNS1_11target_archE1030ELNS1_3gpuE2ELNS1_3repE0EEENS1_30default_config_static_selectorELNS0_4arch9wavefront6targetE1EEEvT1_.num_named_barrier, 0
	.set _ZN7rocprim17ROCPRIM_400000_NS6detail17trampoline_kernelINS0_14default_configENS1_25partition_config_selectorILNS1_17partition_subalgoE8EyNS0_10empty_typeEbEEZZNS1_14partition_implILS5_8ELb0ES3_jN6thrust23THRUST_200600_302600_NS6detail15normal_iteratorINSA_10device_ptrIyEEEEPS6_PKS6_NS0_5tupleIJSF_S6_EEENSJ_IJSG_SG_EEENS0_18inequality_wrapperINSA_8equal_toIyEEEEPmJS6_EEE10hipError_tPvRmT3_T4_T5_T6_T7_T9_mT8_P12ihipStream_tbDpT10_ENKUlT_T0_E_clISt17integral_constantIbLb1EES1A_EEDaS15_S16_EUlS15_E_NS1_11comp_targetILNS1_3genE8ELNS1_11target_archE1030ELNS1_3gpuE2ELNS1_3repE0EEENS1_30default_config_static_selectorELNS0_4arch9wavefront6targetE1EEEvT1_.private_seg_size, 0
	.set _ZN7rocprim17ROCPRIM_400000_NS6detail17trampoline_kernelINS0_14default_configENS1_25partition_config_selectorILNS1_17partition_subalgoE8EyNS0_10empty_typeEbEEZZNS1_14partition_implILS5_8ELb0ES3_jN6thrust23THRUST_200600_302600_NS6detail15normal_iteratorINSA_10device_ptrIyEEEEPS6_PKS6_NS0_5tupleIJSF_S6_EEENSJ_IJSG_SG_EEENS0_18inequality_wrapperINSA_8equal_toIyEEEEPmJS6_EEE10hipError_tPvRmT3_T4_T5_T6_T7_T9_mT8_P12ihipStream_tbDpT10_ENKUlT_T0_E_clISt17integral_constantIbLb1EES1A_EEDaS15_S16_EUlS15_E_NS1_11comp_targetILNS1_3genE8ELNS1_11target_archE1030ELNS1_3gpuE2ELNS1_3repE0EEENS1_30default_config_static_selectorELNS0_4arch9wavefront6targetE1EEEvT1_.uses_vcc, 0
	.set _ZN7rocprim17ROCPRIM_400000_NS6detail17trampoline_kernelINS0_14default_configENS1_25partition_config_selectorILNS1_17partition_subalgoE8EyNS0_10empty_typeEbEEZZNS1_14partition_implILS5_8ELb0ES3_jN6thrust23THRUST_200600_302600_NS6detail15normal_iteratorINSA_10device_ptrIyEEEEPS6_PKS6_NS0_5tupleIJSF_S6_EEENSJ_IJSG_SG_EEENS0_18inequality_wrapperINSA_8equal_toIyEEEEPmJS6_EEE10hipError_tPvRmT3_T4_T5_T6_T7_T9_mT8_P12ihipStream_tbDpT10_ENKUlT_T0_E_clISt17integral_constantIbLb1EES1A_EEDaS15_S16_EUlS15_E_NS1_11comp_targetILNS1_3genE8ELNS1_11target_archE1030ELNS1_3gpuE2ELNS1_3repE0EEENS1_30default_config_static_selectorELNS0_4arch9wavefront6targetE1EEEvT1_.uses_flat_scratch, 0
	.set _ZN7rocprim17ROCPRIM_400000_NS6detail17trampoline_kernelINS0_14default_configENS1_25partition_config_selectorILNS1_17partition_subalgoE8EyNS0_10empty_typeEbEEZZNS1_14partition_implILS5_8ELb0ES3_jN6thrust23THRUST_200600_302600_NS6detail15normal_iteratorINSA_10device_ptrIyEEEEPS6_PKS6_NS0_5tupleIJSF_S6_EEENSJ_IJSG_SG_EEENS0_18inequality_wrapperINSA_8equal_toIyEEEEPmJS6_EEE10hipError_tPvRmT3_T4_T5_T6_T7_T9_mT8_P12ihipStream_tbDpT10_ENKUlT_T0_E_clISt17integral_constantIbLb1EES1A_EEDaS15_S16_EUlS15_E_NS1_11comp_targetILNS1_3genE8ELNS1_11target_archE1030ELNS1_3gpuE2ELNS1_3repE0EEENS1_30default_config_static_selectorELNS0_4arch9wavefront6targetE1EEEvT1_.has_dyn_sized_stack, 0
	.set _ZN7rocprim17ROCPRIM_400000_NS6detail17trampoline_kernelINS0_14default_configENS1_25partition_config_selectorILNS1_17partition_subalgoE8EyNS0_10empty_typeEbEEZZNS1_14partition_implILS5_8ELb0ES3_jN6thrust23THRUST_200600_302600_NS6detail15normal_iteratorINSA_10device_ptrIyEEEEPS6_PKS6_NS0_5tupleIJSF_S6_EEENSJ_IJSG_SG_EEENS0_18inequality_wrapperINSA_8equal_toIyEEEEPmJS6_EEE10hipError_tPvRmT3_T4_T5_T6_T7_T9_mT8_P12ihipStream_tbDpT10_ENKUlT_T0_E_clISt17integral_constantIbLb1EES1A_EEDaS15_S16_EUlS15_E_NS1_11comp_targetILNS1_3genE8ELNS1_11target_archE1030ELNS1_3gpuE2ELNS1_3repE0EEENS1_30default_config_static_selectorELNS0_4arch9wavefront6targetE1EEEvT1_.has_recursion, 0
	.set _ZN7rocprim17ROCPRIM_400000_NS6detail17trampoline_kernelINS0_14default_configENS1_25partition_config_selectorILNS1_17partition_subalgoE8EyNS0_10empty_typeEbEEZZNS1_14partition_implILS5_8ELb0ES3_jN6thrust23THRUST_200600_302600_NS6detail15normal_iteratorINSA_10device_ptrIyEEEEPS6_PKS6_NS0_5tupleIJSF_S6_EEENSJ_IJSG_SG_EEENS0_18inequality_wrapperINSA_8equal_toIyEEEEPmJS6_EEE10hipError_tPvRmT3_T4_T5_T6_T7_T9_mT8_P12ihipStream_tbDpT10_ENKUlT_T0_E_clISt17integral_constantIbLb1EES1A_EEDaS15_S16_EUlS15_E_NS1_11comp_targetILNS1_3genE8ELNS1_11target_archE1030ELNS1_3gpuE2ELNS1_3repE0EEENS1_30default_config_static_selectorELNS0_4arch9wavefront6targetE1EEEvT1_.has_indirect_call, 0
	.section	.AMDGPU.csdata,"",@progbits
; Kernel info:
; codeLenInByte = 0
; TotalNumSgprs: 4
; NumVgprs: 0
; ScratchSize: 0
; MemoryBound: 0
; FloatMode: 240
; IeeeMode: 1
; LDSByteSize: 0 bytes/workgroup (compile time only)
; SGPRBlocks: 0
; VGPRBlocks: 0
; NumSGPRsForWavesPerEU: 4
; NumVGPRsForWavesPerEU: 1
; Occupancy: 10
; WaveLimiterHint : 0
; COMPUTE_PGM_RSRC2:SCRATCH_EN: 0
; COMPUTE_PGM_RSRC2:USER_SGPR: 6
; COMPUTE_PGM_RSRC2:TRAP_HANDLER: 0
; COMPUTE_PGM_RSRC2:TGID_X_EN: 1
; COMPUTE_PGM_RSRC2:TGID_Y_EN: 0
; COMPUTE_PGM_RSRC2:TGID_Z_EN: 0
; COMPUTE_PGM_RSRC2:TIDIG_COMP_CNT: 0
	.section	.text._ZN7rocprim17ROCPRIM_400000_NS6detail17trampoline_kernelINS0_14default_configENS1_25partition_config_selectorILNS1_17partition_subalgoE8EyNS0_10empty_typeEbEEZZNS1_14partition_implILS5_8ELb0ES3_jN6thrust23THRUST_200600_302600_NS6detail15normal_iteratorINSA_10device_ptrIyEEEEPS6_PKS6_NS0_5tupleIJSF_S6_EEENSJ_IJSG_SG_EEENS0_18inequality_wrapperINSA_8equal_toIyEEEEPmJS6_EEE10hipError_tPvRmT3_T4_T5_T6_T7_T9_mT8_P12ihipStream_tbDpT10_ENKUlT_T0_E_clISt17integral_constantIbLb1EES19_IbLb0EEEEDaS15_S16_EUlS15_E_NS1_11comp_targetILNS1_3genE0ELNS1_11target_archE4294967295ELNS1_3gpuE0ELNS1_3repE0EEENS1_30default_config_static_selectorELNS0_4arch9wavefront6targetE1EEEvT1_,"axG",@progbits,_ZN7rocprim17ROCPRIM_400000_NS6detail17trampoline_kernelINS0_14default_configENS1_25partition_config_selectorILNS1_17partition_subalgoE8EyNS0_10empty_typeEbEEZZNS1_14partition_implILS5_8ELb0ES3_jN6thrust23THRUST_200600_302600_NS6detail15normal_iteratorINSA_10device_ptrIyEEEEPS6_PKS6_NS0_5tupleIJSF_S6_EEENSJ_IJSG_SG_EEENS0_18inequality_wrapperINSA_8equal_toIyEEEEPmJS6_EEE10hipError_tPvRmT3_T4_T5_T6_T7_T9_mT8_P12ihipStream_tbDpT10_ENKUlT_T0_E_clISt17integral_constantIbLb1EES19_IbLb0EEEEDaS15_S16_EUlS15_E_NS1_11comp_targetILNS1_3genE0ELNS1_11target_archE4294967295ELNS1_3gpuE0ELNS1_3repE0EEENS1_30default_config_static_selectorELNS0_4arch9wavefront6targetE1EEEvT1_,comdat
	.protected	_ZN7rocprim17ROCPRIM_400000_NS6detail17trampoline_kernelINS0_14default_configENS1_25partition_config_selectorILNS1_17partition_subalgoE8EyNS0_10empty_typeEbEEZZNS1_14partition_implILS5_8ELb0ES3_jN6thrust23THRUST_200600_302600_NS6detail15normal_iteratorINSA_10device_ptrIyEEEEPS6_PKS6_NS0_5tupleIJSF_S6_EEENSJ_IJSG_SG_EEENS0_18inequality_wrapperINSA_8equal_toIyEEEEPmJS6_EEE10hipError_tPvRmT3_T4_T5_T6_T7_T9_mT8_P12ihipStream_tbDpT10_ENKUlT_T0_E_clISt17integral_constantIbLb1EES19_IbLb0EEEEDaS15_S16_EUlS15_E_NS1_11comp_targetILNS1_3genE0ELNS1_11target_archE4294967295ELNS1_3gpuE0ELNS1_3repE0EEENS1_30default_config_static_selectorELNS0_4arch9wavefront6targetE1EEEvT1_ ; -- Begin function _ZN7rocprim17ROCPRIM_400000_NS6detail17trampoline_kernelINS0_14default_configENS1_25partition_config_selectorILNS1_17partition_subalgoE8EyNS0_10empty_typeEbEEZZNS1_14partition_implILS5_8ELb0ES3_jN6thrust23THRUST_200600_302600_NS6detail15normal_iteratorINSA_10device_ptrIyEEEEPS6_PKS6_NS0_5tupleIJSF_S6_EEENSJ_IJSG_SG_EEENS0_18inequality_wrapperINSA_8equal_toIyEEEEPmJS6_EEE10hipError_tPvRmT3_T4_T5_T6_T7_T9_mT8_P12ihipStream_tbDpT10_ENKUlT_T0_E_clISt17integral_constantIbLb1EES19_IbLb0EEEEDaS15_S16_EUlS15_E_NS1_11comp_targetILNS1_3genE0ELNS1_11target_archE4294967295ELNS1_3gpuE0ELNS1_3repE0EEENS1_30default_config_static_selectorELNS0_4arch9wavefront6targetE1EEEvT1_
	.globl	_ZN7rocprim17ROCPRIM_400000_NS6detail17trampoline_kernelINS0_14default_configENS1_25partition_config_selectorILNS1_17partition_subalgoE8EyNS0_10empty_typeEbEEZZNS1_14partition_implILS5_8ELb0ES3_jN6thrust23THRUST_200600_302600_NS6detail15normal_iteratorINSA_10device_ptrIyEEEEPS6_PKS6_NS0_5tupleIJSF_S6_EEENSJ_IJSG_SG_EEENS0_18inequality_wrapperINSA_8equal_toIyEEEEPmJS6_EEE10hipError_tPvRmT3_T4_T5_T6_T7_T9_mT8_P12ihipStream_tbDpT10_ENKUlT_T0_E_clISt17integral_constantIbLb1EES19_IbLb0EEEEDaS15_S16_EUlS15_E_NS1_11comp_targetILNS1_3genE0ELNS1_11target_archE4294967295ELNS1_3gpuE0ELNS1_3repE0EEENS1_30default_config_static_selectorELNS0_4arch9wavefront6targetE1EEEvT1_
	.p2align	8
	.type	_ZN7rocprim17ROCPRIM_400000_NS6detail17trampoline_kernelINS0_14default_configENS1_25partition_config_selectorILNS1_17partition_subalgoE8EyNS0_10empty_typeEbEEZZNS1_14partition_implILS5_8ELb0ES3_jN6thrust23THRUST_200600_302600_NS6detail15normal_iteratorINSA_10device_ptrIyEEEEPS6_PKS6_NS0_5tupleIJSF_S6_EEENSJ_IJSG_SG_EEENS0_18inequality_wrapperINSA_8equal_toIyEEEEPmJS6_EEE10hipError_tPvRmT3_T4_T5_T6_T7_T9_mT8_P12ihipStream_tbDpT10_ENKUlT_T0_E_clISt17integral_constantIbLb1EES19_IbLb0EEEEDaS15_S16_EUlS15_E_NS1_11comp_targetILNS1_3genE0ELNS1_11target_archE4294967295ELNS1_3gpuE0ELNS1_3repE0EEENS1_30default_config_static_selectorELNS0_4arch9wavefront6targetE1EEEvT1_,@function
_ZN7rocprim17ROCPRIM_400000_NS6detail17trampoline_kernelINS0_14default_configENS1_25partition_config_selectorILNS1_17partition_subalgoE8EyNS0_10empty_typeEbEEZZNS1_14partition_implILS5_8ELb0ES3_jN6thrust23THRUST_200600_302600_NS6detail15normal_iteratorINSA_10device_ptrIyEEEEPS6_PKS6_NS0_5tupleIJSF_S6_EEENSJ_IJSG_SG_EEENS0_18inequality_wrapperINSA_8equal_toIyEEEEPmJS6_EEE10hipError_tPvRmT3_T4_T5_T6_T7_T9_mT8_P12ihipStream_tbDpT10_ENKUlT_T0_E_clISt17integral_constantIbLb1EES19_IbLb0EEEEDaS15_S16_EUlS15_E_NS1_11comp_targetILNS1_3genE0ELNS1_11target_archE4294967295ELNS1_3gpuE0ELNS1_3repE0EEENS1_30default_config_static_selectorELNS0_4arch9wavefront6targetE1EEEvT1_: ; @_ZN7rocprim17ROCPRIM_400000_NS6detail17trampoline_kernelINS0_14default_configENS1_25partition_config_selectorILNS1_17partition_subalgoE8EyNS0_10empty_typeEbEEZZNS1_14partition_implILS5_8ELb0ES3_jN6thrust23THRUST_200600_302600_NS6detail15normal_iteratorINSA_10device_ptrIyEEEEPS6_PKS6_NS0_5tupleIJSF_S6_EEENSJ_IJSG_SG_EEENS0_18inequality_wrapperINSA_8equal_toIyEEEEPmJS6_EEE10hipError_tPvRmT3_T4_T5_T6_T7_T9_mT8_P12ihipStream_tbDpT10_ENKUlT_T0_E_clISt17integral_constantIbLb1EES19_IbLb0EEEEDaS15_S16_EUlS15_E_NS1_11comp_targetILNS1_3genE0ELNS1_11target_archE4294967295ELNS1_3gpuE0ELNS1_3repE0EEENS1_30default_config_static_selectorELNS0_4arch9wavefront6targetE1EEEvT1_
; %bb.0:
	.section	.rodata,"a",@progbits
	.p2align	6, 0x0
	.amdhsa_kernel _ZN7rocprim17ROCPRIM_400000_NS6detail17trampoline_kernelINS0_14default_configENS1_25partition_config_selectorILNS1_17partition_subalgoE8EyNS0_10empty_typeEbEEZZNS1_14partition_implILS5_8ELb0ES3_jN6thrust23THRUST_200600_302600_NS6detail15normal_iteratorINSA_10device_ptrIyEEEEPS6_PKS6_NS0_5tupleIJSF_S6_EEENSJ_IJSG_SG_EEENS0_18inequality_wrapperINSA_8equal_toIyEEEEPmJS6_EEE10hipError_tPvRmT3_T4_T5_T6_T7_T9_mT8_P12ihipStream_tbDpT10_ENKUlT_T0_E_clISt17integral_constantIbLb1EES19_IbLb0EEEEDaS15_S16_EUlS15_E_NS1_11comp_targetILNS1_3genE0ELNS1_11target_archE4294967295ELNS1_3gpuE0ELNS1_3repE0EEENS1_30default_config_static_selectorELNS0_4arch9wavefront6targetE1EEEvT1_
		.amdhsa_group_segment_fixed_size 0
		.amdhsa_private_segment_fixed_size 0
		.amdhsa_kernarg_size 112
		.amdhsa_user_sgpr_count 6
		.amdhsa_user_sgpr_private_segment_buffer 1
		.amdhsa_user_sgpr_dispatch_ptr 0
		.amdhsa_user_sgpr_queue_ptr 0
		.amdhsa_user_sgpr_kernarg_segment_ptr 1
		.amdhsa_user_sgpr_dispatch_id 0
		.amdhsa_user_sgpr_flat_scratch_init 0
		.amdhsa_user_sgpr_private_segment_size 0
		.amdhsa_uses_dynamic_stack 0
		.amdhsa_system_sgpr_private_segment_wavefront_offset 0
		.amdhsa_system_sgpr_workgroup_id_x 1
		.amdhsa_system_sgpr_workgroup_id_y 0
		.amdhsa_system_sgpr_workgroup_id_z 0
		.amdhsa_system_sgpr_workgroup_info 0
		.amdhsa_system_vgpr_workitem_id 0
		.amdhsa_next_free_vgpr 1
		.amdhsa_next_free_sgpr 0
		.amdhsa_reserve_vcc 0
		.amdhsa_reserve_flat_scratch 0
		.amdhsa_float_round_mode_32 0
		.amdhsa_float_round_mode_16_64 0
		.amdhsa_float_denorm_mode_32 3
		.amdhsa_float_denorm_mode_16_64 3
		.amdhsa_dx10_clamp 1
		.amdhsa_ieee_mode 1
		.amdhsa_fp16_overflow 0
		.amdhsa_exception_fp_ieee_invalid_op 0
		.amdhsa_exception_fp_denorm_src 0
		.amdhsa_exception_fp_ieee_div_zero 0
		.amdhsa_exception_fp_ieee_overflow 0
		.amdhsa_exception_fp_ieee_underflow 0
		.amdhsa_exception_fp_ieee_inexact 0
		.amdhsa_exception_int_div_zero 0
	.end_amdhsa_kernel
	.section	.text._ZN7rocprim17ROCPRIM_400000_NS6detail17trampoline_kernelINS0_14default_configENS1_25partition_config_selectorILNS1_17partition_subalgoE8EyNS0_10empty_typeEbEEZZNS1_14partition_implILS5_8ELb0ES3_jN6thrust23THRUST_200600_302600_NS6detail15normal_iteratorINSA_10device_ptrIyEEEEPS6_PKS6_NS0_5tupleIJSF_S6_EEENSJ_IJSG_SG_EEENS0_18inequality_wrapperINSA_8equal_toIyEEEEPmJS6_EEE10hipError_tPvRmT3_T4_T5_T6_T7_T9_mT8_P12ihipStream_tbDpT10_ENKUlT_T0_E_clISt17integral_constantIbLb1EES19_IbLb0EEEEDaS15_S16_EUlS15_E_NS1_11comp_targetILNS1_3genE0ELNS1_11target_archE4294967295ELNS1_3gpuE0ELNS1_3repE0EEENS1_30default_config_static_selectorELNS0_4arch9wavefront6targetE1EEEvT1_,"axG",@progbits,_ZN7rocprim17ROCPRIM_400000_NS6detail17trampoline_kernelINS0_14default_configENS1_25partition_config_selectorILNS1_17partition_subalgoE8EyNS0_10empty_typeEbEEZZNS1_14partition_implILS5_8ELb0ES3_jN6thrust23THRUST_200600_302600_NS6detail15normal_iteratorINSA_10device_ptrIyEEEEPS6_PKS6_NS0_5tupleIJSF_S6_EEENSJ_IJSG_SG_EEENS0_18inequality_wrapperINSA_8equal_toIyEEEEPmJS6_EEE10hipError_tPvRmT3_T4_T5_T6_T7_T9_mT8_P12ihipStream_tbDpT10_ENKUlT_T0_E_clISt17integral_constantIbLb1EES19_IbLb0EEEEDaS15_S16_EUlS15_E_NS1_11comp_targetILNS1_3genE0ELNS1_11target_archE4294967295ELNS1_3gpuE0ELNS1_3repE0EEENS1_30default_config_static_selectorELNS0_4arch9wavefront6targetE1EEEvT1_,comdat
.Lfunc_end161:
	.size	_ZN7rocprim17ROCPRIM_400000_NS6detail17trampoline_kernelINS0_14default_configENS1_25partition_config_selectorILNS1_17partition_subalgoE8EyNS0_10empty_typeEbEEZZNS1_14partition_implILS5_8ELb0ES3_jN6thrust23THRUST_200600_302600_NS6detail15normal_iteratorINSA_10device_ptrIyEEEEPS6_PKS6_NS0_5tupleIJSF_S6_EEENSJ_IJSG_SG_EEENS0_18inequality_wrapperINSA_8equal_toIyEEEEPmJS6_EEE10hipError_tPvRmT3_T4_T5_T6_T7_T9_mT8_P12ihipStream_tbDpT10_ENKUlT_T0_E_clISt17integral_constantIbLb1EES19_IbLb0EEEEDaS15_S16_EUlS15_E_NS1_11comp_targetILNS1_3genE0ELNS1_11target_archE4294967295ELNS1_3gpuE0ELNS1_3repE0EEENS1_30default_config_static_selectorELNS0_4arch9wavefront6targetE1EEEvT1_, .Lfunc_end161-_ZN7rocprim17ROCPRIM_400000_NS6detail17trampoline_kernelINS0_14default_configENS1_25partition_config_selectorILNS1_17partition_subalgoE8EyNS0_10empty_typeEbEEZZNS1_14partition_implILS5_8ELb0ES3_jN6thrust23THRUST_200600_302600_NS6detail15normal_iteratorINSA_10device_ptrIyEEEEPS6_PKS6_NS0_5tupleIJSF_S6_EEENSJ_IJSG_SG_EEENS0_18inequality_wrapperINSA_8equal_toIyEEEEPmJS6_EEE10hipError_tPvRmT3_T4_T5_T6_T7_T9_mT8_P12ihipStream_tbDpT10_ENKUlT_T0_E_clISt17integral_constantIbLb1EES19_IbLb0EEEEDaS15_S16_EUlS15_E_NS1_11comp_targetILNS1_3genE0ELNS1_11target_archE4294967295ELNS1_3gpuE0ELNS1_3repE0EEENS1_30default_config_static_selectorELNS0_4arch9wavefront6targetE1EEEvT1_
                                        ; -- End function
	.set _ZN7rocprim17ROCPRIM_400000_NS6detail17trampoline_kernelINS0_14default_configENS1_25partition_config_selectorILNS1_17partition_subalgoE8EyNS0_10empty_typeEbEEZZNS1_14partition_implILS5_8ELb0ES3_jN6thrust23THRUST_200600_302600_NS6detail15normal_iteratorINSA_10device_ptrIyEEEEPS6_PKS6_NS0_5tupleIJSF_S6_EEENSJ_IJSG_SG_EEENS0_18inequality_wrapperINSA_8equal_toIyEEEEPmJS6_EEE10hipError_tPvRmT3_T4_T5_T6_T7_T9_mT8_P12ihipStream_tbDpT10_ENKUlT_T0_E_clISt17integral_constantIbLb1EES19_IbLb0EEEEDaS15_S16_EUlS15_E_NS1_11comp_targetILNS1_3genE0ELNS1_11target_archE4294967295ELNS1_3gpuE0ELNS1_3repE0EEENS1_30default_config_static_selectorELNS0_4arch9wavefront6targetE1EEEvT1_.num_vgpr, 0
	.set _ZN7rocprim17ROCPRIM_400000_NS6detail17trampoline_kernelINS0_14default_configENS1_25partition_config_selectorILNS1_17partition_subalgoE8EyNS0_10empty_typeEbEEZZNS1_14partition_implILS5_8ELb0ES3_jN6thrust23THRUST_200600_302600_NS6detail15normal_iteratorINSA_10device_ptrIyEEEEPS6_PKS6_NS0_5tupleIJSF_S6_EEENSJ_IJSG_SG_EEENS0_18inequality_wrapperINSA_8equal_toIyEEEEPmJS6_EEE10hipError_tPvRmT3_T4_T5_T6_T7_T9_mT8_P12ihipStream_tbDpT10_ENKUlT_T0_E_clISt17integral_constantIbLb1EES19_IbLb0EEEEDaS15_S16_EUlS15_E_NS1_11comp_targetILNS1_3genE0ELNS1_11target_archE4294967295ELNS1_3gpuE0ELNS1_3repE0EEENS1_30default_config_static_selectorELNS0_4arch9wavefront6targetE1EEEvT1_.num_agpr, 0
	.set _ZN7rocprim17ROCPRIM_400000_NS6detail17trampoline_kernelINS0_14default_configENS1_25partition_config_selectorILNS1_17partition_subalgoE8EyNS0_10empty_typeEbEEZZNS1_14partition_implILS5_8ELb0ES3_jN6thrust23THRUST_200600_302600_NS6detail15normal_iteratorINSA_10device_ptrIyEEEEPS6_PKS6_NS0_5tupleIJSF_S6_EEENSJ_IJSG_SG_EEENS0_18inequality_wrapperINSA_8equal_toIyEEEEPmJS6_EEE10hipError_tPvRmT3_T4_T5_T6_T7_T9_mT8_P12ihipStream_tbDpT10_ENKUlT_T0_E_clISt17integral_constantIbLb1EES19_IbLb0EEEEDaS15_S16_EUlS15_E_NS1_11comp_targetILNS1_3genE0ELNS1_11target_archE4294967295ELNS1_3gpuE0ELNS1_3repE0EEENS1_30default_config_static_selectorELNS0_4arch9wavefront6targetE1EEEvT1_.numbered_sgpr, 0
	.set _ZN7rocprim17ROCPRIM_400000_NS6detail17trampoline_kernelINS0_14default_configENS1_25partition_config_selectorILNS1_17partition_subalgoE8EyNS0_10empty_typeEbEEZZNS1_14partition_implILS5_8ELb0ES3_jN6thrust23THRUST_200600_302600_NS6detail15normal_iteratorINSA_10device_ptrIyEEEEPS6_PKS6_NS0_5tupleIJSF_S6_EEENSJ_IJSG_SG_EEENS0_18inequality_wrapperINSA_8equal_toIyEEEEPmJS6_EEE10hipError_tPvRmT3_T4_T5_T6_T7_T9_mT8_P12ihipStream_tbDpT10_ENKUlT_T0_E_clISt17integral_constantIbLb1EES19_IbLb0EEEEDaS15_S16_EUlS15_E_NS1_11comp_targetILNS1_3genE0ELNS1_11target_archE4294967295ELNS1_3gpuE0ELNS1_3repE0EEENS1_30default_config_static_selectorELNS0_4arch9wavefront6targetE1EEEvT1_.num_named_barrier, 0
	.set _ZN7rocprim17ROCPRIM_400000_NS6detail17trampoline_kernelINS0_14default_configENS1_25partition_config_selectorILNS1_17partition_subalgoE8EyNS0_10empty_typeEbEEZZNS1_14partition_implILS5_8ELb0ES3_jN6thrust23THRUST_200600_302600_NS6detail15normal_iteratorINSA_10device_ptrIyEEEEPS6_PKS6_NS0_5tupleIJSF_S6_EEENSJ_IJSG_SG_EEENS0_18inequality_wrapperINSA_8equal_toIyEEEEPmJS6_EEE10hipError_tPvRmT3_T4_T5_T6_T7_T9_mT8_P12ihipStream_tbDpT10_ENKUlT_T0_E_clISt17integral_constantIbLb1EES19_IbLb0EEEEDaS15_S16_EUlS15_E_NS1_11comp_targetILNS1_3genE0ELNS1_11target_archE4294967295ELNS1_3gpuE0ELNS1_3repE0EEENS1_30default_config_static_selectorELNS0_4arch9wavefront6targetE1EEEvT1_.private_seg_size, 0
	.set _ZN7rocprim17ROCPRIM_400000_NS6detail17trampoline_kernelINS0_14default_configENS1_25partition_config_selectorILNS1_17partition_subalgoE8EyNS0_10empty_typeEbEEZZNS1_14partition_implILS5_8ELb0ES3_jN6thrust23THRUST_200600_302600_NS6detail15normal_iteratorINSA_10device_ptrIyEEEEPS6_PKS6_NS0_5tupleIJSF_S6_EEENSJ_IJSG_SG_EEENS0_18inequality_wrapperINSA_8equal_toIyEEEEPmJS6_EEE10hipError_tPvRmT3_T4_T5_T6_T7_T9_mT8_P12ihipStream_tbDpT10_ENKUlT_T0_E_clISt17integral_constantIbLb1EES19_IbLb0EEEEDaS15_S16_EUlS15_E_NS1_11comp_targetILNS1_3genE0ELNS1_11target_archE4294967295ELNS1_3gpuE0ELNS1_3repE0EEENS1_30default_config_static_selectorELNS0_4arch9wavefront6targetE1EEEvT1_.uses_vcc, 0
	.set _ZN7rocprim17ROCPRIM_400000_NS6detail17trampoline_kernelINS0_14default_configENS1_25partition_config_selectorILNS1_17partition_subalgoE8EyNS0_10empty_typeEbEEZZNS1_14partition_implILS5_8ELb0ES3_jN6thrust23THRUST_200600_302600_NS6detail15normal_iteratorINSA_10device_ptrIyEEEEPS6_PKS6_NS0_5tupleIJSF_S6_EEENSJ_IJSG_SG_EEENS0_18inequality_wrapperINSA_8equal_toIyEEEEPmJS6_EEE10hipError_tPvRmT3_T4_T5_T6_T7_T9_mT8_P12ihipStream_tbDpT10_ENKUlT_T0_E_clISt17integral_constantIbLb1EES19_IbLb0EEEEDaS15_S16_EUlS15_E_NS1_11comp_targetILNS1_3genE0ELNS1_11target_archE4294967295ELNS1_3gpuE0ELNS1_3repE0EEENS1_30default_config_static_selectorELNS0_4arch9wavefront6targetE1EEEvT1_.uses_flat_scratch, 0
	.set _ZN7rocprim17ROCPRIM_400000_NS6detail17trampoline_kernelINS0_14default_configENS1_25partition_config_selectorILNS1_17partition_subalgoE8EyNS0_10empty_typeEbEEZZNS1_14partition_implILS5_8ELb0ES3_jN6thrust23THRUST_200600_302600_NS6detail15normal_iteratorINSA_10device_ptrIyEEEEPS6_PKS6_NS0_5tupleIJSF_S6_EEENSJ_IJSG_SG_EEENS0_18inequality_wrapperINSA_8equal_toIyEEEEPmJS6_EEE10hipError_tPvRmT3_T4_T5_T6_T7_T9_mT8_P12ihipStream_tbDpT10_ENKUlT_T0_E_clISt17integral_constantIbLb1EES19_IbLb0EEEEDaS15_S16_EUlS15_E_NS1_11comp_targetILNS1_3genE0ELNS1_11target_archE4294967295ELNS1_3gpuE0ELNS1_3repE0EEENS1_30default_config_static_selectorELNS0_4arch9wavefront6targetE1EEEvT1_.has_dyn_sized_stack, 0
	.set _ZN7rocprim17ROCPRIM_400000_NS6detail17trampoline_kernelINS0_14default_configENS1_25partition_config_selectorILNS1_17partition_subalgoE8EyNS0_10empty_typeEbEEZZNS1_14partition_implILS5_8ELb0ES3_jN6thrust23THRUST_200600_302600_NS6detail15normal_iteratorINSA_10device_ptrIyEEEEPS6_PKS6_NS0_5tupleIJSF_S6_EEENSJ_IJSG_SG_EEENS0_18inequality_wrapperINSA_8equal_toIyEEEEPmJS6_EEE10hipError_tPvRmT3_T4_T5_T6_T7_T9_mT8_P12ihipStream_tbDpT10_ENKUlT_T0_E_clISt17integral_constantIbLb1EES19_IbLb0EEEEDaS15_S16_EUlS15_E_NS1_11comp_targetILNS1_3genE0ELNS1_11target_archE4294967295ELNS1_3gpuE0ELNS1_3repE0EEENS1_30default_config_static_selectorELNS0_4arch9wavefront6targetE1EEEvT1_.has_recursion, 0
	.set _ZN7rocprim17ROCPRIM_400000_NS6detail17trampoline_kernelINS0_14default_configENS1_25partition_config_selectorILNS1_17partition_subalgoE8EyNS0_10empty_typeEbEEZZNS1_14partition_implILS5_8ELb0ES3_jN6thrust23THRUST_200600_302600_NS6detail15normal_iteratorINSA_10device_ptrIyEEEEPS6_PKS6_NS0_5tupleIJSF_S6_EEENSJ_IJSG_SG_EEENS0_18inequality_wrapperINSA_8equal_toIyEEEEPmJS6_EEE10hipError_tPvRmT3_T4_T5_T6_T7_T9_mT8_P12ihipStream_tbDpT10_ENKUlT_T0_E_clISt17integral_constantIbLb1EES19_IbLb0EEEEDaS15_S16_EUlS15_E_NS1_11comp_targetILNS1_3genE0ELNS1_11target_archE4294967295ELNS1_3gpuE0ELNS1_3repE0EEENS1_30default_config_static_selectorELNS0_4arch9wavefront6targetE1EEEvT1_.has_indirect_call, 0
	.section	.AMDGPU.csdata,"",@progbits
; Kernel info:
; codeLenInByte = 0
; TotalNumSgprs: 4
; NumVgprs: 0
; ScratchSize: 0
; MemoryBound: 0
; FloatMode: 240
; IeeeMode: 1
; LDSByteSize: 0 bytes/workgroup (compile time only)
; SGPRBlocks: 0
; VGPRBlocks: 0
; NumSGPRsForWavesPerEU: 4
; NumVGPRsForWavesPerEU: 1
; Occupancy: 10
; WaveLimiterHint : 0
; COMPUTE_PGM_RSRC2:SCRATCH_EN: 0
; COMPUTE_PGM_RSRC2:USER_SGPR: 6
; COMPUTE_PGM_RSRC2:TRAP_HANDLER: 0
; COMPUTE_PGM_RSRC2:TGID_X_EN: 1
; COMPUTE_PGM_RSRC2:TGID_Y_EN: 0
; COMPUTE_PGM_RSRC2:TGID_Z_EN: 0
; COMPUTE_PGM_RSRC2:TIDIG_COMP_CNT: 0
	.section	.text._ZN7rocprim17ROCPRIM_400000_NS6detail17trampoline_kernelINS0_14default_configENS1_25partition_config_selectorILNS1_17partition_subalgoE8EyNS0_10empty_typeEbEEZZNS1_14partition_implILS5_8ELb0ES3_jN6thrust23THRUST_200600_302600_NS6detail15normal_iteratorINSA_10device_ptrIyEEEEPS6_PKS6_NS0_5tupleIJSF_S6_EEENSJ_IJSG_SG_EEENS0_18inequality_wrapperINSA_8equal_toIyEEEEPmJS6_EEE10hipError_tPvRmT3_T4_T5_T6_T7_T9_mT8_P12ihipStream_tbDpT10_ENKUlT_T0_E_clISt17integral_constantIbLb1EES19_IbLb0EEEEDaS15_S16_EUlS15_E_NS1_11comp_targetILNS1_3genE5ELNS1_11target_archE942ELNS1_3gpuE9ELNS1_3repE0EEENS1_30default_config_static_selectorELNS0_4arch9wavefront6targetE1EEEvT1_,"axG",@progbits,_ZN7rocprim17ROCPRIM_400000_NS6detail17trampoline_kernelINS0_14default_configENS1_25partition_config_selectorILNS1_17partition_subalgoE8EyNS0_10empty_typeEbEEZZNS1_14partition_implILS5_8ELb0ES3_jN6thrust23THRUST_200600_302600_NS6detail15normal_iteratorINSA_10device_ptrIyEEEEPS6_PKS6_NS0_5tupleIJSF_S6_EEENSJ_IJSG_SG_EEENS0_18inequality_wrapperINSA_8equal_toIyEEEEPmJS6_EEE10hipError_tPvRmT3_T4_T5_T6_T7_T9_mT8_P12ihipStream_tbDpT10_ENKUlT_T0_E_clISt17integral_constantIbLb1EES19_IbLb0EEEEDaS15_S16_EUlS15_E_NS1_11comp_targetILNS1_3genE5ELNS1_11target_archE942ELNS1_3gpuE9ELNS1_3repE0EEENS1_30default_config_static_selectorELNS0_4arch9wavefront6targetE1EEEvT1_,comdat
	.protected	_ZN7rocprim17ROCPRIM_400000_NS6detail17trampoline_kernelINS0_14default_configENS1_25partition_config_selectorILNS1_17partition_subalgoE8EyNS0_10empty_typeEbEEZZNS1_14partition_implILS5_8ELb0ES3_jN6thrust23THRUST_200600_302600_NS6detail15normal_iteratorINSA_10device_ptrIyEEEEPS6_PKS6_NS0_5tupleIJSF_S6_EEENSJ_IJSG_SG_EEENS0_18inequality_wrapperINSA_8equal_toIyEEEEPmJS6_EEE10hipError_tPvRmT3_T4_T5_T6_T7_T9_mT8_P12ihipStream_tbDpT10_ENKUlT_T0_E_clISt17integral_constantIbLb1EES19_IbLb0EEEEDaS15_S16_EUlS15_E_NS1_11comp_targetILNS1_3genE5ELNS1_11target_archE942ELNS1_3gpuE9ELNS1_3repE0EEENS1_30default_config_static_selectorELNS0_4arch9wavefront6targetE1EEEvT1_ ; -- Begin function _ZN7rocprim17ROCPRIM_400000_NS6detail17trampoline_kernelINS0_14default_configENS1_25partition_config_selectorILNS1_17partition_subalgoE8EyNS0_10empty_typeEbEEZZNS1_14partition_implILS5_8ELb0ES3_jN6thrust23THRUST_200600_302600_NS6detail15normal_iteratorINSA_10device_ptrIyEEEEPS6_PKS6_NS0_5tupleIJSF_S6_EEENSJ_IJSG_SG_EEENS0_18inequality_wrapperINSA_8equal_toIyEEEEPmJS6_EEE10hipError_tPvRmT3_T4_T5_T6_T7_T9_mT8_P12ihipStream_tbDpT10_ENKUlT_T0_E_clISt17integral_constantIbLb1EES19_IbLb0EEEEDaS15_S16_EUlS15_E_NS1_11comp_targetILNS1_3genE5ELNS1_11target_archE942ELNS1_3gpuE9ELNS1_3repE0EEENS1_30default_config_static_selectorELNS0_4arch9wavefront6targetE1EEEvT1_
	.globl	_ZN7rocprim17ROCPRIM_400000_NS6detail17trampoline_kernelINS0_14default_configENS1_25partition_config_selectorILNS1_17partition_subalgoE8EyNS0_10empty_typeEbEEZZNS1_14partition_implILS5_8ELb0ES3_jN6thrust23THRUST_200600_302600_NS6detail15normal_iteratorINSA_10device_ptrIyEEEEPS6_PKS6_NS0_5tupleIJSF_S6_EEENSJ_IJSG_SG_EEENS0_18inequality_wrapperINSA_8equal_toIyEEEEPmJS6_EEE10hipError_tPvRmT3_T4_T5_T6_T7_T9_mT8_P12ihipStream_tbDpT10_ENKUlT_T0_E_clISt17integral_constantIbLb1EES19_IbLb0EEEEDaS15_S16_EUlS15_E_NS1_11comp_targetILNS1_3genE5ELNS1_11target_archE942ELNS1_3gpuE9ELNS1_3repE0EEENS1_30default_config_static_selectorELNS0_4arch9wavefront6targetE1EEEvT1_
	.p2align	8
	.type	_ZN7rocprim17ROCPRIM_400000_NS6detail17trampoline_kernelINS0_14default_configENS1_25partition_config_selectorILNS1_17partition_subalgoE8EyNS0_10empty_typeEbEEZZNS1_14partition_implILS5_8ELb0ES3_jN6thrust23THRUST_200600_302600_NS6detail15normal_iteratorINSA_10device_ptrIyEEEEPS6_PKS6_NS0_5tupleIJSF_S6_EEENSJ_IJSG_SG_EEENS0_18inequality_wrapperINSA_8equal_toIyEEEEPmJS6_EEE10hipError_tPvRmT3_T4_T5_T6_T7_T9_mT8_P12ihipStream_tbDpT10_ENKUlT_T0_E_clISt17integral_constantIbLb1EES19_IbLb0EEEEDaS15_S16_EUlS15_E_NS1_11comp_targetILNS1_3genE5ELNS1_11target_archE942ELNS1_3gpuE9ELNS1_3repE0EEENS1_30default_config_static_selectorELNS0_4arch9wavefront6targetE1EEEvT1_,@function
_ZN7rocprim17ROCPRIM_400000_NS6detail17trampoline_kernelINS0_14default_configENS1_25partition_config_selectorILNS1_17partition_subalgoE8EyNS0_10empty_typeEbEEZZNS1_14partition_implILS5_8ELb0ES3_jN6thrust23THRUST_200600_302600_NS6detail15normal_iteratorINSA_10device_ptrIyEEEEPS6_PKS6_NS0_5tupleIJSF_S6_EEENSJ_IJSG_SG_EEENS0_18inequality_wrapperINSA_8equal_toIyEEEEPmJS6_EEE10hipError_tPvRmT3_T4_T5_T6_T7_T9_mT8_P12ihipStream_tbDpT10_ENKUlT_T0_E_clISt17integral_constantIbLb1EES19_IbLb0EEEEDaS15_S16_EUlS15_E_NS1_11comp_targetILNS1_3genE5ELNS1_11target_archE942ELNS1_3gpuE9ELNS1_3repE0EEENS1_30default_config_static_selectorELNS0_4arch9wavefront6targetE1EEEvT1_: ; @_ZN7rocprim17ROCPRIM_400000_NS6detail17trampoline_kernelINS0_14default_configENS1_25partition_config_selectorILNS1_17partition_subalgoE8EyNS0_10empty_typeEbEEZZNS1_14partition_implILS5_8ELb0ES3_jN6thrust23THRUST_200600_302600_NS6detail15normal_iteratorINSA_10device_ptrIyEEEEPS6_PKS6_NS0_5tupleIJSF_S6_EEENSJ_IJSG_SG_EEENS0_18inequality_wrapperINSA_8equal_toIyEEEEPmJS6_EEE10hipError_tPvRmT3_T4_T5_T6_T7_T9_mT8_P12ihipStream_tbDpT10_ENKUlT_T0_E_clISt17integral_constantIbLb1EES19_IbLb0EEEEDaS15_S16_EUlS15_E_NS1_11comp_targetILNS1_3genE5ELNS1_11target_archE942ELNS1_3gpuE9ELNS1_3repE0EEENS1_30default_config_static_selectorELNS0_4arch9wavefront6targetE1EEEvT1_
; %bb.0:
	.section	.rodata,"a",@progbits
	.p2align	6, 0x0
	.amdhsa_kernel _ZN7rocprim17ROCPRIM_400000_NS6detail17trampoline_kernelINS0_14default_configENS1_25partition_config_selectorILNS1_17partition_subalgoE8EyNS0_10empty_typeEbEEZZNS1_14partition_implILS5_8ELb0ES3_jN6thrust23THRUST_200600_302600_NS6detail15normal_iteratorINSA_10device_ptrIyEEEEPS6_PKS6_NS0_5tupleIJSF_S6_EEENSJ_IJSG_SG_EEENS0_18inequality_wrapperINSA_8equal_toIyEEEEPmJS6_EEE10hipError_tPvRmT3_T4_T5_T6_T7_T9_mT8_P12ihipStream_tbDpT10_ENKUlT_T0_E_clISt17integral_constantIbLb1EES19_IbLb0EEEEDaS15_S16_EUlS15_E_NS1_11comp_targetILNS1_3genE5ELNS1_11target_archE942ELNS1_3gpuE9ELNS1_3repE0EEENS1_30default_config_static_selectorELNS0_4arch9wavefront6targetE1EEEvT1_
		.amdhsa_group_segment_fixed_size 0
		.amdhsa_private_segment_fixed_size 0
		.amdhsa_kernarg_size 112
		.amdhsa_user_sgpr_count 6
		.amdhsa_user_sgpr_private_segment_buffer 1
		.amdhsa_user_sgpr_dispatch_ptr 0
		.amdhsa_user_sgpr_queue_ptr 0
		.amdhsa_user_sgpr_kernarg_segment_ptr 1
		.amdhsa_user_sgpr_dispatch_id 0
		.amdhsa_user_sgpr_flat_scratch_init 0
		.amdhsa_user_sgpr_private_segment_size 0
		.amdhsa_uses_dynamic_stack 0
		.amdhsa_system_sgpr_private_segment_wavefront_offset 0
		.amdhsa_system_sgpr_workgroup_id_x 1
		.amdhsa_system_sgpr_workgroup_id_y 0
		.amdhsa_system_sgpr_workgroup_id_z 0
		.amdhsa_system_sgpr_workgroup_info 0
		.amdhsa_system_vgpr_workitem_id 0
		.amdhsa_next_free_vgpr 1
		.amdhsa_next_free_sgpr 0
		.amdhsa_reserve_vcc 0
		.amdhsa_reserve_flat_scratch 0
		.amdhsa_float_round_mode_32 0
		.amdhsa_float_round_mode_16_64 0
		.amdhsa_float_denorm_mode_32 3
		.amdhsa_float_denorm_mode_16_64 3
		.amdhsa_dx10_clamp 1
		.amdhsa_ieee_mode 1
		.amdhsa_fp16_overflow 0
		.amdhsa_exception_fp_ieee_invalid_op 0
		.amdhsa_exception_fp_denorm_src 0
		.amdhsa_exception_fp_ieee_div_zero 0
		.amdhsa_exception_fp_ieee_overflow 0
		.amdhsa_exception_fp_ieee_underflow 0
		.amdhsa_exception_fp_ieee_inexact 0
		.amdhsa_exception_int_div_zero 0
	.end_amdhsa_kernel
	.section	.text._ZN7rocprim17ROCPRIM_400000_NS6detail17trampoline_kernelINS0_14default_configENS1_25partition_config_selectorILNS1_17partition_subalgoE8EyNS0_10empty_typeEbEEZZNS1_14partition_implILS5_8ELb0ES3_jN6thrust23THRUST_200600_302600_NS6detail15normal_iteratorINSA_10device_ptrIyEEEEPS6_PKS6_NS0_5tupleIJSF_S6_EEENSJ_IJSG_SG_EEENS0_18inequality_wrapperINSA_8equal_toIyEEEEPmJS6_EEE10hipError_tPvRmT3_T4_T5_T6_T7_T9_mT8_P12ihipStream_tbDpT10_ENKUlT_T0_E_clISt17integral_constantIbLb1EES19_IbLb0EEEEDaS15_S16_EUlS15_E_NS1_11comp_targetILNS1_3genE5ELNS1_11target_archE942ELNS1_3gpuE9ELNS1_3repE0EEENS1_30default_config_static_selectorELNS0_4arch9wavefront6targetE1EEEvT1_,"axG",@progbits,_ZN7rocprim17ROCPRIM_400000_NS6detail17trampoline_kernelINS0_14default_configENS1_25partition_config_selectorILNS1_17partition_subalgoE8EyNS0_10empty_typeEbEEZZNS1_14partition_implILS5_8ELb0ES3_jN6thrust23THRUST_200600_302600_NS6detail15normal_iteratorINSA_10device_ptrIyEEEEPS6_PKS6_NS0_5tupleIJSF_S6_EEENSJ_IJSG_SG_EEENS0_18inequality_wrapperINSA_8equal_toIyEEEEPmJS6_EEE10hipError_tPvRmT3_T4_T5_T6_T7_T9_mT8_P12ihipStream_tbDpT10_ENKUlT_T0_E_clISt17integral_constantIbLb1EES19_IbLb0EEEEDaS15_S16_EUlS15_E_NS1_11comp_targetILNS1_3genE5ELNS1_11target_archE942ELNS1_3gpuE9ELNS1_3repE0EEENS1_30default_config_static_selectorELNS0_4arch9wavefront6targetE1EEEvT1_,comdat
.Lfunc_end162:
	.size	_ZN7rocprim17ROCPRIM_400000_NS6detail17trampoline_kernelINS0_14default_configENS1_25partition_config_selectorILNS1_17partition_subalgoE8EyNS0_10empty_typeEbEEZZNS1_14partition_implILS5_8ELb0ES3_jN6thrust23THRUST_200600_302600_NS6detail15normal_iteratorINSA_10device_ptrIyEEEEPS6_PKS6_NS0_5tupleIJSF_S6_EEENSJ_IJSG_SG_EEENS0_18inequality_wrapperINSA_8equal_toIyEEEEPmJS6_EEE10hipError_tPvRmT3_T4_T5_T6_T7_T9_mT8_P12ihipStream_tbDpT10_ENKUlT_T0_E_clISt17integral_constantIbLb1EES19_IbLb0EEEEDaS15_S16_EUlS15_E_NS1_11comp_targetILNS1_3genE5ELNS1_11target_archE942ELNS1_3gpuE9ELNS1_3repE0EEENS1_30default_config_static_selectorELNS0_4arch9wavefront6targetE1EEEvT1_, .Lfunc_end162-_ZN7rocprim17ROCPRIM_400000_NS6detail17trampoline_kernelINS0_14default_configENS1_25partition_config_selectorILNS1_17partition_subalgoE8EyNS0_10empty_typeEbEEZZNS1_14partition_implILS5_8ELb0ES3_jN6thrust23THRUST_200600_302600_NS6detail15normal_iteratorINSA_10device_ptrIyEEEEPS6_PKS6_NS0_5tupleIJSF_S6_EEENSJ_IJSG_SG_EEENS0_18inequality_wrapperINSA_8equal_toIyEEEEPmJS6_EEE10hipError_tPvRmT3_T4_T5_T6_T7_T9_mT8_P12ihipStream_tbDpT10_ENKUlT_T0_E_clISt17integral_constantIbLb1EES19_IbLb0EEEEDaS15_S16_EUlS15_E_NS1_11comp_targetILNS1_3genE5ELNS1_11target_archE942ELNS1_3gpuE9ELNS1_3repE0EEENS1_30default_config_static_selectorELNS0_4arch9wavefront6targetE1EEEvT1_
                                        ; -- End function
	.set _ZN7rocprim17ROCPRIM_400000_NS6detail17trampoline_kernelINS0_14default_configENS1_25partition_config_selectorILNS1_17partition_subalgoE8EyNS0_10empty_typeEbEEZZNS1_14partition_implILS5_8ELb0ES3_jN6thrust23THRUST_200600_302600_NS6detail15normal_iteratorINSA_10device_ptrIyEEEEPS6_PKS6_NS0_5tupleIJSF_S6_EEENSJ_IJSG_SG_EEENS0_18inequality_wrapperINSA_8equal_toIyEEEEPmJS6_EEE10hipError_tPvRmT3_T4_T5_T6_T7_T9_mT8_P12ihipStream_tbDpT10_ENKUlT_T0_E_clISt17integral_constantIbLb1EES19_IbLb0EEEEDaS15_S16_EUlS15_E_NS1_11comp_targetILNS1_3genE5ELNS1_11target_archE942ELNS1_3gpuE9ELNS1_3repE0EEENS1_30default_config_static_selectorELNS0_4arch9wavefront6targetE1EEEvT1_.num_vgpr, 0
	.set _ZN7rocprim17ROCPRIM_400000_NS6detail17trampoline_kernelINS0_14default_configENS1_25partition_config_selectorILNS1_17partition_subalgoE8EyNS0_10empty_typeEbEEZZNS1_14partition_implILS5_8ELb0ES3_jN6thrust23THRUST_200600_302600_NS6detail15normal_iteratorINSA_10device_ptrIyEEEEPS6_PKS6_NS0_5tupleIJSF_S6_EEENSJ_IJSG_SG_EEENS0_18inequality_wrapperINSA_8equal_toIyEEEEPmJS6_EEE10hipError_tPvRmT3_T4_T5_T6_T7_T9_mT8_P12ihipStream_tbDpT10_ENKUlT_T0_E_clISt17integral_constantIbLb1EES19_IbLb0EEEEDaS15_S16_EUlS15_E_NS1_11comp_targetILNS1_3genE5ELNS1_11target_archE942ELNS1_3gpuE9ELNS1_3repE0EEENS1_30default_config_static_selectorELNS0_4arch9wavefront6targetE1EEEvT1_.num_agpr, 0
	.set _ZN7rocprim17ROCPRIM_400000_NS6detail17trampoline_kernelINS0_14default_configENS1_25partition_config_selectorILNS1_17partition_subalgoE8EyNS0_10empty_typeEbEEZZNS1_14partition_implILS5_8ELb0ES3_jN6thrust23THRUST_200600_302600_NS6detail15normal_iteratorINSA_10device_ptrIyEEEEPS6_PKS6_NS0_5tupleIJSF_S6_EEENSJ_IJSG_SG_EEENS0_18inequality_wrapperINSA_8equal_toIyEEEEPmJS6_EEE10hipError_tPvRmT3_T4_T5_T6_T7_T9_mT8_P12ihipStream_tbDpT10_ENKUlT_T0_E_clISt17integral_constantIbLb1EES19_IbLb0EEEEDaS15_S16_EUlS15_E_NS1_11comp_targetILNS1_3genE5ELNS1_11target_archE942ELNS1_3gpuE9ELNS1_3repE0EEENS1_30default_config_static_selectorELNS0_4arch9wavefront6targetE1EEEvT1_.numbered_sgpr, 0
	.set _ZN7rocprim17ROCPRIM_400000_NS6detail17trampoline_kernelINS0_14default_configENS1_25partition_config_selectorILNS1_17partition_subalgoE8EyNS0_10empty_typeEbEEZZNS1_14partition_implILS5_8ELb0ES3_jN6thrust23THRUST_200600_302600_NS6detail15normal_iteratorINSA_10device_ptrIyEEEEPS6_PKS6_NS0_5tupleIJSF_S6_EEENSJ_IJSG_SG_EEENS0_18inequality_wrapperINSA_8equal_toIyEEEEPmJS6_EEE10hipError_tPvRmT3_T4_T5_T6_T7_T9_mT8_P12ihipStream_tbDpT10_ENKUlT_T0_E_clISt17integral_constantIbLb1EES19_IbLb0EEEEDaS15_S16_EUlS15_E_NS1_11comp_targetILNS1_3genE5ELNS1_11target_archE942ELNS1_3gpuE9ELNS1_3repE0EEENS1_30default_config_static_selectorELNS0_4arch9wavefront6targetE1EEEvT1_.num_named_barrier, 0
	.set _ZN7rocprim17ROCPRIM_400000_NS6detail17trampoline_kernelINS0_14default_configENS1_25partition_config_selectorILNS1_17partition_subalgoE8EyNS0_10empty_typeEbEEZZNS1_14partition_implILS5_8ELb0ES3_jN6thrust23THRUST_200600_302600_NS6detail15normal_iteratorINSA_10device_ptrIyEEEEPS6_PKS6_NS0_5tupleIJSF_S6_EEENSJ_IJSG_SG_EEENS0_18inequality_wrapperINSA_8equal_toIyEEEEPmJS6_EEE10hipError_tPvRmT3_T4_T5_T6_T7_T9_mT8_P12ihipStream_tbDpT10_ENKUlT_T0_E_clISt17integral_constantIbLb1EES19_IbLb0EEEEDaS15_S16_EUlS15_E_NS1_11comp_targetILNS1_3genE5ELNS1_11target_archE942ELNS1_3gpuE9ELNS1_3repE0EEENS1_30default_config_static_selectorELNS0_4arch9wavefront6targetE1EEEvT1_.private_seg_size, 0
	.set _ZN7rocprim17ROCPRIM_400000_NS6detail17trampoline_kernelINS0_14default_configENS1_25partition_config_selectorILNS1_17partition_subalgoE8EyNS0_10empty_typeEbEEZZNS1_14partition_implILS5_8ELb0ES3_jN6thrust23THRUST_200600_302600_NS6detail15normal_iteratorINSA_10device_ptrIyEEEEPS6_PKS6_NS0_5tupleIJSF_S6_EEENSJ_IJSG_SG_EEENS0_18inequality_wrapperINSA_8equal_toIyEEEEPmJS6_EEE10hipError_tPvRmT3_T4_T5_T6_T7_T9_mT8_P12ihipStream_tbDpT10_ENKUlT_T0_E_clISt17integral_constantIbLb1EES19_IbLb0EEEEDaS15_S16_EUlS15_E_NS1_11comp_targetILNS1_3genE5ELNS1_11target_archE942ELNS1_3gpuE9ELNS1_3repE0EEENS1_30default_config_static_selectorELNS0_4arch9wavefront6targetE1EEEvT1_.uses_vcc, 0
	.set _ZN7rocprim17ROCPRIM_400000_NS6detail17trampoline_kernelINS0_14default_configENS1_25partition_config_selectorILNS1_17partition_subalgoE8EyNS0_10empty_typeEbEEZZNS1_14partition_implILS5_8ELb0ES3_jN6thrust23THRUST_200600_302600_NS6detail15normal_iteratorINSA_10device_ptrIyEEEEPS6_PKS6_NS0_5tupleIJSF_S6_EEENSJ_IJSG_SG_EEENS0_18inequality_wrapperINSA_8equal_toIyEEEEPmJS6_EEE10hipError_tPvRmT3_T4_T5_T6_T7_T9_mT8_P12ihipStream_tbDpT10_ENKUlT_T0_E_clISt17integral_constantIbLb1EES19_IbLb0EEEEDaS15_S16_EUlS15_E_NS1_11comp_targetILNS1_3genE5ELNS1_11target_archE942ELNS1_3gpuE9ELNS1_3repE0EEENS1_30default_config_static_selectorELNS0_4arch9wavefront6targetE1EEEvT1_.uses_flat_scratch, 0
	.set _ZN7rocprim17ROCPRIM_400000_NS6detail17trampoline_kernelINS0_14default_configENS1_25partition_config_selectorILNS1_17partition_subalgoE8EyNS0_10empty_typeEbEEZZNS1_14partition_implILS5_8ELb0ES3_jN6thrust23THRUST_200600_302600_NS6detail15normal_iteratorINSA_10device_ptrIyEEEEPS6_PKS6_NS0_5tupleIJSF_S6_EEENSJ_IJSG_SG_EEENS0_18inequality_wrapperINSA_8equal_toIyEEEEPmJS6_EEE10hipError_tPvRmT3_T4_T5_T6_T7_T9_mT8_P12ihipStream_tbDpT10_ENKUlT_T0_E_clISt17integral_constantIbLb1EES19_IbLb0EEEEDaS15_S16_EUlS15_E_NS1_11comp_targetILNS1_3genE5ELNS1_11target_archE942ELNS1_3gpuE9ELNS1_3repE0EEENS1_30default_config_static_selectorELNS0_4arch9wavefront6targetE1EEEvT1_.has_dyn_sized_stack, 0
	.set _ZN7rocprim17ROCPRIM_400000_NS6detail17trampoline_kernelINS0_14default_configENS1_25partition_config_selectorILNS1_17partition_subalgoE8EyNS0_10empty_typeEbEEZZNS1_14partition_implILS5_8ELb0ES3_jN6thrust23THRUST_200600_302600_NS6detail15normal_iteratorINSA_10device_ptrIyEEEEPS6_PKS6_NS0_5tupleIJSF_S6_EEENSJ_IJSG_SG_EEENS0_18inequality_wrapperINSA_8equal_toIyEEEEPmJS6_EEE10hipError_tPvRmT3_T4_T5_T6_T7_T9_mT8_P12ihipStream_tbDpT10_ENKUlT_T0_E_clISt17integral_constantIbLb1EES19_IbLb0EEEEDaS15_S16_EUlS15_E_NS1_11comp_targetILNS1_3genE5ELNS1_11target_archE942ELNS1_3gpuE9ELNS1_3repE0EEENS1_30default_config_static_selectorELNS0_4arch9wavefront6targetE1EEEvT1_.has_recursion, 0
	.set _ZN7rocprim17ROCPRIM_400000_NS6detail17trampoline_kernelINS0_14default_configENS1_25partition_config_selectorILNS1_17partition_subalgoE8EyNS0_10empty_typeEbEEZZNS1_14partition_implILS5_8ELb0ES3_jN6thrust23THRUST_200600_302600_NS6detail15normal_iteratorINSA_10device_ptrIyEEEEPS6_PKS6_NS0_5tupleIJSF_S6_EEENSJ_IJSG_SG_EEENS0_18inequality_wrapperINSA_8equal_toIyEEEEPmJS6_EEE10hipError_tPvRmT3_T4_T5_T6_T7_T9_mT8_P12ihipStream_tbDpT10_ENKUlT_T0_E_clISt17integral_constantIbLb1EES19_IbLb0EEEEDaS15_S16_EUlS15_E_NS1_11comp_targetILNS1_3genE5ELNS1_11target_archE942ELNS1_3gpuE9ELNS1_3repE0EEENS1_30default_config_static_selectorELNS0_4arch9wavefront6targetE1EEEvT1_.has_indirect_call, 0
	.section	.AMDGPU.csdata,"",@progbits
; Kernel info:
; codeLenInByte = 0
; TotalNumSgprs: 4
; NumVgprs: 0
; ScratchSize: 0
; MemoryBound: 0
; FloatMode: 240
; IeeeMode: 1
; LDSByteSize: 0 bytes/workgroup (compile time only)
; SGPRBlocks: 0
; VGPRBlocks: 0
; NumSGPRsForWavesPerEU: 4
; NumVGPRsForWavesPerEU: 1
; Occupancy: 10
; WaveLimiterHint : 0
; COMPUTE_PGM_RSRC2:SCRATCH_EN: 0
; COMPUTE_PGM_RSRC2:USER_SGPR: 6
; COMPUTE_PGM_RSRC2:TRAP_HANDLER: 0
; COMPUTE_PGM_RSRC2:TGID_X_EN: 1
; COMPUTE_PGM_RSRC2:TGID_Y_EN: 0
; COMPUTE_PGM_RSRC2:TGID_Z_EN: 0
; COMPUTE_PGM_RSRC2:TIDIG_COMP_CNT: 0
	.section	.text._ZN7rocprim17ROCPRIM_400000_NS6detail17trampoline_kernelINS0_14default_configENS1_25partition_config_selectorILNS1_17partition_subalgoE8EyNS0_10empty_typeEbEEZZNS1_14partition_implILS5_8ELb0ES3_jN6thrust23THRUST_200600_302600_NS6detail15normal_iteratorINSA_10device_ptrIyEEEEPS6_PKS6_NS0_5tupleIJSF_S6_EEENSJ_IJSG_SG_EEENS0_18inequality_wrapperINSA_8equal_toIyEEEEPmJS6_EEE10hipError_tPvRmT3_T4_T5_T6_T7_T9_mT8_P12ihipStream_tbDpT10_ENKUlT_T0_E_clISt17integral_constantIbLb1EES19_IbLb0EEEEDaS15_S16_EUlS15_E_NS1_11comp_targetILNS1_3genE4ELNS1_11target_archE910ELNS1_3gpuE8ELNS1_3repE0EEENS1_30default_config_static_selectorELNS0_4arch9wavefront6targetE1EEEvT1_,"axG",@progbits,_ZN7rocprim17ROCPRIM_400000_NS6detail17trampoline_kernelINS0_14default_configENS1_25partition_config_selectorILNS1_17partition_subalgoE8EyNS0_10empty_typeEbEEZZNS1_14partition_implILS5_8ELb0ES3_jN6thrust23THRUST_200600_302600_NS6detail15normal_iteratorINSA_10device_ptrIyEEEEPS6_PKS6_NS0_5tupleIJSF_S6_EEENSJ_IJSG_SG_EEENS0_18inequality_wrapperINSA_8equal_toIyEEEEPmJS6_EEE10hipError_tPvRmT3_T4_T5_T6_T7_T9_mT8_P12ihipStream_tbDpT10_ENKUlT_T0_E_clISt17integral_constantIbLb1EES19_IbLb0EEEEDaS15_S16_EUlS15_E_NS1_11comp_targetILNS1_3genE4ELNS1_11target_archE910ELNS1_3gpuE8ELNS1_3repE0EEENS1_30default_config_static_selectorELNS0_4arch9wavefront6targetE1EEEvT1_,comdat
	.protected	_ZN7rocprim17ROCPRIM_400000_NS6detail17trampoline_kernelINS0_14default_configENS1_25partition_config_selectorILNS1_17partition_subalgoE8EyNS0_10empty_typeEbEEZZNS1_14partition_implILS5_8ELb0ES3_jN6thrust23THRUST_200600_302600_NS6detail15normal_iteratorINSA_10device_ptrIyEEEEPS6_PKS6_NS0_5tupleIJSF_S6_EEENSJ_IJSG_SG_EEENS0_18inequality_wrapperINSA_8equal_toIyEEEEPmJS6_EEE10hipError_tPvRmT3_T4_T5_T6_T7_T9_mT8_P12ihipStream_tbDpT10_ENKUlT_T0_E_clISt17integral_constantIbLb1EES19_IbLb0EEEEDaS15_S16_EUlS15_E_NS1_11comp_targetILNS1_3genE4ELNS1_11target_archE910ELNS1_3gpuE8ELNS1_3repE0EEENS1_30default_config_static_selectorELNS0_4arch9wavefront6targetE1EEEvT1_ ; -- Begin function _ZN7rocprim17ROCPRIM_400000_NS6detail17trampoline_kernelINS0_14default_configENS1_25partition_config_selectorILNS1_17partition_subalgoE8EyNS0_10empty_typeEbEEZZNS1_14partition_implILS5_8ELb0ES3_jN6thrust23THRUST_200600_302600_NS6detail15normal_iteratorINSA_10device_ptrIyEEEEPS6_PKS6_NS0_5tupleIJSF_S6_EEENSJ_IJSG_SG_EEENS0_18inequality_wrapperINSA_8equal_toIyEEEEPmJS6_EEE10hipError_tPvRmT3_T4_T5_T6_T7_T9_mT8_P12ihipStream_tbDpT10_ENKUlT_T0_E_clISt17integral_constantIbLb1EES19_IbLb0EEEEDaS15_S16_EUlS15_E_NS1_11comp_targetILNS1_3genE4ELNS1_11target_archE910ELNS1_3gpuE8ELNS1_3repE0EEENS1_30default_config_static_selectorELNS0_4arch9wavefront6targetE1EEEvT1_
	.globl	_ZN7rocprim17ROCPRIM_400000_NS6detail17trampoline_kernelINS0_14default_configENS1_25partition_config_selectorILNS1_17partition_subalgoE8EyNS0_10empty_typeEbEEZZNS1_14partition_implILS5_8ELb0ES3_jN6thrust23THRUST_200600_302600_NS6detail15normal_iteratorINSA_10device_ptrIyEEEEPS6_PKS6_NS0_5tupleIJSF_S6_EEENSJ_IJSG_SG_EEENS0_18inequality_wrapperINSA_8equal_toIyEEEEPmJS6_EEE10hipError_tPvRmT3_T4_T5_T6_T7_T9_mT8_P12ihipStream_tbDpT10_ENKUlT_T0_E_clISt17integral_constantIbLb1EES19_IbLb0EEEEDaS15_S16_EUlS15_E_NS1_11comp_targetILNS1_3genE4ELNS1_11target_archE910ELNS1_3gpuE8ELNS1_3repE0EEENS1_30default_config_static_selectorELNS0_4arch9wavefront6targetE1EEEvT1_
	.p2align	8
	.type	_ZN7rocprim17ROCPRIM_400000_NS6detail17trampoline_kernelINS0_14default_configENS1_25partition_config_selectorILNS1_17partition_subalgoE8EyNS0_10empty_typeEbEEZZNS1_14partition_implILS5_8ELb0ES3_jN6thrust23THRUST_200600_302600_NS6detail15normal_iteratorINSA_10device_ptrIyEEEEPS6_PKS6_NS0_5tupleIJSF_S6_EEENSJ_IJSG_SG_EEENS0_18inequality_wrapperINSA_8equal_toIyEEEEPmJS6_EEE10hipError_tPvRmT3_T4_T5_T6_T7_T9_mT8_P12ihipStream_tbDpT10_ENKUlT_T0_E_clISt17integral_constantIbLb1EES19_IbLb0EEEEDaS15_S16_EUlS15_E_NS1_11comp_targetILNS1_3genE4ELNS1_11target_archE910ELNS1_3gpuE8ELNS1_3repE0EEENS1_30default_config_static_selectorELNS0_4arch9wavefront6targetE1EEEvT1_,@function
_ZN7rocprim17ROCPRIM_400000_NS6detail17trampoline_kernelINS0_14default_configENS1_25partition_config_selectorILNS1_17partition_subalgoE8EyNS0_10empty_typeEbEEZZNS1_14partition_implILS5_8ELb0ES3_jN6thrust23THRUST_200600_302600_NS6detail15normal_iteratorINSA_10device_ptrIyEEEEPS6_PKS6_NS0_5tupleIJSF_S6_EEENSJ_IJSG_SG_EEENS0_18inequality_wrapperINSA_8equal_toIyEEEEPmJS6_EEE10hipError_tPvRmT3_T4_T5_T6_T7_T9_mT8_P12ihipStream_tbDpT10_ENKUlT_T0_E_clISt17integral_constantIbLb1EES19_IbLb0EEEEDaS15_S16_EUlS15_E_NS1_11comp_targetILNS1_3genE4ELNS1_11target_archE910ELNS1_3gpuE8ELNS1_3repE0EEENS1_30default_config_static_selectorELNS0_4arch9wavefront6targetE1EEEvT1_: ; @_ZN7rocprim17ROCPRIM_400000_NS6detail17trampoline_kernelINS0_14default_configENS1_25partition_config_selectorILNS1_17partition_subalgoE8EyNS0_10empty_typeEbEEZZNS1_14partition_implILS5_8ELb0ES3_jN6thrust23THRUST_200600_302600_NS6detail15normal_iteratorINSA_10device_ptrIyEEEEPS6_PKS6_NS0_5tupleIJSF_S6_EEENSJ_IJSG_SG_EEENS0_18inequality_wrapperINSA_8equal_toIyEEEEPmJS6_EEE10hipError_tPvRmT3_T4_T5_T6_T7_T9_mT8_P12ihipStream_tbDpT10_ENKUlT_T0_E_clISt17integral_constantIbLb1EES19_IbLb0EEEEDaS15_S16_EUlS15_E_NS1_11comp_targetILNS1_3genE4ELNS1_11target_archE910ELNS1_3gpuE8ELNS1_3repE0EEENS1_30default_config_static_selectorELNS0_4arch9wavefront6targetE1EEEvT1_
; %bb.0:
	.section	.rodata,"a",@progbits
	.p2align	6, 0x0
	.amdhsa_kernel _ZN7rocprim17ROCPRIM_400000_NS6detail17trampoline_kernelINS0_14default_configENS1_25partition_config_selectorILNS1_17partition_subalgoE8EyNS0_10empty_typeEbEEZZNS1_14partition_implILS5_8ELb0ES3_jN6thrust23THRUST_200600_302600_NS6detail15normal_iteratorINSA_10device_ptrIyEEEEPS6_PKS6_NS0_5tupleIJSF_S6_EEENSJ_IJSG_SG_EEENS0_18inequality_wrapperINSA_8equal_toIyEEEEPmJS6_EEE10hipError_tPvRmT3_T4_T5_T6_T7_T9_mT8_P12ihipStream_tbDpT10_ENKUlT_T0_E_clISt17integral_constantIbLb1EES19_IbLb0EEEEDaS15_S16_EUlS15_E_NS1_11comp_targetILNS1_3genE4ELNS1_11target_archE910ELNS1_3gpuE8ELNS1_3repE0EEENS1_30default_config_static_selectorELNS0_4arch9wavefront6targetE1EEEvT1_
		.amdhsa_group_segment_fixed_size 0
		.amdhsa_private_segment_fixed_size 0
		.amdhsa_kernarg_size 112
		.amdhsa_user_sgpr_count 6
		.amdhsa_user_sgpr_private_segment_buffer 1
		.amdhsa_user_sgpr_dispatch_ptr 0
		.amdhsa_user_sgpr_queue_ptr 0
		.amdhsa_user_sgpr_kernarg_segment_ptr 1
		.amdhsa_user_sgpr_dispatch_id 0
		.amdhsa_user_sgpr_flat_scratch_init 0
		.amdhsa_user_sgpr_private_segment_size 0
		.amdhsa_uses_dynamic_stack 0
		.amdhsa_system_sgpr_private_segment_wavefront_offset 0
		.amdhsa_system_sgpr_workgroup_id_x 1
		.amdhsa_system_sgpr_workgroup_id_y 0
		.amdhsa_system_sgpr_workgroup_id_z 0
		.amdhsa_system_sgpr_workgroup_info 0
		.amdhsa_system_vgpr_workitem_id 0
		.amdhsa_next_free_vgpr 1
		.amdhsa_next_free_sgpr 0
		.amdhsa_reserve_vcc 0
		.amdhsa_reserve_flat_scratch 0
		.amdhsa_float_round_mode_32 0
		.amdhsa_float_round_mode_16_64 0
		.amdhsa_float_denorm_mode_32 3
		.amdhsa_float_denorm_mode_16_64 3
		.amdhsa_dx10_clamp 1
		.amdhsa_ieee_mode 1
		.amdhsa_fp16_overflow 0
		.amdhsa_exception_fp_ieee_invalid_op 0
		.amdhsa_exception_fp_denorm_src 0
		.amdhsa_exception_fp_ieee_div_zero 0
		.amdhsa_exception_fp_ieee_overflow 0
		.amdhsa_exception_fp_ieee_underflow 0
		.amdhsa_exception_fp_ieee_inexact 0
		.amdhsa_exception_int_div_zero 0
	.end_amdhsa_kernel
	.section	.text._ZN7rocprim17ROCPRIM_400000_NS6detail17trampoline_kernelINS0_14default_configENS1_25partition_config_selectorILNS1_17partition_subalgoE8EyNS0_10empty_typeEbEEZZNS1_14partition_implILS5_8ELb0ES3_jN6thrust23THRUST_200600_302600_NS6detail15normal_iteratorINSA_10device_ptrIyEEEEPS6_PKS6_NS0_5tupleIJSF_S6_EEENSJ_IJSG_SG_EEENS0_18inequality_wrapperINSA_8equal_toIyEEEEPmJS6_EEE10hipError_tPvRmT3_T4_T5_T6_T7_T9_mT8_P12ihipStream_tbDpT10_ENKUlT_T0_E_clISt17integral_constantIbLb1EES19_IbLb0EEEEDaS15_S16_EUlS15_E_NS1_11comp_targetILNS1_3genE4ELNS1_11target_archE910ELNS1_3gpuE8ELNS1_3repE0EEENS1_30default_config_static_selectorELNS0_4arch9wavefront6targetE1EEEvT1_,"axG",@progbits,_ZN7rocprim17ROCPRIM_400000_NS6detail17trampoline_kernelINS0_14default_configENS1_25partition_config_selectorILNS1_17partition_subalgoE8EyNS0_10empty_typeEbEEZZNS1_14partition_implILS5_8ELb0ES3_jN6thrust23THRUST_200600_302600_NS6detail15normal_iteratorINSA_10device_ptrIyEEEEPS6_PKS6_NS0_5tupleIJSF_S6_EEENSJ_IJSG_SG_EEENS0_18inequality_wrapperINSA_8equal_toIyEEEEPmJS6_EEE10hipError_tPvRmT3_T4_T5_T6_T7_T9_mT8_P12ihipStream_tbDpT10_ENKUlT_T0_E_clISt17integral_constantIbLb1EES19_IbLb0EEEEDaS15_S16_EUlS15_E_NS1_11comp_targetILNS1_3genE4ELNS1_11target_archE910ELNS1_3gpuE8ELNS1_3repE0EEENS1_30default_config_static_selectorELNS0_4arch9wavefront6targetE1EEEvT1_,comdat
.Lfunc_end163:
	.size	_ZN7rocprim17ROCPRIM_400000_NS6detail17trampoline_kernelINS0_14default_configENS1_25partition_config_selectorILNS1_17partition_subalgoE8EyNS0_10empty_typeEbEEZZNS1_14partition_implILS5_8ELb0ES3_jN6thrust23THRUST_200600_302600_NS6detail15normal_iteratorINSA_10device_ptrIyEEEEPS6_PKS6_NS0_5tupleIJSF_S6_EEENSJ_IJSG_SG_EEENS0_18inequality_wrapperINSA_8equal_toIyEEEEPmJS6_EEE10hipError_tPvRmT3_T4_T5_T6_T7_T9_mT8_P12ihipStream_tbDpT10_ENKUlT_T0_E_clISt17integral_constantIbLb1EES19_IbLb0EEEEDaS15_S16_EUlS15_E_NS1_11comp_targetILNS1_3genE4ELNS1_11target_archE910ELNS1_3gpuE8ELNS1_3repE0EEENS1_30default_config_static_selectorELNS0_4arch9wavefront6targetE1EEEvT1_, .Lfunc_end163-_ZN7rocprim17ROCPRIM_400000_NS6detail17trampoline_kernelINS0_14default_configENS1_25partition_config_selectorILNS1_17partition_subalgoE8EyNS0_10empty_typeEbEEZZNS1_14partition_implILS5_8ELb0ES3_jN6thrust23THRUST_200600_302600_NS6detail15normal_iteratorINSA_10device_ptrIyEEEEPS6_PKS6_NS0_5tupleIJSF_S6_EEENSJ_IJSG_SG_EEENS0_18inequality_wrapperINSA_8equal_toIyEEEEPmJS6_EEE10hipError_tPvRmT3_T4_T5_T6_T7_T9_mT8_P12ihipStream_tbDpT10_ENKUlT_T0_E_clISt17integral_constantIbLb1EES19_IbLb0EEEEDaS15_S16_EUlS15_E_NS1_11comp_targetILNS1_3genE4ELNS1_11target_archE910ELNS1_3gpuE8ELNS1_3repE0EEENS1_30default_config_static_selectorELNS0_4arch9wavefront6targetE1EEEvT1_
                                        ; -- End function
	.set _ZN7rocprim17ROCPRIM_400000_NS6detail17trampoline_kernelINS0_14default_configENS1_25partition_config_selectorILNS1_17partition_subalgoE8EyNS0_10empty_typeEbEEZZNS1_14partition_implILS5_8ELb0ES3_jN6thrust23THRUST_200600_302600_NS6detail15normal_iteratorINSA_10device_ptrIyEEEEPS6_PKS6_NS0_5tupleIJSF_S6_EEENSJ_IJSG_SG_EEENS0_18inequality_wrapperINSA_8equal_toIyEEEEPmJS6_EEE10hipError_tPvRmT3_T4_T5_T6_T7_T9_mT8_P12ihipStream_tbDpT10_ENKUlT_T0_E_clISt17integral_constantIbLb1EES19_IbLb0EEEEDaS15_S16_EUlS15_E_NS1_11comp_targetILNS1_3genE4ELNS1_11target_archE910ELNS1_3gpuE8ELNS1_3repE0EEENS1_30default_config_static_selectorELNS0_4arch9wavefront6targetE1EEEvT1_.num_vgpr, 0
	.set _ZN7rocprim17ROCPRIM_400000_NS6detail17trampoline_kernelINS0_14default_configENS1_25partition_config_selectorILNS1_17partition_subalgoE8EyNS0_10empty_typeEbEEZZNS1_14partition_implILS5_8ELb0ES3_jN6thrust23THRUST_200600_302600_NS6detail15normal_iteratorINSA_10device_ptrIyEEEEPS6_PKS6_NS0_5tupleIJSF_S6_EEENSJ_IJSG_SG_EEENS0_18inequality_wrapperINSA_8equal_toIyEEEEPmJS6_EEE10hipError_tPvRmT3_T4_T5_T6_T7_T9_mT8_P12ihipStream_tbDpT10_ENKUlT_T0_E_clISt17integral_constantIbLb1EES19_IbLb0EEEEDaS15_S16_EUlS15_E_NS1_11comp_targetILNS1_3genE4ELNS1_11target_archE910ELNS1_3gpuE8ELNS1_3repE0EEENS1_30default_config_static_selectorELNS0_4arch9wavefront6targetE1EEEvT1_.num_agpr, 0
	.set _ZN7rocprim17ROCPRIM_400000_NS6detail17trampoline_kernelINS0_14default_configENS1_25partition_config_selectorILNS1_17partition_subalgoE8EyNS0_10empty_typeEbEEZZNS1_14partition_implILS5_8ELb0ES3_jN6thrust23THRUST_200600_302600_NS6detail15normal_iteratorINSA_10device_ptrIyEEEEPS6_PKS6_NS0_5tupleIJSF_S6_EEENSJ_IJSG_SG_EEENS0_18inequality_wrapperINSA_8equal_toIyEEEEPmJS6_EEE10hipError_tPvRmT3_T4_T5_T6_T7_T9_mT8_P12ihipStream_tbDpT10_ENKUlT_T0_E_clISt17integral_constantIbLb1EES19_IbLb0EEEEDaS15_S16_EUlS15_E_NS1_11comp_targetILNS1_3genE4ELNS1_11target_archE910ELNS1_3gpuE8ELNS1_3repE0EEENS1_30default_config_static_selectorELNS0_4arch9wavefront6targetE1EEEvT1_.numbered_sgpr, 0
	.set _ZN7rocprim17ROCPRIM_400000_NS6detail17trampoline_kernelINS0_14default_configENS1_25partition_config_selectorILNS1_17partition_subalgoE8EyNS0_10empty_typeEbEEZZNS1_14partition_implILS5_8ELb0ES3_jN6thrust23THRUST_200600_302600_NS6detail15normal_iteratorINSA_10device_ptrIyEEEEPS6_PKS6_NS0_5tupleIJSF_S6_EEENSJ_IJSG_SG_EEENS0_18inequality_wrapperINSA_8equal_toIyEEEEPmJS6_EEE10hipError_tPvRmT3_T4_T5_T6_T7_T9_mT8_P12ihipStream_tbDpT10_ENKUlT_T0_E_clISt17integral_constantIbLb1EES19_IbLb0EEEEDaS15_S16_EUlS15_E_NS1_11comp_targetILNS1_3genE4ELNS1_11target_archE910ELNS1_3gpuE8ELNS1_3repE0EEENS1_30default_config_static_selectorELNS0_4arch9wavefront6targetE1EEEvT1_.num_named_barrier, 0
	.set _ZN7rocprim17ROCPRIM_400000_NS6detail17trampoline_kernelINS0_14default_configENS1_25partition_config_selectorILNS1_17partition_subalgoE8EyNS0_10empty_typeEbEEZZNS1_14partition_implILS5_8ELb0ES3_jN6thrust23THRUST_200600_302600_NS6detail15normal_iteratorINSA_10device_ptrIyEEEEPS6_PKS6_NS0_5tupleIJSF_S6_EEENSJ_IJSG_SG_EEENS0_18inequality_wrapperINSA_8equal_toIyEEEEPmJS6_EEE10hipError_tPvRmT3_T4_T5_T6_T7_T9_mT8_P12ihipStream_tbDpT10_ENKUlT_T0_E_clISt17integral_constantIbLb1EES19_IbLb0EEEEDaS15_S16_EUlS15_E_NS1_11comp_targetILNS1_3genE4ELNS1_11target_archE910ELNS1_3gpuE8ELNS1_3repE0EEENS1_30default_config_static_selectorELNS0_4arch9wavefront6targetE1EEEvT1_.private_seg_size, 0
	.set _ZN7rocprim17ROCPRIM_400000_NS6detail17trampoline_kernelINS0_14default_configENS1_25partition_config_selectorILNS1_17partition_subalgoE8EyNS0_10empty_typeEbEEZZNS1_14partition_implILS5_8ELb0ES3_jN6thrust23THRUST_200600_302600_NS6detail15normal_iteratorINSA_10device_ptrIyEEEEPS6_PKS6_NS0_5tupleIJSF_S6_EEENSJ_IJSG_SG_EEENS0_18inequality_wrapperINSA_8equal_toIyEEEEPmJS6_EEE10hipError_tPvRmT3_T4_T5_T6_T7_T9_mT8_P12ihipStream_tbDpT10_ENKUlT_T0_E_clISt17integral_constantIbLb1EES19_IbLb0EEEEDaS15_S16_EUlS15_E_NS1_11comp_targetILNS1_3genE4ELNS1_11target_archE910ELNS1_3gpuE8ELNS1_3repE0EEENS1_30default_config_static_selectorELNS0_4arch9wavefront6targetE1EEEvT1_.uses_vcc, 0
	.set _ZN7rocprim17ROCPRIM_400000_NS6detail17trampoline_kernelINS0_14default_configENS1_25partition_config_selectorILNS1_17partition_subalgoE8EyNS0_10empty_typeEbEEZZNS1_14partition_implILS5_8ELb0ES3_jN6thrust23THRUST_200600_302600_NS6detail15normal_iteratorINSA_10device_ptrIyEEEEPS6_PKS6_NS0_5tupleIJSF_S6_EEENSJ_IJSG_SG_EEENS0_18inequality_wrapperINSA_8equal_toIyEEEEPmJS6_EEE10hipError_tPvRmT3_T4_T5_T6_T7_T9_mT8_P12ihipStream_tbDpT10_ENKUlT_T0_E_clISt17integral_constantIbLb1EES19_IbLb0EEEEDaS15_S16_EUlS15_E_NS1_11comp_targetILNS1_3genE4ELNS1_11target_archE910ELNS1_3gpuE8ELNS1_3repE0EEENS1_30default_config_static_selectorELNS0_4arch9wavefront6targetE1EEEvT1_.uses_flat_scratch, 0
	.set _ZN7rocprim17ROCPRIM_400000_NS6detail17trampoline_kernelINS0_14default_configENS1_25partition_config_selectorILNS1_17partition_subalgoE8EyNS0_10empty_typeEbEEZZNS1_14partition_implILS5_8ELb0ES3_jN6thrust23THRUST_200600_302600_NS6detail15normal_iteratorINSA_10device_ptrIyEEEEPS6_PKS6_NS0_5tupleIJSF_S6_EEENSJ_IJSG_SG_EEENS0_18inequality_wrapperINSA_8equal_toIyEEEEPmJS6_EEE10hipError_tPvRmT3_T4_T5_T6_T7_T9_mT8_P12ihipStream_tbDpT10_ENKUlT_T0_E_clISt17integral_constantIbLb1EES19_IbLb0EEEEDaS15_S16_EUlS15_E_NS1_11comp_targetILNS1_3genE4ELNS1_11target_archE910ELNS1_3gpuE8ELNS1_3repE0EEENS1_30default_config_static_selectorELNS0_4arch9wavefront6targetE1EEEvT1_.has_dyn_sized_stack, 0
	.set _ZN7rocprim17ROCPRIM_400000_NS6detail17trampoline_kernelINS0_14default_configENS1_25partition_config_selectorILNS1_17partition_subalgoE8EyNS0_10empty_typeEbEEZZNS1_14partition_implILS5_8ELb0ES3_jN6thrust23THRUST_200600_302600_NS6detail15normal_iteratorINSA_10device_ptrIyEEEEPS6_PKS6_NS0_5tupleIJSF_S6_EEENSJ_IJSG_SG_EEENS0_18inequality_wrapperINSA_8equal_toIyEEEEPmJS6_EEE10hipError_tPvRmT3_T4_T5_T6_T7_T9_mT8_P12ihipStream_tbDpT10_ENKUlT_T0_E_clISt17integral_constantIbLb1EES19_IbLb0EEEEDaS15_S16_EUlS15_E_NS1_11comp_targetILNS1_3genE4ELNS1_11target_archE910ELNS1_3gpuE8ELNS1_3repE0EEENS1_30default_config_static_selectorELNS0_4arch9wavefront6targetE1EEEvT1_.has_recursion, 0
	.set _ZN7rocprim17ROCPRIM_400000_NS6detail17trampoline_kernelINS0_14default_configENS1_25partition_config_selectorILNS1_17partition_subalgoE8EyNS0_10empty_typeEbEEZZNS1_14partition_implILS5_8ELb0ES3_jN6thrust23THRUST_200600_302600_NS6detail15normal_iteratorINSA_10device_ptrIyEEEEPS6_PKS6_NS0_5tupleIJSF_S6_EEENSJ_IJSG_SG_EEENS0_18inequality_wrapperINSA_8equal_toIyEEEEPmJS6_EEE10hipError_tPvRmT3_T4_T5_T6_T7_T9_mT8_P12ihipStream_tbDpT10_ENKUlT_T0_E_clISt17integral_constantIbLb1EES19_IbLb0EEEEDaS15_S16_EUlS15_E_NS1_11comp_targetILNS1_3genE4ELNS1_11target_archE910ELNS1_3gpuE8ELNS1_3repE0EEENS1_30default_config_static_selectorELNS0_4arch9wavefront6targetE1EEEvT1_.has_indirect_call, 0
	.section	.AMDGPU.csdata,"",@progbits
; Kernel info:
; codeLenInByte = 0
; TotalNumSgprs: 4
; NumVgprs: 0
; ScratchSize: 0
; MemoryBound: 0
; FloatMode: 240
; IeeeMode: 1
; LDSByteSize: 0 bytes/workgroup (compile time only)
; SGPRBlocks: 0
; VGPRBlocks: 0
; NumSGPRsForWavesPerEU: 4
; NumVGPRsForWavesPerEU: 1
; Occupancy: 10
; WaveLimiterHint : 0
; COMPUTE_PGM_RSRC2:SCRATCH_EN: 0
; COMPUTE_PGM_RSRC2:USER_SGPR: 6
; COMPUTE_PGM_RSRC2:TRAP_HANDLER: 0
; COMPUTE_PGM_RSRC2:TGID_X_EN: 1
; COMPUTE_PGM_RSRC2:TGID_Y_EN: 0
; COMPUTE_PGM_RSRC2:TGID_Z_EN: 0
; COMPUTE_PGM_RSRC2:TIDIG_COMP_CNT: 0
	.section	.text._ZN7rocprim17ROCPRIM_400000_NS6detail17trampoline_kernelINS0_14default_configENS1_25partition_config_selectorILNS1_17partition_subalgoE8EyNS0_10empty_typeEbEEZZNS1_14partition_implILS5_8ELb0ES3_jN6thrust23THRUST_200600_302600_NS6detail15normal_iteratorINSA_10device_ptrIyEEEEPS6_PKS6_NS0_5tupleIJSF_S6_EEENSJ_IJSG_SG_EEENS0_18inequality_wrapperINSA_8equal_toIyEEEEPmJS6_EEE10hipError_tPvRmT3_T4_T5_T6_T7_T9_mT8_P12ihipStream_tbDpT10_ENKUlT_T0_E_clISt17integral_constantIbLb1EES19_IbLb0EEEEDaS15_S16_EUlS15_E_NS1_11comp_targetILNS1_3genE3ELNS1_11target_archE908ELNS1_3gpuE7ELNS1_3repE0EEENS1_30default_config_static_selectorELNS0_4arch9wavefront6targetE1EEEvT1_,"axG",@progbits,_ZN7rocprim17ROCPRIM_400000_NS6detail17trampoline_kernelINS0_14default_configENS1_25partition_config_selectorILNS1_17partition_subalgoE8EyNS0_10empty_typeEbEEZZNS1_14partition_implILS5_8ELb0ES3_jN6thrust23THRUST_200600_302600_NS6detail15normal_iteratorINSA_10device_ptrIyEEEEPS6_PKS6_NS0_5tupleIJSF_S6_EEENSJ_IJSG_SG_EEENS0_18inequality_wrapperINSA_8equal_toIyEEEEPmJS6_EEE10hipError_tPvRmT3_T4_T5_T6_T7_T9_mT8_P12ihipStream_tbDpT10_ENKUlT_T0_E_clISt17integral_constantIbLb1EES19_IbLb0EEEEDaS15_S16_EUlS15_E_NS1_11comp_targetILNS1_3genE3ELNS1_11target_archE908ELNS1_3gpuE7ELNS1_3repE0EEENS1_30default_config_static_selectorELNS0_4arch9wavefront6targetE1EEEvT1_,comdat
	.protected	_ZN7rocprim17ROCPRIM_400000_NS6detail17trampoline_kernelINS0_14default_configENS1_25partition_config_selectorILNS1_17partition_subalgoE8EyNS0_10empty_typeEbEEZZNS1_14partition_implILS5_8ELb0ES3_jN6thrust23THRUST_200600_302600_NS6detail15normal_iteratorINSA_10device_ptrIyEEEEPS6_PKS6_NS0_5tupleIJSF_S6_EEENSJ_IJSG_SG_EEENS0_18inequality_wrapperINSA_8equal_toIyEEEEPmJS6_EEE10hipError_tPvRmT3_T4_T5_T6_T7_T9_mT8_P12ihipStream_tbDpT10_ENKUlT_T0_E_clISt17integral_constantIbLb1EES19_IbLb0EEEEDaS15_S16_EUlS15_E_NS1_11comp_targetILNS1_3genE3ELNS1_11target_archE908ELNS1_3gpuE7ELNS1_3repE0EEENS1_30default_config_static_selectorELNS0_4arch9wavefront6targetE1EEEvT1_ ; -- Begin function _ZN7rocprim17ROCPRIM_400000_NS6detail17trampoline_kernelINS0_14default_configENS1_25partition_config_selectorILNS1_17partition_subalgoE8EyNS0_10empty_typeEbEEZZNS1_14partition_implILS5_8ELb0ES3_jN6thrust23THRUST_200600_302600_NS6detail15normal_iteratorINSA_10device_ptrIyEEEEPS6_PKS6_NS0_5tupleIJSF_S6_EEENSJ_IJSG_SG_EEENS0_18inequality_wrapperINSA_8equal_toIyEEEEPmJS6_EEE10hipError_tPvRmT3_T4_T5_T6_T7_T9_mT8_P12ihipStream_tbDpT10_ENKUlT_T0_E_clISt17integral_constantIbLb1EES19_IbLb0EEEEDaS15_S16_EUlS15_E_NS1_11comp_targetILNS1_3genE3ELNS1_11target_archE908ELNS1_3gpuE7ELNS1_3repE0EEENS1_30default_config_static_selectorELNS0_4arch9wavefront6targetE1EEEvT1_
	.globl	_ZN7rocprim17ROCPRIM_400000_NS6detail17trampoline_kernelINS0_14default_configENS1_25partition_config_selectorILNS1_17partition_subalgoE8EyNS0_10empty_typeEbEEZZNS1_14partition_implILS5_8ELb0ES3_jN6thrust23THRUST_200600_302600_NS6detail15normal_iteratorINSA_10device_ptrIyEEEEPS6_PKS6_NS0_5tupleIJSF_S6_EEENSJ_IJSG_SG_EEENS0_18inequality_wrapperINSA_8equal_toIyEEEEPmJS6_EEE10hipError_tPvRmT3_T4_T5_T6_T7_T9_mT8_P12ihipStream_tbDpT10_ENKUlT_T0_E_clISt17integral_constantIbLb1EES19_IbLb0EEEEDaS15_S16_EUlS15_E_NS1_11comp_targetILNS1_3genE3ELNS1_11target_archE908ELNS1_3gpuE7ELNS1_3repE0EEENS1_30default_config_static_selectorELNS0_4arch9wavefront6targetE1EEEvT1_
	.p2align	8
	.type	_ZN7rocprim17ROCPRIM_400000_NS6detail17trampoline_kernelINS0_14default_configENS1_25partition_config_selectorILNS1_17partition_subalgoE8EyNS0_10empty_typeEbEEZZNS1_14partition_implILS5_8ELb0ES3_jN6thrust23THRUST_200600_302600_NS6detail15normal_iteratorINSA_10device_ptrIyEEEEPS6_PKS6_NS0_5tupleIJSF_S6_EEENSJ_IJSG_SG_EEENS0_18inequality_wrapperINSA_8equal_toIyEEEEPmJS6_EEE10hipError_tPvRmT3_T4_T5_T6_T7_T9_mT8_P12ihipStream_tbDpT10_ENKUlT_T0_E_clISt17integral_constantIbLb1EES19_IbLb0EEEEDaS15_S16_EUlS15_E_NS1_11comp_targetILNS1_3genE3ELNS1_11target_archE908ELNS1_3gpuE7ELNS1_3repE0EEENS1_30default_config_static_selectorELNS0_4arch9wavefront6targetE1EEEvT1_,@function
_ZN7rocprim17ROCPRIM_400000_NS6detail17trampoline_kernelINS0_14default_configENS1_25partition_config_selectorILNS1_17partition_subalgoE8EyNS0_10empty_typeEbEEZZNS1_14partition_implILS5_8ELb0ES3_jN6thrust23THRUST_200600_302600_NS6detail15normal_iteratorINSA_10device_ptrIyEEEEPS6_PKS6_NS0_5tupleIJSF_S6_EEENSJ_IJSG_SG_EEENS0_18inequality_wrapperINSA_8equal_toIyEEEEPmJS6_EEE10hipError_tPvRmT3_T4_T5_T6_T7_T9_mT8_P12ihipStream_tbDpT10_ENKUlT_T0_E_clISt17integral_constantIbLb1EES19_IbLb0EEEEDaS15_S16_EUlS15_E_NS1_11comp_targetILNS1_3genE3ELNS1_11target_archE908ELNS1_3gpuE7ELNS1_3repE0EEENS1_30default_config_static_selectorELNS0_4arch9wavefront6targetE1EEEvT1_: ; @_ZN7rocprim17ROCPRIM_400000_NS6detail17trampoline_kernelINS0_14default_configENS1_25partition_config_selectorILNS1_17partition_subalgoE8EyNS0_10empty_typeEbEEZZNS1_14partition_implILS5_8ELb0ES3_jN6thrust23THRUST_200600_302600_NS6detail15normal_iteratorINSA_10device_ptrIyEEEEPS6_PKS6_NS0_5tupleIJSF_S6_EEENSJ_IJSG_SG_EEENS0_18inequality_wrapperINSA_8equal_toIyEEEEPmJS6_EEE10hipError_tPvRmT3_T4_T5_T6_T7_T9_mT8_P12ihipStream_tbDpT10_ENKUlT_T0_E_clISt17integral_constantIbLb1EES19_IbLb0EEEEDaS15_S16_EUlS15_E_NS1_11comp_targetILNS1_3genE3ELNS1_11target_archE908ELNS1_3gpuE7ELNS1_3repE0EEENS1_30default_config_static_selectorELNS0_4arch9wavefront6targetE1EEEvT1_
; %bb.0:
	.section	.rodata,"a",@progbits
	.p2align	6, 0x0
	.amdhsa_kernel _ZN7rocprim17ROCPRIM_400000_NS6detail17trampoline_kernelINS0_14default_configENS1_25partition_config_selectorILNS1_17partition_subalgoE8EyNS0_10empty_typeEbEEZZNS1_14partition_implILS5_8ELb0ES3_jN6thrust23THRUST_200600_302600_NS6detail15normal_iteratorINSA_10device_ptrIyEEEEPS6_PKS6_NS0_5tupleIJSF_S6_EEENSJ_IJSG_SG_EEENS0_18inequality_wrapperINSA_8equal_toIyEEEEPmJS6_EEE10hipError_tPvRmT3_T4_T5_T6_T7_T9_mT8_P12ihipStream_tbDpT10_ENKUlT_T0_E_clISt17integral_constantIbLb1EES19_IbLb0EEEEDaS15_S16_EUlS15_E_NS1_11comp_targetILNS1_3genE3ELNS1_11target_archE908ELNS1_3gpuE7ELNS1_3repE0EEENS1_30default_config_static_selectorELNS0_4arch9wavefront6targetE1EEEvT1_
		.amdhsa_group_segment_fixed_size 0
		.amdhsa_private_segment_fixed_size 0
		.amdhsa_kernarg_size 112
		.amdhsa_user_sgpr_count 6
		.amdhsa_user_sgpr_private_segment_buffer 1
		.amdhsa_user_sgpr_dispatch_ptr 0
		.amdhsa_user_sgpr_queue_ptr 0
		.amdhsa_user_sgpr_kernarg_segment_ptr 1
		.amdhsa_user_sgpr_dispatch_id 0
		.amdhsa_user_sgpr_flat_scratch_init 0
		.amdhsa_user_sgpr_private_segment_size 0
		.amdhsa_uses_dynamic_stack 0
		.amdhsa_system_sgpr_private_segment_wavefront_offset 0
		.amdhsa_system_sgpr_workgroup_id_x 1
		.amdhsa_system_sgpr_workgroup_id_y 0
		.amdhsa_system_sgpr_workgroup_id_z 0
		.amdhsa_system_sgpr_workgroup_info 0
		.amdhsa_system_vgpr_workitem_id 0
		.amdhsa_next_free_vgpr 1
		.amdhsa_next_free_sgpr 0
		.amdhsa_reserve_vcc 0
		.amdhsa_reserve_flat_scratch 0
		.amdhsa_float_round_mode_32 0
		.amdhsa_float_round_mode_16_64 0
		.amdhsa_float_denorm_mode_32 3
		.amdhsa_float_denorm_mode_16_64 3
		.amdhsa_dx10_clamp 1
		.amdhsa_ieee_mode 1
		.amdhsa_fp16_overflow 0
		.amdhsa_exception_fp_ieee_invalid_op 0
		.amdhsa_exception_fp_denorm_src 0
		.amdhsa_exception_fp_ieee_div_zero 0
		.amdhsa_exception_fp_ieee_overflow 0
		.amdhsa_exception_fp_ieee_underflow 0
		.amdhsa_exception_fp_ieee_inexact 0
		.amdhsa_exception_int_div_zero 0
	.end_amdhsa_kernel
	.section	.text._ZN7rocprim17ROCPRIM_400000_NS6detail17trampoline_kernelINS0_14default_configENS1_25partition_config_selectorILNS1_17partition_subalgoE8EyNS0_10empty_typeEbEEZZNS1_14partition_implILS5_8ELb0ES3_jN6thrust23THRUST_200600_302600_NS6detail15normal_iteratorINSA_10device_ptrIyEEEEPS6_PKS6_NS0_5tupleIJSF_S6_EEENSJ_IJSG_SG_EEENS0_18inequality_wrapperINSA_8equal_toIyEEEEPmJS6_EEE10hipError_tPvRmT3_T4_T5_T6_T7_T9_mT8_P12ihipStream_tbDpT10_ENKUlT_T0_E_clISt17integral_constantIbLb1EES19_IbLb0EEEEDaS15_S16_EUlS15_E_NS1_11comp_targetILNS1_3genE3ELNS1_11target_archE908ELNS1_3gpuE7ELNS1_3repE0EEENS1_30default_config_static_selectorELNS0_4arch9wavefront6targetE1EEEvT1_,"axG",@progbits,_ZN7rocprim17ROCPRIM_400000_NS6detail17trampoline_kernelINS0_14default_configENS1_25partition_config_selectorILNS1_17partition_subalgoE8EyNS0_10empty_typeEbEEZZNS1_14partition_implILS5_8ELb0ES3_jN6thrust23THRUST_200600_302600_NS6detail15normal_iteratorINSA_10device_ptrIyEEEEPS6_PKS6_NS0_5tupleIJSF_S6_EEENSJ_IJSG_SG_EEENS0_18inequality_wrapperINSA_8equal_toIyEEEEPmJS6_EEE10hipError_tPvRmT3_T4_T5_T6_T7_T9_mT8_P12ihipStream_tbDpT10_ENKUlT_T0_E_clISt17integral_constantIbLb1EES19_IbLb0EEEEDaS15_S16_EUlS15_E_NS1_11comp_targetILNS1_3genE3ELNS1_11target_archE908ELNS1_3gpuE7ELNS1_3repE0EEENS1_30default_config_static_selectorELNS0_4arch9wavefront6targetE1EEEvT1_,comdat
.Lfunc_end164:
	.size	_ZN7rocprim17ROCPRIM_400000_NS6detail17trampoline_kernelINS0_14default_configENS1_25partition_config_selectorILNS1_17partition_subalgoE8EyNS0_10empty_typeEbEEZZNS1_14partition_implILS5_8ELb0ES3_jN6thrust23THRUST_200600_302600_NS6detail15normal_iteratorINSA_10device_ptrIyEEEEPS6_PKS6_NS0_5tupleIJSF_S6_EEENSJ_IJSG_SG_EEENS0_18inequality_wrapperINSA_8equal_toIyEEEEPmJS6_EEE10hipError_tPvRmT3_T4_T5_T6_T7_T9_mT8_P12ihipStream_tbDpT10_ENKUlT_T0_E_clISt17integral_constantIbLb1EES19_IbLb0EEEEDaS15_S16_EUlS15_E_NS1_11comp_targetILNS1_3genE3ELNS1_11target_archE908ELNS1_3gpuE7ELNS1_3repE0EEENS1_30default_config_static_selectorELNS0_4arch9wavefront6targetE1EEEvT1_, .Lfunc_end164-_ZN7rocprim17ROCPRIM_400000_NS6detail17trampoline_kernelINS0_14default_configENS1_25partition_config_selectorILNS1_17partition_subalgoE8EyNS0_10empty_typeEbEEZZNS1_14partition_implILS5_8ELb0ES3_jN6thrust23THRUST_200600_302600_NS6detail15normal_iteratorINSA_10device_ptrIyEEEEPS6_PKS6_NS0_5tupleIJSF_S6_EEENSJ_IJSG_SG_EEENS0_18inequality_wrapperINSA_8equal_toIyEEEEPmJS6_EEE10hipError_tPvRmT3_T4_T5_T6_T7_T9_mT8_P12ihipStream_tbDpT10_ENKUlT_T0_E_clISt17integral_constantIbLb1EES19_IbLb0EEEEDaS15_S16_EUlS15_E_NS1_11comp_targetILNS1_3genE3ELNS1_11target_archE908ELNS1_3gpuE7ELNS1_3repE0EEENS1_30default_config_static_selectorELNS0_4arch9wavefront6targetE1EEEvT1_
                                        ; -- End function
	.set _ZN7rocprim17ROCPRIM_400000_NS6detail17trampoline_kernelINS0_14default_configENS1_25partition_config_selectorILNS1_17partition_subalgoE8EyNS0_10empty_typeEbEEZZNS1_14partition_implILS5_8ELb0ES3_jN6thrust23THRUST_200600_302600_NS6detail15normal_iteratorINSA_10device_ptrIyEEEEPS6_PKS6_NS0_5tupleIJSF_S6_EEENSJ_IJSG_SG_EEENS0_18inequality_wrapperINSA_8equal_toIyEEEEPmJS6_EEE10hipError_tPvRmT3_T4_T5_T6_T7_T9_mT8_P12ihipStream_tbDpT10_ENKUlT_T0_E_clISt17integral_constantIbLb1EES19_IbLb0EEEEDaS15_S16_EUlS15_E_NS1_11comp_targetILNS1_3genE3ELNS1_11target_archE908ELNS1_3gpuE7ELNS1_3repE0EEENS1_30default_config_static_selectorELNS0_4arch9wavefront6targetE1EEEvT1_.num_vgpr, 0
	.set _ZN7rocprim17ROCPRIM_400000_NS6detail17trampoline_kernelINS0_14default_configENS1_25partition_config_selectorILNS1_17partition_subalgoE8EyNS0_10empty_typeEbEEZZNS1_14partition_implILS5_8ELb0ES3_jN6thrust23THRUST_200600_302600_NS6detail15normal_iteratorINSA_10device_ptrIyEEEEPS6_PKS6_NS0_5tupleIJSF_S6_EEENSJ_IJSG_SG_EEENS0_18inequality_wrapperINSA_8equal_toIyEEEEPmJS6_EEE10hipError_tPvRmT3_T4_T5_T6_T7_T9_mT8_P12ihipStream_tbDpT10_ENKUlT_T0_E_clISt17integral_constantIbLb1EES19_IbLb0EEEEDaS15_S16_EUlS15_E_NS1_11comp_targetILNS1_3genE3ELNS1_11target_archE908ELNS1_3gpuE7ELNS1_3repE0EEENS1_30default_config_static_selectorELNS0_4arch9wavefront6targetE1EEEvT1_.num_agpr, 0
	.set _ZN7rocprim17ROCPRIM_400000_NS6detail17trampoline_kernelINS0_14default_configENS1_25partition_config_selectorILNS1_17partition_subalgoE8EyNS0_10empty_typeEbEEZZNS1_14partition_implILS5_8ELb0ES3_jN6thrust23THRUST_200600_302600_NS6detail15normal_iteratorINSA_10device_ptrIyEEEEPS6_PKS6_NS0_5tupleIJSF_S6_EEENSJ_IJSG_SG_EEENS0_18inequality_wrapperINSA_8equal_toIyEEEEPmJS6_EEE10hipError_tPvRmT3_T4_T5_T6_T7_T9_mT8_P12ihipStream_tbDpT10_ENKUlT_T0_E_clISt17integral_constantIbLb1EES19_IbLb0EEEEDaS15_S16_EUlS15_E_NS1_11comp_targetILNS1_3genE3ELNS1_11target_archE908ELNS1_3gpuE7ELNS1_3repE0EEENS1_30default_config_static_selectorELNS0_4arch9wavefront6targetE1EEEvT1_.numbered_sgpr, 0
	.set _ZN7rocprim17ROCPRIM_400000_NS6detail17trampoline_kernelINS0_14default_configENS1_25partition_config_selectorILNS1_17partition_subalgoE8EyNS0_10empty_typeEbEEZZNS1_14partition_implILS5_8ELb0ES3_jN6thrust23THRUST_200600_302600_NS6detail15normal_iteratorINSA_10device_ptrIyEEEEPS6_PKS6_NS0_5tupleIJSF_S6_EEENSJ_IJSG_SG_EEENS0_18inequality_wrapperINSA_8equal_toIyEEEEPmJS6_EEE10hipError_tPvRmT3_T4_T5_T6_T7_T9_mT8_P12ihipStream_tbDpT10_ENKUlT_T0_E_clISt17integral_constantIbLb1EES19_IbLb0EEEEDaS15_S16_EUlS15_E_NS1_11comp_targetILNS1_3genE3ELNS1_11target_archE908ELNS1_3gpuE7ELNS1_3repE0EEENS1_30default_config_static_selectorELNS0_4arch9wavefront6targetE1EEEvT1_.num_named_barrier, 0
	.set _ZN7rocprim17ROCPRIM_400000_NS6detail17trampoline_kernelINS0_14default_configENS1_25partition_config_selectorILNS1_17partition_subalgoE8EyNS0_10empty_typeEbEEZZNS1_14partition_implILS5_8ELb0ES3_jN6thrust23THRUST_200600_302600_NS6detail15normal_iteratorINSA_10device_ptrIyEEEEPS6_PKS6_NS0_5tupleIJSF_S6_EEENSJ_IJSG_SG_EEENS0_18inequality_wrapperINSA_8equal_toIyEEEEPmJS6_EEE10hipError_tPvRmT3_T4_T5_T6_T7_T9_mT8_P12ihipStream_tbDpT10_ENKUlT_T0_E_clISt17integral_constantIbLb1EES19_IbLb0EEEEDaS15_S16_EUlS15_E_NS1_11comp_targetILNS1_3genE3ELNS1_11target_archE908ELNS1_3gpuE7ELNS1_3repE0EEENS1_30default_config_static_selectorELNS0_4arch9wavefront6targetE1EEEvT1_.private_seg_size, 0
	.set _ZN7rocprim17ROCPRIM_400000_NS6detail17trampoline_kernelINS0_14default_configENS1_25partition_config_selectorILNS1_17partition_subalgoE8EyNS0_10empty_typeEbEEZZNS1_14partition_implILS5_8ELb0ES3_jN6thrust23THRUST_200600_302600_NS6detail15normal_iteratorINSA_10device_ptrIyEEEEPS6_PKS6_NS0_5tupleIJSF_S6_EEENSJ_IJSG_SG_EEENS0_18inequality_wrapperINSA_8equal_toIyEEEEPmJS6_EEE10hipError_tPvRmT3_T4_T5_T6_T7_T9_mT8_P12ihipStream_tbDpT10_ENKUlT_T0_E_clISt17integral_constantIbLb1EES19_IbLb0EEEEDaS15_S16_EUlS15_E_NS1_11comp_targetILNS1_3genE3ELNS1_11target_archE908ELNS1_3gpuE7ELNS1_3repE0EEENS1_30default_config_static_selectorELNS0_4arch9wavefront6targetE1EEEvT1_.uses_vcc, 0
	.set _ZN7rocprim17ROCPRIM_400000_NS6detail17trampoline_kernelINS0_14default_configENS1_25partition_config_selectorILNS1_17partition_subalgoE8EyNS0_10empty_typeEbEEZZNS1_14partition_implILS5_8ELb0ES3_jN6thrust23THRUST_200600_302600_NS6detail15normal_iteratorINSA_10device_ptrIyEEEEPS6_PKS6_NS0_5tupleIJSF_S6_EEENSJ_IJSG_SG_EEENS0_18inequality_wrapperINSA_8equal_toIyEEEEPmJS6_EEE10hipError_tPvRmT3_T4_T5_T6_T7_T9_mT8_P12ihipStream_tbDpT10_ENKUlT_T0_E_clISt17integral_constantIbLb1EES19_IbLb0EEEEDaS15_S16_EUlS15_E_NS1_11comp_targetILNS1_3genE3ELNS1_11target_archE908ELNS1_3gpuE7ELNS1_3repE0EEENS1_30default_config_static_selectorELNS0_4arch9wavefront6targetE1EEEvT1_.uses_flat_scratch, 0
	.set _ZN7rocprim17ROCPRIM_400000_NS6detail17trampoline_kernelINS0_14default_configENS1_25partition_config_selectorILNS1_17partition_subalgoE8EyNS0_10empty_typeEbEEZZNS1_14partition_implILS5_8ELb0ES3_jN6thrust23THRUST_200600_302600_NS6detail15normal_iteratorINSA_10device_ptrIyEEEEPS6_PKS6_NS0_5tupleIJSF_S6_EEENSJ_IJSG_SG_EEENS0_18inequality_wrapperINSA_8equal_toIyEEEEPmJS6_EEE10hipError_tPvRmT3_T4_T5_T6_T7_T9_mT8_P12ihipStream_tbDpT10_ENKUlT_T0_E_clISt17integral_constantIbLb1EES19_IbLb0EEEEDaS15_S16_EUlS15_E_NS1_11comp_targetILNS1_3genE3ELNS1_11target_archE908ELNS1_3gpuE7ELNS1_3repE0EEENS1_30default_config_static_selectorELNS0_4arch9wavefront6targetE1EEEvT1_.has_dyn_sized_stack, 0
	.set _ZN7rocprim17ROCPRIM_400000_NS6detail17trampoline_kernelINS0_14default_configENS1_25partition_config_selectorILNS1_17partition_subalgoE8EyNS0_10empty_typeEbEEZZNS1_14partition_implILS5_8ELb0ES3_jN6thrust23THRUST_200600_302600_NS6detail15normal_iteratorINSA_10device_ptrIyEEEEPS6_PKS6_NS0_5tupleIJSF_S6_EEENSJ_IJSG_SG_EEENS0_18inequality_wrapperINSA_8equal_toIyEEEEPmJS6_EEE10hipError_tPvRmT3_T4_T5_T6_T7_T9_mT8_P12ihipStream_tbDpT10_ENKUlT_T0_E_clISt17integral_constantIbLb1EES19_IbLb0EEEEDaS15_S16_EUlS15_E_NS1_11comp_targetILNS1_3genE3ELNS1_11target_archE908ELNS1_3gpuE7ELNS1_3repE0EEENS1_30default_config_static_selectorELNS0_4arch9wavefront6targetE1EEEvT1_.has_recursion, 0
	.set _ZN7rocprim17ROCPRIM_400000_NS6detail17trampoline_kernelINS0_14default_configENS1_25partition_config_selectorILNS1_17partition_subalgoE8EyNS0_10empty_typeEbEEZZNS1_14partition_implILS5_8ELb0ES3_jN6thrust23THRUST_200600_302600_NS6detail15normal_iteratorINSA_10device_ptrIyEEEEPS6_PKS6_NS0_5tupleIJSF_S6_EEENSJ_IJSG_SG_EEENS0_18inequality_wrapperINSA_8equal_toIyEEEEPmJS6_EEE10hipError_tPvRmT3_T4_T5_T6_T7_T9_mT8_P12ihipStream_tbDpT10_ENKUlT_T0_E_clISt17integral_constantIbLb1EES19_IbLb0EEEEDaS15_S16_EUlS15_E_NS1_11comp_targetILNS1_3genE3ELNS1_11target_archE908ELNS1_3gpuE7ELNS1_3repE0EEENS1_30default_config_static_selectorELNS0_4arch9wavefront6targetE1EEEvT1_.has_indirect_call, 0
	.section	.AMDGPU.csdata,"",@progbits
; Kernel info:
; codeLenInByte = 0
; TotalNumSgprs: 4
; NumVgprs: 0
; ScratchSize: 0
; MemoryBound: 0
; FloatMode: 240
; IeeeMode: 1
; LDSByteSize: 0 bytes/workgroup (compile time only)
; SGPRBlocks: 0
; VGPRBlocks: 0
; NumSGPRsForWavesPerEU: 4
; NumVGPRsForWavesPerEU: 1
; Occupancy: 10
; WaveLimiterHint : 0
; COMPUTE_PGM_RSRC2:SCRATCH_EN: 0
; COMPUTE_PGM_RSRC2:USER_SGPR: 6
; COMPUTE_PGM_RSRC2:TRAP_HANDLER: 0
; COMPUTE_PGM_RSRC2:TGID_X_EN: 1
; COMPUTE_PGM_RSRC2:TGID_Y_EN: 0
; COMPUTE_PGM_RSRC2:TGID_Z_EN: 0
; COMPUTE_PGM_RSRC2:TIDIG_COMP_CNT: 0
	.section	.text._ZN7rocprim17ROCPRIM_400000_NS6detail17trampoline_kernelINS0_14default_configENS1_25partition_config_selectorILNS1_17partition_subalgoE8EyNS0_10empty_typeEbEEZZNS1_14partition_implILS5_8ELb0ES3_jN6thrust23THRUST_200600_302600_NS6detail15normal_iteratorINSA_10device_ptrIyEEEEPS6_PKS6_NS0_5tupleIJSF_S6_EEENSJ_IJSG_SG_EEENS0_18inequality_wrapperINSA_8equal_toIyEEEEPmJS6_EEE10hipError_tPvRmT3_T4_T5_T6_T7_T9_mT8_P12ihipStream_tbDpT10_ENKUlT_T0_E_clISt17integral_constantIbLb1EES19_IbLb0EEEEDaS15_S16_EUlS15_E_NS1_11comp_targetILNS1_3genE2ELNS1_11target_archE906ELNS1_3gpuE6ELNS1_3repE0EEENS1_30default_config_static_selectorELNS0_4arch9wavefront6targetE1EEEvT1_,"axG",@progbits,_ZN7rocprim17ROCPRIM_400000_NS6detail17trampoline_kernelINS0_14default_configENS1_25partition_config_selectorILNS1_17partition_subalgoE8EyNS0_10empty_typeEbEEZZNS1_14partition_implILS5_8ELb0ES3_jN6thrust23THRUST_200600_302600_NS6detail15normal_iteratorINSA_10device_ptrIyEEEEPS6_PKS6_NS0_5tupleIJSF_S6_EEENSJ_IJSG_SG_EEENS0_18inequality_wrapperINSA_8equal_toIyEEEEPmJS6_EEE10hipError_tPvRmT3_T4_T5_T6_T7_T9_mT8_P12ihipStream_tbDpT10_ENKUlT_T0_E_clISt17integral_constantIbLb1EES19_IbLb0EEEEDaS15_S16_EUlS15_E_NS1_11comp_targetILNS1_3genE2ELNS1_11target_archE906ELNS1_3gpuE6ELNS1_3repE0EEENS1_30default_config_static_selectorELNS0_4arch9wavefront6targetE1EEEvT1_,comdat
	.protected	_ZN7rocprim17ROCPRIM_400000_NS6detail17trampoline_kernelINS0_14default_configENS1_25partition_config_selectorILNS1_17partition_subalgoE8EyNS0_10empty_typeEbEEZZNS1_14partition_implILS5_8ELb0ES3_jN6thrust23THRUST_200600_302600_NS6detail15normal_iteratorINSA_10device_ptrIyEEEEPS6_PKS6_NS0_5tupleIJSF_S6_EEENSJ_IJSG_SG_EEENS0_18inequality_wrapperINSA_8equal_toIyEEEEPmJS6_EEE10hipError_tPvRmT3_T4_T5_T6_T7_T9_mT8_P12ihipStream_tbDpT10_ENKUlT_T0_E_clISt17integral_constantIbLb1EES19_IbLb0EEEEDaS15_S16_EUlS15_E_NS1_11comp_targetILNS1_3genE2ELNS1_11target_archE906ELNS1_3gpuE6ELNS1_3repE0EEENS1_30default_config_static_selectorELNS0_4arch9wavefront6targetE1EEEvT1_ ; -- Begin function _ZN7rocprim17ROCPRIM_400000_NS6detail17trampoline_kernelINS0_14default_configENS1_25partition_config_selectorILNS1_17partition_subalgoE8EyNS0_10empty_typeEbEEZZNS1_14partition_implILS5_8ELb0ES3_jN6thrust23THRUST_200600_302600_NS6detail15normal_iteratorINSA_10device_ptrIyEEEEPS6_PKS6_NS0_5tupleIJSF_S6_EEENSJ_IJSG_SG_EEENS0_18inequality_wrapperINSA_8equal_toIyEEEEPmJS6_EEE10hipError_tPvRmT3_T4_T5_T6_T7_T9_mT8_P12ihipStream_tbDpT10_ENKUlT_T0_E_clISt17integral_constantIbLb1EES19_IbLb0EEEEDaS15_S16_EUlS15_E_NS1_11comp_targetILNS1_3genE2ELNS1_11target_archE906ELNS1_3gpuE6ELNS1_3repE0EEENS1_30default_config_static_selectorELNS0_4arch9wavefront6targetE1EEEvT1_
	.globl	_ZN7rocprim17ROCPRIM_400000_NS6detail17trampoline_kernelINS0_14default_configENS1_25partition_config_selectorILNS1_17partition_subalgoE8EyNS0_10empty_typeEbEEZZNS1_14partition_implILS5_8ELb0ES3_jN6thrust23THRUST_200600_302600_NS6detail15normal_iteratorINSA_10device_ptrIyEEEEPS6_PKS6_NS0_5tupleIJSF_S6_EEENSJ_IJSG_SG_EEENS0_18inequality_wrapperINSA_8equal_toIyEEEEPmJS6_EEE10hipError_tPvRmT3_T4_T5_T6_T7_T9_mT8_P12ihipStream_tbDpT10_ENKUlT_T0_E_clISt17integral_constantIbLb1EES19_IbLb0EEEEDaS15_S16_EUlS15_E_NS1_11comp_targetILNS1_3genE2ELNS1_11target_archE906ELNS1_3gpuE6ELNS1_3repE0EEENS1_30default_config_static_selectorELNS0_4arch9wavefront6targetE1EEEvT1_
	.p2align	8
	.type	_ZN7rocprim17ROCPRIM_400000_NS6detail17trampoline_kernelINS0_14default_configENS1_25partition_config_selectorILNS1_17partition_subalgoE8EyNS0_10empty_typeEbEEZZNS1_14partition_implILS5_8ELb0ES3_jN6thrust23THRUST_200600_302600_NS6detail15normal_iteratorINSA_10device_ptrIyEEEEPS6_PKS6_NS0_5tupleIJSF_S6_EEENSJ_IJSG_SG_EEENS0_18inequality_wrapperINSA_8equal_toIyEEEEPmJS6_EEE10hipError_tPvRmT3_T4_T5_T6_T7_T9_mT8_P12ihipStream_tbDpT10_ENKUlT_T0_E_clISt17integral_constantIbLb1EES19_IbLb0EEEEDaS15_S16_EUlS15_E_NS1_11comp_targetILNS1_3genE2ELNS1_11target_archE906ELNS1_3gpuE6ELNS1_3repE0EEENS1_30default_config_static_selectorELNS0_4arch9wavefront6targetE1EEEvT1_,@function
_ZN7rocprim17ROCPRIM_400000_NS6detail17trampoline_kernelINS0_14default_configENS1_25partition_config_selectorILNS1_17partition_subalgoE8EyNS0_10empty_typeEbEEZZNS1_14partition_implILS5_8ELb0ES3_jN6thrust23THRUST_200600_302600_NS6detail15normal_iteratorINSA_10device_ptrIyEEEEPS6_PKS6_NS0_5tupleIJSF_S6_EEENSJ_IJSG_SG_EEENS0_18inequality_wrapperINSA_8equal_toIyEEEEPmJS6_EEE10hipError_tPvRmT3_T4_T5_T6_T7_T9_mT8_P12ihipStream_tbDpT10_ENKUlT_T0_E_clISt17integral_constantIbLb1EES19_IbLb0EEEEDaS15_S16_EUlS15_E_NS1_11comp_targetILNS1_3genE2ELNS1_11target_archE906ELNS1_3gpuE6ELNS1_3repE0EEENS1_30default_config_static_selectorELNS0_4arch9wavefront6targetE1EEEvT1_: ; @_ZN7rocprim17ROCPRIM_400000_NS6detail17trampoline_kernelINS0_14default_configENS1_25partition_config_selectorILNS1_17partition_subalgoE8EyNS0_10empty_typeEbEEZZNS1_14partition_implILS5_8ELb0ES3_jN6thrust23THRUST_200600_302600_NS6detail15normal_iteratorINSA_10device_ptrIyEEEEPS6_PKS6_NS0_5tupleIJSF_S6_EEENSJ_IJSG_SG_EEENS0_18inequality_wrapperINSA_8equal_toIyEEEEPmJS6_EEE10hipError_tPvRmT3_T4_T5_T6_T7_T9_mT8_P12ihipStream_tbDpT10_ENKUlT_T0_E_clISt17integral_constantIbLb1EES19_IbLb0EEEEDaS15_S16_EUlS15_E_NS1_11comp_targetILNS1_3genE2ELNS1_11target_archE906ELNS1_3gpuE6ELNS1_3repE0EEENS1_30default_config_static_selectorELNS0_4arch9wavefront6targetE1EEEvT1_
; %bb.0:
	s_endpgm
	.section	.rodata,"a",@progbits
	.p2align	6, 0x0
	.amdhsa_kernel _ZN7rocprim17ROCPRIM_400000_NS6detail17trampoline_kernelINS0_14default_configENS1_25partition_config_selectorILNS1_17partition_subalgoE8EyNS0_10empty_typeEbEEZZNS1_14partition_implILS5_8ELb0ES3_jN6thrust23THRUST_200600_302600_NS6detail15normal_iteratorINSA_10device_ptrIyEEEEPS6_PKS6_NS0_5tupleIJSF_S6_EEENSJ_IJSG_SG_EEENS0_18inequality_wrapperINSA_8equal_toIyEEEEPmJS6_EEE10hipError_tPvRmT3_T4_T5_T6_T7_T9_mT8_P12ihipStream_tbDpT10_ENKUlT_T0_E_clISt17integral_constantIbLb1EES19_IbLb0EEEEDaS15_S16_EUlS15_E_NS1_11comp_targetILNS1_3genE2ELNS1_11target_archE906ELNS1_3gpuE6ELNS1_3repE0EEENS1_30default_config_static_selectorELNS0_4arch9wavefront6targetE1EEEvT1_
		.amdhsa_group_segment_fixed_size 0
		.amdhsa_private_segment_fixed_size 0
		.amdhsa_kernarg_size 112
		.amdhsa_user_sgpr_count 6
		.amdhsa_user_sgpr_private_segment_buffer 1
		.amdhsa_user_sgpr_dispatch_ptr 0
		.amdhsa_user_sgpr_queue_ptr 0
		.amdhsa_user_sgpr_kernarg_segment_ptr 1
		.amdhsa_user_sgpr_dispatch_id 0
		.amdhsa_user_sgpr_flat_scratch_init 0
		.amdhsa_user_sgpr_private_segment_size 0
		.amdhsa_uses_dynamic_stack 0
		.amdhsa_system_sgpr_private_segment_wavefront_offset 0
		.amdhsa_system_sgpr_workgroup_id_x 1
		.amdhsa_system_sgpr_workgroup_id_y 0
		.amdhsa_system_sgpr_workgroup_id_z 0
		.amdhsa_system_sgpr_workgroup_info 0
		.amdhsa_system_vgpr_workitem_id 0
		.amdhsa_next_free_vgpr 1
		.amdhsa_next_free_sgpr 0
		.amdhsa_reserve_vcc 0
		.amdhsa_reserve_flat_scratch 0
		.amdhsa_float_round_mode_32 0
		.amdhsa_float_round_mode_16_64 0
		.amdhsa_float_denorm_mode_32 3
		.amdhsa_float_denorm_mode_16_64 3
		.amdhsa_dx10_clamp 1
		.amdhsa_ieee_mode 1
		.amdhsa_fp16_overflow 0
		.amdhsa_exception_fp_ieee_invalid_op 0
		.amdhsa_exception_fp_denorm_src 0
		.amdhsa_exception_fp_ieee_div_zero 0
		.amdhsa_exception_fp_ieee_overflow 0
		.amdhsa_exception_fp_ieee_underflow 0
		.amdhsa_exception_fp_ieee_inexact 0
		.amdhsa_exception_int_div_zero 0
	.end_amdhsa_kernel
	.section	.text._ZN7rocprim17ROCPRIM_400000_NS6detail17trampoline_kernelINS0_14default_configENS1_25partition_config_selectorILNS1_17partition_subalgoE8EyNS0_10empty_typeEbEEZZNS1_14partition_implILS5_8ELb0ES3_jN6thrust23THRUST_200600_302600_NS6detail15normal_iteratorINSA_10device_ptrIyEEEEPS6_PKS6_NS0_5tupleIJSF_S6_EEENSJ_IJSG_SG_EEENS0_18inequality_wrapperINSA_8equal_toIyEEEEPmJS6_EEE10hipError_tPvRmT3_T4_T5_T6_T7_T9_mT8_P12ihipStream_tbDpT10_ENKUlT_T0_E_clISt17integral_constantIbLb1EES19_IbLb0EEEEDaS15_S16_EUlS15_E_NS1_11comp_targetILNS1_3genE2ELNS1_11target_archE906ELNS1_3gpuE6ELNS1_3repE0EEENS1_30default_config_static_selectorELNS0_4arch9wavefront6targetE1EEEvT1_,"axG",@progbits,_ZN7rocprim17ROCPRIM_400000_NS6detail17trampoline_kernelINS0_14default_configENS1_25partition_config_selectorILNS1_17partition_subalgoE8EyNS0_10empty_typeEbEEZZNS1_14partition_implILS5_8ELb0ES3_jN6thrust23THRUST_200600_302600_NS6detail15normal_iteratorINSA_10device_ptrIyEEEEPS6_PKS6_NS0_5tupleIJSF_S6_EEENSJ_IJSG_SG_EEENS0_18inequality_wrapperINSA_8equal_toIyEEEEPmJS6_EEE10hipError_tPvRmT3_T4_T5_T6_T7_T9_mT8_P12ihipStream_tbDpT10_ENKUlT_T0_E_clISt17integral_constantIbLb1EES19_IbLb0EEEEDaS15_S16_EUlS15_E_NS1_11comp_targetILNS1_3genE2ELNS1_11target_archE906ELNS1_3gpuE6ELNS1_3repE0EEENS1_30default_config_static_selectorELNS0_4arch9wavefront6targetE1EEEvT1_,comdat
.Lfunc_end165:
	.size	_ZN7rocprim17ROCPRIM_400000_NS6detail17trampoline_kernelINS0_14default_configENS1_25partition_config_selectorILNS1_17partition_subalgoE8EyNS0_10empty_typeEbEEZZNS1_14partition_implILS5_8ELb0ES3_jN6thrust23THRUST_200600_302600_NS6detail15normal_iteratorINSA_10device_ptrIyEEEEPS6_PKS6_NS0_5tupleIJSF_S6_EEENSJ_IJSG_SG_EEENS0_18inequality_wrapperINSA_8equal_toIyEEEEPmJS6_EEE10hipError_tPvRmT3_T4_T5_T6_T7_T9_mT8_P12ihipStream_tbDpT10_ENKUlT_T0_E_clISt17integral_constantIbLb1EES19_IbLb0EEEEDaS15_S16_EUlS15_E_NS1_11comp_targetILNS1_3genE2ELNS1_11target_archE906ELNS1_3gpuE6ELNS1_3repE0EEENS1_30default_config_static_selectorELNS0_4arch9wavefront6targetE1EEEvT1_, .Lfunc_end165-_ZN7rocprim17ROCPRIM_400000_NS6detail17trampoline_kernelINS0_14default_configENS1_25partition_config_selectorILNS1_17partition_subalgoE8EyNS0_10empty_typeEbEEZZNS1_14partition_implILS5_8ELb0ES3_jN6thrust23THRUST_200600_302600_NS6detail15normal_iteratorINSA_10device_ptrIyEEEEPS6_PKS6_NS0_5tupleIJSF_S6_EEENSJ_IJSG_SG_EEENS0_18inequality_wrapperINSA_8equal_toIyEEEEPmJS6_EEE10hipError_tPvRmT3_T4_T5_T6_T7_T9_mT8_P12ihipStream_tbDpT10_ENKUlT_T0_E_clISt17integral_constantIbLb1EES19_IbLb0EEEEDaS15_S16_EUlS15_E_NS1_11comp_targetILNS1_3genE2ELNS1_11target_archE906ELNS1_3gpuE6ELNS1_3repE0EEENS1_30default_config_static_selectorELNS0_4arch9wavefront6targetE1EEEvT1_
                                        ; -- End function
	.set _ZN7rocprim17ROCPRIM_400000_NS6detail17trampoline_kernelINS0_14default_configENS1_25partition_config_selectorILNS1_17partition_subalgoE8EyNS0_10empty_typeEbEEZZNS1_14partition_implILS5_8ELb0ES3_jN6thrust23THRUST_200600_302600_NS6detail15normal_iteratorINSA_10device_ptrIyEEEEPS6_PKS6_NS0_5tupleIJSF_S6_EEENSJ_IJSG_SG_EEENS0_18inequality_wrapperINSA_8equal_toIyEEEEPmJS6_EEE10hipError_tPvRmT3_T4_T5_T6_T7_T9_mT8_P12ihipStream_tbDpT10_ENKUlT_T0_E_clISt17integral_constantIbLb1EES19_IbLb0EEEEDaS15_S16_EUlS15_E_NS1_11comp_targetILNS1_3genE2ELNS1_11target_archE906ELNS1_3gpuE6ELNS1_3repE0EEENS1_30default_config_static_selectorELNS0_4arch9wavefront6targetE1EEEvT1_.num_vgpr, 0
	.set _ZN7rocprim17ROCPRIM_400000_NS6detail17trampoline_kernelINS0_14default_configENS1_25partition_config_selectorILNS1_17partition_subalgoE8EyNS0_10empty_typeEbEEZZNS1_14partition_implILS5_8ELb0ES3_jN6thrust23THRUST_200600_302600_NS6detail15normal_iteratorINSA_10device_ptrIyEEEEPS6_PKS6_NS0_5tupleIJSF_S6_EEENSJ_IJSG_SG_EEENS0_18inequality_wrapperINSA_8equal_toIyEEEEPmJS6_EEE10hipError_tPvRmT3_T4_T5_T6_T7_T9_mT8_P12ihipStream_tbDpT10_ENKUlT_T0_E_clISt17integral_constantIbLb1EES19_IbLb0EEEEDaS15_S16_EUlS15_E_NS1_11comp_targetILNS1_3genE2ELNS1_11target_archE906ELNS1_3gpuE6ELNS1_3repE0EEENS1_30default_config_static_selectorELNS0_4arch9wavefront6targetE1EEEvT1_.num_agpr, 0
	.set _ZN7rocprim17ROCPRIM_400000_NS6detail17trampoline_kernelINS0_14default_configENS1_25partition_config_selectorILNS1_17partition_subalgoE8EyNS0_10empty_typeEbEEZZNS1_14partition_implILS5_8ELb0ES3_jN6thrust23THRUST_200600_302600_NS6detail15normal_iteratorINSA_10device_ptrIyEEEEPS6_PKS6_NS0_5tupleIJSF_S6_EEENSJ_IJSG_SG_EEENS0_18inequality_wrapperINSA_8equal_toIyEEEEPmJS6_EEE10hipError_tPvRmT3_T4_T5_T6_T7_T9_mT8_P12ihipStream_tbDpT10_ENKUlT_T0_E_clISt17integral_constantIbLb1EES19_IbLb0EEEEDaS15_S16_EUlS15_E_NS1_11comp_targetILNS1_3genE2ELNS1_11target_archE906ELNS1_3gpuE6ELNS1_3repE0EEENS1_30default_config_static_selectorELNS0_4arch9wavefront6targetE1EEEvT1_.numbered_sgpr, 0
	.set _ZN7rocprim17ROCPRIM_400000_NS6detail17trampoline_kernelINS0_14default_configENS1_25partition_config_selectorILNS1_17partition_subalgoE8EyNS0_10empty_typeEbEEZZNS1_14partition_implILS5_8ELb0ES3_jN6thrust23THRUST_200600_302600_NS6detail15normal_iteratorINSA_10device_ptrIyEEEEPS6_PKS6_NS0_5tupleIJSF_S6_EEENSJ_IJSG_SG_EEENS0_18inequality_wrapperINSA_8equal_toIyEEEEPmJS6_EEE10hipError_tPvRmT3_T4_T5_T6_T7_T9_mT8_P12ihipStream_tbDpT10_ENKUlT_T0_E_clISt17integral_constantIbLb1EES19_IbLb0EEEEDaS15_S16_EUlS15_E_NS1_11comp_targetILNS1_3genE2ELNS1_11target_archE906ELNS1_3gpuE6ELNS1_3repE0EEENS1_30default_config_static_selectorELNS0_4arch9wavefront6targetE1EEEvT1_.num_named_barrier, 0
	.set _ZN7rocprim17ROCPRIM_400000_NS6detail17trampoline_kernelINS0_14default_configENS1_25partition_config_selectorILNS1_17partition_subalgoE8EyNS0_10empty_typeEbEEZZNS1_14partition_implILS5_8ELb0ES3_jN6thrust23THRUST_200600_302600_NS6detail15normal_iteratorINSA_10device_ptrIyEEEEPS6_PKS6_NS0_5tupleIJSF_S6_EEENSJ_IJSG_SG_EEENS0_18inequality_wrapperINSA_8equal_toIyEEEEPmJS6_EEE10hipError_tPvRmT3_T4_T5_T6_T7_T9_mT8_P12ihipStream_tbDpT10_ENKUlT_T0_E_clISt17integral_constantIbLb1EES19_IbLb0EEEEDaS15_S16_EUlS15_E_NS1_11comp_targetILNS1_3genE2ELNS1_11target_archE906ELNS1_3gpuE6ELNS1_3repE0EEENS1_30default_config_static_selectorELNS0_4arch9wavefront6targetE1EEEvT1_.private_seg_size, 0
	.set _ZN7rocprim17ROCPRIM_400000_NS6detail17trampoline_kernelINS0_14default_configENS1_25partition_config_selectorILNS1_17partition_subalgoE8EyNS0_10empty_typeEbEEZZNS1_14partition_implILS5_8ELb0ES3_jN6thrust23THRUST_200600_302600_NS6detail15normal_iteratorINSA_10device_ptrIyEEEEPS6_PKS6_NS0_5tupleIJSF_S6_EEENSJ_IJSG_SG_EEENS0_18inequality_wrapperINSA_8equal_toIyEEEEPmJS6_EEE10hipError_tPvRmT3_T4_T5_T6_T7_T9_mT8_P12ihipStream_tbDpT10_ENKUlT_T0_E_clISt17integral_constantIbLb1EES19_IbLb0EEEEDaS15_S16_EUlS15_E_NS1_11comp_targetILNS1_3genE2ELNS1_11target_archE906ELNS1_3gpuE6ELNS1_3repE0EEENS1_30default_config_static_selectorELNS0_4arch9wavefront6targetE1EEEvT1_.uses_vcc, 0
	.set _ZN7rocprim17ROCPRIM_400000_NS6detail17trampoline_kernelINS0_14default_configENS1_25partition_config_selectorILNS1_17partition_subalgoE8EyNS0_10empty_typeEbEEZZNS1_14partition_implILS5_8ELb0ES3_jN6thrust23THRUST_200600_302600_NS6detail15normal_iteratorINSA_10device_ptrIyEEEEPS6_PKS6_NS0_5tupleIJSF_S6_EEENSJ_IJSG_SG_EEENS0_18inequality_wrapperINSA_8equal_toIyEEEEPmJS6_EEE10hipError_tPvRmT3_T4_T5_T6_T7_T9_mT8_P12ihipStream_tbDpT10_ENKUlT_T0_E_clISt17integral_constantIbLb1EES19_IbLb0EEEEDaS15_S16_EUlS15_E_NS1_11comp_targetILNS1_3genE2ELNS1_11target_archE906ELNS1_3gpuE6ELNS1_3repE0EEENS1_30default_config_static_selectorELNS0_4arch9wavefront6targetE1EEEvT1_.uses_flat_scratch, 0
	.set _ZN7rocprim17ROCPRIM_400000_NS6detail17trampoline_kernelINS0_14default_configENS1_25partition_config_selectorILNS1_17partition_subalgoE8EyNS0_10empty_typeEbEEZZNS1_14partition_implILS5_8ELb0ES3_jN6thrust23THRUST_200600_302600_NS6detail15normal_iteratorINSA_10device_ptrIyEEEEPS6_PKS6_NS0_5tupleIJSF_S6_EEENSJ_IJSG_SG_EEENS0_18inequality_wrapperINSA_8equal_toIyEEEEPmJS6_EEE10hipError_tPvRmT3_T4_T5_T6_T7_T9_mT8_P12ihipStream_tbDpT10_ENKUlT_T0_E_clISt17integral_constantIbLb1EES19_IbLb0EEEEDaS15_S16_EUlS15_E_NS1_11comp_targetILNS1_3genE2ELNS1_11target_archE906ELNS1_3gpuE6ELNS1_3repE0EEENS1_30default_config_static_selectorELNS0_4arch9wavefront6targetE1EEEvT1_.has_dyn_sized_stack, 0
	.set _ZN7rocprim17ROCPRIM_400000_NS6detail17trampoline_kernelINS0_14default_configENS1_25partition_config_selectorILNS1_17partition_subalgoE8EyNS0_10empty_typeEbEEZZNS1_14partition_implILS5_8ELb0ES3_jN6thrust23THRUST_200600_302600_NS6detail15normal_iteratorINSA_10device_ptrIyEEEEPS6_PKS6_NS0_5tupleIJSF_S6_EEENSJ_IJSG_SG_EEENS0_18inequality_wrapperINSA_8equal_toIyEEEEPmJS6_EEE10hipError_tPvRmT3_T4_T5_T6_T7_T9_mT8_P12ihipStream_tbDpT10_ENKUlT_T0_E_clISt17integral_constantIbLb1EES19_IbLb0EEEEDaS15_S16_EUlS15_E_NS1_11comp_targetILNS1_3genE2ELNS1_11target_archE906ELNS1_3gpuE6ELNS1_3repE0EEENS1_30default_config_static_selectorELNS0_4arch9wavefront6targetE1EEEvT1_.has_recursion, 0
	.set _ZN7rocprim17ROCPRIM_400000_NS6detail17trampoline_kernelINS0_14default_configENS1_25partition_config_selectorILNS1_17partition_subalgoE8EyNS0_10empty_typeEbEEZZNS1_14partition_implILS5_8ELb0ES3_jN6thrust23THRUST_200600_302600_NS6detail15normal_iteratorINSA_10device_ptrIyEEEEPS6_PKS6_NS0_5tupleIJSF_S6_EEENSJ_IJSG_SG_EEENS0_18inequality_wrapperINSA_8equal_toIyEEEEPmJS6_EEE10hipError_tPvRmT3_T4_T5_T6_T7_T9_mT8_P12ihipStream_tbDpT10_ENKUlT_T0_E_clISt17integral_constantIbLb1EES19_IbLb0EEEEDaS15_S16_EUlS15_E_NS1_11comp_targetILNS1_3genE2ELNS1_11target_archE906ELNS1_3gpuE6ELNS1_3repE0EEENS1_30default_config_static_selectorELNS0_4arch9wavefront6targetE1EEEvT1_.has_indirect_call, 0
	.section	.AMDGPU.csdata,"",@progbits
; Kernel info:
; codeLenInByte = 4
; TotalNumSgprs: 4
; NumVgprs: 0
; ScratchSize: 0
; MemoryBound: 0
; FloatMode: 240
; IeeeMode: 1
; LDSByteSize: 0 bytes/workgroup (compile time only)
; SGPRBlocks: 0
; VGPRBlocks: 0
; NumSGPRsForWavesPerEU: 4
; NumVGPRsForWavesPerEU: 1
; Occupancy: 10
; WaveLimiterHint : 0
; COMPUTE_PGM_RSRC2:SCRATCH_EN: 0
; COMPUTE_PGM_RSRC2:USER_SGPR: 6
; COMPUTE_PGM_RSRC2:TRAP_HANDLER: 0
; COMPUTE_PGM_RSRC2:TGID_X_EN: 1
; COMPUTE_PGM_RSRC2:TGID_Y_EN: 0
; COMPUTE_PGM_RSRC2:TGID_Z_EN: 0
; COMPUTE_PGM_RSRC2:TIDIG_COMP_CNT: 0
	.section	.text._ZN7rocprim17ROCPRIM_400000_NS6detail17trampoline_kernelINS0_14default_configENS1_25partition_config_selectorILNS1_17partition_subalgoE8EyNS0_10empty_typeEbEEZZNS1_14partition_implILS5_8ELb0ES3_jN6thrust23THRUST_200600_302600_NS6detail15normal_iteratorINSA_10device_ptrIyEEEEPS6_PKS6_NS0_5tupleIJSF_S6_EEENSJ_IJSG_SG_EEENS0_18inequality_wrapperINSA_8equal_toIyEEEEPmJS6_EEE10hipError_tPvRmT3_T4_T5_T6_T7_T9_mT8_P12ihipStream_tbDpT10_ENKUlT_T0_E_clISt17integral_constantIbLb1EES19_IbLb0EEEEDaS15_S16_EUlS15_E_NS1_11comp_targetILNS1_3genE10ELNS1_11target_archE1200ELNS1_3gpuE4ELNS1_3repE0EEENS1_30default_config_static_selectorELNS0_4arch9wavefront6targetE1EEEvT1_,"axG",@progbits,_ZN7rocprim17ROCPRIM_400000_NS6detail17trampoline_kernelINS0_14default_configENS1_25partition_config_selectorILNS1_17partition_subalgoE8EyNS0_10empty_typeEbEEZZNS1_14partition_implILS5_8ELb0ES3_jN6thrust23THRUST_200600_302600_NS6detail15normal_iteratorINSA_10device_ptrIyEEEEPS6_PKS6_NS0_5tupleIJSF_S6_EEENSJ_IJSG_SG_EEENS0_18inequality_wrapperINSA_8equal_toIyEEEEPmJS6_EEE10hipError_tPvRmT3_T4_T5_T6_T7_T9_mT8_P12ihipStream_tbDpT10_ENKUlT_T0_E_clISt17integral_constantIbLb1EES19_IbLb0EEEEDaS15_S16_EUlS15_E_NS1_11comp_targetILNS1_3genE10ELNS1_11target_archE1200ELNS1_3gpuE4ELNS1_3repE0EEENS1_30default_config_static_selectorELNS0_4arch9wavefront6targetE1EEEvT1_,comdat
	.protected	_ZN7rocprim17ROCPRIM_400000_NS6detail17trampoline_kernelINS0_14default_configENS1_25partition_config_selectorILNS1_17partition_subalgoE8EyNS0_10empty_typeEbEEZZNS1_14partition_implILS5_8ELb0ES3_jN6thrust23THRUST_200600_302600_NS6detail15normal_iteratorINSA_10device_ptrIyEEEEPS6_PKS6_NS0_5tupleIJSF_S6_EEENSJ_IJSG_SG_EEENS0_18inequality_wrapperINSA_8equal_toIyEEEEPmJS6_EEE10hipError_tPvRmT3_T4_T5_T6_T7_T9_mT8_P12ihipStream_tbDpT10_ENKUlT_T0_E_clISt17integral_constantIbLb1EES19_IbLb0EEEEDaS15_S16_EUlS15_E_NS1_11comp_targetILNS1_3genE10ELNS1_11target_archE1200ELNS1_3gpuE4ELNS1_3repE0EEENS1_30default_config_static_selectorELNS0_4arch9wavefront6targetE1EEEvT1_ ; -- Begin function _ZN7rocprim17ROCPRIM_400000_NS6detail17trampoline_kernelINS0_14default_configENS1_25partition_config_selectorILNS1_17partition_subalgoE8EyNS0_10empty_typeEbEEZZNS1_14partition_implILS5_8ELb0ES3_jN6thrust23THRUST_200600_302600_NS6detail15normal_iteratorINSA_10device_ptrIyEEEEPS6_PKS6_NS0_5tupleIJSF_S6_EEENSJ_IJSG_SG_EEENS0_18inequality_wrapperINSA_8equal_toIyEEEEPmJS6_EEE10hipError_tPvRmT3_T4_T5_T6_T7_T9_mT8_P12ihipStream_tbDpT10_ENKUlT_T0_E_clISt17integral_constantIbLb1EES19_IbLb0EEEEDaS15_S16_EUlS15_E_NS1_11comp_targetILNS1_3genE10ELNS1_11target_archE1200ELNS1_3gpuE4ELNS1_3repE0EEENS1_30default_config_static_selectorELNS0_4arch9wavefront6targetE1EEEvT1_
	.globl	_ZN7rocprim17ROCPRIM_400000_NS6detail17trampoline_kernelINS0_14default_configENS1_25partition_config_selectorILNS1_17partition_subalgoE8EyNS0_10empty_typeEbEEZZNS1_14partition_implILS5_8ELb0ES3_jN6thrust23THRUST_200600_302600_NS6detail15normal_iteratorINSA_10device_ptrIyEEEEPS6_PKS6_NS0_5tupleIJSF_S6_EEENSJ_IJSG_SG_EEENS0_18inequality_wrapperINSA_8equal_toIyEEEEPmJS6_EEE10hipError_tPvRmT3_T4_T5_T6_T7_T9_mT8_P12ihipStream_tbDpT10_ENKUlT_T0_E_clISt17integral_constantIbLb1EES19_IbLb0EEEEDaS15_S16_EUlS15_E_NS1_11comp_targetILNS1_3genE10ELNS1_11target_archE1200ELNS1_3gpuE4ELNS1_3repE0EEENS1_30default_config_static_selectorELNS0_4arch9wavefront6targetE1EEEvT1_
	.p2align	8
	.type	_ZN7rocprim17ROCPRIM_400000_NS6detail17trampoline_kernelINS0_14default_configENS1_25partition_config_selectorILNS1_17partition_subalgoE8EyNS0_10empty_typeEbEEZZNS1_14partition_implILS5_8ELb0ES3_jN6thrust23THRUST_200600_302600_NS6detail15normal_iteratorINSA_10device_ptrIyEEEEPS6_PKS6_NS0_5tupleIJSF_S6_EEENSJ_IJSG_SG_EEENS0_18inequality_wrapperINSA_8equal_toIyEEEEPmJS6_EEE10hipError_tPvRmT3_T4_T5_T6_T7_T9_mT8_P12ihipStream_tbDpT10_ENKUlT_T0_E_clISt17integral_constantIbLb1EES19_IbLb0EEEEDaS15_S16_EUlS15_E_NS1_11comp_targetILNS1_3genE10ELNS1_11target_archE1200ELNS1_3gpuE4ELNS1_3repE0EEENS1_30default_config_static_selectorELNS0_4arch9wavefront6targetE1EEEvT1_,@function
_ZN7rocprim17ROCPRIM_400000_NS6detail17trampoline_kernelINS0_14default_configENS1_25partition_config_selectorILNS1_17partition_subalgoE8EyNS0_10empty_typeEbEEZZNS1_14partition_implILS5_8ELb0ES3_jN6thrust23THRUST_200600_302600_NS6detail15normal_iteratorINSA_10device_ptrIyEEEEPS6_PKS6_NS0_5tupleIJSF_S6_EEENSJ_IJSG_SG_EEENS0_18inequality_wrapperINSA_8equal_toIyEEEEPmJS6_EEE10hipError_tPvRmT3_T4_T5_T6_T7_T9_mT8_P12ihipStream_tbDpT10_ENKUlT_T0_E_clISt17integral_constantIbLb1EES19_IbLb0EEEEDaS15_S16_EUlS15_E_NS1_11comp_targetILNS1_3genE10ELNS1_11target_archE1200ELNS1_3gpuE4ELNS1_3repE0EEENS1_30default_config_static_selectorELNS0_4arch9wavefront6targetE1EEEvT1_: ; @_ZN7rocprim17ROCPRIM_400000_NS6detail17trampoline_kernelINS0_14default_configENS1_25partition_config_selectorILNS1_17partition_subalgoE8EyNS0_10empty_typeEbEEZZNS1_14partition_implILS5_8ELb0ES3_jN6thrust23THRUST_200600_302600_NS6detail15normal_iteratorINSA_10device_ptrIyEEEEPS6_PKS6_NS0_5tupleIJSF_S6_EEENSJ_IJSG_SG_EEENS0_18inequality_wrapperINSA_8equal_toIyEEEEPmJS6_EEE10hipError_tPvRmT3_T4_T5_T6_T7_T9_mT8_P12ihipStream_tbDpT10_ENKUlT_T0_E_clISt17integral_constantIbLb1EES19_IbLb0EEEEDaS15_S16_EUlS15_E_NS1_11comp_targetILNS1_3genE10ELNS1_11target_archE1200ELNS1_3gpuE4ELNS1_3repE0EEENS1_30default_config_static_selectorELNS0_4arch9wavefront6targetE1EEEvT1_
; %bb.0:
	.section	.rodata,"a",@progbits
	.p2align	6, 0x0
	.amdhsa_kernel _ZN7rocprim17ROCPRIM_400000_NS6detail17trampoline_kernelINS0_14default_configENS1_25partition_config_selectorILNS1_17partition_subalgoE8EyNS0_10empty_typeEbEEZZNS1_14partition_implILS5_8ELb0ES3_jN6thrust23THRUST_200600_302600_NS6detail15normal_iteratorINSA_10device_ptrIyEEEEPS6_PKS6_NS0_5tupleIJSF_S6_EEENSJ_IJSG_SG_EEENS0_18inequality_wrapperINSA_8equal_toIyEEEEPmJS6_EEE10hipError_tPvRmT3_T4_T5_T6_T7_T9_mT8_P12ihipStream_tbDpT10_ENKUlT_T0_E_clISt17integral_constantIbLb1EES19_IbLb0EEEEDaS15_S16_EUlS15_E_NS1_11comp_targetILNS1_3genE10ELNS1_11target_archE1200ELNS1_3gpuE4ELNS1_3repE0EEENS1_30default_config_static_selectorELNS0_4arch9wavefront6targetE1EEEvT1_
		.amdhsa_group_segment_fixed_size 0
		.amdhsa_private_segment_fixed_size 0
		.amdhsa_kernarg_size 112
		.amdhsa_user_sgpr_count 6
		.amdhsa_user_sgpr_private_segment_buffer 1
		.amdhsa_user_sgpr_dispatch_ptr 0
		.amdhsa_user_sgpr_queue_ptr 0
		.amdhsa_user_sgpr_kernarg_segment_ptr 1
		.amdhsa_user_sgpr_dispatch_id 0
		.amdhsa_user_sgpr_flat_scratch_init 0
		.amdhsa_user_sgpr_private_segment_size 0
		.amdhsa_uses_dynamic_stack 0
		.amdhsa_system_sgpr_private_segment_wavefront_offset 0
		.amdhsa_system_sgpr_workgroup_id_x 1
		.amdhsa_system_sgpr_workgroup_id_y 0
		.amdhsa_system_sgpr_workgroup_id_z 0
		.amdhsa_system_sgpr_workgroup_info 0
		.amdhsa_system_vgpr_workitem_id 0
		.amdhsa_next_free_vgpr 1
		.amdhsa_next_free_sgpr 0
		.amdhsa_reserve_vcc 0
		.amdhsa_reserve_flat_scratch 0
		.amdhsa_float_round_mode_32 0
		.amdhsa_float_round_mode_16_64 0
		.amdhsa_float_denorm_mode_32 3
		.amdhsa_float_denorm_mode_16_64 3
		.amdhsa_dx10_clamp 1
		.amdhsa_ieee_mode 1
		.amdhsa_fp16_overflow 0
		.amdhsa_exception_fp_ieee_invalid_op 0
		.amdhsa_exception_fp_denorm_src 0
		.amdhsa_exception_fp_ieee_div_zero 0
		.amdhsa_exception_fp_ieee_overflow 0
		.amdhsa_exception_fp_ieee_underflow 0
		.amdhsa_exception_fp_ieee_inexact 0
		.amdhsa_exception_int_div_zero 0
	.end_amdhsa_kernel
	.section	.text._ZN7rocprim17ROCPRIM_400000_NS6detail17trampoline_kernelINS0_14default_configENS1_25partition_config_selectorILNS1_17partition_subalgoE8EyNS0_10empty_typeEbEEZZNS1_14partition_implILS5_8ELb0ES3_jN6thrust23THRUST_200600_302600_NS6detail15normal_iteratorINSA_10device_ptrIyEEEEPS6_PKS6_NS0_5tupleIJSF_S6_EEENSJ_IJSG_SG_EEENS0_18inequality_wrapperINSA_8equal_toIyEEEEPmJS6_EEE10hipError_tPvRmT3_T4_T5_T6_T7_T9_mT8_P12ihipStream_tbDpT10_ENKUlT_T0_E_clISt17integral_constantIbLb1EES19_IbLb0EEEEDaS15_S16_EUlS15_E_NS1_11comp_targetILNS1_3genE10ELNS1_11target_archE1200ELNS1_3gpuE4ELNS1_3repE0EEENS1_30default_config_static_selectorELNS0_4arch9wavefront6targetE1EEEvT1_,"axG",@progbits,_ZN7rocprim17ROCPRIM_400000_NS6detail17trampoline_kernelINS0_14default_configENS1_25partition_config_selectorILNS1_17partition_subalgoE8EyNS0_10empty_typeEbEEZZNS1_14partition_implILS5_8ELb0ES3_jN6thrust23THRUST_200600_302600_NS6detail15normal_iteratorINSA_10device_ptrIyEEEEPS6_PKS6_NS0_5tupleIJSF_S6_EEENSJ_IJSG_SG_EEENS0_18inequality_wrapperINSA_8equal_toIyEEEEPmJS6_EEE10hipError_tPvRmT3_T4_T5_T6_T7_T9_mT8_P12ihipStream_tbDpT10_ENKUlT_T0_E_clISt17integral_constantIbLb1EES19_IbLb0EEEEDaS15_S16_EUlS15_E_NS1_11comp_targetILNS1_3genE10ELNS1_11target_archE1200ELNS1_3gpuE4ELNS1_3repE0EEENS1_30default_config_static_selectorELNS0_4arch9wavefront6targetE1EEEvT1_,comdat
.Lfunc_end166:
	.size	_ZN7rocprim17ROCPRIM_400000_NS6detail17trampoline_kernelINS0_14default_configENS1_25partition_config_selectorILNS1_17partition_subalgoE8EyNS0_10empty_typeEbEEZZNS1_14partition_implILS5_8ELb0ES3_jN6thrust23THRUST_200600_302600_NS6detail15normal_iteratorINSA_10device_ptrIyEEEEPS6_PKS6_NS0_5tupleIJSF_S6_EEENSJ_IJSG_SG_EEENS0_18inequality_wrapperINSA_8equal_toIyEEEEPmJS6_EEE10hipError_tPvRmT3_T4_T5_T6_T7_T9_mT8_P12ihipStream_tbDpT10_ENKUlT_T0_E_clISt17integral_constantIbLb1EES19_IbLb0EEEEDaS15_S16_EUlS15_E_NS1_11comp_targetILNS1_3genE10ELNS1_11target_archE1200ELNS1_3gpuE4ELNS1_3repE0EEENS1_30default_config_static_selectorELNS0_4arch9wavefront6targetE1EEEvT1_, .Lfunc_end166-_ZN7rocprim17ROCPRIM_400000_NS6detail17trampoline_kernelINS0_14default_configENS1_25partition_config_selectorILNS1_17partition_subalgoE8EyNS0_10empty_typeEbEEZZNS1_14partition_implILS5_8ELb0ES3_jN6thrust23THRUST_200600_302600_NS6detail15normal_iteratorINSA_10device_ptrIyEEEEPS6_PKS6_NS0_5tupleIJSF_S6_EEENSJ_IJSG_SG_EEENS0_18inequality_wrapperINSA_8equal_toIyEEEEPmJS6_EEE10hipError_tPvRmT3_T4_T5_T6_T7_T9_mT8_P12ihipStream_tbDpT10_ENKUlT_T0_E_clISt17integral_constantIbLb1EES19_IbLb0EEEEDaS15_S16_EUlS15_E_NS1_11comp_targetILNS1_3genE10ELNS1_11target_archE1200ELNS1_3gpuE4ELNS1_3repE0EEENS1_30default_config_static_selectorELNS0_4arch9wavefront6targetE1EEEvT1_
                                        ; -- End function
	.set _ZN7rocprim17ROCPRIM_400000_NS6detail17trampoline_kernelINS0_14default_configENS1_25partition_config_selectorILNS1_17partition_subalgoE8EyNS0_10empty_typeEbEEZZNS1_14partition_implILS5_8ELb0ES3_jN6thrust23THRUST_200600_302600_NS6detail15normal_iteratorINSA_10device_ptrIyEEEEPS6_PKS6_NS0_5tupleIJSF_S6_EEENSJ_IJSG_SG_EEENS0_18inequality_wrapperINSA_8equal_toIyEEEEPmJS6_EEE10hipError_tPvRmT3_T4_T5_T6_T7_T9_mT8_P12ihipStream_tbDpT10_ENKUlT_T0_E_clISt17integral_constantIbLb1EES19_IbLb0EEEEDaS15_S16_EUlS15_E_NS1_11comp_targetILNS1_3genE10ELNS1_11target_archE1200ELNS1_3gpuE4ELNS1_3repE0EEENS1_30default_config_static_selectorELNS0_4arch9wavefront6targetE1EEEvT1_.num_vgpr, 0
	.set _ZN7rocprim17ROCPRIM_400000_NS6detail17trampoline_kernelINS0_14default_configENS1_25partition_config_selectorILNS1_17partition_subalgoE8EyNS0_10empty_typeEbEEZZNS1_14partition_implILS5_8ELb0ES3_jN6thrust23THRUST_200600_302600_NS6detail15normal_iteratorINSA_10device_ptrIyEEEEPS6_PKS6_NS0_5tupleIJSF_S6_EEENSJ_IJSG_SG_EEENS0_18inequality_wrapperINSA_8equal_toIyEEEEPmJS6_EEE10hipError_tPvRmT3_T4_T5_T6_T7_T9_mT8_P12ihipStream_tbDpT10_ENKUlT_T0_E_clISt17integral_constantIbLb1EES19_IbLb0EEEEDaS15_S16_EUlS15_E_NS1_11comp_targetILNS1_3genE10ELNS1_11target_archE1200ELNS1_3gpuE4ELNS1_3repE0EEENS1_30default_config_static_selectorELNS0_4arch9wavefront6targetE1EEEvT1_.num_agpr, 0
	.set _ZN7rocprim17ROCPRIM_400000_NS6detail17trampoline_kernelINS0_14default_configENS1_25partition_config_selectorILNS1_17partition_subalgoE8EyNS0_10empty_typeEbEEZZNS1_14partition_implILS5_8ELb0ES3_jN6thrust23THRUST_200600_302600_NS6detail15normal_iteratorINSA_10device_ptrIyEEEEPS6_PKS6_NS0_5tupleIJSF_S6_EEENSJ_IJSG_SG_EEENS0_18inequality_wrapperINSA_8equal_toIyEEEEPmJS6_EEE10hipError_tPvRmT3_T4_T5_T6_T7_T9_mT8_P12ihipStream_tbDpT10_ENKUlT_T0_E_clISt17integral_constantIbLb1EES19_IbLb0EEEEDaS15_S16_EUlS15_E_NS1_11comp_targetILNS1_3genE10ELNS1_11target_archE1200ELNS1_3gpuE4ELNS1_3repE0EEENS1_30default_config_static_selectorELNS0_4arch9wavefront6targetE1EEEvT1_.numbered_sgpr, 0
	.set _ZN7rocprim17ROCPRIM_400000_NS6detail17trampoline_kernelINS0_14default_configENS1_25partition_config_selectorILNS1_17partition_subalgoE8EyNS0_10empty_typeEbEEZZNS1_14partition_implILS5_8ELb0ES3_jN6thrust23THRUST_200600_302600_NS6detail15normal_iteratorINSA_10device_ptrIyEEEEPS6_PKS6_NS0_5tupleIJSF_S6_EEENSJ_IJSG_SG_EEENS0_18inequality_wrapperINSA_8equal_toIyEEEEPmJS6_EEE10hipError_tPvRmT3_T4_T5_T6_T7_T9_mT8_P12ihipStream_tbDpT10_ENKUlT_T0_E_clISt17integral_constantIbLb1EES19_IbLb0EEEEDaS15_S16_EUlS15_E_NS1_11comp_targetILNS1_3genE10ELNS1_11target_archE1200ELNS1_3gpuE4ELNS1_3repE0EEENS1_30default_config_static_selectorELNS0_4arch9wavefront6targetE1EEEvT1_.num_named_barrier, 0
	.set _ZN7rocprim17ROCPRIM_400000_NS6detail17trampoline_kernelINS0_14default_configENS1_25partition_config_selectorILNS1_17partition_subalgoE8EyNS0_10empty_typeEbEEZZNS1_14partition_implILS5_8ELb0ES3_jN6thrust23THRUST_200600_302600_NS6detail15normal_iteratorINSA_10device_ptrIyEEEEPS6_PKS6_NS0_5tupleIJSF_S6_EEENSJ_IJSG_SG_EEENS0_18inequality_wrapperINSA_8equal_toIyEEEEPmJS6_EEE10hipError_tPvRmT3_T4_T5_T6_T7_T9_mT8_P12ihipStream_tbDpT10_ENKUlT_T0_E_clISt17integral_constantIbLb1EES19_IbLb0EEEEDaS15_S16_EUlS15_E_NS1_11comp_targetILNS1_3genE10ELNS1_11target_archE1200ELNS1_3gpuE4ELNS1_3repE0EEENS1_30default_config_static_selectorELNS0_4arch9wavefront6targetE1EEEvT1_.private_seg_size, 0
	.set _ZN7rocprim17ROCPRIM_400000_NS6detail17trampoline_kernelINS0_14default_configENS1_25partition_config_selectorILNS1_17partition_subalgoE8EyNS0_10empty_typeEbEEZZNS1_14partition_implILS5_8ELb0ES3_jN6thrust23THRUST_200600_302600_NS6detail15normal_iteratorINSA_10device_ptrIyEEEEPS6_PKS6_NS0_5tupleIJSF_S6_EEENSJ_IJSG_SG_EEENS0_18inequality_wrapperINSA_8equal_toIyEEEEPmJS6_EEE10hipError_tPvRmT3_T4_T5_T6_T7_T9_mT8_P12ihipStream_tbDpT10_ENKUlT_T0_E_clISt17integral_constantIbLb1EES19_IbLb0EEEEDaS15_S16_EUlS15_E_NS1_11comp_targetILNS1_3genE10ELNS1_11target_archE1200ELNS1_3gpuE4ELNS1_3repE0EEENS1_30default_config_static_selectorELNS0_4arch9wavefront6targetE1EEEvT1_.uses_vcc, 0
	.set _ZN7rocprim17ROCPRIM_400000_NS6detail17trampoline_kernelINS0_14default_configENS1_25partition_config_selectorILNS1_17partition_subalgoE8EyNS0_10empty_typeEbEEZZNS1_14partition_implILS5_8ELb0ES3_jN6thrust23THRUST_200600_302600_NS6detail15normal_iteratorINSA_10device_ptrIyEEEEPS6_PKS6_NS0_5tupleIJSF_S6_EEENSJ_IJSG_SG_EEENS0_18inequality_wrapperINSA_8equal_toIyEEEEPmJS6_EEE10hipError_tPvRmT3_T4_T5_T6_T7_T9_mT8_P12ihipStream_tbDpT10_ENKUlT_T0_E_clISt17integral_constantIbLb1EES19_IbLb0EEEEDaS15_S16_EUlS15_E_NS1_11comp_targetILNS1_3genE10ELNS1_11target_archE1200ELNS1_3gpuE4ELNS1_3repE0EEENS1_30default_config_static_selectorELNS0_4arch9wavefront6targetE1EEEvT1_.uses_flat_scratch, 0
	.set _ZN7rocprim17ROCPRIM_400000_NS6detail17trampoline_kernelINS0_14default_configENS1_25partition_config_selectorILNS1_17partition_subalgoE8EyNS0_10empty_typeEbEEZZNS1_14partition_implILS5_8ELb0ES3_jN6thrust23THRUST_200600_302600_NS6detail15normal_iteratorINSA_10device_ptrIyEEEEPS6_PKS6_NS0_5tupleIJSF_S6_EEENSJ_IJSG_SG_EEENS0_18inequality_wrapperINSA_8equal_toIyEEEEPmJS6_EEE10hipError_tPvRmT3_T4_T5_T6_T7_T9_mT8_P12ihipStream_tbDpT10_ENKUlT_T0_E_clISt17integral_constantIbLb1EES19_IbLb0EEEEDaS15_S16_EUlS15_E_NS1_11comp_targetILNS1_3genE10ELNS1_11target_archE1200ELNS1_3gpuE4ELNS1_3repE0EEENS1_30default_config_static_selectorELNS0_4arch9wavefront6targetE1EEEvT1_.has_dyn_sized_stack, 0
	.set _ZN7rocprim17ROCPRIM_400000_NS6detail17trampoline_kernelINS0_14default_configENS1_25partition_config_selectorILNS1_17partition_subalgoE8EyNS0_10empty_typeEbEEZZNS1_14partition_implILS5_8ELb0ES3_jN6thrust23THRUST_200600_302600_NS6detail15normal_iteratorINSA_10device_ptrIyEEEEPS6_PKS6_NS0_5tupleIJSF_S6_EEENSJ_IJSG_SG_EEENS0_18inequality_wrapperINSA_8equal_toIyEEEEPmJS6_EEE10hipError_tPvRmT3_T4_T5_T6_T7_T9_mT8_P12ihipStream_tbDpT10_ENKUlT_T0_E_clISt17integral_constantIbLb1EES19_IbLb0EEEEDaS15_S16_EUlS15_E_NS1_11comp_targetILNS1_3genE10ELNS1_11target_archE1200ELNS1_3gpuE4ELNS1_3repE0EEENS1_30default_config_static_selectorELNS0_4arch9wavefront6targetE1EEEvT1_.has_recursion, 0
	.set _ZN7rocprim17ROCPRIM_400000_NS6detail17trampoline_kernelINS0_14default_configENS1_25partition_config_selectorILNS1_17partition_subalgoE8EyNS0_10empty_typeEbEEZZNS1_14partition_implILS5_8ELb0ES3_jN6thrust23THRUST_200600_302600_NS6detail15normal_iteratorINSA_10device_ptrIyEEEEPS6_PKS6_NS0_5tupleIJSF_S6_EEENSJ_IJSG_SG_EEENS0_18inequality_wrapperINSA_8equal_toIyEEEEPmJS6_EEE10hipError_tPvRmT3_T4_T5_T6_T7_T9_mT8_P12ihipStream_tbDpT10_ENKUlT_T0_E_clISt17integral_constantIbLb1EES19_IbLb0EEEEDaS15_S16_EUlS15_E_NS1_11comp_targetILNS1_3genE10ELNS1_11target_archE1200ELNS1_3gpuE4ELNS1_3repE0EEENS1_30default_config_static_selectorELNS0_4arch9wavefront6targetE1EEEvT1_.has_indirect_call, 0
	.section	.AMDGPU.csdata,"",@progbits
; Kernel info:
; codeLenInByte = 0
; TotalNumSgprs: 4
; NumVgprs: 0
; ScratchSize: 0
; MemoryBound: 0
; FloatMode: 240
; IeeeMode: 1
; LDSByteSize: 0 bytes/workgroup (compile time only)
; SGPRBlocks: 0
; VGPRBlocks: 0
; NumSGPRsForWavesPerEU: 4
; NumVGPRsForWavesPerEU: 1
; Occupancy: 10
; WaveLimiterHint : 0
; COMPUTE_PGM_RSRC2:SCRATCH_EN: 0
; COMPUTE_PGM_RSRC2:USER_SGPR: 6
; COMPUTE_PGM_RSRC2:TRAP_HANDLER: 0
; COMPUTE_PGM_RSRC2:TGID_X_EN: 1
; COMPUTE_PGM_RSRC2:TGID_Y_EN: 0
; COMPUTE_PGM_RSRC2:TGID_Z_EN: 0
; COMPUTE_PGM_RSRC2:TIDIG_COMP_CNT: 0
	.section	.text._ZN7rocprim17ROCPRIM_400000_NS6detail17trampoline_kernelINS0_14default_configENS1_25partition_config_selectorILNS1_17partition_subalgoE8EyNS0_10empty_typeEbEEZZNS1_14partition_implILS5_8ELb0ES3_jN6thrust23THRUST_200600_302600_NS6detail15normal_iteratorINSA_10device_ptrIyEEEEPS6_PKS6_NS0_5tupleIJSF_S6_EEENSJ_IJSG_SG_EEENS0_18inequality_wrapperINSA_8equal_toIyEEEEPmJS6_EEE10hipError_tPvRmT3_T4_T5_T6_T7_T9_mT8_P12ihipStream_tbDpT10_ENKUlT_T0_E_clISt17integral_constantIbLb1EES19_IbLb0EEEEDaS15_S16_EUlS15_E_NS1_11comp_targetILNS1_3genE9ELNS1_11target_archE1100ELNS1_3gpuE3ELNS1_3repE0EEENS1_30default_config_static_selectorELNS0_4arch9wavefront6targetE1EEEvT1_,"axG",@progbits,_ZN7rocprim17ROCPRIM_400000_NS6detail17trampoline_kernelINS0_14default_configENS1_25partition_config_selectorILNS1_17partition_subalgoE8EyNS0_10empty_typeEbEEZZNS1_14partition_implILS5_8ELb0ES3_jN6thrust23THRUST_200600_302600_NS6detail15normal_iteratorINSA_10device_ptrIyEEEEPS6_PKS6_NS0_5tupleIJSF_S6_EEENSJ_IJSG_SG_EEENS0_18inequality_wrapperINSA_8equal_toIyEEEEPmJS6_EEE10hipError_tPvRmT3_T4_T5_T6_T7_T9_mT8_P12ihipStream_tbDpT10_ENKUlT_T0_E_clISt17integral_constantIbLb1EES19_IbLb0EEEEDaS15_S16_EUlS15_E_NS1_11comp_targetILNS1_3genE9ELNS1_11target_archE1100ELNS1_3gpuE3ELNS1_3repE0EEENS1_30default_config_static_selectorELNS0_4arch9wavefront6targetE1EEEvT1_,comdat
	.protected	_ZN7rocprim17ROCPRIM_400000_NS6detail17trampoline_kernelINS0_14default_configENS1_25partition_config_selectorILNS1_17partition_subalgoE8EyNS0_10empty_typeEbEEZZNS1_14partition_implILS5_8ELb0ES3_jN6thrust23THRUST_200600_302600_NS6detail15normal_iteratorINSA_10device_ptrIyEEEEPS6_PKS6_NS0_5tupleIJSF_S6_EEENSJ_IJSG_SG_EEENS0_18inequality_wrapperINSA_8equal_toIyEEEEPmJS6_EEE10hipError_tPvRmT3_T4_T5_T6_T7_T9_mT8_P12ihipStream_tbDpT10_ENKUlT_T0_E_clISt17integral_constantIbLb1EES19_IbLb0EEEEDaS15_S16_EUlS15_E_NS1_11comp_targetILNS1_3genE9ELNS1_11target_archE1100ELNS1_3gpuE3ELNS1_3repE0EEENS1_30default_config_static_selectorELNS0_4arch9wavefront6targetE1EEEvT1_ ; -- Begin function _ZN7rocprim17ROCPRIM_400000_NS6detail17trampoline_kernelINS0_14default_configENS1_25partition_config_selectorILNS1_17partition_subalgoE8EyNS0_10empty_typeEbEEZZNS1_14partition_implILS5_8ELb0ES3_jN6thrust23THRUST_200600_302600_NS6detail15normal_iteratorINSA_10device_ptrIyEEEEPS6_PKS6_NS0_5tupleIJSF_S6_EEENSJ_IJSG_SG_EEENS0_18inequality_wrapperINSA_8equal_toIyEEEEPmJS6_EEE10hipError_tPvRmT3_T4_T5_T6_T7_T9_mT8_P12ihipStream_tbDpT10_ENKUlT_T0_E_clISt17integral_constantIbLb1EES19_IbLb0EEEEDaS15_S16_EUlS15_E_NS1_11comp_targetILNS1_3genE9ELNS1_11target_archE1100ELNS1_3gpuE3ELNS1_3repE0EEENS1_30default_config_static_selectorELNS0_4arch9wavefront6targetE1EEEvT1_
	.globl	_ZN7rocprim17ROCPRIM_400000_NS6detail17trampoline_kernelINS0_14default_configENS1_25partition_config_selectorILNS1_17partition_subalgoE8EyNS0_10empty_typeEbEEZZNS1_14partition_implILS5_8ELb0ES3_jN6thrust23THRUST_200600_302600_NS6detail15normal_iteratorINSA_10device_ptrIyEEEEPS6_PKS6_NS0_5tupleIJSF_S6_EEENSJ_IJSG_SG_EEENS0_18inequality_wrapperINSA_8equal_toIyEEEEPmJS6_EEE10hipError_tPvRmT3_T4_T5_T6_T7_T9_mT8_P12ihipStream_tbDpT10_ENKUlT_T0_E_clISt17integral_constantIbLb1EES19_IbLb0EEEEDaS15_S16_EUlS15_E_NS1_11comp_targetILNS1_3genE9ELNS1_11target_archE1100ELNS1_3gpuE3ELNS1_3repE0EEENS1_30default_config_static_selectorELNS0_4arch9wavefront6targetE1EEEvT1_
	.p2align	8
	.type	_ZN7rocprim17ROCPRIM_400000_NS6detail17trampoline_kernelINS0_14default_configENS1_25partition_config_selectorILNS1_17partition_subalgoE8EyNS0_10empty_typeEbEEZZNS1_14partition_implILS5_8ELb0ES3_jN6thrust23THRUST_200600_302600_NS6detail15normal_iteratorINSA_10device_ptrIyEEEEPS6_PKS6_NS0_5tupleIJSF_S6_EEENSJ_IJSG_SG_EEENS0_18inequality_wrapperINSA_8equal_toIyEEEEPmJS6_EEE10hipError_tPvRmT3_T4_T5_T6_T7_T9_mT8_P12ihipStream_tbDpT10_ENKUlT_T0_E_clISt17integral_constantIbLb1EES19_IbLb0EEEEDaS15_S16_EUlS15_E_NS1_11comp_targetILNS1_3genE9ELNS1_11target_archE1100ELNS1_3gpuE3ELNS1_3repE0EEENS1_30default_config_static_selectorELNS0_4arch9wavefront6targetE1EEEvT1_,@function
_ZN7rocprim17ROCPRIM_400000_NS6detail17trampoline_kernelINS0_14default_configENS1_25partition_config_selectorILNS1_17partition_subalgoE8EyNS0_10empty_typeEbEEZZNS1_14partition_implILS5_8ELb0ES3_jN6thrust23THRUST_200600_302600_NS6detail15normal_iteratorINSA_10device_ptrIyEEEEPS6_PKS6_NS0_5tupleIJSF_S6_EEENSJ_IJSG_SG_EEENS0_18inequality_wrapperINSA_8equal_toIyEEEEPmJS6_EEE10hipError_tPvRmT3_T4_T5_T6_T7_T9_mT8_P12ihipStream_tbDpT10_ENKUlT_T0_E_clISt17integral_constantIbLb1EES19_IbLb0EEEEDaS15_S16_EUlS15_E_NS1_11comp_targetILNS1_3genE9ELNS1_11target_archE1100ELNS1_3gpuE3ELNS1_3repE0EEENS1_30default_config_static_selectorELNS0_4arch9wavefront6targetE1EEEvT1_: ; @_ZN7rocprim17ROCPRIM_400000_NS6detail17trampoline_kernelINS0_14default_configENS1_25partition_config_selectorILNS1_17partition_subalgoE8EyNS0_10empty_typeEbEEZZNS1_14partition_implILS5_8ELb0ES3_jN6thrust23THRUST_200600_302600_NS6detail15normal_iteratorINSA_10device_ptrIyEEEEPS6_PKS6_NS0_5tupleIJSF_S6_EEENSJ_IJSG_SG_EEENS0_18inequality_wrapperINSA_8equal_toIyEEEEPmJS6_EEE10hipError_tPvRmT3_T4_T5_T6_T7_T9_mT8_P12ihipStream_tbDpT10_ENKUlT_T0_E_clISt17integral_constantIbLb1EES19_IbLb0EEEEDaS15_S16_EUlS15_E_NS1_11comp_targetILNS1_3genE9ELNS1_11target_archE1100ELNS1_3gpuE3ELNS1_3repE0EEENS1_30default_config_static_selectorELNS0_4arch9wavefront6targetE1EEEvT1_
; %bb.0:
	.section	.rodata,"a",@progbits
	.p2align	6, 0x0
	.amdhsa_kernel _ZN7rocprim17ROCPRIM_400000_NS6detail17trampoline_kernelINS0_14default_configENS1_25partition_config_selectorILNS1_17partition_subalgoE8EyNS0_10empty_typeEbEEZZNS1_14partition_implILS5_8ELb0ES3_jN6thrust23THRUST_200600_302600_NS6detail15normal_iteratorINSA_10device_ptrIyEEEEPS6_PKS6_NS0_5tupleIJSF_S6_EEENSJ_IJSG_SG_EEENS0_18inequality_wrapperINSA_8equal_toIyEEEEPmJS6_EEE10hipError_tPvRmT3_T4_T5_T6_T7_T9_mT8_P12ihipStream_tbDpT10_ENKUlT_T0_E_clISt17integral_constantIbLb1EES19_IbLb0EEEEDaS15_S16_EUlS15_E_NS1_11comp_targetILNS1_3genE9ELNS1_11target_archE1100ELNS1_3gpuE3ELNS1_3repE0EEENS1_30default_config_static_selectorELNS0_4arch9wavefront6targetE1EEEvT1_
		.amdhsa_group_segment_fixed_size 0
		.amdhsa_private_segment_fixed_size 0
		.amdhsa_kernarg_size 112
		.amdhsa_user_sgpr_count 6
		.amdhsa_user_sgpr_private_segment_buffer 1
		.amdhsa_user_sgpr_dispatch_ptr 0
		.amdhsa_user_sgpr_queue_ptr 0
		.amdhsa_user_sgpr_kernarg_segment_ptr 1
		.amdhsa_user_sgpr_dispatch_id 0
		.amdhsa_user_sgpr_flat_scratch_init 0
		.amdhsa_user_sgpr_private_segment_size 0
		.amdhsa_uses_dynamic_stack 0
		.amdhsa_system_sgpr_private_segment_wavefront_offset 0
		.amdhsa_system_sgpr_workgroup_id_x 1
		.amdhsa_system_sgpr_workgroup_id_y 0
		.amdhsa_system_sgpr_workgroup_id_z 0
		.amdhsa_system_sgpr_workgroup_info 0
		.amdhsa_system_vgpr_workitem_id 0
		.amdhsa_next_free_vgpr 1
		.amdhsa_next_free_sgpr 0
		.amdhsa_reserve_vcc 0
		.amdhsa_reserve_flat_scratch 0
		.amdhsa_float_round_mode_32 0
		.amdhsa_float_round_mode_16_64 0
		.amdhsa_float_denorm_mode_32 3
		.amdhsa_float_denorm_mode_16_64 3
		.amdhsa_dx10_clamp 1
		.amdhsa_ieee_mode 1
		.amdhsa_fp16_overflow 0
		.amdhsa_exception_fp_ieee_invalid_op 0
		.amdhsa_exception_fp_denorm_src 0
		.amdhsa_exception_fp_ieee_div_zero 0
		.amdhsa_exception_fp_ieee_overflow 0
		.amdhsa_exception_fp_ieee_underflow 0
		.amdhsa_exception_fp_ieee_inexact 0
		.amdhsa_exception_int_div_zero 0
	.end_amdhsa_kernel
	.section	.text._ZN7rocprim17ROCPRIM_400000_NS6detail17trampoline_kernelINS0_14default_configENS1_25partition_config_selectorILNS1_17partition_subalgoE8EyNS0_10empty_typeEbEEZZNS1_14partition_implILS5_8ELb0ES3_jN6thrust23THRUST_200600_302600_NS6detail15normal_iteratorINSA_10device_ptrIyEEEEPS6_PKS6_NS0_5tupleIJSF_S6_EEENSJ_IJSG_SG_EEENS0_18inequality_wrapperINSA_8equal_toIyEEEEPmJS6_EEE10hipError_tPvRmT3_T4_T5_T6_T7_T9_mT8_P12ihipStream_tbDpT10_ENKUlT_T0_E_clISt17integral_constantIbLb1EES19_IbLb0EEEEDaS15_S16_EUlS15_E_NS1_11comp_targetILNS1_3genE9ELNS1_11target_archE1100ELNS1_3gpuE3ELNS1_3repE0EEENS1_30default_config_static_selectorELNS0_4arch9wavefront6targetE1EEEvT1_,"axG",@progbits,_ZN7rocprim17ROCPRIM_400000_NS6detail17trampoline_kernelINS0_14default_configENS1_25partition_config_selectorILNS1_17partition_subalgoE8EyNS0_10empty_typeEbEEZZNS1_14partition_implILS5_8ELb0ES3_jN6thrust23THRUST_200600_302600_NS6detail15normal_iteratorINSA_10device_ptrIyEEEEPS6_PKS6_NS0_5tupleIJSF_S6_EEENSJ_IJSG_SG_EEENS0_18inequality_wrapperINSA_8equal_toIyEEEEPmJS6_EEE10hipError_tPvRmT3_T4_T5_T6_T7_T9_mT8_P12ihipStream_tbDpT10_ENKUlT_T0_E_clISt17integral_constantIbLb1EES19_IbLb0EEEEDaS15_S16_EUlS15_E_NS1_11comp_targetILNS1_3genE9ELNS1_11target_archE1100ELNS1_3gpuE3ELNS1_3repE0EEENS1_30default_config_static_selectorELNS0_4arch9wavefront6targetE1EEEvT1_,comdat
.Lfunc_end167:
	.size	_ZN7rocprim17ROCPRIM_400000_NS6detail17trampoline_kernelINS0_14default_configENS1_25partition_config_selectorILNS1_17partition_subalgoE8EyNS0_10empty_typeEbEEZZNS1_14partition_implILS5_8ELb0ES3_jN6thrust23THRUST_200600_302600_NS6detail15normal_iteratorINSA_10device_ptrIyEEEEPS6_PKS6_NS0_5tupleIJSF_S6_EEENSJ_IJSG_SG_EEENS0_18inequality_wrapperINSA_8equal_toIyEEEEPmJS6_EEE10hipError_tPvRmT3_T4_T5_T6_T7_T9_mT8_P12ihipStream_tbDpT10_ENKUlT_T0_E_clISt17integral_constantIbLb1EES19_IbLb0EEEEDaS15_S16_EUlS15_E_NS1_11comp_targetILNS1_3genE9ELNS1_11target_archE1100ELNS1_3gpuE3ELNS1_3repE0EEENS1_30default_config_static_selectorELNS0_4arch9wavefront6targetE1EEEvT1_, .Lfunc_end167-_ZN7rocprim17ROCPRIM_400000_NS6detail17trampoline_kernelINS0_14default_configENS1_25partition_config_selectorILNS1_17partition_subalgoE8EyNS0_10empty_typeEbEEZZNS1_14partition_implILS5_8ELb0ES3_jN6thrust23THRUST_200600_302600_NS6detail15normal_iteratorINSA_10device_ptrIyEEEEPS6_PKS6_NS0_5tupleIJSF_S6_EEENSJ_IJSG_SG_EEENS0_18inequality_wrapperINSA_8equal_toIyEEEEPmJS6_EEE10hipError_tPvRmT3_T4_T5_T6_T7_T9_mT8_P12ihipStream_tbDpT10_ENKUlT_T0_E_clISt17integral_constantIbLb1EES19_IbLb0EEEEDaS15_S16_EUlS15_E_NS1_11comp_targetILNS1_3genE9ELNS1_11target_archE1100ELNS1_3gpuE3ELNS1_3repE0EEENS1_30default_config_static_selectorELNS0_4arch9wavefront6targetE1EEEvT1_
                                        ; -- End function
	.set _ZN7rocprim17ROCPRIM_400000_NS6detail17trampoline_kernelINS0_14default_configENS1_25partition_config_selectorILNS1_17partition_subalgoE8EyNS0_10empty_typeEbEEZZNS1_14partition_implILS5_8ELb0ES3_jN6thrust23THRUST_200600_302600_NS6detail15normal_iteratorINSA_10device_ptrIyEEEEPS6_PKS6_NS0_5tupleIJSF_S6_EEENSJ_IJSG_SG_EEENS0_18inequality_wrapperINSA_8equal_toIyEEEEPmJS6_EEE10hipError_tPvRmT3_T4_T5_T6_T7_T9_mT8_P12ihipStream_tbDpT10_ENKUlT_T0_E_clISt17integral_constantIbLb1EES19_IbLb0EEEEDaS15_S16_EUlS15_E_NS1_11comp_targetILNS1_3genE9ELNS1_11target_archE1100ELNS1_3gpuE3ELNS1_3repE0EEENS1_30default_config_static_selectorELNS0_4arch9wavefront6targetE1EEEvT1_.num_vgpr, 0
	.set _ZN7rocprim17ROCPRIM_400000_NS6detail17trampoline_kernelINS0_14default_configENS1_25partition_config_selectorILNS1_17partition_subalgoE8EyNS0_10empty_typeEbEEZZNS1_14partition_implILS5_8ELb0ES3_jN6thrust23THRUST_200600_302600_NS6detail15normal_iteratorINSA_10device_ptrIyEEEEPS6_PKS6_NS0_5tupleIJSF_S6_EEENSJ_IJSG_SG_EEENS0_18inequality_wrapperINSA_8equal_toIyEEEEPmJS6_EEE10hipError_tPvRmT3_T4_T5_T6_T7_T9_mT8_P12ihipStream_tbDpT10_ENKUlT_T0_E_clISt17integral_constantIbLb1EES19_IbLb0EEEEDaS15_S16_EUlS15_E_NS1_11comp_targetILNS1_3genE9ELNS1_11target_archE1100ELNS1_3gpuE3ELNS1_3repE0EEENS1_30default_config_static_selectorELNS0_4arch9wavefront6targetE1EEEvT1_.num_agpr, 0
	.set _ZN7rocprim17ROCPRIM_400000_NS6detail17trampoline_kernelINS0_14default_configENS1_25partition_config_selectorILNS1_17partition_subalgoE8EyNS0_10empty_typeEbEEZZNS1_14partition_implILS5_8ELb0ES3_jN6thrust23THRUST_200600_302600_NS6detail15normal_iteratorINSA_10device_ptrIyEEEEPS6_PKS6_NS0_5tupleIJSF_S6_EEENSJ_IJSG_SG_EEENS0_18inequality_wrapperINSA_8equal_toIyEEEEPmJS6_EEE10hipError_tPvRmT3_T4_T5_T6_T7_T9_mT8_P12ihipStream_tbDpT10_ENKUlT_T0_E_clISt17integral_constantIbLb1EES19_IbLb0EEEEDaS15_S16_EUlS15_E_NS1_11comp_targetILNS1_3genE9ELNS1_11target_archE1100ELNS1_3gpuE3ELNS1_3repE0EEENS1_30default_config_static_selectorELNS0_4arch9wavefront6targetE1EEEvT1_.numbered_sgpr, 0
	.set _ZN7rocprim17ROCPRIM_400000_NS6detail17trampoline_kernelINS0_14default_configENS1_25partition_config_selectorILNS1_17partition_subalgoE8EyNS0_10empty_typeEbEEZZNS1_14partition_implILS5_8ELb0ES3_jN6thrust23THRUST_200600_302600_NS6detail15normal_iteratorINSA_10device_ptrIyEEEEPS6_PKS6_NS0_5tupleIJSF_S6_EEENSJ_IJSG_SG_EEENS0_18inequality_wrapperINSA_8equal_toIyEEEEPmJS6_EEE10hipError_tPvRmT3_T4_T5_T6_T7_T9_mT8_P12ihipStream_tbDpT10_ENKUlT_T0_E_clISt17integral_constantIbLb1EES19_IbLb0EEEEDaS15_S16_EUlS15_E_NS1_11comp_targetILNS1_3genE9ELNS1_11target_archE1100ELNS1_3gpuE3ELNS1_3repE0EEENS1_30default_config_static_selectorELNS0_4arch9wavefront6targetE1EEEvT1_.num_named_barrier, 0
	.set _ZN7rocprim17ROCPRIM_400000_NS6detail17trampoline_kernelINS0_14default_configENS1_25partition_config_selectorILNS1_17partition_subalgoE8EyNS0_10empty_typeEbEEZZNS1_14partition_implILS5_8ELb0ES3_jN6thrust23THRUST_200600_302600_NS6detail15normal_iteratorINSA_10device_ptrIyEEEEPS6_PKS6_NS0_5tupleIJSF_S6_EEENSJ_IJSG_SG_EEENS0_18inequality_wrapperINSA_8equal_toIyEEEEPmJS6_EEE10hipError_tPvRmT3_T4_T5_T6_T7_T9_mT8_P12ihipStream_tbDpT10_ENKUlT_T0_E_clISt17integral_constantIbLb1EES19_IbLb0EEEEDaS15_S16_EUlS15_E_NS1_11comp_targetILNS1_3genE9ELNS1_11target_archE1100ELNS1_3gpuE3ELNS1_3repE0EEENS1_30default_config_static_selectorELNS0_4arch9wavefront6targetE1EEEvT1_.private_seg_size, 0
	.set _ZN7rocprim17ROCPRIM_400000_NS6detail17trampoline_kernelINS0_14default_configENS1_25partition_config_selectorILNS1_17partition_subalgoE8EyNS0_10empty_typeEbEEZZNS1_14partition_implILS5_8ELb0ES3_jN6thrust23THRUST_200600_302600_NS6detail15normal_iteratorINSA_10device_ptrIyEEEEPS6_PKS6_NS0_5tupleIJSF_S6_EEENSJ_IJSG_SG_EEENS0_18inequality_wrapperINSA_8equal_toIyEEEEPmJS6_EEE10hipError_tPvRmT3_T4_T5_T6_T7_T9_mT8_P12ihipStream_tbDpT10_ENKUlT_T0_E_clISt17integral_constantIbLb1EES19_IbLb0EEEEDaS15_S16_EUlS15_E_NS1_11comp_targetILNS1_3genE9ELNS1_11target_archE1100ELNS1_3gpuE3ELNS1_3repE0EEENS1_30default_config_static_selectorELNS0_4arch9wavefront6targetE1EEEvT1_.uses_vcc, 0
	.set _ZN7rocprim17ROCPRIM_400000_NS6detail17trampoline_kernelINS0_14default_configENS1_25partition_config_selectorILNS1_17partition_subalgoE8EyNS0_10empty_typeEbEEZZNS1_14partition_implILS5_8ELb0ES3_jN6thrust23THRUST_200600_302600_NS6detail15normal_iteratorINSA_10device_ptrIyEEEEPS6_PKS6_NS0_5tupleIJSF_S6_EEENSJ_IJSG_SG_EEENS0_18inequality_wrapperINSA_8equal_toIyEEEEPmJS6_EEE10hipError_tPvRmT3_T4_T5_T6_T7_T9_mT8_P12ihipStream_tbDpT10_ENKUlT_T0_E_clISt17integral_constantIbLb1EES19_IbLb0EEEEDaS15_S16_EUlS15_E_NS1_11comp_targetILNS1_3genE9ELNS1_11target_archE1100ELNS1_3gpuE3ELNS1_3repE0EEENS1_30default_config_static_selectorELNS0_4arch9wavefront6targetE1EEEvT1_.uses_flat_scratch, 0
	.set _ZN7rocprim17ROCPRIM_400000_NS6detail17trampoline_kernelINS0_14default_configENS1_25partition_config_selectorILNS1_17partition_subalgoE8EyNS0_10empty_typeEbEEZZNS1_14partition_implILS5_8ELb0ES3_jN6thrust23THRUST_200600_302600_NS6detail15normal_iteratorINSA_10device_ptrIyEEEEPS6_PKS6_NS0_5tupleIJSF_S6_EEENSJ_IJSG_SG_EEENS0_18inequality_wrapperINSA_8equal_toIyEEEEPmJS6_EEE10hipError_tPvRmT3_T4_T5_T6_T7_T9_mT8_P12ihipStream_tbDpT10_ENKUlT_T0_E_clISt17integral_constantIbLb1EES19_IbLb0EEEEDaS15_S16_EUlS15_E_NS1_11comp_targetILNS1_3genE9ELNS1_11target_archE1100ELNS1_3gpuE3ELNS1_3repE0EEENS1_30default_config_static_selectorELNS0_4arch9wavefront6targetE1EEEvT1_.has_dyn_sized_stack, 0
	.set _ZN7rocprim17ROCPRIM_400000_NS6detail17trampoline_kernelINS0_14default_configENS1_25partition_config_selectorILNS1_17partition_subalgoE8EyNS0_10empty_typeEbEEZZNS1_14partition_implILS5_8ELb0ES3_jN6thrust23THRUST_200600_302600_NS6detail15normal_iteratorINSA_10device_ptrIyEEEEPS6_PKS6_NS0_5tupleIJSF_S6_EEENSJ_IJSG_SG_EEENS0_18inequality_wrapperINSA_8equal_toIyEEEEPmJS6_EEE10hipError_tPvRmT3_T4_T5_T6_T7_T9_mT8_P12ihipStream_tbDpT10_ENKUlT_T0_E_clISt17integral_constantIbLb1EES19_IbLb0EEEEDaS15_S16_EUlS15_E_NS1_11comp_targetILNS1_3genE9ELNS1_11target_archE1100ELNS1_3gpuE3ELNS1_3repE0EEENS1_30default_config_static_selectorELNS0_4arch9wavefront6targetE1EEEvT1_.has_recursion, 0
	.set _ZN7rocprim17ROCPRIM_400000_NS6detail17trampoline_kernelINS0_14default_configENS1_25partition_config_selectorILNS1_17partition_subalgoE8EyNS0_10empty_typeEbEEZZNS1_14partition_implILS5_8ELb0ES3_jN6thrust23THRUST_200600_302600_NS6detail15normal_iteratorINSA_10device_ptrIyEEEEPS6_PKS6_NS0_5tupleIJSF_S6_EEENSJ_IJSG_SG_EEENS0_18inequality_wrapperINSA_8equal_toIyEEEEPmJS6_EEE10hipError_tPvRmT3_T4_T5_T6_T7_T9_mT8_P12ihipStream_tbDpT10_ENKUlT_T0_E_clISt17integral_constantIbLb1EES19_IbLb0EEEEDaS15_S16_EUlS15_E_NS1_11comp_targetILNS1_3genE9ELNS1_11target_archE1100ELNS1_3gpuE3ELNS1_3repE0EEENS1_30default_config_static_selectorELNS0_4arch9wavefront6targetE1EEEvT1_.has_indirect_call, 0
	.section	.AMDGPU.csdata,"",@progbits
; Kernel info:
; codeLenInByte = 0
; TotalNumSgprs: 4
; NumVgprs: 0
; ScratchSize: 0
; MemoryBound: 0
; FloatMode: 240
; IeeeMode: 1
; LDSByteSize: 0 bytes/workgroup (compile time only)
; SGPRBlocks: 0
; VGPRBlocks: 0
; NumSGPRsForWavesPerEU: 4
; NumVGPRsForWavesPerEU: 1
; Occupancy: 10
; WaveLimiterHint : 0
; COMPUTE_PGM_RSRC2:SCRATCH_EN: 0
; COMPUTE_PGM_RSRC2:USER_SGPR: 6
; COMPUTE_PGM_RSRC2:TRAP_HANDLER: 0
; COMPUTE_PGM_RSRC2:TGID_X_EN: 1
; COMPUTE_PGM_RSRC2:TGID_Y_EN: 0
; COMPUTE_PGM_RSRC2:TGID_Z_EN: 0
; COMPUTE_PGM_RSRC2:TIDIG_COMP_CNT: 0
	.section	.text._ZN7rocprim17ROCPRIM_400000_NS6detail17trampoline_kernelINS0_14default_configENS1_25partition_config_selectorILNS1_17partition_subalgoE8EyNS0_10empty_typeEbEEZZNS1_14partition_implILS5_8ELb0ES3_jN6thrust23THRUST_200600_302600_NS6detail15normal_iteratorINSA_10device_ptrIyEEEEPS6_PKS6_NS0_5tupleIJSF_S6_EEENSJ_IJSG_SG_EEENS0_18inequality_wrapperINSA_8equal_toIyEEEEPmJS6_EEE10hipError_tPvRmT3_T4_T5_T6_T7_T9_mT8_P12ihipStream_tbDpT10_ENKUlT_T0_E_clISt17integral_constantIbLb1EES19_IbLb0EEEEDaS15_S16_EUlS15_E_NS1_11comp_targetILNS1_3genE8ELNS1_11target_archE1030ELNS1_3gpuE2ELNS1_3repE0EEENS1_30default_config_static_selectorELNS0_4arch9wavefront6targetE1EEEvT1_,"axG",@progbits,_ZN7rocprim17ROCPRIM_400000_NS6detail17trampoline_kernelINS0_14default_configENS1_25partition_config_selectorILNS1_17partition_subalgoE8EyNS0_10empty_typeEbEEZZNS1_14partition_implILS5_8ELb0ES3_jN6thrust23THRUST_200600_302600_NS6detail15normal_iteratorINSA_10device_ptrIyEEEEPS6_PKS6_NS0_5tupleIJSF_S6_EEENSJ_IJSG_SG_EEENS0_18inequality_wrapperINSA_8equal_toIyEEEEPmJS6_EEE10hipError_tPvRmT3_T4_T5_T6_T7_T9_mT8_P12ihipStream_tbDpT10_ENKUlT_T0_E_clISt17integral_constantIbLb1EES19_IbLb0EEEEDaS15_S16_EUlS15_E_NS1_11comp_targetILNS1_3genE8ELNS1_11target_archE1030ELNS1_3gpuE2ELNS1_3repE0EEENS1_30default_config_static_selectorELNS0_4arch9wavefront6targetE1EEEvT1_,comdat
	.protected	_ZN7rocprim17ROCPRIM_400000_NS6detail17trampoline_kernelINS0_14default_configENS1_25partition_config_selectorILNS1_17partition_subalgoE8EyNS0_10empty_typeEbEEZZNS1_14partition_implILS5_8ELb0ES3_jN6thrust23THRUST_200600_302600_NS6detail15normal_iteratorINSA_10device_ptrIyEEEEPS6_PKS6_NS0_5tupleIJSF_S6_EEENSJ_IJSG_SG_EEENS0_18inequality_wrapperINSA_8equal_toIyEEEEPmJS6_EEE10hipError_tPvRmT3_T4_T5_T6_T7_T9_mT8_P12ihipStream_tbDpT10_ENKUlT_T0_E_clISt17integral_constantIbLb1EES19_IbLb0EEEEDaS15_S16_EUlS15_E_NS1_11comp_targetILNS1_3genE8ELNS1_11target_archE1030ELNS1_3gpuE2ELNS1_3repE0EEENS1_30default_config_static_selectorELNS0_4arch9wavefront6targetE1EEEvT1_ ; -- Begin function _ZN7rocprim17ROCPRIM_400000_NS6detail17trampoline_kernelINS0_14default_configENS1_25partition_config_selectorILNS1_17partition_subalgoE8EyNS0_10empty_typeEbEEZZNS1_14partition_implILS5_8ELb0ES3_jN6thrust23THRUST_200600_302600_NS6detail15normal_iteratorINSA_10device_ptrIyEEEEPS6_PKS6_NS0_5tupleIJSF_S6_EEENSJ_IJSG_SG_EEENS0_18inequality_wrapperINSA_8equal_toIyEEEEPmJS6_EEE10hipError_tPvRmT3_T4_T5_T6_T7_T9_mT8_P12ihipStream_tbDpT10_ENKUlT_T0_E_clISt17integral_constantIbLb1EES19_IbLb0EEEEDaS15_S16_EUlS15_E_NS1_11comp_targetILNS1_3genE8ELNS1_11target_archE1030ELNS1_3gpuE2ELNS1_3repE0EEENS1_30default_config_static_selectorELNS0_4arch9wavefront6targetE1EEEvT1_
	.globl	_ZN7rocprim17ROCPRIM_400000_NS6detail17trampoline_kernelINS0_14default_configENS1_25partition_config_selectorILNS1_17partition_subalgoE8EyNS0_10empty_typeEbEEZZNS1_14partition_implILS5_8ELb0ES3_jN6thrust23THRUST_200600_302600_NS6detail15normal_iteratorINSA_10device_ptrIyEEEEPS6_PKS6_NS0_5tupleIJSF_S6_EEENSJ_IJSG_SG_EEENS0_18inequality_wrapperINSA_8equal_toIyEEEEPmJS6_EEE10hipError_tPvRmT3_T4_T5_T6_T7_T9_mT8_P12ihipStream_tbDpT10_ENKUlT_T0_E_clISt17integral_constantIbLb1EES19_IbLb0EEEEDaS15_S16_EUlS15_E_NS1_11comp_targetILNS1_3genE8ELNS1_11target_archE1030ELNS1_3gpuE2ELNS1_3repE0EEENS1_30default_config_static_selectorELNS0_4arch9wavefront6targetE1EEEvT1_
	.p2align	8
	.type	_ZN7rocprim17ROCPRIM_400000_NS6detail17trampoline_kernelINS0_14default_configENS1_25partition_config_selectorILNS1_17partition_subalgoE8EyNS0_10empty_typeEbEEZZNS1_14partition_implILS5_8ELb0ES3_jN6thrust23THRUST_200600_302600_NS6detail15normal_iteratorINSA_10device_ptrIyEEEEPS6_PKS6_NS0_5tupleIJSF_S6_EEENSJ_IJSG_SG_EEENS0_18inequality_wrapperINSA_8equal_toIyEEEEPmJS6_EEE10hipError_tPvRmT3_T4_T5_T6_T7_T9_mT8_P12ihipStream_tbDpT10_ENKUlT_T0_E_clISt17integral_constantIbLb1EES19_IbLb0EEEEDaS15_S16_EUlS15_E_NS1_11comp_targetILNS1_3genE8ELNS1_11target_archE1030ELNS1_3gpuE2ELNS1_3repE0EEENS1_30default_config_static_selectorELNS0_4arch9wavefront6targetE1EEEvT1_,@function
_ZN7rocprim17ROCPRIM_400000_NS6detail17trampoline_kernelINS0_14default_configENS1_25partition_config_selectorILNS1_17partition_subalgoE8EyNS0_10empty_typeEbEEZZNS1_14partition_implILS5_8ELb0ES3_jN6thrust23THRUST_200600_302600_NS6detail15normal_iteratorINSA_10device_ptrIyEEEEPS6_PKS6_NS0_5tupleIJSF_S6_EEENSJ_IJSG_SG_EEENS0_18inequality_wrapperINSA_8equal_toIyEEEEPmJS6_EEE10hipError_tPvRmT3_T4_T5_T6_T7_T9_mT8_P12ihipStream_tbDpT10_ENKUlT_T0_E_clISt17integral_constantIbLb1EES19_IbLb0EEEEDaS15_S16_EUlS15_E_NS1_11comp_targetILNS1_3genE8ELNS1_11target_archE1030ELNS1_3gpuE2ELNS1_3repE0EEENS1_30default_config_static_selectorELNS0_4arch9wavefront6targetE1EEEvT1_: ; @_ZN7rocprim17ROCPRIM_400000_NS6detail17trampoline_kernelINS0_14default_configENS1_25partition_config_selectorILNS1_17partition_subalgoE8EyNS0_10empty_typeEbEEZZNS1_14partition_implILS5_8ELb0ES3_jN6thrust23THRUST_200600_302600_NS6detail15normal_iteratorINSA_10device_ptrIyEEEEPS6_PKS6_NS0_5tupleIJSF_S6_EEENSJ_IJSG_SG_EEENS0_18inequality_wrapperINSA_8equal_toIyEEEEPmJS6_EEE10hipError_tPvRmT3_T4_T5_T6_T7_T9_mT8_P12ihipStream_tbDpT10_ENKUlT_T0_E_clISt17integral_constantIbLb1EES19_IbLb0EEEEDaS15_S16_EUlS15_E_NS1_11comp_targetILNS1_3genE8ELNS1_11target_archE1030ELNS1_3gpuE2ELNS1_3repE0EEENS1_30default_config_static_selectorELNS0_4arch9wavefront6targetE1EEEvT1_
; %bb.0:
	.section	.rodata,"a",@progbits
	.p2align	6, 0x0
	.amdhsa_kernel _ZN7rocprim17ROCPRIM_400000_NS6detail17trampoline_kernelINS0_14default_configENS1_25partition_config_selectorILNS1_17partition_subalgoE8EyNS0_10empty_typeEbEEZZNS1_14partition_implILS5_8ELb0ES3_jN6thrust23THRUST_200600_302600_NS6detail15normal_iteratorINSA_10device_ptrIyEEEEPS6_PKS6_NS0_5tupleIJSF_S6_EEENSJ_IJSG_SG_EEENS0_18inequality_wrapperINSA_8equal_toIyEEEEPmJS6_EEE10hipError_tPvRmT3_T4_T5_T6_T7_T9_mT8_P12ihipStream_tbDpT10_ENKUlT_T0_E_clISt17integral_constantIbLb1EES19_IbLb0EEEEDaS15_S16_EUlS15_E_NS1_11comp_targetILNS1_3genE8ELNS1_11target_archE1030ELNS1_3gpuE2ELNS1_3repE0EEENS1_30default_config_static_selectorELNS0_4arch9wavefront6targetE1EEEvT1_
		.amdhsa_group_segment_fixed_size 0
		.amdhsa_private_segment_fixed_size 0
		.amdhsa_kernarg_size 112
		.amdhsa_user_sgpr_count 6
		.amdhsa_user_sgpr_private_segment_buffer 1
		.amdhsa_user_sgpr_dispatch_ptr 0
		.amdhsa_user_sgpr_queue_ptr 0
		.amdhsa_user_sgpr_kernarg_segment_ptr 1
		.amdhsa_user_sgpr_dispatch_id 0
		.amdhsa_user_sgpr_flat_scratch_init 0
		.amdhsa_user_sgpr_private_segment_size 0
		.amdhsa_uses_dynamic_stack 0
		.amdhsa_system_sgpr_private_segment_wavefront_offset 0
		.amdhsa_system_sgpr_workgroup_id_x 1
		.amdhsa_system_sgpr_workgroup_id_y 0
		.amdhsa_system_sgpr_workgroup_id_z 0
		.amdhsa_system_sgpr_workgroup_info 0
		.amdhsa_system_vgpr_workitem_id 0
		.amdhsa_next_free_vgpr 1
		.amdhsa_next_free_sgpr 0
		.amdhsa_reserve_vcc 0
		.amdhsa_reserve_flat_scratch 0
		.amdhsa_float_round_mode_32 0
		.amdhsa_float_round_mode_16_64 0
		.amdhsa_float_denorm_mode_32 3
		.amdhsa_float_denorm_mode_16_64 3
		.amdhsa_dx10_clamp 1
		.amdhsa_ieee_mode 1
		.amdhsa_fp16_overflow 0
		.amdhsa_exception_fp_ieee_invalid_op 0
		.amdhsa_exception_fp_denorm_src 0
		.amdhsa_exception_fp_ieee_div_zero 0
		.amdhsa_exception_fp_ieee_overflow 0
		.amdhsa_exception_fp_ieee_underflow 0
		.amdhsa_exception_fp_ieee_inexact 0
		.amdhsa_exception_int_div_zero 0
	.end_amdhsa_kernel
	.section	.text._ZN7rocprim17ROCPRIM_400000_NS6detail17trampoline_kernelINS0_14default_configENS1_25partition_config_selectorILNS1_17partition_subalgoE8EyNS0_10empty_typeEbEEZZNS1_14partition_implILS5_8ELb0ES3_jN6thrust23THRUST_200600_302600_NS6detail15normal_iteratorINSA_10device_ptrIyEEEEPS6_PKS6_NS0_5tupleIJSF_S6_EEENSJ_IJSG_SG_EEENS0_18inequality_wrapperINSA_8equal_toIyEEEEPmJS6_EEE10hipError_tPvRmT3_T4_T5_T6_T7_T9_mT8_P12ihipStream_tbDpT10_ENKUlT_T0_E_clISt17integral_constantIbLb1EES19_IbLb0EEEEDaS15_S16_EUlS15_E_NS1_11comp_targetILNS1_3genE8ELNS1_11target_archE1030ELNS1_3gpuE2ELNS1_3repE0EEENS1_30default_config_static_selectorELNS0_4arch9wavefront6targetE1EEEvT1_,"axG",@progbits,_ZN7rocprim17ROCPRIM_400000_NS6detail17trampoline_kernelINS0_14default_configENS1_25partition_config_selectorILNS1_17partition_subalgoE8EyNS0_10empty_typeEbEEZZNS1_14partition_implILS5_8ELb0ES3_jN6thrust23THRUST_200600_302600_NS6detail15normal_iteratorINSA_10device_ptrIyEEEEPS6_PKS6_NS0_5tupleIJSF_S6_EEENSJ_IJSG_SG_EEENS0_18inequality_wrapperINSA_8equal_toIyEEEEPmJS6_EEE10hipError_tPvRmT3_T4_T5_T6_T7_T9_mT8_P12ihipStream_tbDpT10_ENKUlT_T0_E_clISt17integral_constantIbLb1EES19_IbLb0EEEEDaS15_S16_EUlS15_E_NS1_11comp_targetILNS1_3genE8ELNS1_11target_archE1030ELNS1_3gpuE2ELNS1_3repE0EEENS1_30default_config_static_selectorELNS0_4arch9wavefront6targetE1EEEvT1_,comdat
.Lfunc_end168:
	.size	_ZN7rocprim17ROCPRIM_400000_NS6detail17trampoline_kernelINS0_14default_configENS1_25partition_config_selectorILNS1_17partition_subalgoE8EyNS0_10empty_typeEbEEZZNS1_14partition_implILS5_8ELb0ES3_jN6thrust23THRUST_200600_302600_NS6detail15normal_iteratorINSA_10device_ptrIyEEEEPS6_PKS6_NS0_5tupleIJSF_S6_EEENSJ_IJSG_SG_EEENS0_18inequality_wrapperINSA_8equal_toIyEEEEPmJS6_EEE10hipError_tPvRmT3_T4_T5_T6_T7_T9_mT8_P12ihipStream_tbDpT10_ENKUlT_T0_E_clISt17integral_constantIbLb1EES19_IbLb0EEEEDaS15_S16_EUlS15_E_NS1_11comp_targetILNS1_3genE8ELNS1_11target_archE1030ELNS1_3gpuE2ELNS1_3repE0EEENS1_30default_config_static_selectorELNS0_4arch9wavefront6targetE1EEEvT1_, .Lfunc_end168-_ZN7rocprim17ROCPRIM_400000_NS6detail17trampoline_kernelINS0_14default_configENS1_25partition_config_selectorILNS1_17partition_subalgoE8EyNS0_10empty_typeEbEEZZNS1_14partition_implILS5_8ELb0ES3_jN6thrust23THRUST_200600_302600_NS6detail15normal_iteratorINSA_10device_ptrIyEEEEPS6_PKS6_NS0_5tupleIJSF_S6_EEENSJ_IJSG_SG_EEENS0_18inequality_wrapperINSA_8equal_toIyEEEEPmJS6_EEE10hipError_tPvRmT3_T4_T5_T6_T7_T9_mT8_P12ihipStream_tbDpT10_ENKUlT_T0_E_clISt17integral_constantIbLb1EES19_IbLb0EEEEDaS15_S16_EUlS15_E_NS1_11comp_targetILNS1_3genE8ELNS1_11target_archE1030ELNS1_3gpuE2ELNS1_3repE0EEENS1_30default_config_static_selectorELNS0_4arch9wavefront6targetE1EEEvT1_
                                        ; -- End function
	.set _ZN7rocprim17ROCPRIM_400000_NS6detail17trampoline_kernelINS0_14default_configENS1_25partition_config_selectorILNS1_17partition_subalgoE8EyNS0_10empty_typeEbEEZZNS1_14partition_implILS5_8ELb0ES3_jN6thrust23THRUST_200600_302600_NS6detail15normal_iteratorINSA_10device_ptrIyEEEEPS6_PKS6_NS0_5tupleIJSF_S6_EEENSJ_IJSG_SG_EEENS0_18inequality_wrapperINSA_8equal_toIyEEEEPmJS6_EEE10hipError_tPvRmT3_T4_T5_T6_T7_T9_mT8_P12ihipStream_tbDpT10_ENKUlT_T0_E_clISt17integral_constantIbLb1EES19_IbLb0EEEEDaS15_S16_EUlS15_E_NS1_11comp_targetILNS1_3genE8ELNS1_11target_archE1030ELNS1_3gpuE2ELNS1_3repE0EEENS1_30default_config_static_selectorELNS0_4arch9wavefront6targetE1EEEvT1_.num_vgpr, 0
	.set _ZN7rocprim17ROCPRIM_400000_NS6detail17trampoline_kernelINS0_14default_configENS1_25partition_config_selectorILNS1_17partition_subalgoE8EyNS0_10empty_typeEbEEZZNS1_14partition_implILS5_8ELb0ES3_jN6thrust23THRUST_200600_302600_NS6detail15normal_iteratorINSA_10device_ptrIyEEEEPS6_PKS6_NS0_5tupleIJSF_S6_EEENSJ_IJSG_SG_EEENS0_18inequality_wrapperINSA_8equal_toIyEEEEPmJS6_EEE10hipError_tPvRmT3_T4_T5_T6_T7_T9_mT8_P12ihipStream_tbDpT10_ENKUlT_T0_E_clISt17integral_constantIbLb1EES19_IbLb0EEEEDaS15_S16_EUlS15_E_NS1_11comp_targetILNS1_3genE8ELNS1_11target_archE1030ELNS1_3gpuE2ELNS1_3repE0EEENS1_30default_config_static_selectorELNS0_4arch9wavefront6targetE1EEEvT1_.num_agpr, 0
	.set _ZN7rocprim17ROCPRIM_400000_NS6detail17trampoline_kernelINS0_14default_configENS1_25partition_config_selectorILNS1_17partition_subalgoE8EyNS0_10empty_typeEbEEZZNS1_14partition_implILS5_8ELb0ES3_jN6thrust23THRUST_200600_302600_NS6detail15normal_iteratorINSA_10device_ptrIyEEEEPS6_PKS6_NS0_5tupleIJSF_S6_EEENSJ_IJSG_SG_EEENS0_18inequality_wrapperINSA_8equal_toIyEEEEPmJS6_EEE10hipError_tPvRmT3_T4_T5_T6_T7_T9_mT8_P12ihipStream_tbDpT10_ENKUlT_T0_E_clISt17integral_constantIbLb1EES19_IbLb0EEEEDaS15_S16_EUlS15_E_NS1_11comp_targetILNS1_3genE8ELNS1_11target_archE1030ELNS1_3gpuE2ELNS1_3repE0EEENS1_30default_config_static_selectorELNS0_4arch9wavefront6targetE1EEEvT1_.numbered_sgpr, 0
	.set _ZN7rocprim17ROCPRIM_400000_NS6detail17trampoline_kernelINS0_14default_configENS1_25partition_config_selectorILNS1_17partition_subalgoE8EyNS0_10empty_typeEbEEZZNS1_14partition_implILS5_8ELb0ES3_jN6thrust23THRUST_200600_302600_NS6detail15normal_iteratorINSA_10device_ptrIyEEEEPS6_PKS6_NS0_5tupleIJSF_S6_EEENSJ_IJSG_SG_EEENS0_18inequality_wrapperINSA_8equal_toIyEEEEPmJS6_EEE10hipError_tPvRmT3_T4_T5_T6_T7_T9_mT8_P12ihipStream_tbDpT10_ENKUlT_T0_E_clISt17integral_constantIbLb1EES19_IbLb0EEEEDaS15_S16_EUlS15_E_NS1_11comp_targetILNS1_3genE8ELNS1_11target_archE1030ELNS1_3gpuE2ELNS1_3repE0EEENS1_30default_config_static_selectorELNS0_4arch9wavefront6targetE1EEEvT1_.num_named_barrier, 0
	.set _ZN7rocprim17ROCPRIM_400000_NS6detail17trampoline_kernelINS0_14default_configENS1_25partition_config_selectorILNS1_17partition_subalgoE8EyNS0_10empty_typeEbEEZZNS1_14partition_implILS5_8ELb0ES3_jN6thrust23THRUST_200600_302600_NS6detail15normal_iteratorINSA_10device_ptrIyEEEEPS6_PKS6_NS0_5tupleIJSF_S6_EEENSJ_IJSG_SG_EEENS0_18inequality_wrapperINSA_8equal_toIyEEEEPmJS6_EEE10hipError_tPvRmT3_T4_T5_T6_T7_T9_mT8_P12ihipStream_tbDpT10_ENKUlT_T0_E_clISt17integral_constantIbLb1EES19_IbLb0EEEEDaS15_S16_EUlS15_E_NS1_11comp_targetILNS1_3genE8ELNS1_11target_archE1030ELNS1_3gpuE2ELNS1_3repE0EEENS1_30default_config_static_selectorELNS0_4arch9wavefront6targetE1EEEvT1_.private_seg_size, 0
	.set _ZN7rocprim17ROCPRIM_400000_NS6detail17trampoline_kernelINS0_14default_configENS1_25partition_config_selectorILNS1_17partition_subalgoE8EyNS0_10empty_typeEbEEZZNS1_14partition_implILS5_8ELb0ES3_jN6thrust23THRUST_200600_302600_NS6detail15normal_iteratorINSA_10device_ptrIyEEEEPS6_PKS6_NS0_5tupleIJSF_S6_EEENSJ_IJSG_SG_EEENS0_18inequality_wrapperINSA_8equal_toIyEEEEPmJS6_EEE10hipError_tPvRmT3_T4_T5_T6_T7_T9_mT8_P12ihipStream_tbDpT10_ENKUlT_T0_E_clISt17integral_constantIbLb1EES19_IbLb0EEEEDaS15_S16_EUlS15_E_NS1_11comp_targetILNS1_3genE8ELNS1_11target_archE1030ELNS1_3gpuE2ELNS1_3repE0EEENS1_30default_config_static_selectorELNS0_4arch9wavefront6targetE1EEEvT1_.uses_vcc, 0
	.set _ZN7rocprim17ROCPRIM_400000_NS6detail17trampoline_kernelINS0_14default_configENS1_25partition_config_selectorILNS1_17partition_subalgoE8EyNS0_10empty_typeEbEEZZNS1_14partition_implILS5_8ELb0ES3_jN6thrust23THRUST_200600_302600_NS6detail15normal_iteratorINSA_10device_ptrIyEEEEPS6_PKS6_NS0_5tupleIJSF_S6_EEENSJ_IJSG_SG_EEENS0_18inequality_wrapperINSA_8equal_toIyEEEEPmJS6_EEE10hipError_tPvRmT3_T4_T5_T6_T7_T9_mT8_P12ihipStream_tbDpT10_ENKUlT_T0_E_clISt17integral_constantIbLb1EES19_IbLb0EEEEDaS15_S16_EUlS15_E_NS1_11comp_targetILNS1_3genE8ELNS1_11target_archE1030ELNS1_3gpuE2ELNS1_3repE0EEENS1_30default_config_static_selectorELNS0_4arch9wavefront6targetE1EEEvT1_.uses_flat_scratch, 0
	.set _ZN7rocprim17ROCPRIM_400000_NS6detail17trampoline_kernelINS0_14default_configENS1_25partition_config_selectorILNS1_17partition_subalgoE8EyNS0_10empty_typeEbEEZZNS1_14partition_implILS5_8ELb0ES3_jN6thrust23THRUST_200600_302600_NS6detail15normal_iteratorINSA_10device_ptrIyEEEEPS6_PKS6_NS0_5tupleIJSF_S6_EEENSJ_IJSG_SG_EEENS0_18inequality_wrapperINSA_8equal_toIyEEEEPmJS6_EEE10hipError_tPvRmT3_T4_T5_T6_T7_T9_mT8_P12ihipStream_tbDpT10_ENKUlT_T0_E_clISt17integral_constantIbLb1EES19_IbLb0EEEEDaS15_S16_EUlS15_E_NS1_11comp_targetILNS1_3genE8ELNS1_11target_archE1030ELNS1_3gpuE2ELNS1_3repE0EEENS1_30default_config_static_selectorELNS0_4arch9wavefront6targetE1EEEvT1_.has_dyn_sized_stack, 0
	.set _ZN7rocprim17ROCPRIM_400000_NS6detail17trampoline_kernelINS0_14default_configENS1_25partition_config_selectorILNS1_17partition_subalgoE8EyNS0_10empty_typeEbEEZZNS1_14partition_implILS5_8ELb0ES3_jN6thrust23THRUST_200600_302600_NS6detail15normal_iteratorINSA_10device_ptrIyEEEEPS6_PKS6_NS0_5tupleIJSF_S6_EEENSJ_IJSG_SG_EEENS0_18inequality_wrapperINSA_8equal_toIyEEEEPmJS6_EEE10hipError_tPvRmT3_T4_T5_T6_T7_T9_mT8_P12ihipStream_tbDpT10_ENKUlT_T0_E_clISt17integral_constantIbLb1EES19_IbLb0EEEEDaS15_S16_EUlS15_E_NS1_11comp_targetILNS1_3genE8ELNS1_11target_archE1030ELNS1_3gpuE2ELNS1_3repE0EEENS1_30default_config_static_selectorELNS0_4arch9wavefront6targetE1EEEvT1_.has_recursion, 0
	.set _ZN7rocprim17ROCPRIM_400000_NS6detail17trampoline_kernelINS0_14default_configENS1_25partition_config_selectorILNS1_17partition_subalgoE8EyNS0_10empty_typeEbEEZZNS1_14partition_implILS5_8ELb0ES3_jN6thrust23THRUST_200600_302600_NS6detail15normal_iteratorINSA_10device_ptrIyEEEEPS6_PKS6_NS0_5tupleIJSF_S6_EEENSJ_IJSG_SG_EEENS0_18inequality_wrapperINSA_8equal_toIyEEEEPmJS6_EEE10hipError_tPvRmT3_T4_T5_T6_T7_T9_mT8_P12ihipStream_tbDpT10_ENKUlT_T0_E_clISt17integral_constantIbLb1EES19_IbLb0EEEEDaS15_S16_EUlS15_E_NS1_11comp_targetILNS1_3genE8ELNS1_11target_archE1030ELNS1_3gpuE2ELNS1_3repE0EEENS1_30default_config_static_selectorELNS0_4arch9wavefront6targetE1EEEvT1_.has_indirect_call, 0
	.section	.AMDGPU.csdata,"",@progbits
; Kernel info:
; codeLenInByte = 0
; TotalNumSgprs: 4
; NumVgprs: 0
; ScratchSize: 0
; MemoryBound: 0
; FloatMode: 240
; IeeeMode: 1
; LDSByteSize: 0 bytes/workgroup (compile time only)
; SGPRBlocks: 0
; VGPRBlocks: 0
; NumSGPRsForWavesPerEU: 4
; NumVGPRsForWavesPerEU: 1
; Occupancy: 10
; WaveLimiterHint : 0
; COMPUTE_PGM_RSRC2:SCRATCH_EN: 0
; COMPUTE_PGM_RSRC2:USER_SGPR: 6
; COMPUTE_PGM_RSRC2:TRAP_HANDLER: 0
; COMPUTE_PGM_RSRC2:TGID_X_EN: 1
; COMPUTE_PGM_RSRC2:TGID_Y_EN: 0
; COMPUTE_PGM_RSRC2:TGID_Z_EN: 0
; COMPUTE_PGM_RSRC2:TIDIG_COMP_CNT: 0
	.section	.text._ZN7rocprim17ROCPRIM_400000_NS6detail17trampoline_kernelINS0_14default_configENS1_25partition_config_selectorILNS1_17partition_subalgoE8EyNS0_10empty_typeEbEEZZNS1_14partition_implILS5_8ELb0ES3_jN6thrust23THRUST_200600_302600_NS6detail15normal_iteratorINSA_10device_ptrIyEEEEPS6_PKS6_NS0_5tupleIJSF_S6_EEENSJ_IJSG_SG_EEENS0_18inequality_wrapperINSA_8equal_toIyEEEEPmJS6_EEE10hipError_tPvRmT3_T4_T5_T6_T7_T9_mT8_P12ihipStream_tbDpT10_ENKUlT_T0_E_clISt17integral_constantIbLb0EES19_IbLb1EEEEDaS15_S16_EUlS15_E_NS1_11comp_targetILNS1_3genE0ELNS1_11target_archE4294967295ELNS1_3gpuE0ELNS1_3repE0EEENS1_30default_config_static_selectorELNS0_4arch9wavefront6targetE1EEEvT1_,"axG",@progbits,_ZN7rocprim17ROCPRIM_400000_NS6detail17trampoline_kernelINS0_14default_configENS1_25partition_config_selectorILNS1_17partition_subalgoE8EyNS0_10empty_typeEbEEZZNS1_14partition_implILS5_8ELb0ES3_jN6thrust23THRUST_200600_302600_NS6detail15normal_iteratorINSA_10device_ptrIyEEEEPS6_PKS6_NS0_5tupleIJSF_S6_EEENSJ_IJSG_SG_EEENS0_18inequality_wrapperINSA_8equal_toIyEEEEPmJS6_EEE10hipError_tPvRmT3_T4_T5_T6_T7_T9_mT8_P12ihipStream_tbDpT10_ENKUlT_T0_E_clISt17integral_constantIbLb0EES19_IbLb1EEEEDaS15_S16_EUlS15_E_NS1_11comp_targetILNS1_3genE0ELNS1_11target_archE4294967295ELNS1_3gpuE0ELNS1_3repE0EEENS1_30default_config_static_selectorELNS0_4arch9wavefront6targetE1EEEvT1_,comdat
	.protected	_ZN7rocprim17ROCPRIM_400000_NS6detail17trampoline_kernelINS0_14default_configENS1_25partition_config_selectorILNS1_17partition_subalgoE8EyNS0_10empty_typeEbEEZZNS1_14partition_implILS5_8ELb0ES3_jN6thrust23THRUST_200600_302600_NS6detail15normal_iteratorINSA_10device_ptrIyEEEEPS6_PKS6_NS0_5tupleIJSF_S6_EEENSJ_IJSG_SG_EEENS0_18inequality_wrapperINSA_8equal_toIyEEEEPmJS6_EEE10hipError_tPvRmT3_T4_T5_T6_T7_T9_mT8_P12ihipStream_tbDpT10_ENKUlT_T0_E_clISt17integral_constantIbLb0EES19_IbLb1EEEEDaS15_S16_EUlS15_E_NS1_11comp_targetILNS1_3genE0ELNS1_11target_archE4294967295ELNS1_3gpuE0ELNS1_3repE0EEENS1_30default_config_static_selectorELNS0_4arch9wavefront6targetE1EEEvT1_ ; -- Begin function _ZN7rocprim17ROCPRIM_400000_NS6detail17trampoline_kernelINS0_14default_configENS1_25partition_config_selectorILNS1_17partition_subalgoE8EyNS0_10empty_typeEbEEZZNS1_14partition_implILS5_8ELb0ES3_jN6thrust23THRUST_200600_302600_NS6detail15normal_iteratorINSA_10device_ptrIyEEEEPS6_PKS6_NS0_5tupleIJSF_S6_EEENSJ_IJSG_SG_EEENS0_18inequality_wrapperINSA_8equal_toIyEEEEPmJS6_EEE10hipError_tPvRmT3_T4_T5_T6_T7_T9_mT8_P12ihipStream_tbDpT10_ENKUlT_T0_E_clISt17integral_constantIbLb0EES19_IbLb1EEEEDaS15_S16_EUlS15_E_NS1_11comp_targetILNS1_3genE0ELNS1_11target_archE4294967295ELNS1_3gpuE0ELNS1_3repE0EEENS1_30default_config_static_selectorELNS0_4arch9wavefront6targetE1EEEvT1_
	.globl	_ZN7rocprim17ROCPRIM_400000_NS6detail17trampoline_kernelINS0_14default_configENS1_25partition_config_selectorILNS1_17partition_subalgoE8EyNS0_10empty_typeEbEEZZNS1_14partition_implILS5_8ELb0ES3_jN6thrust23THRUST_200600_302600_NS6detail15normal_iteratorINSA_10device_ptrIyEEEEPS6_PKS6_NS0_5tupleIJSF_S6_EEENSJ_IJSG_SG_EEENS0_18inequality_wrapperINSA_8equal_toIyEEEEPmJS6_EEE10hipError_tPvRmT3_T4_T5_T6_T7_T9_mT8_P12ihipStream_tbDpT10_ENKUlT_T0_E_clISt17integral_constantIbLb0EES19_IbLb1EEEEDaS15_S16_EUlS15_E_NS1_11comp_targetILNS1_3genE0ELNS1_11target_archE4294967295ELNS1_3gpuE0ELNS1_3repE0EEENS1_30default_config_static_selectorELNS0_4arch9wavefront6targetE1EEEvT1_
	.p2align	8
	.type	_ZN7rocprim17ROCPRIM_400000_NS6detail17trampoline_kernelINS0_14default_configENS1_25partition_config_selectorILNS1_17partition_subalgoE8EyNS0_10empty_typeEbEEZZNS1_14partition_implILS5_8ELb0ES3_jN6thrust23THRUST_200600_302600_NS6detail15normal_iteratorINSA_10device_ptrIyEEEEPS6_PKS6_NS0_5tupleIJSF_S6_EEENSJ_IJSG_SG_EEENS0_18inequality_wrapperINSA_8equal_toIyEEEEPmJS6_EEE10hipError_tPvRmT3_T4_T5_T6_T7_T9_mT8_P12ihipStream_tbDpT10_ENKUlT_T0_E_clISt17integral_constantIbLb0EES19_IbLb1EEEEDaS15_S16_EUlS15_E_NS1_11comp_targetILNS1_3genE0ELNS1_11target_archE4294967295ELNS1_3gpuE0ELNS1_3repE0EEENS1_30default_config_static_selectorELNS0_4arch9wavefront6targetE1EEEvT1_,@function
_ZN7rocprim17ROCPRIM_400000_NS6detail17trampoline_kernelINS0_14default_configENS1_25partition_config_selectorILNS1_17partition_subalgoE8EyNS0_10empty_typeEbEEZZNS1_14partition_implILS5_8ELb0ES3_jN6thrust23THRUST_200600_302600_NS6detail15normal_iteratorINSA_10device_ptrIyEEEEPS6_PKS6_NS0_5tupleIJSF_S6_EEENSJ_IJSG_SG_EEENS0_18inequality_wrapperINSA_8equal_toIyEEEEPmJS6_EEE10hipError_tPvRmT3_T4_T5_T6_T7_T9_mT8_P12ihipStream_tbDpT10_ENKUlT_T0_E_clISt17integral_constantIbLb0EES19_IbLb1EEEEDaS15_S16_EUlS15_E_NS1_11comp_targetILNS1_3genE0ELNS1_11target_archE4294967295ELNS1_3gpuE0ELNS1_3repE0EEENS1_30default_config_static_selectorELNS0_4arch9wavefront6targetE1EEEvT1_: ; @_ZN7rocprim17ROCPRIM_400000_NS6detail17trampoline_kernelINS0_14default_configENS1_25partition_config_selectorILNS1_17partition_subalgoE8EyNS0_10empty_typeEbEEZZNS1_14partition_implILS5_8ELb0ES3_jN6thrust23THRUST_200600_302600_NS6detail15normal_iteratorINSA_10device_ptrIyEEEEPS6_PKS6_NS0_5tupleIJSF_S6_EEENSJ_IJSG_SG_EEENS0_18inequality_wrapperINSA_8equal_toIyEEEEPmJS6_EEE10hipError_tPvRmT3_T4_T5_T6_T7_T9_mT8_P12ihipStream_tbDpT10_ENKUlT_T0_E_clISt17integral_constantIbLb0EES19_IbLb1EEEEDaS15_S16_EUlS15_E_NS1_11comp_targetILNS1_3genE0ELNS1_11target_archE4294967295ELNS1_3gpuE0ELNS1_3repE0EEENS1_30default_config_static_selectorELNS0_4arch9wavefront6targetE1EEEvT1_
; %bb.0:
	.section	.rodata,"a",@progbits
	.p2align	6, 0x0
	.amdhsa_kernel _ZN7rocprim17ROCPRIM_400000_NS6detail17trampoline_kernelINS0_14default_configENS1_25partition_config_selectorILNS1_17partition_subalgoE8EyNS0_10empty_typeEbEEZZNS1_14partition_implILS5_8ELb0ES3_jN6thrust23THRUST_200600_302600_NS6detail15normal_iteratorINSA_10device_ptrIyEEEEPS6_PKS6_NS0_5tupleIJSF_S6_EEENSJ_IJSG_SG_EEENS0_18inequality_wrapperINSA_8equal_toIyEEEEPmJS6_EEE10hipError_tPvRmT3_T4_T5_T6_T7_T9_mT8_P12ihipStream_tbDpT10_ENKUlT_T0_E_clISt17integral_constantIbLb0EES19_IbLb1EEEEDaS15_S16_EUlS15_E_NS1_11comp_targetILNS1_3genE0ELNS1_11target_archE4294967295ELNS1_3gpuE0ELNS1_3repE0EEENS1_30default_config_static_selectorELNS0_4arch9wavefront6targetE1EEEvT1_
		.amdhsa_group_segment_fixed_size 0
		.amdhsa_private_segment_fixed_size 0
		.amdhsa_kernarg_size 128
		.amdhsa_user_sgpr_count 6
		.amdhsa_user_sgpr_private_segment_buffer 1
		.amdhsa_user_sgpr_dispatch_ptr 0
		.amdhsa_user_sgpr_queue_ptr 0
		.amdhsa_user_sgpr_kernarg_segment_ptr 1
		.amdhsa_user_sgpr_dispatch_id 0
		.amdhsa_user_sgpr_flat_scratch_init 0
		.amdhsa_user_sgpr_private_segment_size 0
		.amdhsa_uses_dynamic_stack 0
		.amdhsa_system_sgpr_private_segment_wavefront_offset 0
		.amdhsa_system_sgpr_workgroup_id_x 1
		.amdhsa_system_sgpr_workgroup_id_y 0
		.amdhsa_system_sgpr_workgroup_id_z 0
		.amdhsa_system_sgpr_workgroup_info 0
		.amdhsa_system_vgpr_workitem_id 0
		.amdhsa_next_free_vgpr 1
		.amdhsa_next_free_sgpr 0
		.amdhsa_reserve_vcc 0
		.amdhsa_reserve_flat_scratch 0
		.amdhsa_float_round_mode_32 0
		.amdhsa_float_round_mode_16_64 0
		.amdhsa_float_denorm_mode_32 3
		.amdhsa_float_denorm_mode_16_64 3
		.amdhsa_dx10_clamp 1
		.amdhsa_ieee_mode 1
		.amdhsa_fp16_overflow 0
		.amdhsa_exception_fp_ieee_invalid_op 0
		.amdhsa_exception_fp_denorm_src 0
		.amdhsa_exception_fp_ieee_div_zero 0
		.amdhsa_exception_fp_ieee_overflow 0
		.amdhsa_exception_fp_ieee_underflow 0
		.amdhsa_exception_fp_ieee_inexact 0
		.amdhsa_exception_int_div_zero 0
	.end_amdhsa_kernel
	.section	.text._ZN7rocprim17ROCPRIM_400000_NS6detail17trampoline_kernelINS0_14default_configENS1_25partition_config_selectorILNS1_17partition_subalgoE8EyNS0_10empty_typeEbEEZZNS1_14partition_implILS5_8ELb0ES3_jN6thrust23THRUST_200600_302600_NS6detail15normal_iteratorINSA_10device_ptrIyEEEEPS6_PKS6_NS0_5tupleIJSF_S6_EEENSJ_IJSG_SG_EEENS0_18inequality_wrapperINSA_8equal_toIyEEEEPmJS6_EEE10hipError_tPvRmT3_T4_T5_T6_T7_T9_mT8_P12ihipStream_tbDpT10_ENKUlT_T0_E_clISt17integral_constantIbLb0EES19_IbLb1EEEEDaS15_S16_EUlS15_E_NS1_11comp_targetILNS1_3genE0ELNS1_11target_archE4294967295ELNS1_3gpuE0ELNS1_3repE0EEENS1_30default_config_static_selectorELNS0_4arch9wavefront6targetE1EEEvT1_,"axG",@progbits,_ZN7rocprim17ROCPRIM_400000_NS6detail17trampoline_kernelINS0_14default_configENS1_25partition_config_selectorILNS1_17partition_subalgoE8EyNS0_10empty_typeEbEEZZNS1_14partition_implILS5_8ELb0ES3_jN6thrust23THRUST_200600_302600_NS6detail15normal_iteratorINSA_10device_ptrIyEEEEPS6_PKS6_NS0_5tupleIJSF_S6_EEENSJ_IJSG_SG_EEENS0_18inequality_wrapperINSA_8equal_toIyEEEEPmJS6_EEE10hipError_tPvRmT3_T4_T5_T6_T7_T9_mT8_P12ihipStream_tbDpT10_ENKUlT_T0_E_clISt17integral_constantIbLb0EES19_IbLb1EEEEDaS15_S16_EUlS15_E_NS1_11comp_targetILNS1_3genE0ELNS1_11target_archE4294967295ELNS1_3gpuE0ELNS1_3repE0EEENS1_30default_config_static_selectorELNS0_4arch9wavefront6targetE1EEEvT1_,comdat
.Lfunc_end169:
	.size	_ZN7rocprim17ROCPRIM_400000_NS6detail17trampoline_kernelINS0_14default_configENS1_25partition_config_selectorILNS1_17partition_subalgoE8EyNS0_10empty_typeEbEEZZNS1_14partition_implILS5_8ELb0ES3_jN6thrust23THRUST_200600_302600_NS6detail15normal_iteratorINSA_10device_ptrIyEEEEPS6_PKS6_NS0_5tupleIJSF_S6_EEENSJ_IJSG_SG_EEENS0_18inequality_wrapperINSA_8equal_toIyEEEEPmJS6_EEE10hipError_tPvRmT3_T4_T5_T6_T7_T9_mT8_P12ihipStream_tbDpT10_ENKUlT_T0_E_clISt17integral_constantIbLb0EES19_IbLb1EEEEDaS15_S16_EUlS15_E_NS1_11comp_targetILNS1_3genE0ELNS1_11target_archE4294967295ELNS1_3gpuE0ELNS1_3repE0EEENS1_30default_config_static_selectorELNS0_4arch9wavefront6targetE1EEEvT1_, .Lfunc_end169-_ZN7rocprim17ROCPRIM_400000_NS6detail17trampoline_kernelINS0_14default_configENS1_25partition_config_selectorILNS1_17partition_subalgoE8EyNS0_10empty_typeEbEEZZNS1_14partition_implILS5_8ELb0ES3_jN6thrust23THRUST_200600_302600_NS6detail15normal_iteratorINSA_10device_ptrIyEEEEPS6_PKS6_NS0_5tupleIJSF_S6_EEENSJ_IJSG_SG_EEENS0_18inequality_wrapperINSA_8equal_toIyEEEEPmJS6_EEE10hipError_tPvRmT3_T4_T5_T6_T7_T9_mT8_P12ihipStream_tbDpT10_ENKUlT_T0_E_clISt17integral_constantIbLb0EES19_IbLb1EEEEDaS15_S16_EUlS15_E_NS1_11comp_targetILNS1_3genE0ELNS1_11target_archE4294967295ELNS1_3gpuE0ELNS1_3repE0EEENS1_30default_config_static_selectorELNS0_4arch9wavefront6targetE1EEEvT1_
                                        ; -- End function
	.set _ZN7rocprim17ROCPRIM_400000_NS6detail17trampoline_kernelINS0_14default_configENS1_25partition_config_selectorILNS1_17partition_subalgoE8EyNS0_10empty_typeEbEEZZNS1_14partition_implILS5_8ELb0ES3_jN6thrust23THRUST_200600_302600_NS6detail15normal_iteratorINSA_10device_ptrIyEEEEPS6_PKS6_NS0_5tupleIJSF_S6_EEENSJ_IJSG_SG_EEENS0_18inequality_wrapperINSA_8equal_toIyEEEEPmJS6_EEE10hipError_tPvRmT3_T4_T5_T6_T7_T9_mT8_P12ihipStream_tbDpT10_ENKUlT_T0_E_clISt17integral_constantIbLb0EES19_IbLb1EEEEDaS15_S16_EUlS15_E_NS1_11comp_targetILNS1_3genE0ELNS1_11target_archE4294967295ELNS1_3gpuE0ELNS1_3repE0EEENS1_30default_config_static_selectorELNS0_4arch9wavefront6targetE1EEEvT1_.num_vgpr, 0
	.set _ZN7rocprim17ROCPRIM_400000_NS6detail17trampoline_kernelINS0_14default_configENS1_25partition_config_selectorILNS1_17partition_subalgoE8EyNS0_10empty_typeEbEEZZNS1_14partition_implILS5_8ELb0ES3_jN6thrust23THRUST_200600_302600_NS6detail15normal_iteratorINSA_10device_ptrIyEEEEPS6_PKS6_NS0_5tupleIJSF_S6_EEENSJ_IJSG_SG_EEENS0_18inequality_wrapperINSA_8equal_toIyEEEEPmJS6_EEE10hipError_tPvRmT3_T4_T5_T6_T7_T9_mT8_P12ihipStream_tbDpT10_ENKUlT_T0_E_clISt17integral_constantIbLb0EES19_IbLb1EEEEDaS15_S16_EUlS15_E_NS1_11comp_targetILNS1_3genE0ELNS1_11target_archE4294967295ELNS1_3gpuE0ELNS1_3repE0EEENS1_30default_config_static_selectorELNS0_4arch9wavefront6targetE1EEEvT1_.num_agpr, 0
	.set _ZN7rocprim17ROCPRIM_400000_NS6detail17trampoline_kernelINS0_14default_configENS1_25partition_config_selectorILNS1_17partition_subalgoE8EyNS0_10empty_typeEbEEZZNS1_14partition_implILS5_8ELb0ES3_jN6thrust23THRUST_200600_302600_NS6detail15normal_iteratorINSA_10device_ptrIyEEEEPS6_PKS6_NS0_5tupleIJSF_S6_EEENSJ_IJSG_SG_EEENS0_18inequality_wrapperINSA_8equal_toIyEEEEPmJS6_EEE10hipError_tPvRmT3_T4_T5_T6_T7_T9_mT8_P12ihipStream_tbDpT10_ENKUlT_T0_E_clISt17integral_constantIbLb0EES19_IbLb1EEEEDaS15_S16_EUlS15_E_NS1_11comp_targetILNS1_3genE0ELNS1_11target_archE4294967295ELNS1_3gpuE0ELNS1_3repE0EEENS1_30default_config_static_selectorELNS0_4arch9wavefront6targetE1EEEvT1_.numbered_sgpr, 0
	.set _ZN7rocprim17ROCPRIM_400000_NS6detail17trampoline_kernelINS0_14default_configENS1_25partition_config_selectorILNS1_17partition_subalgoE8EyNS0_10empty_typeEbEEZZNS1_14partition_implILS5_8ELb0ES3_jN6thrust23THRUST_200600_302600_NS6detail15normal_iteratorINSA_10device_ptrIyEEEEPS6_PKS6_NS0_5tupleIJSF_S6_EEENSJ_IJSG_SG_EEENS0_18inequality_wrapperINSA_8equal_toIyEEEEPmJS6_EEE10hipError_tPvRmT3_T4_T5_T6_T7_T9_mT8_P12ihipStream_tbDpT10_ENKUlT_T0_E_clISt17integral_constantIbLb0EES19_IbLb1EEEEDaS15_S16_EUlS15_E_NS1_11comp_targetILNS1_3genE0ELNS1_11target_archE4294967295ELNS1_3gpuE0ELNS1_3repE0EEENS1_30default_config_static_selectorELNS0_4arch9wavefront6targetE1EEEvT1_.num_named_barrier, 0
	.set _ZN7rocprim17ROCPRIM_400000_NS6detail17trampoline_kernelINS0_14default_configENS1_25partition_config_selectorILNS1_17partition_subalgoE8EyNS0_10empty_typeEbEEZZNS1_14partition_implILS5_8ELb0ES3_jN6thrust23THRUST_200600_302600_NS6detail15normal_iteratorINSA_10device_ptrIyEEEEPS6_PKS6_NS0_5tupleIJSF_S6_EEENSJ_IJSG_SG_EEENS0_18inequality_wrapperINSA_8equal_toIyEEEEPmJS6_EEE10hipError_tPvRmT3_T4_T5_T6_T7_T9_mT8_P12ihipStream_tbDpT10_ENKUlT_T0_E_clISt17integral_constantIbLb0EES19_IbLb1EEEEDaS15_S16_EUlS15_E_NS1_11comp_targetILNS1_3genE0ELNS1_11target_archE4294967295ELNS1_3gpuE0ELNS1_3repE0EEENS1_30default_config_static_selectorELNS0_4arch9wavefront6targetE1EEEvT1_.private_seg_size, 0
	.set _ZN7rocprim17ROCPRIM_400000_NS6detail17trampoline_kernelINS0_14default_configENS1_25partition_config_selectorILNS1_17partition_subalgoE8EyNS0_10empty_typeEbEEZZNS1_14partition_implILS5_8ELb0ES3_jN6thrust23THRUST_200600_302600_NS6detail15normal_iteratorINSA_10device_ptrIyEEEEPS6_PKS6_NS0_5tupleIJSF_S6_EEENSJ_IJSG_SG_EEENS0_18inequality_wrapperINSA_8equal_toIyEEEEPmJS6_EEE10hipError_tPvRmT3_T4_T5_T6_T7_T9_mT8_P12ihipStream_tbDpT10_ENKUlT_T0_E_clISt17integral_constantIbLb0EES19_IbLb1EEEEDaS15_S16_EUlS15_E_NS1_11comp_targetILNS1_3genE0ELNS1_11target_archE4294967295ELNS1_3gpuE0ELNS1_3repE0EEENS1_30default_config_static_selectorELNS0_4arch9wavefront6targetE1EEEvT1_.uses_vcc, 0
	.set _ZN7rocprim17ROCPRIM_400000_NS6detail17trampoline_kernelINS0_14default_configENS1_25partition_config_selectorILNS1_17partition_subalgoE8EyNS0_10empty_typeEbEEZZNS1_14partition_implILS5_8ELb0ES3_jN6thrust23THRUST_200600_302600_NS6detail15normal_iteratorINSA_10device_ptrIyEEEEPS6_PKS6_NS0_5tupleIJSF_S6_EEENSJ_IJSG_SG_EEENS0_18inequality_wrapperINSA_8equal_toIyEEEEPmJS6_EEE10hipError_tPvRmT3_T4_T5_T6_T7_T9_mT8_P12ihipStream_tbDpT10_ENKUlT_T0_E_clISt17integral_constantIbLb0EES19_IbLb1EEEEDaS15_S16_EUlS15_E_NS1_11comp_targetILNS1_3genE0ELNS1_11target_archE4294967295ELNS1_3gpuE0ELNS1_3repE0EEENS1_30default_config_static_selectorELNS0_4arch9wavefront6targetE1EEEvT1_.uses_flat_scratch, 0
	.set _ZN7rocprim17ROCPRIM_400000_NS6detail17trampoline_kernelINS0_14default_configENS1_25partition_config_selectorILNS1_17partition_subalgoE8EyNS0_10empty_typeEbEEZZNS1_14partition_implILS5_8ELb0ES3_jN6thrust23THRUST_200600_302600_NS6detail15normal_iteratorINSA_10device_ptrIyEEEEPS6_PKS6_NS0_5tupleIJSF_S6_EEENSJ_IJSG_SG_EEENS0_18inequality_wrapperINSA_8equal_toIyEEEEPmJS6_EEE10hipError_tPvRmT3_T4_T5_T6_T7_T9_mT8_P12ihipStream_tbDpT10_ENKUlT_T0_E_clISt17integral_constantIbLb0EES19_IbLb1EEEEDaS15_S16_EUlS15_E_NS1_11comp_targetILNS1_3genE0ELNS1_11target_archE4294967295ELNS1_3gpuE0ELNS1_3repE0EEENS1_30default_config_static_selectorELNS0_4arch9wavefront6targetE1EEEvT1_.has_dyn_sized_stack, 0
	.set _ZN7rocprim17ROCPRIM_400000_NS6detail17trampoline_kernelINS0_14default_configENS1_25partition_config_selectorILNS1_17partition_subalgoE8EyNS0_10empty_typeEbEEZZNS1_14partition_implILS5_8ELb0ES3_jN6thrust23THRUST_200600_302600_NS6detail15normal_iteratorINSA_10device_ptrIyEEEEPS6_PKS6_NS0_5tupleIJSF_S6_EEENSJ_IJSG_SG_EEENS0_18inequality_wrapperINSA_8equal_toIyEEEEPmJS6_EEE10hipError_tPvRmT3_T4_T5_T6_T7_T9_mT8_P12ihipStream_tbDpT10_ENKUlT_T0_E_clISt17integral_constantIbLb0EES19_IbLb1EEEEDaS15_S16_EUlS15_E_NS1_11comp_targetILNS1_3genE0ELNS1_11target_archE4294967295ELNS1_3gpuE0ELNS1_3repE0EEENS1_30default_config_static_selectorELNS0_4arch9wavefront6targetE1EEEvT1_.has_recursion, 0
	.set _ZN7rocprim17ROCPRIM_400000_NS6detail17trampoline_kernelINS0_14default_configENS1_25partition_config_selectorILNS1_17partition_subalgoE8EyNS0_10empty_typeEbEEZZNS1_14partition_implILS5_8ELb0ES3_jN6thrust23THRUST_200600_302600_NS6detail15normal_iteratorINSA_10device_ptrIyEEEEPS6_PKS6_NS0_5tupleIJSF_S6_EEENSJ_IJSG_SG_EEENS0_18inequality_wrapperINSA_8equal_toIyEEEEPmJS6_EEE10hipError_tPvRmT3_T4_T5_T6_T7_T9_mT8_P12ihipStream_tbDpT10_ENKUlT_T0_E_clISt17integral_constantIbLb0EES19_IbLb1EEEEDaS15_S16_EUlS15_E_NS1_11comp_targetILNS1_3genE0ELNS1_11target_archE4294967295ELNS1_3gpuE0ELNS1_3repE0EEENS1_30default_config_static_selectorELNS0_4arch9wavefront6targetE1EEEvT1_.has_indirect_call, 0
	.section	.AMDGPU.csdata,"",@progbits
; Kernel info:
; codeLenInByte = 0
; TotalNumSgprs: 4
; NumVgprs: 0
; ScratchSize: 0
; MemoryBound: 0
; FloatMode: 240
; IeeeMode: 1
; LDSByteSize: 0 bytes/workgroup (compile time only)
; SGPRBlocks: 0
; VGPRBlocks: 0
; NumSGPRsForWavesPerEU: 4
; NumVGPRsForWavesPerEU: 1
; Occupancy: 10
; WaveLimiterHint : 0
; COMPUTE_PGM_RSRC2:SCRATCH_EN: 0
; COMPUTE_PGM_RSRC2:USER_SGPR: 6
; COMPUTE_PGM_RSRC2:TRAP_HANDLER: 0
; COMPUTE_PGM_RSRC2:TGID_X_EN: 1
; COMPUTE_PGM_RSRC2:TGID_Y_EN: 0
; COMPUTE_PGM_RSRC2:TGID_Z_EN: 0
; COMPUTE_PGM_RSRC2:TIDIG_COMP_CNT: 0
	.section	.text._ZN7rocprim17ROCPRIM_400000_NS6detail17trampoline_kernelINS0_14default_configENS1_25partition_config_selectorILNS1_17partition_subalgoE8EyNS0_10empty_typeEbEEZZNS1_14partition_implILS5_8ELb0ES3_jN6thrust23THRUST_200600_302600_NS6detail15normal_iteratorINSA_10device_ptrIyEEEEPS6_PKS6_NS0_5tupleIJSF_S6_EEENSJ_IJSG_SG_EEENS0_18inequality_wrapperINSA_8equal_toIyEEEEPmJS6_EEE10hipError_tPvRmT3_T4_T5_T6_T7_T9_mT8_P12ihipStream_tbDpT10_ENKUlT_T0_E_clISt17integral_constantIbLb0EES19_IbLb1EEEEDaS15_S16_EUlS15_E_NS1_11comp_targetILNS1_3genE5ELNS1_11target_archE942ELNS1_3gpuE9ELNS1_3repE0EEENS1_30default_config_static_selectorELNS0_4arch9wavefront6targetE1EEEvT1_,"axG",@progbits,_ZN7rocprim17ROCPRIM_400000_NS6detail17trampoline_kernelINS0_14default_configENS1_25partition_config_selectorILNS1_17partition_subalgoE8EyNS0_10empty_typeEbEEZZNS1_14partition_implILS5_8ELb0ES3_jN6thrust23THRUST_200600_302600_NS6detail15normal_iteratorINSA_10device_ptrIyEEEEPS6_PKS6_NS0_5tupleIJSF_S6_EEENSJ_IJSG_SG_EEENS0_18inequality_wrapperINSA_8equal_toIyEEEEPmJS6_EEE10hipError_tPvRmT3_T4_T5_T6_T7_T9_mT8_P12ihipStream_tbDpT10_ENKUlT_T0_E_clISt17integral_constantIbLb0EES19_IbLb1EEEEDaS15_S16_EUlS15_E_NS1_11comp_targetILNS1_3genE5ELNS1_11target_archE942ELNS1_3gpuE9ELNS1_3repE0EEENS1_30default_config_static_selectorELNS0_4arch9wavefront6targetE1EEEvT1_,comdat
	.protected	_ZN7rocprim17ROCPRIM_400000_NS6detail17trampoline_kernelINS0_14default_configENS1_25partition_config_selectorILNS1_17partition_subalgoE8EyNS0_10empty_typeEbEEZZNS1_14partition_implILS5_8ELb0ES3_jN6thrust23THRUST_200600_302600_NS6detail15normal_iteratorINSA_10device_ptrIyEEEEPS6_PKS6_NS0_5tupleIJSF_S6_EEENSJ_IJSG_SG_EEENS0_18inequality_wrapperINSA_8equal_toIyEEEEPmJS6_EEE10hipError_tPvRmT3_T4_T5_T6_T7_T9_mT8_P12ihipStream_tbDpT10_ENKUlT_T0_E_clISt17integral_constantIbLb0EES19_IbLb1EEEEDaS15_S16_EUlS15_E_NS1_11comp_targetILNS1_3genE5ELNS1_11target_archE942ELNS1_3gpuE9ELNS1_3repE0EEENS1_30default_config_static_selectorELNS0_4arch9wavefront6targetE1EEEvT1_ ; -- Begin function _ZN7rocprim17ROCPRIM_400000_NS6detail17trampoline_kernelINS0_14default_configENS1_25partition_config_selectorILNS1_17partition_subalgoE8EyNS0_10empty_typeEbEEZZNS1_14partition_implILS5_8ELb0ES3_jN6thrust23THRUST_200600_302600_NS6detail15normal_iteratorINSA_10device_ptrIyEEEEPS6_PKS6_NS0_5tupleIJSF_S6_EEENSJ_IJSG_SG_EEENS0_18inequality_wrapperINSA_8equal_toIyEEEEPmJS6_EEE10hipError_tPvRmT3_T4_T5_T6_T7_T9_mT8_P12ihipStream_tbDpT10_ENKUlT_T0_E_clISt17integral_constantIbLb0EES19_IbLb1EEEEDaS15_S16_EUlS15_E_NS1_11comp_targetILNS1_3genE5ELNS1_11target_archE942ELNS1_3gpuE9ELNS1_3repE0EEENS1_30default_config_static_selectorELNS0_4arch9wavefront6targetE1EEEvT1_
	.globl	_ZN7rocprim17ROCPRIM_400000_NS6detail17trampoline_kernelINS0_14default_configENS1_25partition_config_selectorILNS1_17partition_subalgoE8EyNS0_10empty_typeEbEEZZNS1_14partition_implILS5_8ELb0ES3_jN6thrust23THRUST_200600_302600_NS6detail15normal_iteratorINSA_10device_ptrIyEEEEPS6_PKS6_NS0_5tupleIJSF_S6_EEENSJ_IJSG_SG_EEENS0_18inequality_wrapperINSA_8equal_toIyEEEEPmJS6_EEE10hipError_tPvRmT3_T4_T5_T6_T7_T9_mT8_P12ihipStream_tbDpT10_ENKUlT_T0_E_clISt17integral_constantIbLb0EES19_IbLb1EEEEDaS15_S16_EUlS15_E_NS1_11comp_targetILNS1_3genE5ELNS1_11target_archE942ELNS1_3gpuE9ELNS1_3repE0EEENS1_30default_config_static_selectorELNS0_4arch9wavefront6targetE1EEEvT1_
	.p2align	8
	.type	_ZN7rocprim17ROCPRIM_400000_NS6detail17trampoline_kernelINS0_14default_configENS1_25partition_config_selectorILNS1_17partition_subalgoE8EyNS0_10empty_typeEbEEZZNS1_14partition_implILS5_8ELb0ES3_jN6thrust23THRUST_200600_302600_NS6detail15normal_iteratorINSA_10device_ptrIyEEEEPS6_PKS6_NS0_5tupleIJSF_S6_EEENSJ_IJSG_SG_EEENS0_18inequality_wrapperINSA_8equal_toIyEEEEPmJS6_EEE10hipError_tPvRmT3_T4_T5_T6_T7_T9_mT8_P12ihipStream_tbDpT10_ENKUlT_T0_E_clISt17integral_constantIbLb0EES19_IbLb1EEEEDaS15_S16_EUlS15_E_NS1_11comp_targetILNS1_3genE5ELNS1_11target_archE942ELNS1_3gpuE9ELNS1_3repE0EEENS1_30default_config_static_selectorELNS0_4arch9wavefront6targetE1EEEvT1_,@function
_ZN7rocprim17ROCPRIM_400000_NS6detail17trampoline_kernelINS0_14default_configENS1_25partition_config_selectorILNS1_17partition_subalgoE8EyNS0_10empty_typeEbEEZZNS1_14partition_implILS5_8ELb0ES3_jN6thrust23THRUST_200600_302600_NS6detail15normal_iteratorINSA_10device_ptrIyEEEEPS6_PKS6_NS0_5tupleIJSF_S6_EEENSJ_IJSG_SG_EEENS0_18inequality_wrapperINSA_8equal_toIyEEEEPmJS6_EEE10hipError_tPvRmT3_T4_T5_T6_T7_T9_mT8_P12ihipStream_tbDpT10_ENKUlT_T0_E_clISt17integral_constantIbLb0EES19_IbLb1EEEEDaS15_S16_EUlS15_E_NS1_11comp_targetILNS1_3genE5ELNS1_11target_archE942ELNS1_3gpuE9ELNS1_3repE0EEENS1_30default_config_static_selectorELNS0_4arch9wavefront6targetE1EEEvT1_: ; @_ZN7rocprim17ROCPRIM_400000_NS6detail17trampoline_kernelINS0_14default_configENS1_25partition_config_selectorILNS1_17partition_subalgoE8EyNS0_10empty_typeEbEEZZNS1_14partition_implILS5_8ELb0ES3_jN6thrust23THRUST_200600_302600_NS6detail15normal_iteratorINSA_10device_ptrIyEEEEPS6_PKS6_NS0_5tupleIJSF_S6_EEENSJ_IJSG_SG_EEENS0_18inequality_wrapperINSA_8equal_toIyEEEEPmJS6_EEE10hipError_tPvRmT3_T4_T5_T6_T7_T9_mT8_P12ihipStream_tbDpT10_ENKUlT_T0_E_clISt17integral_constantIbLb0EES19_IbLb1EEEEDaS15_S16_EUlS15_E_NS1_11comp_targetILNS1_3genE5ELNS1_11target_archE942ELNS1_3gpuE9ELNS1_3repE0EEENS1_30default_config_static_selectorELNS0_4arch9wavefront6targetE1EEEvT1_
; %bb.0:
	.section	.rodata,"a",@progbits
	.p2align	6, 0x0
	.amdhsa_kernel _ZN7rocprim17ROCPRIM_400000_NS6detail17trampoline_kernelINS0_14default_configENS1_25partition_config_selectorILNS1_17partition_subalgoE8EyNS0_10empty_typeEbEEZZNS1_14partition_implILS5_8ELb0ES3_jN6thrust23THRUST_200600_302600_NS6detail15normal_iteratorINSA_10device_ptrIyEEEEPS6_PKS6_NS0_5tupleIJSF_S6_EEENSJ_IJSG_SG_EEENS0_18inequality_wrapperINSA_8equal_toIyEEEEPmJS6_EEE10hipError_tPvRmT3_T4_T5_T6_T7_T9_mT8_P12ihipStream_tbDpT10_ENKUlT_T0_E_clISt17integral_constantIbLb0EES19_IbLb1EEEEDaS15_S16_EUlS15_E_NS1_11comp_targetILNS1_3genE5ELNS1_11target_archE942ELNS1_3gpuE9ELNS1_3repE0EEENS1_30default_config_static_selectorELNS0_4arch9wavefront6targetE1EEEvT1_
		.amdhsa_group_segment_fixed_size 0
		.amdhsa_private_segment_fixed_size 0
		.amdhsa_kernarg_size 128
		.amdhsa_user_sgpr_count 6
		.amdhsa_user_sgpr_private_segment_buffer 1
		.amdhsa_user_sgpr_dispatch_ptr 0
		.amdhsa_user_sgpr_queue_ptr 0
		.amdhsa_user_sgpr_kernarg_segment_ptr 1
		.amdhsa_user_sgpr_dispatch_id 0
		.amdhsa_user_sgpr_flat_scratch_init 0
		.amdhsa_user_sgpr_private_segment_size 0
		.amdhsa_uses_dynamic_stack 0
		.amdhsa_system_sgpr_private_segment_wavefront_offset 0
		.amdhsa_system_sgpr_workgroup_id_x 1
		.amdhsa_system_sgpr_workgroup_id_y 0
		.amdhsa_system_sgpr_workgroup_id_z 0
		.amdhsa_system_sgpr_workgroup_info 0
		.amdhsa_system_vgpr_workitem_id 0
		.amdhsa_next_free_vgpr 1
		.amdhsa_next_free_sgpr 0
		.amdhsa_reserve_vcc 0
		.amdhsa_reserve_flat_scratch 0
		.amdhsa_float_round_mode_32 0
		.amdhsa_float_round_mode_16_64 0
		.amdhsa_float_denorm_mode_32 3
		.amdhsa_float_denorm_mode_16_64 3
		.amdhsa_dx10_clamp 1
		.amdhsa_ieee_mode 1
		.amdhsa_fp16_overflow 0
		.amdhsa_exception_fp_ieee_invalid_op 0
		.amdhsa_exception_fp_denorm_src 0
		.amdhsa_exception_fp_ieee_div_zero 0
		.amdhsa_exception_fp_ieee_overflow 0
		.amdhsa_exception_fp_ieee_underflow 0
		.amdhsa_exception_fp_ieee_inexact 0
		.amdhsa_exception_int_div_zero 0
	.end_amdhsa_kernel
	.section	.text._ZN7rocprim17ROCPRIM_400000_NS6detail17trampoline_kernelINS0_14default_configENS1_25partition_config_selectorILNS1_17partition_subalgoE8EyNS0_10empty_typeEbEEZZNS1_14partition_implILS5_8ELb0ES3_jN6thrust23THRUST_200600_302600_NS6detail15normal_iteratorINSA_10device_ptrIyEEEEPS6_PKS6_NS0_5tupleIJSF_S6_EEENSJ_IJSG_SG_EEENS0_18inequality_wrapperINSA_8equal_toIyEEEEPmJS6_EEE10hipError_tPvRmT3_T4_T5_T6_T7_T9_mT8_P12ihipStream_tbDpT10_ENKUlT_T0_E_clISt17integral_constantIbLb0EES19_IbLb1EEEEDaS15_S16_EUlS15_E_NS1_11comp_targetILNS1_3genE5ELNS1_11target_archE942ELNS1_3gpuE9ELNS1_3repE0EEENS1_30default_config_static_selectorELNS0_4arch9wavefront6targetE1EEEvT1_,"axG",@progbits,_ZN7rocprim17ROCPRIM_400000_NS6detail17trampoline_kernelINS0_14default_configENS1_25partition_config_selectorILNS1_17partition_subalgoE8EyNS0_10empty_typeEbEEZZNS1_14partition_implILS5_8ELb0ES3_jN6thrust23THRUST_200600_302600_NS6detail15normal_iteratorINSA_10device_ptrIyEEEEPS6_PKS6_NS0_5tupleIJSF_S6_EEENSJ_IJSG_SG_EEENS0_18inequality_wrapperINSA_8equal_toIyEEEEPmJS6_EEE10hipError_tPvRmT3_T4_T5_T6_T7_T9_mT8_P12ihipStream_tbDpT10_ENKUlT_T0_E_clISt17integral_constantIbLb0EES19_IbLb1EEEEDaS15_S16_EUlS15_E_NS1_11comp_targetILNS1_3genE5ELNS1_11target_archE942ELNS1_3gpuE9ELNS1_3repE0EEENS1_30default_config_static_selectorELNS0_4arch9wavefront6targetE1EEEvT1_,comdat
.Lfunc_end170:
	.size	_ZN7rocprim17ROCPRIM_400000_NS6detail17trampoline_kernelINS0_14default_configENS1_25partition_config_selectorILNS1_17partition_subalgoE8EyNS0_10empty_typeEbEEZZNS1_14partition_implILS5_8ELb0ES3_jN6thrust23THRUST_200600_302600_NS6detail15normal_iteratorINSA_10device_ptrIyEEEEPS6_PKS6_NS0_5tupleIJSF_S6_EEENSJ_IJSG_SG_EEENS0_18inequality_wrapperINSA_8equal_toIyEEEEPmJS6_EEE10hipError_tPvRmT3_T4_T5_T6_T7_T9_mT8_P12ihipStream_tbDpT10_ENKUlT_T0_E_clISt17integral_constantIbLb0EES19_IbLb1EEEEDaS15_S16_EUlS15_E_NS1_11comp_targetILNS1_3genE5ELNS1_11target_archE942ELNS1_3gpuE9ELNS1_3repE0EEENS1_30default_config_static_selectorELNS0_4arch9wavefront6targetE1EEEvT1_, .Lfunc_end170-_ZN7rocprim17ROCPRIM_400000_NS6detail17trampoline_kernelINS0_14default_configENS1_25partition_config_selectorILNS1_17partition_subalgoE8EyNS0_10empty_typeEbEEZZNS1_14partition_implILS5_8ELb0ES3_jN6thrust23THRUST_200600_302600_NS6detail15normal_iteratorINSA_10device_ptrIyEEEEPS6_PKS6_NS0_5tupleIJSF_S6_EEENSJ_IJSG_SG_EEENS0_18inequality_wrapperINSA_8equal_toIyEEEEPmJS6_EEE10hipError_tPvRmT3_T4_T5_T6_T7_T9_mT8_P12ihipStream_tbDpT10_ENKUlT_T0_E_clISt17integral_constantIbLb0EES19_IbLb1EEEEDaS15_S16_EUlS15_E_NS1_11comp_targetILNS1_3genE5ELNS1_11target_archE942ELNS1_3gpuE9ELNS1_3repE0EEENS1_30default_config_static_selectorELNS0_4arch9wavefront6targetE1EEEvT1_
                                        ; -- End function
	.set _ZN7rocprim17ROCPRIM_400000_NS6detail17trampoline_kernelINS0_14default_configENS1_25partition_config_selectorILNS1_17partition_subalgoE8EyNS0_10empty_typeEbEEZZNS1_14partition_implILS5_8ELb0ES3_jN6thrust23THRUST_200600_302600_NS6detail15normal_iteratorINSA_10device_ptrIyEEEEPS6_PKS6_NS0_5tupleIJSF_S6_EEENSJ_IJSG_SG_EEENS0_18inequality_wrapperINSA_8equal_toIyEEEEPmJS6_EEE10hipError_tPvRmT3_T4_T5_T6_T7_T9_mT8_P12ihipStream_tbDpT10_ENKUlT_T0_E_clISt17integral_constantIbLb0EES19_IbLb1EEEEDaS15_S16_EUlS15_E_NS1_11comp_targetILNS1_3genE5ELNS1_11target_archE942ELNS1_3gpuE9ELNS1_3repE0EEENS1_30default_config_static_selectorELNS0_4arch9wavefront6targetE1EEEvT1_.num_vgpr, 0
	.set _ZN7rocprim17ROCPRIM_400000_NS6detail17trampoline_kernelINS0_14default_configENS1_25partition_config_selectorILNS1_17partition_subalgoE8EyNS0_10empty_typeEbEEZZNS1_14partition_implILS5_8ELb0ES3_jN6thrust23THRUST_200600_302600_NS6detail15normal_iteratorINSA_10device_ptrIyEEEEPS6_PKS6_NS0_5tupleIJSF_S6_EEENSJ_IJSG_SG_EEENS0_18inequality_wrapperINSA_8equal_toIyEEEEPmJS6_EEE10hipError_tPvRmT3_T4_T5_T6_T7_T9_mT8_P12ihipStream_tbDpT10_ENKUlT_T0_E_clISt17integral_constantIbLb0EES19_IbLb1EEEEDaS15_S16_EUlS15_E_NS1_11comp_targetILNS1_3genE5ELNS1_11target_archE942ELNS1_3gpuE9ELNS1_3repE0EEENS1_30default_config_static_selectorELNS0_4arch9wavefront6targetE1EEEvT1_.num_agpr, 0
	.set _ZN7rocprim17ROCPRIM_400000_NS6detail17trampoline_kernelINS0_14default_configENS1_25partition_config_selectorILNS1_17partition_subalgoE8EyNS0_10empty_typeEbEEZZNS1_14partition_implILS5_8ELb0ES3_jN6thrust23THRUST_200600_302600_NS6detail15normal_iteratorINSA_10device_ptrIyEEEEPS6_PKS6_NS0_5tupleIJSF_S6_EEENSJ_IJSG_SG_EEENS0_18inequality_wrapperINSA_8equal_toIyEEEEPmJS6_EEE10hipError_tPvRmT3_T4_T5_T6_T7_T9_mT8_P12ihipStream_tbDpT10_ENKUlT_T0_E_clISt17integral_constantIbLb0EES19_IbLb1EEEEDaS15_S16_EUlS15_E_NS1_11comp_targetILNS1_3genE5ELNS1_11target_archE942ELNS1_3gpuE9ELNS1_3repE0EEENS1_30default_config_static_selectorELNS0_4arch9wavefront6targetE1EEEvT1_.numbered_sgpr, 0
	.set _ZN7rocprim17ROCPRIM_400000_NS6detail17trampoline_kernelINS0_14default_configENS1_25partition_config_selectorILNS1_17partition_subalgoE8EyNS0_10empty_typeEbEEZZNS1_14partition_implILS5_8ELb0ES3_jN6thrust23THRUST_200600_302600_NS6detail15normal_iteratorINSA_10device_ptrIyEEEEPS6_PKS6_NS0_5tupleIJSF_S6_EEENSJ_IJSG_SG_EEENS0_18inequality_wrapperINSA_8equal_toIyEEEEPmJS6_EEE10hipError_tPvRmT3_T4_T5_T6_T7_T9_mT8_P12ihipStream_tbDpT10_ENKUlT_T0_E_clISt17integral_constantIbLb0EES19_IbLb1EEEEDaS15_S16_EUlS15_E_NS1_11comp_targetILNS1_3genE5ELNS1_11target_archE942ELNS1_3gpuE9ELNS1_3repE0EEENS1_30default_config_static_selectorELNS0_4arch9wavefront6targetE1EEEvT1_.num_named_barrier, 0
	.set _ZN7rocprim17ROCPRIM_400000_NS6detail17trampoline_kernelINS0_14default_configENS1_25partition_config_selectorILNS1_17partition_subalgoE8EyNS0_10empty_typeEbEEZZNS1_14partition_implILS5_8ELb0ES3_jN6thrust23THRUST_200600_302600_NS6detail15normal_iteratorINSA_10device_ptrIyEEEEPS6_PKS6_NS0_5tupleIJSF_S6_EEENSJ_IJSG_SG_EEENS0_18inequality_wrapperINSA_8equal_toIyEEEEPmJS6_EEE10hipError_tPvRmT3_T4_T5_T6_T7_T9_mT8_P12ihipStream_tbDpT10_ENKUlT_T0_E_clISt17integral_constantIbLb0EES19_IbLb1EEEEDaS15_S16_EUlS15_E_NS1_11comp_targetILNS1_3genE5ELNS1_11target_archE942ELNS1_3gpuE9ELNS1_3repE0EEENS1_30default_config_static_selectorELNS0_4arch9wavefront6targetE1EEEvT1_.private_seg_size, 0
	.set _ZN7rocprim17ROCPRIM_400000_NS6detail17trampoline_kernelINS0_14default_configENS1_25partition_config_selectorILNS1_17partition_subalgoE8EyNS0_10empty_typeEbEEZZNS1_14partition_implILS5_8ELb0ES3_jN6thrust23THRUST_200600_302600_NS6detail15normal_iteratorINSA_10device_ptrIyEEEEPS6_PKS6_NS0_5tupleIJSF_S6_EEENSJ_IJSG_SG_EEENS0_18inequality_wrapperINSA_8equal_toIyEEEEPmJS6_EEE10hipError_tPvRmT3_T4_T5_T6_T7_T9_mT8_P12ihipStream_tbDpT10_ENKUlT_T0_E_clISt17integral_constantIbLb0EES19_IbLb1EEEEDaS15_S16_EUlS15_E_NS1_11comp_targetILNS1_3genE5ELNS1_11target_archE942ELNS1_3gpuE9ELNS1_3repE0EEENS1_30default_config_static_selectorELNS0_4arch9wavefront6targetE1EEEvT1_.uses_vcc, 0
	.set _ZN7rocprim17ROCPRIM_400000_NS6detail17trampoline_kernelINS0_14default_configENS1_25partition_config_selectorILNS1_17partition_subalgoE8EyNS0_10empty_typeEbEEZZNS1_14partition_implILS5_8ELb0ES3_jN6thrust23THRUST_200600_302600_NS6detail15normal_iteratorINSA_10device_ptrIyEEEEPS6_PKS6_NS0_5tupleIJSF_S6_EEENSJ_IJSG_SG_EEENS0_18inequality_wrapperINSA_8equal_toIyEEEEPmJS6_EEE10hipError_tPvRmT3_T4_T5_T6_T7_T9_mT8_P12ihipStream_tbDpT10_ENKUlT_T0_E_clISt17integral_constantIbLb0EES19_IbLb1EEEEDaS15_S16_EUlS15_E_NS1_11comp_targetILNS1_3genE5ELNS1_11target_archE942ELNS1_3gpuE9ELNS1_3repE0EEENS1_30default_config_static_selectorELNS0_4arch9wavefront6targetE1EEEvT1_.uses_flat_scratch, 0
	.set _ZN7rocprim17ROCPRIM_400000_NS6detail17trampoline_kernelINS0_14default_configENS1_25partition_config_selectorILNS1_17partition_subalgoE8EyNS0_10empty_typeEbEEZZNS1_14partition_implILS5_8ELb0ES3_jN6thrust23THRUST_200600_302600_NS6detail15normal_iteratorINSA_10device_ptrIyEEEEPS6_PKS6_NS0_5tupleIJSF_S6_EEENSJ_IJSG_SG_EEENS0_18inequality_wrapperINSA_8equal_toIyEEEEPmJS6_EEE10hipError_tPvRmT3_T4_T5_T6_T7_T9_mT8_P12ihipStream_tbDpT10_ENKUlT_T0_E_clISt17integral_constantIbLb0EES19_IbLb1EEEEDaS15_S16_EUlS15_E_NS1_11comp_targetILNS1_3genE5ELNS1_11target_archE942ELNS1_3gpuE9ELNS1_3repE0EEENS1_30default_config_static_selectorELNS0_4arch9wavefront6targetE1EEEvT1_.has_dyn_sized_stack, 0
	.set _ZN7rocprim17ROCPRIM_400000_NS6detail17trampoline_kernelINS0_14default_configENS1_25partition_config_selectorILNS1_17partition_subalgoE8EyNS0_10empty_typeEbEEZZNS1_14partition_implILS5_8ELb0ES3_jN6thrust23THRUST_200600_302600_NS6detail15normal_iteratorINSA_10device_ptrIyEEEEPS6_PKS6_NS0_5tupleIJSF_S6_EEENSJ_IJSG_SG_EEENS0_18inequality_wrapperINSA_8equal_toIyEEEEPmJS6_EEE10hipError_tPvRmT3_T4_T5_T6_T7_T9_mT8_P12ihipStream_tbDpT10_ENKUlT_T0_E_clISt17integral_constantIbLb0EES19_IbLb1EEEEDaS15_S16_EUlS15_E_NS1_11comp_targetILNS1_3genE5ELNS1_11target_archE942ELNS1_3gpuE9ELNS1_3repE0EEENS1_30default_config_static_selectorELNS0_4arch9wavefront6targetE1EEEvT1_.has_recursion, 0
	.set _ZN7rocprim17ROCPRIM_400000_NS6detail17trampoline_kernelINS0_14default_configENS1_25partition_config_selectorILNS1_17partition_subalgoE8EyNS0_10empty_typeEbEEZZNS1_14partition_implILS5_8ELb0ES3_jN6thrust23THRUST_200600_302600_NS6detail15normal_iteratorINSA_10device_ptrIyEEEEPS6_PKS6_NS0_5tupleIJSF_S6_EEENSJ_IJSG_SG_EEENS0_18inequality_wrapperINSA_8equal_toIyEEEEPmJS6_EEE10hipError_tPvRmT3_T4_T5_T6_T7_T9_mT8_P12ihipStream_tbDpT10_ENKUlT_T0_E_clISt17integral_constantIbLb0EES19_IbLb1EEEEDaS15_S16_EUlS15_E_NS1_11comp_targetILNS1_3genE5ELNS1_11target_archE942ELNS1_3gpuE9ELNS1_3repE0EEENS1_30default_config_static_selectorELNS0_4arch9wavefront6targetE1EEEvT1_.has_indirect_call, 0
	.section	.AMDGPU.csdata,"",@progbits
; Kernel info:
; codeLenInByte = 0
; TotalNumSgprs: 4
; NumVgprs: 0
; ScratchSize: 0
; MemoryBound: 0
; FloatMode: 240
; IeeeMode: 1
; LDSByteSize: 0 bytes/workgroup (compile time only)
; SGPRBlocks: 0
; VGPRBlocks: 0
; NumSGPRsForWavesPerEU: 4
; NumVGPRsForWavesPerEU: 1
; Occupancy: 10
; WaveLimiterHint : 0
; COMPUTE_PGM_RSRC2:SCRATCH_EN: 0
; COMPUTE_PGM_RSRC2:USER_SGPR: 6
; COMPUTE_PGM_RSRC2:TRAP_HANDLER: 0
; COMPUTE_PGM_RSRC2:TGID_X_EN: 1
; COMPUTE_PGM_RSRC2:TGID_Y_EN: 0
; COMPUTE_PGM_RSRC2:TGID_Z_EN: 0
; COMPUTE_PGM_RSRC2:TIDIG_COMP_CNT: 0
	.section	.text._ZN7rocprim17ROCPRIM_400000_NS6detail17trampoline_kernelINS0_14default_configENS1_25partition_config_selectorILNS1_17partition_subalgoE8EyNS0_10empty_typeEbEEZZNS1_14partition_implILS5_8ELb0ES3_jN6thrust23THRUST_200600_302600_NS6detail15normal_iteratorINSA_10device_ptrIyEEEEPS6_PKS6_NS0_5tupleIJSF_S6_EEENSJ_IJSG_SG_EEENS0_18inequality_wrapperINSA_8equal_toIyEEEEPmJS6_EEE10hipError_tPvRmT3_T4_T5_T6_T7_T9_mT8_P12ihipStream_tbDpT10_ENKUlT_T0_E_clISt17integral_constantIbLb0EES19_IbLb1EEEEDaS15_S16_EUlS15_E_NS1_11comp_targetILNS1_3genE4ELNS1_11target_archE910ELNS1_3gpuE8ELNS1_3repE0EEENS1_30default_config_static_selectorELNS0_4arch9wavefront6targetE1EEEvT1_,"axG",@progbits,_ZN7rocprim17ROCPRIM_400000_NS6detail17trampoline_kernelINS0_14default_configENS1_25partition_config_selectorILNS1_17partition_subalgoE8EyNS0_10empty_typeEbEEZZNS1_14partition_implILS5_8ELb0ES3_jN6thrust23THRUST_200600_302600_NS6detail15normal_iteratorINSA_10device_ptrIyEEEEPS6_PKS6_NS0_5tupleIJSF_S6_EEENSJ_IJSG_SG_EEENS0_18inequality_wrapperINSA_8equal_toIyEEEEPmJS6_EEE10hipError_tPvRmT3_T4_T5_T6_T7_T9_mT8_P12ihipStream_tbDpT10_ENKUlT_T0_E_clISt17integral_constantIbLb0EES19_IbLb1EEEEDaS15_S16_EUlS15_E_NS1_11comp_targetILNS1_3genE4ELNS1_11target_archE910ELNS1_3gpuE8ELNS1_3repE0EEENS1_30default_config_static_selectorELNS0_4arch9wavefront6targetE1EEEvT1_,comdat
	.protected	_ZN7rocprim17ROCPRIM_400000_NS6detail17trampoline_kernelINS0_14default_configENS1_25partition_config_selectorILNS1_17partition_subalgoE8EyNS0_10empty_typeEbEEZZNS1_14partition_implILS5_8ELb0ES3_jN6thrust23THRUST_200600_302600_NS6detail15normal_iteratorINSA_10device_ptrIyEEEEPS6_PKS6_NS0_5tupleIJSF_S6_EEENSJ_IJSG_SG_EEENS0_18inequality_wrapperINSA_8equal_toIyEEEEPmJS6_EEE10hipError_tPvRmT3_T4_T5_T6_T7_T9_mT8_P12ihipStream_tbDpT10_ENKUlT_T0_E_clISt17integral_constantIbLb0EES19_IbLb1EEEEDaS15_S16_EUlS15_E_NS1_11comp_targetILNS1_3genE4ELNS1_11target_archE910ELNS1_3gpuE8ELNS1_3repE0EEENS1_30default_config_static_selectorELNS0_4arch9wavefront6targetE1EEEvT1_ ; -- Begin function _ZN7rocprim17ROCPRIM_400000_NS6detail17trampoline_kernelINS0_14default_configENS1_25partition_config_selectorILNS1_17partition_subalgoE8EyNS0_10empty_typeEbEEZZNS1_14partition_implILS5_8ELb0ES3_jN6thrust23THRUST_200600_302600_NS6detail15normal_iteratorINSA_10device_ptrIyEEEEPS6_PKS6_NS0_5tupleIJSF_S6_EEENSJ_IJSG_SG_EEENS0_18inequality_wrapperINSA_8equal_toIyEEEEPmJS6_EEE10hipError_tPvRmT3_T4_T5_T6_T7_T9_mT8_P12ihipStream_tbDpT10_ENKUlT_T0_E_clISt17integral_constantIbLb0EES19_IbLb1EEEEDaS15_S16_EUlS15_E_NS1_11comp_targetILNS1_3genE4ELNS1_11target_archE910ELNS1_3gpuE8ELNS1_3repE0EEENS1_30default_config_static_selectorELNS0_4arch9wavefront6targetE1EEEvT1_
	.globl	_ZN7rocprim17ROCPRIM_400000_NS6detail17trampoline_kernelINS0_14default_configENS1_25partition_config_selectorILNS1_17partition_subalgoE8EyNS0_10empty_typeEbEEZZNS1_14partition_implILS5_8ELb0ES3_jN6thrust23THRUST_200600_302600_NS6detail15normal_iteratorINSA_10device_ptrIyEEEEPS6_PKS6_NS0_5tupleIJSF_S6_EEENSJ_IJSG_SG_EEENS0_18inequality_wrapperINSA_8equal_toIyEEEEPmJS6_EEE10hipError_tPvRmT3_T4_T5_T6_T7_T9_mT8_P12ihipStream_tbDpT10_ENKUlT_T0_E_clISt17integral_constantIbLb0EES19_IbLb1EEEEDaS15_S16_EUlS15_E_NS1_11comp_targetILNS1_3genE4ELNS1_11target_archE910ELNS1_3gpuE8ELNS1_3repE0EEENS1_30default_config_static_selectorELNS0_4arch9wavefront6targetE1EEEvT1_
	.p2align	8
	.type	_ZN7rocprim17ROCPRIM_400000_NS6detail17trampoline_kernelINS0_14default_configENS1_25partition_config_selectorILNS1_17partition_subalgoE8EyNS0_10empty_typeEbEEZZNS1_14partition_implILS5_8ELb0ES3_jN6thrust23THRUST_200600_302600_NS6detail15normal_iteratorINSA_10device_ptrIyEEEEPS6_PKS6_NS0_5tupleIJSF_S6_EEENSJ_IJSG_SG_EEENS0_18inequality_wrapperINSA_8equal_toIyEEEEPmJS6_EEE10hipError_tPvRmT3_T4_T5_T6_T7_T9_mT8_P12ihipStream_tbDpT10_ENKUlT_T0_E_clISt17integral_constantIbLb0EES19_IbLb1EEEEDaS15_S16_EUlS15_E_NS1_11comp_targetILNS1_3genE4ELNS1_11target_archE910ELNS1_3gpuE8ELNS1_3repE0EEENS1_30default_config_static_selectorELNS0_4arch9wavefront6targetE1EEEvT1_,@function
_ZN7rocprim17ROCPRIM_400000_NS6detail17trampoline_kernelINS0_14default_configENS1_25partition_config_selectorILNS1_17partition_subalgoE8EyNS0_10empty_typeEbEEZZNS1_14partition_implILS5_8ELb0ES3_jN6thrust23THRUST_200600_302600_NS6detail15normal_iteratorINSA_10device_ptrIyEEEEPS6_PKS6_NS0_5tupleIJSF_S6_EEENSJ_IJSG_SG_EEENS0_18inequality_wrapperINSA_8equal_toIyEEEEPmJS6_EEE10hipError_tPvRmT3_T4_T5_T6_T7_T9_mT8_P12ihipStream_tbDpT10_ENKUlT_T0_E_clISt17integral_constantIbLb0EES19_IbLb1EEEEDaS15_S16_EUlS15_E_NS1_11comp_targetILNS1_3genE4ELNS1_11target_archE910ELNS1_3gpuE8ELNS1_3repE0EEENS1_30default_config_static_selectorELNS0_4arch9wavefront6targetE1EEEvT1_: ; @_ZN7rocprim17ROCPRIM_400000_NS6detail17trampoline_kernelINS0_14default_configENS1_25partition_config_selectorILNS1_17partition_subalgoE8EyNS0_10empty_typeEbEEZZNS1_14partition_implILS5_8ELb0ES3_jN6thrust23THRUST_200600_302600_NS6detail15normal_iteratorINSA_10device_ptrIyEEEEPS6_PKS6_NS0_5tupleIJSF_S6_EEENSJ_IJSG_SG_EEENS0_18inequality_wrapperINSA_8equal_toIyEEEEPmJS6_EEE10hipError_tPvRmT3_T4_T5_T6_T7_T9_mT8_P12ihipStream_tbDpT10_ENKUlT_T0_E_clISt17integral_constantIbLb0EES19_IbLb1EEEEDaS15_S16_EUlS15_E_NS1_11comp_targetILNS1_3genE4ELNS1_11target_archE910ELNS1_3gpuE8ELNS1_3repE0EEENS1_30default_config_static_selectorELNS0_4arch9wavefront6targetE1EEEvT1_
; %bb.0:
	.section	.rodata,"a",@progbits
	.p2align	6, 0x0
	.amdhsa_kernel _ZN7rocprim17ROCPRIM_400000_NS6detail17trampoline_kernelINS0_14default_configENS1_25partition_config_selectorILNS1_17partition_subalgoE8EyNS0_10empty_typeEbEEZZNS1_14partition_implILS5_8ELb0ES3_jN6thrust23THRUST_200600_302600_NS6detail15normal_iteratorINSA_10device_ptrIyEEEEPS6_PKS6_NS0_5tupleIJSF_S6_EEENSJ_IJSG_SG_EEENS0_18inequality_wrapperINSA_8equal_toIyEEEEPmJS6_EEE10hipError_tPvRmT3_T4_T5_T6_T7_T9_mT8_P12ihipStream_tbDpT10_ENKUlT_T0_E_clISt17integral_constantIbLb0EES19_IbLb1EEEEDaS15_S16_EUlS15_E_NS1_11comp_targetILNS1_3genE4ELNS1_11target_archE910ELNS1_3gpuE8ELNS1_3repE0EEENS1_30default_config_static_selectorELNS0_4arch9wavefront6targetE1EEEvT1_
		.amdhsa_group_segment_fixed_size 0
		.amdhsa_private_segment_fixed_size 0
		.amdhsa_kernarg_size 128
		.amdhsa_user_sgpr_count 6
		.amdhsa_user_sgpr_private_segment_buffer 1
		.amdhsa_user_sgpr_dispatch_ptr 0
		.amdhsa_user_sgpr_queue_ptr 0
		.amdhsa_user_sgpr_kernarg_segment_ptr 1
		.amdhsa_user_sgpr_dispatch_id 0
		.amdhsa_user_sgpr_flat_scratch_init 0
		.amdhsa_user_sgpr_private_segment_size 0
		.amdhsa_uses_dynamic_stack 0
		.amdhsa_system_sgpr_private_segment_wavefront_offset 0
		.amdhsa_system_sgpr_workgroup_id_x 1
		.amdhsa_system_sgpr_workgroup_id_y 0
		.amdhsa_system_sgpr_workgroup_id_z 0
		.amdhsa_system_sgpr_workgroup_info 0
		.amdhsa_system_vgpr_workitem_id 0
		.amdhsa_next_free_vgpr 1
		.amdhsa_next_free_sgpr 0
		.amdhsa_reserve_vcc 0
		.amdhsa_reserve_flat_scratch 0
		.amdhsa_float_round_mode_32 0
		.amdhsa_float_round_mode_16_64 0
		.amdhsa_float_denorm_mode_32 3
		.amdhsa_float_denorm_mode_16_64 3
		.amdhsa_dx10_clamp 1
		.amdhsa_ieee_mode 1
		.amdhsa_fp16_overflow 0
		.amdhsa_exception_fp_ieee_invalid_op 0
		.amdhsa_exception_fp_denorm_src 0
		.amdhsa_exception_fp_ieee_div_zero 0
		.amdhsa_exception_fp_ieee_overflow 0
		.amdhsa_exception_fp_ieee_underflow 0
		.amdhsa_exception_fp_ieee_inexact 0
		.amdhsa_exception_int_div_zero 0
	.end_amdhsa_kernel
	.section	.text._ZN7rocprim17ROCPRIM_400000_NS6detail17trampoline_kernelINS0_14default_configENS1_25partition_config_selectorILNS1_17partition_subalgoE8EyNS0_10empty_typeEbEEZZNS1_14partition_implILS5_8ELb0ES3_jN6thrust23THRUST_200600_302600_NS6detail15normal_iteratorINSA_10device_ptrIyEEEEPS6_PKS6_NS0_5tupleIJSF_S6_EEENSJ_IJSG_SG_EEENS0_18inequality_wrapperINSA_8equal_toIyEEEEPmJS6_EEE10hipError_tPvRmT3_T4_T5_T6_T7_T9_mT8_P12ihipStream_tbDpT10_ENKUlT_T0_E_clISt17integral_constantIbLb0EES19_IbLb1EEEEDaS15_S16_EUlS15_E_NS1_11comp_targetILNS1_3genE4ELNS1_11target_archE910ELNS1_3gpuE8ELNS1_3repE0EEENS1_30default_config_static_selectorELNS0_4arch9wavefront6targetE1EEEvT1_,"axG",@progbits,_ZN7rocprim17ROCPRIM_400000_NS6detail17trampoline_kernelINS0_14default_configENS1_25partition_config_selectorILNS1_17partition_subalgoE8EyNS0_10empty_typeEbEEZZNS1_14partition_implILS5_8ELb0ES3_jN6thrust23THRUST_200600_302600_NS6detail15normal_iteratorINSA_10device_ptrIyEEEEPS6_PKS6_NS0_5tupleIJSF_S6_EEENSJ_IJSG_SG_EEENS0_18inequality_wrapperINSA_8equal_toIyEEEEPmJS6_EEE10hipError_tPvRmT3_T4_T5_T6_T7_T9_mT8_P12ihipStream_tbDpT10_ENKUlT_T0_E_clISt17integral_constantIbLb0EES19_IbLb1EEEEDaS15_S16_EUlS15_E_NS1_11comp_targetILNS1_3genE4ELNS1_11target_archE910ELNS1_3gpuE8ELNS1_3repE0EEENS1_30default_config_static_selectorELNS0_4arch9wavefront6targetE1EEEvT1_,comdat
.Lfunc_end171:
	.size	_ZN7rocprim17ROCPRIM_400000_NS6detail17trampoline_kernelINS0_14default_configENS1_25partition_config_selectorILNS1_17partition_subalgoE8EyNS0_10empty_typeEbEEZZNS1_14partition_implILS5_8ELb0ES3_jN6thrust23THRUST_200600_302600_NS6detail15normal_iteratorINSA_10device_ptrIyEEEEPS6_PKS6_NS0_5tupleIJSF_S6_EEENSJ_IJSG_SG_EEENS0_18inequality_wrapperINSA_8equal_toIyEEEEPmJS6_EEE10hipError_tPvRmT3_T4_T5_T6_T7_T9_mT8_P12ihipStream_tbDpT10_ENKUlT_T0_E_clISt17integral_constantIbLb0EES19_IbLb1EEEEDaS15_S16_EUlS15_E_NS1_11comp_targetILNS1_3genE4ELNS1_11target_archE910ELNS1_3gpuE8ELNS1_3repE0EEENS1_30default_config_static_selectorELNS0_4arch9wavefront6targetE1EEEvT1_, .Lfunc_end171-_ZN7rocprim17ROCPRIM_400000_NS6detail17trampoline_kernelINS0_14default_configENS1_25partition_config_selectorILNS1_17partition_subalgoE8EyNS0_10empty_typeEbEEZZNS1_14partition_implILS5_8ELb0ES3_jN6thrust23THRUST_200600_302600_NS6detail15normal_iteratorINSA_10device_ptrIyEEEEPS6_PKS6_NS0_5tupleIJSF_S6_EEENSJ_IJSG_SG_EEENS0_18inequality_wrapperINSA_8equal_toIyEEEEPmJS6_EEE10hipError_tPvRmT3_T4_T5_T6_T7_T9_mT8_P12ihipStream_tbDpT10_ENKUlT_T0_E_clISt17integral_constantIbLb0EES19_IbLb1EEEEDaS15_S16_EUlS15_E_NS1_11comp_targetILNS1_3genE4ELNS1_11target_archE910ELNS1_3gpuE8ELNS1_3repE0EEENS1_30default_config_static_selectorELNS0_4arch9wavefront6targetE1EEEvT1_
                                        ; -- End function
	.set _ZN7rocprim17ROCPRIM_400000_NS6detail17trampoline_kernelINS0_14default_configENS1_25partition_config_selectorILNS1_17partition_subalgoE8EyNS0_10empty_typeEbEEZZNS1_14partition_implILS5_8ELb0ES3_jN6thrust23THRUST_200600_302600_NS6detail15normal_iteratorINSA_10device_ptrIyEEEEPS6_PKS6_NS0_5tupleIJSF_S6_EEENSJ_IJSG_SG_EEENS0_18inequality_wrapperINSA_8equal_toIyEEEEPmJS6_EEE10hipError_tPvRmT3_T4_T5_T6_T7_T9_mT8_P12ihipStream_tbDpT10_ENKUlT_T0_E_clISt17integral_constantIbLb0EES19_IbLb1EEEEDaS15_S16_EUlS15_E_NS1_11comp_targetILNS1_3genE4ELNS1_11target_archE910ELNS1_3gpuE8ELNS1_3repE0EEENS1_30default_config_static_selectorELNS0_4arch9wavefront6targetE1EEEvT1_.num_vgpr, 0
	.set _ZN7rocprim17ROCPRIM_400000_NS6detail17trampoline_kernelINS0_14default_configENS1_25partition_config_selectorILNS1_17partition_subalgoE8EyNS0_10empty_typeEbEEZZNS1_14partition_implILS5_8ELb0ES3_jN6thrust23THRUST_200600_302600_NS6detail15normal_iteratorINSA_10device_ptrIyEEEEPS6_PKS6_NS0_5tupleIJSF_S6_EEENSJ_IJSG_SG_EEENS0_18inequality_wrapperINSA_8equal_toIyEEEEPmJS6_EEE10hipError_tPvRmT3_T4_T5_T6_T7_T9_mT8_P12ihipStream_tbDpT10_ENKUlT_T0_E_clISt17integral_constantIbLb0EES19_IbLb1EEEEDaS15_S16_EUlS15_E_NS1_11comp_targetILNS1_3genE4ELNS1_11target_archE910ELNS1_3gpuE8ELNS1_3repE0EEENS1_30default_config_static_selectorELNS0_4arch9wavefront6targetE1EEEvT1_.num_agpr, 0
	.set _ZN7rocprim17ROCPRIM_400000_NS6detail17trampoline_kernelINS0_14default_configENS1_25partition_config_selectorILNS1_17partition_subalgoE8EyNS0_10empty_typeEbEEZZNS1_14partition_implILS5_8ELb0ES3_jN6thrust23THRUST_200600_302600_NS6detail15normal_iteratorINSA_10device_ptrIyEEEEPS6_PKS6_NS0_5tupleIJSF_S6_EEENSJ_IJSG_SG_EEENS0_18inequality_wrapperINSA_8equal_toIyEEEEPmJS6_EEE10hipError_tPvRmT3_T4_T5_T6_T7_T9_mT8_P12ihipStream_tbDpT10_ENKUlT_T0_E_clISt17integral_constantIbLb0EES19_IbLb1EEEEDaS15_S16_EUlS15_E_NS1_11comp_targetILNS1_3genE4ELNS1_11target_archE910ELNS1_3gpuE8ELNS1_3repE0EEENS1_30default_config_static_selectorELNS0_4arch9wavefront6targetE1EEEvT1_.numbered_sgpr, 0
	.set _ZN7rocprim17ROCPRIM_400000_NS6detail17trampoline_kernelINS0_14default_configENS1_25partition_config_selectorILNS1_17partition_subalgoE8EyNS0_10empty_typeEbEEZZNS1_14partition_implILS5_8ELb0ES3_jN6thrust23THRUST_200600_302600_NS6detail15normal_iteratorINSA_10device_ptrIyEEEEPS6_PKS6_NS0_5tupleIJSF_S6_EEENSJ_IJSG_SG_EEENS0_18inequality_wrapperINSA_8equal_toIyEEEEPmJS6_EEE10hipError_tPvRmT3_T4_T5_T6_T7_T9_mT8_P12ihipStream_tbDpT10_ENKUlT_T0_E_clISt17integral_constantIbLb0EES19_IbLb1EEEEDaS15_S16_EUlS15_E_NS1_11comp_targetILNS1_3genE4ELNS1_11target_archE910ELNS1_3gpuE8ELNS1_3repE0EEENS1_30default_config_static_selectorELNS0_4arch9wavefront6targetE1EEEvT1_.num_named_barrier, 0
	.set _ZN7rocprim17ROCPRIM_400000_NS6detail17trampoline_kernelINS0_14default_configENS1_25partition_config_selectorILNS1_17partition_subalgoE8EyNS0_10empty_typeEbEEZZNS1_14partition_implILS5_8ELb0ES3_jN6thrust23THRUST_200600_302600_NS6detail15normal_iteratorINSA_10device_ptrIyEEEEPS6_PKS6_NS0_5tupleIJSF_S6_EEENSJ_IJSG_SG_EEENS0_18inequality_wrapperINSA_8equal_toIyEEEEPmJS6_EEE10hipError_tPvRmT3_T4_T5_T6_T7_T9_mT8_P12ihipStream_tbDpT10_ENKUlT_T0_E_clISt17integral_constantIbLb0EES19_IbLb1EEEEDaS15_S16_EUlS15_E_NS1_11comp_targetILNS1_3genE4ELNS1_11target_archE910ELNS1_3gpuE8ELNS1_3repE0EEENS1_30default_config_static_selectorELNS0_4arch9wavefront6targetE1EEEvT1_.private_seg_size, 0
	.set _ZN7rocprim17ROCPRIM_400000_NS6detail17trampoline_kernelINS0_14default_configENS1_25partition_config_selectorILNS1_17partition_subalgoE8EyNS0_10empty_typeEbEEZZNS1_14partition_implILS5_8ELb0ES3_jN6thrust23THRUST_200600_302600_NS6detail15normal_iteratorINSA_10device_ptrIyEEEEPS6_PKS6_NS0_5tupleIJSF_S6_EEENSJ_IJSG_SG_EEENS0_18inequality_wrapperINSA_8equal_toIyEEEEPmJS6_EEE10hipError_tPvRmT3_T4_T5_T6_T7_T9_mT8_P12ihipStream_tbDpT10_ENKUlT_T0_E_clISt17integral_constantIbLb0EES19_IbLb1EEEEDaS15_S16_EUlS15_E_NS1_11comp_targetILNS1_3genE4ELNS1_11target_archE910ELNS1_3gpuE8ELNS1_3repE0EEENS1_30default_config_static_selectorELNS0_4arch9wavefront6targetE1EEEvT1_.uses_vcc, 0
	.set _ZN7rocprim17ROCPRIM_400000_NS6detail17trampoline_kernelINS0_14default_configENS1_25partition_config_selectorILNS1_17partition_subalgoE8EyNS0_10empty_typeEbEEZZNS1_14partition_implILS5_8ELb0ES3_jN6thrust23THRUST_200600_302600_NS6detail15normal_iteratorINSA_10device_ptrIyEEEEPS6_PKS6_NS0_5tupleIJSF_S6_EEENSJ_IJSG_SG_EEENS0_18inequality_wrapperINSA_8equal_toIyEEEEPmJS6_EEE10hipError_tPvRmT3_T4_T5_T6_T7_T9_mT8_P12ihipStream_tbDpT10_ENKUlT_T0_E_clISt17integral_constantIbLb0EES19_IbLb1EEEEDaS15_S16_EUlS15_E_NS1_11comp_targetILNS1_3genE4ELNS1_11target_archE910ELNS1_3gpuE8ELNS1_3repE0EEENS1_30default_config_static_selectorELNS0_4arch9wavefront6targetE1EEEvT1_.uses_flat_scratch, 0
	.set _ZN7rocprim17ROCPRIM_400000_NS6detail17trampoline_kernelINS0_14default_configENS1_25partition_config_selectorILNS1_17partition_subalgoE8EyNS0_10empty_typeEbEEZZNS1_14partition_implILS5_8ELb0ES3_jN6thrust23THRUST_200600_302600_NS6detail15normal_iteratorINSA_10device_ptrIyEEEEPS6_PKS6_NS0_5tupleIJSF_S6_EEENSJ_IJSG_SG_EEENS0_18inequality_wrapperINSA_8equal_toIyEEEEPmJS6_EEE10hipError_tPvRmT3_T4_T5_T6_T7_T9_mT8_P12ihipStream_tbDpT10_ENKUlT_T0_E_clISt17integral_constantIbLb0EES19_IbLb1EEEEDaS15_S16_EUlS15_E_NS1_11comp_targetILNS1_3genE4ELNS1_11target_archE910ELNS1_3gpuE8ELNS1_3repE0EEENS1_30default_config_static_selectorELNS0_4arch9wavefront6targetE1EEEvT1_.has_dyn_sized_stack, 0
	.set _ZN7rocprim17ROCPRIM_400000_NS6detail17trampoline_kernelINS0_14default_configENS1_25partition_config_selectorILNS1_17partition_subalgoE8EyNS0_10empty_typeEbEEZZNS1_14partition_implILS5_8ELb0ES3_jN6thrust23THRUST_200600_302600_NS6detail15normal_iteratorINSA_10device_ptrIyEEEEPS6_PKS6_NS0_5tupleIJSF_S6_EEENSJ_IJSG_SG_EEENS0_18inequality_wrapperINSA_8equal_toIyEEEEPmJS6_EEE10hipError_tPvRmT3_T4_T5_T6_T7_T9_mT8_P12ihipStream_tbDpT10_ENKUlT_T0_E_clISt17integral_constantIbLb0EES19_IbLb1EEEEDaS15_S16_EUlS15_E_NS1_11comp_targetILNS1_3genE4ELNS1_11target_archE910ELNS1_3gpuE8ELNS1_3repE0EEENS1_30default_config_static_selectorELNS0_4arch9wavefront6targetE1EEEvT1_.has_recursion, 0
	.set _ZN7rocprim17ROCPRIM_400000_NS6detail17trampoline_kernelINS0_14default_configENS1_25partition_config_selectorILNS1_17partition_subalgoE8EyNS0_10empty_typeEbEEZZNS1_14partition_implILS5_8ELb0ES3_jN6thrust23THRUST_200600_302600_NS6detail15normal_iteratorINSA_10device_ptrIyEEEEPS6_PKS6_NS0_5tupleIJSF_S6_EEENSJ_IJSG_SG_EEENS0_18inequality_wrapperINSA_8equal_toIyEEEEPmJS6_EEE10hipError_tPvRmT3_T4_T5_T6_T7_T9_mT8_P12ihipStream_tbDpT10_ENKUlT_T0_E_clISt17integral_constantIbLb0EES19_IbLb1EEEEDaS15_S16_EUlS15_E_NS1_11comp_targetILNS1_3genE4ELNS1_11target_archE910ELNS1_3gpuE8ELNS1_3repE0EEENS1_30default_config_static_selectorELNS0_4arch9wavefront6targetE1EEEvT1_.has_indirect_call, 0
	.section	.AMDGPU.csdata,"",@progbits
; Kernel info:
; codeLenInByte = 0
; TotalNumSgprs: 4
; NumVgprs: 0
; ScratchSize: 0
; MemoryBound: 0
; FloatMode: 240
; IeeeMode: 1
; LDSByteSize: 0 bytes/workgroup (compile time only)
; SGPRBlocks: 0
; VGPRBlocks: 0
; NumSGPRsForWavesPerEU: 4
; NumVGPRsForWavesPerEU: 1
; Occupancy: 10
; WaveLimiterHint : 0
; COMPUTE_PGM_RSRC2:SCRATCH_EN: 0
; COMPUTE_PGM_RSRC2:USER_SGPR: 6
; COMPUTE_PGM_RSRC2:TRAP_HANDLER: 0
; COMPUTE_PGM_RSRC2:TGID_X_EN: 1
; COMPUTE_PGM_RSRC2:TGID_Y_EN: 0
; COMPUTE_PGM_RSRC2:TGID_Z_EN: 0
; COMPUTE_PGM_RSRC2:TIDIG_COMP_CNT: 0
	.section	.text._ZN7rocprim17ROCPRIM_400000_NS6detail17trampoline_kernelINS0_14default_configENS1_25partition_config_selectorILNS1_17partition_subalgoE8EyNS0_10empty_typeEbEEZZNS1_14partition_implILS5_8ELb0ES3_jN6thrust23THRUST_200600_302600_NS6detail15normal_iteratorINSA_10device_ptrIyEEEEPS6_PKS6_NS0_5tupleIJSF_S6_EEENSJ_IJSG_SG_EEENS0_18inequality_wrapperINSA_8equal_toIyEEEEPmJS6_EEE10hipError_tPvRmT3_T4_T5_T6_T7_T9_mT8_P12ihipStream_tbDpT10_ENKUlT_T0_E_clISt17integral_constantIbLb0EES19_IbLb1EEEEDaS15_S16_EUlS15_E_NS1_11comp_targetILNS1_3genE3ELNS1_11target_archE908ELNS1_3gpuE7ELNS1_3repE0EEENS1_30default_config_static_selectorELNS0_4arch9wavefront6targetE1EEEvT1_,"axG",@progbits,_ZN7rocprim17ROCPRIM_400000_NS6detail17trampoline_kernelINS0_14default_configENS1_25partition_config_selectorILNS1_17partition_subalgoE8EyNS0_10empty_typeEbEEZZNS1_14partition_implILS5_8ELb0ES3_jN6thrust23THRUST_200600_302600_NS6detail15normal_iteratorINSA_10device_ptrIyEEEEPS6_PKS6_NS0_5tupleIJSF_S6_EEENSJ_IJSG_SG_EEENS0_18inequality_wrapperINSA_8equal_toIyEEEEPmJS6_EEE10hipError_tPvRmT3_T4_T5_T6_T7_T9_mT8_P12ihipStream_tbDpT10_ENKUlT_T0_E_clISt17integral_constantIbLb0EES19_IbLb1EEEEDaS15_S16_EUlS15_E_NS1_11comp_targetILNS1_3genE3ELNS1_11target_archE908ELNS1_3gpuE7ELNS1_3repE0EEENS1_30default_config_static_selectorELNS0_4arch9wavefront6targetE1EEEvT1_,comdat
	.protected	_ZN7rocprim17ROCPRIM_400000_NS6detail17trampoline_kernelINS0_14default_configENS1_25partition_config_selectorILNS1_17partition_subalgoE8EyNS0_10empty_typeEbEEZZNS1_14partition_implILS5_8ELb0ES3_jN6thrust23THRUST_200600_302600_NS6detail15normal_iteratorINSA_10device_ptrIyEEEEPS6_PKS6_NS0_5tupleIJSF_S6_EEENSJ_IJSG_SG_EEENS0_18inequality_wrapperINSA_8equal_toIyEEEEPmJS6_EEE10hipError_tPvRmT3_T4_T5_T6_T7_T9_mT8_P12ihipStream_tbDpT10_ENKUlT_T0_E_clISt17integral_constantIbLb0EES19_IbLb1EEEEDaS15_S16_EUlS15_E_NS1_11comp_targetILNS1_3genE3ELNS1_11target_archE908ELNS1_3gpuE7ELNS1_3repE0EEENS1_30default_config_static_selectorELNS0_4arch9wavefront6targetE1EEEvT1_ ; -- Begin function _ZN7rocprim17ROCPRIM_400000_NS6detail17trampoline_kernelINS0_14default_configENS1_25partition_config_selectorILNS1_17partition_subalgoE8EyNS0_10empty_typeEbEEZZNS1_14partition_implILS5_8ELb0ES3_jN6thrust23THRUST_200600_302600_NS6detail15normal_iteratorINSA_10device_ptrIyEEEEPS6_PKS6_NS0_5tupleIJSF_S6_EEENSJ_IJSG_SG_EEENS0_18inequality_wrapperINSA_8equal_toIyEEEEPmJS6_EEE10hipError_tPvRmT3_T4_T5_T6_T7_T9_mT8_P12ihipStream_tbDpT10_ENKUlT_T0_E_clISt17integral_constantIbLb0EES19_IbLb1EEEEDaS15_S16_EUlS15_E_NS1_11comp_targetILNS1_3genE3ELNS1_11target_archE908ELNS1_3gpuE7ELNS1_3repE0EEENS1_30default_config_static_selectorELNS0_4arch9wavefront6targetE1EEEvT1_
	.globl	_ZN7rocprim17ROCPRIM_400000_NS6detail17trampoline_kernelINS0_14default_configENS1_25partition_config_selectorILNS1_17partition_subalgoE8EyNS0_10empty_typeEbEEZZNS1_14partition_implILS5_8ELb0ES3_jN6thrust23THRUST_200600_302600_NS6detail15normal_iteratorINSA_10device_ptrIyEEEEPS6_PKS6_NS0_5tupleIJSF_S6_EEENSJ_IJSG_SG_EEENS0_18inequality_wrapperINSA_8equal_toIyEEEEPmJS6_EEE10hipError_tPvRmT3_T4_T5_T6_T7_T9_mT8_P12ihipStream_tbDpT10_ENKUlT_T0_E_clISt17integral_constantIbLb0EES19_IbLb1EEEEDaS15_S16_EUlS15_E_NS1_11comp_targetILNS1_3genE3ELNS1_11target_archE908ELNS1_3gpuE7ELNS1_3repE0EEENS1_30default_config_static_selectorELNS0_4arch9wavefront6targetE1EEEvT1_
	.p2align	8
	.type	_ZN7rocprim17ROCPRIM_400000_NS6detail17trampoline_kernelINS0_14default_configENS1_25partition_config_selectorILNS1_17partition_subalgoE8EyNS0_10empty_typeEbEEZZNS1_14partition_implILS5_8ELb0ES3_jN6thrust23THRUST_200600_302600_NS6detail15normal_iteratorINSA_10device_ptrIyEEEEPS6_PKS6_NS0_5tupleIJSF_S6_EEENSJ_IJSG_SG_EEENS0_18inequality_wrapperINSA_8equal_toIyEEEEPmJS6_EEE10hipError_tPvRmT3_T4_T5_T6_T7_T9_mT8_P12ihipStream_tbDpT10_ENKUlT_T0_E_clISt17integral_constantIbLb0EES19_IbLb1EEEEDaS15_S16_EUlS15_E_NS1_11comp_targetILNS1_3genE3ELNS1_11target_archE908ELNS1_3gpuE7ELNS1_3repE0EEENS1_30default_config_static_selectorELNS0_4arch9wavefront6targetE1EEEvT1_,@function
_ZN7rocprim17ROCPRIM_400000_NS6detail17trampoline_kernelINS0_14default_configENS1_25partition_config_selectorILNS1_17partition_subalgoE8EyNS0_10empty_typeEbEEZZNS1_14partition_implILS5_8ELb0ES3_jN6thrust23THRUST_200600_302600_NS6detail15normal_iteratorINSA_10device_ptrIyEEEEPS6_PKS6_NS0_5tupleIJSF_S6_EEENSJ_IJSG_SG_EEENS0_18inequality_wrapperINSA_8equal_toIyEEEEPmJS6_EEE10hipError_tPvRmT3_T4_T5_T6_T7_T9_mT8_P12ihipStream_tbDpT10_ENKUlT_T0_E_clISt17integral_constantIbLb0EES19_IbLb1EEEEDaS15_S16_EUlS15_E_NS1_11comp_targetILNS1_3genE3ELNS1_11target_archE908ELNS1_3gpuE7ELNS1_3repE0EEENS1_30default_config_static_selectorELNS0_4arch9wavefront6targetE1EEEvT1_: ; @_ZN7rocprim17ROCPRIM_400000_NS6detail17trampoline_kernelINS0_14default_configENS1_25partition_config_selectorILNS1_17partition_subalgoE8EyNS0_10empty_typeEbEEZZNS1_14partition_implILS5_8ELb0ES3_jN6thrust23THRUST_200600_302600_NS6detail15normal_iteratorINSA_10device_ptrIyEEEEPS6_PKS6_NS0_5tupleIJSF_S6_EEENSJ_IJSG_SG_EEENS0_18inequality_wrapperINSA_8equal_toIyEEEEPmJS6_EEE10hipError_tPvRmT3_T4_T5_T6_T7_T9_mT8_P12ihipStream_tbDpT10_ENKUlT_T0_E_clISt17integral_constantIbLb0EES19_IbLb1EEEEDaS15_S16_EUlS15_E_NS1_11comp_targetILNS1_3genE3ELNS1_11target_archE908ELNS1_3gpuE7ELNS1_3repE0EEENS1_30default_config_static_selectorELNS0_4arch9wavefront6targetE1EEEvT1_
; %bb.0:
	.section	.rodata,"a",@progbits
	.p2align	6, 0x0
	.amdhsa_kernel _ZN7rocprim17ROCPRIM_400000_NS6detail17trampoline_kernelINS0_14default_configENS1_25partition_config_selectorILNS1_17partition_subalgoE8EyNS0_10empty_typeEbEEZZNS1_14partition_implILS5_8ELb0ES3_jN6thrust23THRUST_200600_302600_NS6detail15normal_iteratorINSA_10device_ptrIyEEEEPS6_PKS6_NS0_5tupleIJSF_S6_EEENSJ_IJSG_SG_EEENS0_18inequality_wrapperINSA_8equal_toIyEEEEPmJS6_EEE10hipError_tPvRmT3_T4_T5_T6_T7_T9_mT8_P12ihipStream_tbDpT10_ENKUlT_T0_E_clISt17integral_constantIbLb0EES19_IbLb1EEEEDaS15_S16_EUlS15_E_NS1_11comp_targetILNS1_3genE3ELNS1_11target_archE908ELNS1_3gpuE7ELNS1_3repE0EEENS1_30default_config_static_selectorELNS0_4arch9wavefront6targetE1EEEvT1_
		.amdhsa_group_segment_fixed_size 0
		.amdhsa_private_segment_fixed_size 0
		.amdhsa_kernarg_size 128
		.amdhsa_user_sgpr_count 6
		.amdhsa_user_sgpr_private_segment_buffer 1
		.amdhsa_user_sgpr_dispatch_ptr 0
		.amdhsa_user_sgpr_queue_ptr 0
		.amdhsa_user_sgpr_kernarg_segment_ptr 1
		.amdhsa_user_sgpr_dispatch_id 0
		.amdhsa_user_sgpr_flat_scratch_init 0
		.amdhsa_user_sgpr_private_segment_size 0
		.amdhsa_uses_dynamic_stack 0
		.amdhsa_system_sgpr_private_segment_wavefront_offset 0
		.amdhsa_system_sgpr_workgroup_id_x 1
		.amdhsa_system_sgpr_workgroup_id_y 0
		.amdhsa_system_sgpr_workgroup_id_z 0
		.amdhsa_system_sgpr_workgroup_info 0
		.amdhsa_system_vgpr_workitem_id 0
		.amdhsa_next_free_vgpr 1
		.amdhsa_next_free_sgpr 0
		.amdhsa_reserve_vcc 0
		.amdhsa_reserve_flat_scratch 0
		.amdhsa_float_round_mode_32 0
		.amdhsa_float_round_mode_16_64 0
		.amdhsa_float_denorm_mode_32 3
		.amdhsa_float_denorm_mode_16_64 3
		.amdhsa_dx10_clamp 1
		.amdhsa_ieee_mode 1
		.amdhsa_fp16_overflow 0
		.amdhsa_exception_fp_ieee_invalid_op 0
		.amdhsa_exception_fp_denorm_src 0
		.amdhsa_exception_fp_ieee_div_zero 0
		.amdhsa_exception_fp_ieee_overflow 0
		.amdhsa_exception_fp_ieee_underflow 0
		.amdhsa_exception_fp_ieee_inexact 0
		.amdhsa_exception_int_div_zero 0
	.end_amdhsa_kernel
	.section	.text._ZN7rocprim17ROCPRIM_400000_NS6detail17trampoline_kernelINS0_14default_configENS1_25partition_config_selectorILNS1_17partition_subalgoE8EyNS0_10empty_typeEbEEZZNS1_14partition_implILS5_8ELb0ES3_jN6thrust23THRUST_200600_302600_NS6detail15normal_iteratorINSA_10device_ptrIyEEEEPS6_PKS6_NS0_5tupleIJSF_S6_EEENSJ_IJSG_SG_EEENS0_18inequality_wrapperINSA_8equal_toIyEEEEPmJS6_EEE10hipError_tPvRmT3_T4_T5_T6_T7_T9_mT8_P12ihipStream_tbDpT10_ENKUlT_T0_E_clISt17integral_constantIbLb0EES19_IbLb1EEEEDaS15_S16_EUlS15_E_NS1_11comp_targetILNS1_3genE3ELNS1_11target_archE908ELNS1_3gpuE7ELNS1_3repE0EEENS1_30default_config_static_selectorELNS0_4arch9wavefront6targetE1EEEvT1_,"axG",@progbits,_ZN7rocprim17ROCPRIM_400000_NS6detail17trampoline_kernelINS0_14default_configENS1_25partition_config_selectorILNS1_17partition_subalgoE8EyNS0_10empty_typeEbEEZZNS1_14partition_implILS5_8ELb0ES3_jN6thrust23THRUST_200600_302600_NS6detail15normal_iteratorINSA_10device_ptrIyEEEEPS6_PKS6_NS0_5tupleIJSF_S6_EEENSJ_IJSG_SG_EEENS0_18inequality_wrapperINSA_8equal_toIyEEEEPmJS6_EEE10hipError_tPvRmT3_T4_T5_T6_T7_T9_mT8_P12ihipStream_tbDpT10_ENKUlT_T0_E_clISt17integral_constantIbLb0EES19_IbLb1EEEEDaS15_S16_EUlS15_E_NS1_11comp_targetILNS1_3genE3ELNS1_11target_archE908ELNS1_3gpuE7ELNS1_3repE0EEENS1_30default_config_static_selectorELNS0_4arch9wavefront6targetE1EEEvT1_,comdat
.Lfunc_end172:
	.size	_ZN7rocprim17ROCPRIM_400000_NS6detail17trampoline_kernelINS0_14default_configENS1_25partition_config_selectorILNS1_17partition_subalgoE8EyNS0_10empty_typeEbEEZZNS1_14partition_implILS5_8ELb0ES3_jN6thrust23THRUST_200600_302600_NS6detail15normal_iteratorINSA_10device_ptrIyEEEEPS6_PKS6_NS0_5tupleIJSF_S6_EEENSJ_IJSG_SG_EEENS0_18inequality_wrapperINSA_8equal_toIyEEEEPmJS6_EEE10hipError_tPvRmT3_T4_T5_T6_T7_T9_mT8_P12ihipStream_tbDpT10_ENKUlT_T0_E_clISt17integral_constantIbLb0EES19_IbLb1EEEEDaS15_S16_EUlS15_E_NS1_11comp_targetILNS1_3genE3ELNS1_11target_archE908ELNS1_3gpuE7ELNS1_3repE0EEENS1_30default_config_static_selectorELNS0_4arch9wavefront6targetE1EEEvT1_, .Lfunc_end172-_ZN7rocprim17ROCPRIM_400000_NS6detail17trampoline_kernelINS0_14default_configENS1_25partition_config_selectorILNS1_17partition_subalgoE8EyNS0_10empty_typeEbEEZZNS1_14partition_implILS5_8ELb0ES3_jN6thrust23THRUST_200600_302600_NS6detail15normal_iteratorINSA_10device_ptrIyEEEEPS6_PKS6_NS0_5tupleIJSF_S6_EEENSJ_IJSG_SG_EEENS0_18inequality_wrapperINSA_8equal_toIyEEEEPmJS6_EEE10hipError_tPvRmT3_T4_T5_T6_T7_T9_mT8_P12ihipStream_tbDpT10_ENKUlT_T0_E_clISt17integral_constantIbLb0EES19_IbLb1EEEEDaS15_S16_EUlS15_E_NS1_11comp_targetILNS1_3genE3ELNS1_11target_archE908ELNS1_3gpuE7ELNS1_3repE0EEENS1_30default_config_static_selectorELNS0_4arch9wavefront6targetE1EEEvT1_
                                        ; -- End function
	.set _ZN7rocprim17ROCPRIM_400000_NS6detail17trampoline_kernelINS0_14default_configENS1_25partition_config_selectorILNS1_17partition_subalgoE8EyNS0_10empty_typeEbEEZZNS1_14partition_implILS5_8ELb0ES3_jN6thrust23THRUST_200600_302600_NS6detail15normal_iteratorINSA_10device_ptrIyEEEEPS6_PKS6_NS0_5tupleIJSF_S6_EEENSJ_IJSG_SG_EEENS0_18inequality_wrapperINSA_8equal_toIyEEEEPmJS6_EEE10hipError_tPvRmT3_T4_T5_T6_T7_T9_mT8_P12ihipStream_tbDpT10_ENKUlT_T0_E_clISt17integral_constantIbLb0EES19_IbLb1EEEEDaS15_S16_EUlS15_E_NS1_11comp_targetILNS1_3genE3ELNS1_11target_archE908ELNS1_3gpuE7ELNS1_3repE0EEENS1_30default_config_static_selectorELNS0_4arch9wavefront6targetE1EEEvT1_.num_vgpr, 0
	.set _ZN7rocprim17ROCPRIM_400000_NS6detail17trampoline_kernelINS0_14default_configENS1_25partition_config_selectorILNS1_17partition_subalgoE8EyNS0_10empty_typeEbEEZZNS1_14partition_implILS5_8ELb0ES3_jN6thrust23THRUST_200600_302600_NS6detail15normal_iteratorINSA_10device_ptrIyEEEEPS6_PKS6_NS0_5tupleIJSF_S6_EEENSJ_IJSG_SG_EEENS0_18inequality_wrapperINSA_8equal_toIyEEEEPmJS6_EEE10hipError_tPvRmT3_T4_T5_T6_T7_T9_mT8_P12ihipStream_tbDpT10_ENKUlT_T0_E_clISt17integral_constantIbLb0EES19_IbLb1EEEEDaS15_S16_EUlS15_E_NS1_11comp_targetILNS1_3genE3ELNS1_11target_archE908ELNS1_3gpuE7ELNS1_3repE0EEENS1_30default_config_static_selectorELNS0_4arch9wavefront6targetE1EEEvT1_.num_agpr, 0
	.set _ZN7rocprim17ROCPRIM_400000_NS6detail17trampoline_kernelINS0_14default_configENS1_25partition_config_selectorILNS1_17partition_subalgoE8EyNS0_10empty_typeEbEEZZNS1_14partition_implILS5_8ELb0ES3_jN6thrust23THRUST_200600_302600_NS6detail15normal_iteratorINSA_10device_ptrIyEEEEPS6_PKS6_NS0_5tupleIJSF_S6_EEENSJ_IJSG_SG_EEENS0_18inequality_wrapperINSA_8equal_toIyEEEEPmJS6_EEE10hipError_tPvRmT3_T4_T5_T6_T7_T9_mT8_P12ihipStream_tbDpT10_ENKUlT_T0_E_clISt17integral_constantIbLb0EES19_IbLb1EEEEDaS15_S16_EUlS15_E_NS1_11comp_targetILNS1_3genE3ELNS1_11target_archE908ELNS1_3gpuE7ELNS1_3repE0EEENS1_30default_config_static_selectorELNS0_4arch9wavefront6targetE1EEEvT1_.numbered_sgpr, 0
	.set _ZN7rocprim17ROCPRIM_400000_NS6detail17trampoline_kernelINS0_14default_configENS1_25partition_config_selectorILNS1_17partition_subalgoE8EyNS0_10empty_typeEbEEZZNS1_14partition_implILS5_8ELb0ES3_jN6thrust23THRUST_200600_302600_NS6detail15normal_iteratorINSA_10device_ptrIyEEEEPS6_PKS6_NS0_5tupleIJSF_S6_EEENSJ_IJSG_SG_EEENS0_18inequality_wrapperINSA_8equal_toIyEEEEPmJS6_EEE10hipError_tPvRmT3_T4_T5_T6_T7_T9_mT8_P12ihipStream_tbDpT10_ENKUlT_T0_E_clISt17integral_constantIbLb0EES19_IbLb1EEEEDaS15_S16_EUlS15_E_NS1_11comp_targetILNS1_3genE3ELNS1_11target_archE908ELNS1_3gpuE7ELNS1_3repE0EEENS1_30default_config_static_selectorELNS0_4arch9wavefront6targetE1EEEvT1_.num_named_barrier, 0
	.set _ZN7rocprim17ROCPRIM_400000_NS6detail17trampoline_kernelINS0_14default_configENS1_25partition_config_selectorILNS1_17partition_subalgoE8EyNS0_10empty_typeEbEEZZNS1_14partition_implILS5_8ELb0ES3_jN6thrust23THRUST_200600_302600_NS6detail15normal_iteratorINSA_10device_ptrIyEEEEPS6_PKS6_NS0_5tupleIJSF_S6_EEENSJ_IJSG_SG_EEENS0_18inequality_wrapperINSA_8equal_toIyEEEEPmJS6_EEE10hipError_tPvRmT3_T4_T5_T6_T7_T9_mT8_P12ihipStream_tbDpT10_ENKUlT_T0_E_clISt17integral_constantIbLb0EES19_IbLb1EEEEDaS15_S16_EUlS15_E_NS1_11comp_targetILNS1_3genE3ELNS1_11target_archE908ELNS1_3gpuE7ELNS1_3repE0EEENS1_30default_config_static_selectorELNS0_4arch9wavefront6targetE1EEEvT1_.private_seg_size, 0
	.set _ZN7rocprim17ROCPRIM_400000_NS6detail17trampoline_kernelINS0_14default_configENS1_25partition_config_selectorILNS1_17partition_subalgoE8EyNS0_10empty_typeEbEEZZNS1_14partition_implILS5_8ELb0ES3_jN6thrust23THRUST_200600_302600_NS6detail15normal_iteratorINSA_10device_ptrIyEEEEPS6_PKS6_NS0_5tupleIJSF_S6_EEENSJ_IJSG_SG_EEENS0_18inequality_wrapperINSA_8equal_toIyEEEEPmJS6_EEE10hipError_tPvRmT3_T4_T5_T6_T7_T9_mT8_P12ihipStream_tbDpT10_ENKUlT_T0_E_clISt17integral_constantIbLb0EES19_IbLb1EEEEDaS15_S16_EUlS15_E_NS1_11comp_targetILNS1_3genE3ELNS1_11target_archE908ELNS1_3gpuE7ELNS1_3repE0EEENS1_30default_config_static_selectorELNS0_4arch9wavefront6targetE1EEEvT1_.uses_vcc, 0
	.set _ZN7rocprim17ROCPRIM_400000_NS6detail17trampoline_kernelINS0_14default_configENS1_25partition_config_selectorILNS1_17partition_subalgoE8EyNS0_10empty_typeEbEEZZNS1_14partition_implILS5_8ELb0ES3_jN6thrust23THRUST_200600_302600_NS6detail15normal_iteratorINSA_10device_ptrIyEEEEPS6_PKS6_NS0_5tupleIJSF_S6_EEENSJ_IJSG_SG_EEENS0_18inequality_wrapperINSA_8equal_toIyEEEEPmJS6_EEE10hipError_tPvRmT3_T4_T5_T6_T7_T9_mT8_P12ihipStream_tbDpT10_ENKUlT_T0_E_clISt17integral_constantIbLb0EES19_IbLb1EEEEDaS15_S16_EUlS15_E_NS1_11comp_targetILNS1_3genE3ELNS1_11target_archE908ELNS1_3gpuE7ELNS1_3repE0EEENS1_30default_config_static_selectorELNS0_4arch9wavefront6targetE1EEEvT1_.uses_flat_scratch, 0
	.set _ZN7rocprim17ROCPRIM_400000_NS6detail17trampoline_kernelINS0_14default_configENS1_25partition_config_selectorILNS1_17partition_subalgoE8EyNS0_10empty_typeEbEEZZNS1_14partition_implILS5_8ELb0ES3_jN6thrust23THRUST_200600_302600_NS6detail15normal_iteratorINSA_10device_ptrIyEEEEPS6_PKS6_NS0_5tupleIJSF_S6_EEENSJ_IJSG_SG_EEENS0_18inequality_wrapperINSA_8equal_toIyEEEEPmJS6_EEE10hipError_tPvRmT3_T4_T5_T6_T7_T9_mT8_P12ihipStream_tbDpT10_ENKUlT_T0_E_clISt17integral_constantIbLb0EES19_IbLb1EEEEDaS15_S16_EUlS15_E_NS1_11comp_targetILNS1_3genE3ELNS1_11target_archE908ELNS1_3gpuE7ELNS1_3repE0EEENS1_30default_config_static_selectorELNS0_4arch9wavefront6targetE1EEEvT1_.has_dyn_sized_stack, 0
	.set _ZN7rocprim17ROCPRIM_400000_NS6detail17trampoline_kernelINS0_14default_configENS1_25partition_config_selectorILNS1_17partition_subalgoE8EyNS0_10empty_typeEbEEZZNS1_14partition_implILS5_8ELb0ES3_jN6thrust23THRUST_200600_302600_NS6detail15normal_iteratorINSA_10device_ptrIyEEEEPS6_PKS6_NS0_5tupleIJSF_S6_EEENSJ_IJSG_SG_EEENS0_18inequality_wrapperINSA_8equal_toIyEEEEPmJS6_EEE10hipError_tPvRmT3_T4_T5_T6_T7_T9_mT8_P12ihipStream_tbDpT10_ENKUlT_T0_E_clISt17integral_constantIbLb0EES19_IbLb1EEEEDaS15_S16_EUlS15_E_NS1_11comp_targetILNS1_3genE3ELNS1_11target_archE908ELNS1_3gpuE7ELNS1_3repE0EEENS1_30default_config_static_selectorELNS0_4arch9wavefront6targetE1EEEvT1_.has_recursion, 0
	.set _ZN7rocprim17ROCPRIM_400000_NS6detail17trampoline_kernelINS0_14default_configENS1_25partition_config_selectorILNS1_17partition_subalgoE8EyNS0_10empty_typeEbEEZZNS1_14partition_implILS5_8ELb0ES3_jN6thrust23THRUST_200600_302600_NS6detail15normal_iteratorINSA_10device_ptrIyEEEEPS6_PKS6_NS0_5tupleIJSF_S6_EEENSJ_IJSG_SG_EEENS0_18inequality_wrapperINSA_8equal_toIyEEEEPmJS6_EEE10hipError_tPvRmT3_T4_T5_T6_T7_T9_mT8_P12ihipStream_tbDpT10_ENKUlT_T0_E_clISt17integral_constantIbLb0EES19_IbLb1EEEEDaS15_S16_EUlS15_E_NS1_11comp_targetILNS1_3genE3ELNS1_11target_archE908ELNS1_3gpuE7ELNS1_3repE0EEENS1_30default_config_static_selectorELNS0_4arch9wavefront6targetE1EEEvT1_.has_indirect_call, 0
	.section	.AMDGPU.csdata,"",@progbits
; Kernel info:
; codeLenInByte = 0
; TotalNumSgprs: 4
; NumVgprs: 0
; ScratchSize: 0
; MemoryBound: 0
; FloatMode: 240
; IeeeMode: 1
; LDSByteSize: 0 bytes/workgroup (compile time only)
; SGPRBlocks: 0
; VGPRBlocks: 0
; NumSGPRsForWavesPerEU: 4
; NumVGPRsForWavesPerEU: 1
; Occupancy: 10
; WaveLimiterHint : 0
; COMPUTE_PGM_RSRC2:SCRATCH_EN: 0
; COMPUTE_PGM_RSRC2:USER_SGPR: 6
; COMPUTE_PGM_RSRC2:TRAP_HANDLER: 0
; COMPUTE_PGM_RSRC2:TGID_X_EN: 1
; COMPUTE_PGM_RSRC2:TGID_Y_EN: 0
; COMPUTE_PGM_RSRC2:TGID_Z_EN: 0
; COMPUTE_PGM_RSRC2:TIDIG_COMP_CNT: 0
	.section	.text._ZN7rocprim17ROCPRIM_400000_NS6detail17trampoline_kernelINS0_14default_configENS1_25partition_config_selectorILNS1_17partition_subalgoE8EyNS0_10empty_typeEbEEZZNS1_14partition_implILS5_8ELb0ES3_jN6thrust23THRUST_200600_302600_NS6detail15normal_iteratorINSA_10device_ptrIyEEEEPS6_PKS6_NS0_5tupleIJSF_S6_EEENSJ_IJSG_SG_EEENS0_18inequality_wrapperINSA_8equal_toIyEEEEPmJS6_EEE10hipError_tPvRmT3_T4_T5_T6_T7_T9_mT8_P12ihipStream_tbDpT10_ENKUlT_T0_E_clISt17integral_constantIbLb0EES19_IbLb1EEEEDaS15_S16_EUlS15_E_NS1_11comp_targetILNS1_3genE2ELNS1_11target_archE906ELNS1_3gpuE6ELNS1_3repE0EEENS1_30default_config_static_selectorELNS0_4arch9wavefront6targetE1EEEvT1_,"axG",@progbits,_ZN7rocprim17ROCPRIM_400000_NS6detail17trampoline_kernelINS0_14default_configENS1_25partition_config_selectorILNS1_17partition_subalgoE8EyNS0_10empty_typeEbEEZZNS1_14partition_implILS5_8ELb0ES3_jN6thrust23THRUST_200600_302600_NS6detail15normal_iteratorINSA_10device_ptrIyEEEEPS6_PKS6_NS0_5tupleIJSF_S6_EEENSJ_IJSG_SG_EEENS0_18inequality_wrapperINSA_8equal_toIyEEEEPmJS6_EEE10hipError_tPvRmT3_T4_T5_T6_T7_T9_mT8_P12ihipStream_tbDpT10_ENKUlT_T0_E_clISt17integral_constantIbLb0EES19_IbLb1EEEEDaS15_S16_EUlS15_E_NS1_11comp_targetILNS1_3genE2ELNS1_11target_archE906ELNS1_3gpuE6ELNS1_3repE0EEENS1_30default_config_static_selectorELNS0_4arch9wavefront6targetE1EEEvT1_,comdat
	.protected	_ZN7rocprim17ROCPRIM_400000_NS6detail17trampoline_kernelINS0_14default_configENS1_25partition_config_selectorILNS1_17partition_subalgoE8EyNS0_10empty_typeEbEEZZNS1_14partition_implILS5_8ELb0ES3_jN6thrust23THRUST_200600_302600_NS6detail15normal_iteratorINSA_10device_ptrIyEEEEPS6_PKS6_NS0_5tupleIJSF_S6_EEENSJ_IJSG_SG_EEENS0_18inequality_wrapperINSA_8equal_toIyEEEEPmJS6_EEE10hipError_tPvRmT3_T4_T5_T6_T7_T9_mT8_P12ihipStream_tbDpT10_ENKUlT_T0_E_clISt17integral_constantIbLb0EES19_IbLb1EEEEDaS15_S16_EUlS15_E_NS1_11comp_targetILNS1_3genE2ELNS1_11target_archE906ELNS1_3gpuE6ELNS1_3repE0EEENS1_30default_config_static_selectorELNS0_4arch9wavefront6targetE1EEEvT1_ ; -- Begin function _ZN7rocprim17ROCPRIM_400000_NS6detail17trampoline_kernelINS0_14default_configENS1_25partition_config_selectorILNS1_17partition_subalgoE8EyNS0_10empty_typeEbEEZZNS1_14partition_implILS5_8ELb0ES3_jN6thrust23THRUST_200600_302600_NS6detail15normal_iteratorINSA_10device_ptrIyEEEEPS6_PKS6_NS0_5tupleIJSF_S6_EEENSJ_IJSG_SG_EEENS0_18inequality_wrapperINSA_8equal_toIyEEEEPmJS6_EEE10hipError_tPvRmT3_T4_T5_T6_T7_T9_mT8_P12ihipStream_tbDpT10_ENKUlT_T0_E_clISt17integral_constantIbLb0EES19_IbLb1EEEEDaS15_S16_EUlS15_E_NS1_11comp_targetILNS1_3genE2ELNS1_11target_archE906ELNS1_3gpuE6ELNS1_3repE0EEENS1_30default_config_static_selectorELNS0_4arch9wavefront6targetE1EEEvT1_
	.globl	_ZN7rocprim17ROCPRIM_400000_NS6detail17trampoline_kernelINS0_14default_configENS1_25partition_config_selectorILNS1_17partition_subalgoE8EyNS0_10empty_typeEbEEZZNS1_14partition_implILS5_8ELb0ES3_jN6thrust23THRUST_200600_302600_NS6detail15normal_iteratorINSA_10device_ptrIyEEEEPS6_PKS6_NS0_5tupleIJSF_S6_EEENSJ_IJSG_SG_EEENS0_18inequality_wrapperINSA_8equal_toIyEEEEPmJS6_EEE10hipError_tPvRmT3_T4_T5_T6_T7_T9_mT8_P12ihipStream_tbDpT10_ENKUlT_T0_E_clISt17integral_constantIbLb0EES19_IbLb1EEEEDaS15_S16_EUlS15_E_NS1_11comp_targetILNS1_3genE2ELNS1_11target_archE906ELNS1_3gpuE6ELNS1_3repE0EEENS1_30default_config_static_selectorELNS0_4arch9wavefront6targetE1EEEvT1_
	.p2align	8
	.type	_ZN7rocprim17ROCPRIM_400000_NS6detail17trampoline_kernelINS0_14default_configENS1_25partition_config_selectorILNS1_17partition_subalgoE8EyNS0_10empty_typeEbEEZZNS1_14partition_implILS5_8ELb0ES3_jN6thrust23THRUST_200600_302600_NS6detail15normal_iteratorINSA_10device_ptrIyEEEEPS6_PKS6_NS0_5tupleIJSF_S6_EEENSJ_IJSG_SG_EEENS0_18inequality_wrapperINSA_8equal_toIyEEEEPmJS6_EEE10hipError_tPvRmT3_T4_T5_T6_T7_T9_mT8_P12ihipStream_tbDpT10_ENKUlT_T0_E_clISt17integral_constantIbLb0EES19_IbLb1EEEEDaS15_S16_EUlS15_E_NS1_11comp_targetILNS1_3genE2ELNS1_11target_archE906ELNS1_3gpuE6ELNS1_3repE0EEENS1_30default_config_static_selectorELNS0_4arch9wavefront6targetE1EEEvT1_,@function
_ZN7rocprim17ROCPRIM_400000_NS6detail17trampoline_kernelINS0_14default_configENS1_25partition_config_selectorILNS1_17partition_subalgoE8EyNS0_10empty_typeEbEEZZNS1_14partition_implILS5_8ELb0ES3_jN6thrust23THRUST_200600_302600_NS6detail15normal_iteratorINSA_10device_ptrIyEEEEPS6_PKS6_NS0_5tupleIJSF_S6_EEENSJ_IJSG_SG_EEENS0_18inequality_wrapperINSA_8equal_toIyEEEEPmJS6_EEE10hipError_tPvRmT3_T4_T5_T6_T7_T9_mT8_P12ihipStream_tbDpT10_ENKUlT_T0_E_clISt17integral_constantIbLb0EES19_IbLb1EEEEDaS15_S16_EUlS15_E_NS1_11comp_targetILNS1_3genE2ELNS1_11target_archE906ELNS1_3gpuE6ELNS1_3repE0EEENS1_30default_config_static_selectorELNS0_4arch9wavefront6targetE1EEEvT1_: ; @_ZN7rocprim17ROCPRIM_400000_NS6detail17trampoline_kernelINS0_14default_configENS1_25partition_config_selectorILNS1_17partition_subalgoE8EyNS0_10empty_typeEbEEZZNS1_14partition_implILS5_8ELb0ES3_jN6thrust23THRUST_200600_302600_NS6detail15normal_iteratorINSA_10device_ptrIyEEEEPS6_PKS6_NS0_5tupleIJSF_S6_EEENSJ_IJSG_SG_EEENS0_18inequality_wrapperINSA_8equal_toIyEEEEPmJS6_EEE10hipError_tPvRmT3_T4_T5_T6_T7_T9_mT8_P12ihipStream_tbDpT10_ENKUlT_T0_E_clISt17integral_constantIbLb0EES19_IbLb1EEEEDaS15_S16_EUlS15_E_NS1_11comp_targetILNS1_3genE2ELNS1_11target_archE906ELNS1_3gpuE6ELNS1_3repE0EEENS1_30default_config_static_selectorELNS0_4arch9wavefront6targetE1EEEvT1_
; %bb.0:
	s_load_dwordx2 s[24:25], s[4:5], 0x28
	s_load_dwordx4 s[20:23], s[4:5], 0x40
	s_load_dwordx2 s[6:7], s[4:5], 0x50
	s_load_dwordx2 s[28:29], s[4:5], 0x60
	v_cmp_ne_u32_e64 s[2:3], 0, v0
	v_cmp_eq_u32_e64 s[0:1], 0, v0
	s_and_saveexec_b64 s[8:9], s[0:1]
	s_cbranch_execz .LBB173_4
; %bb.1:
	s_mov_b64 s[12:13], exec
	v_mbcnt_lo_u32_b32 v1, s12, 0
	v_mbcnt_hi_u32_b32 v1, s13, v1
	v_cmp_eq_u32_e32 vcc, 0, v1
                                        ; implicit-def: $vgpr2
	s_and_saveexec_b64 s[10:11], vcc
	s_cbranch_execz .LBB173_3
; %bb.2:
	s_load_dwordx2 s[14:15], s[4:5], 0x70
	s_bcnt1_i32_b64 s12, s[12:13]
	v_mov_b32_e32 v2, 0
	v_mov_b32_e32 v3, s12
	s_waitcnt lgkmcnt(0)
	global_atomic_add v2, v2, v3, s[14:15] glc
.LBB173_3:
	s_or_b64 exec, exec, s[10:11]
	s_waitcnt vmcnt(0)
	v_readfirstlane_b32 s10, v2
	v_add_u32_e32 v1, s10, v1
	v_mov_b32_e32 v2, 0
	ds_write_b32 v2, v1
.LBB173_4:
	s_or_b64 exec, exec, s[8:9]
	v_mov_b32_e32 v2, 0
	s_load_dwordx4 s[8:11], s[4:5], 0x8
	s_load_dword s12, s[4:5], 0x68
	s_waitcnt lgkmcnt(0)
	s_barrier
	ds_read_b32 v1, v2
	s_waitcnt lgkmcnt(0)
	s_barrier
	global_load_dwordx2 v[17:18], v2, s[22:23]
	s_lshl_b64 s[4:5], s[10:11], 3
	s_add_u32 s8, s8, s4
	s_movk_i32 s4, 0x700
	v_readfirstlane_b32 s33, v1
	v_mul_lo_u32 v1, v1, s4
	s_mul_i32 s4, s12, 0x700
	s_addc_u32 s9, s9, s5
	s_add_i32 s5, s4, s10
	s_add_i32 s13, s12, -1
	s_sub_i32 s38, s6, s5
	s_add_u32 s4, s10, s4
	s_addc_u32 s5, s11, 0
	v_mov_b32_e32 v3, s4
	v_mov_b32_e32 v4, s5
	v_cmp_le_u64_e32 vcc, s[6:7], v[3:4]
	s_cmp_eq_u32 s33, s13
	v_lshlrev_b64 v[1:2], 3, v[1:2]
	s_cselect_b64 s[22:23], -1, 0
	s_and_b64 s[16:17], vcc, s[22:23]
	v_mov_b32_e32 v3, s9
	v_add_co_u32_e32 v19, vcc, s8, v1
	s_xor_b64 s[26:27], s[16:17], -1
	v_addc_co_u32_e32 v20, vcc, v3, v2, vcc
	s_mov_b64 s[4:5], -1
	s_and_b64 vcc, exec, s[26:27]
	v_lshlrev_b32_e32 v37, 3, v0
	s_cbranch_vccz .LBB173_6
; %bb.5:
	v_lshlrev_b32_e32 v23, 3, v0
	v_add_co_u32_e32 v1, vcc, v19, v23
	v_addc_co_u32_e32 v2, vcc, 0, v20, vcc
	v_add_co_u32_e32 v3, vcc, 0x1000, v1
	v_addc_co_u32_e32 v4, vcc, 0, v2, vcc
	flat_load_dwordx2 v[5:6], v[1:2]
	flat_load_dwordx2 v[7:8], v[1:2] offset:2048
	flat_load_dwordx2 v[9:10], v[3:4]
	flat_load_dwordx2 v[11:12], v[3:4] offset:2048
	v_add_co_u32_e32 v3, vcc, 0x2000, v1
	v_addc_co_u32_e32 v4, vcc, 0, v2, vcc
	v_add_co_u32_e32 v1, vcc, 0x3000, v1
	v_addc_co_u32_e32 v2, vcc, 0, v2, vcc
	flat_load_dwordx2 v[13:14], v[3:4]
	flat_load_dwordx2 v[15:16], v[3:4] offset:2048
	flat_load_dwordx2 v[21:22], v[1:2]
	s_mov_b64 s[4:5], 0
	s_waitcnt vmcnt(0) lgkmcnt(0)
	ds_write2st64_b64 v23, v[5:6], v[7:8] offset1:4
	ds_write2st64_b64 v23, v[9:10], v[11:12] offset0:8 offset1:12
	ds_write2st64_b64 v23, v[13:14], v[15:16] offset0:16 offset1:20
	ds_write_b64 v23, v[21:22] offset:12288
	s_waitcnt lgkmcnt(0)
	s_barrier
.LBB173_6:
	s_andn2_b64 vcc, exec, s[4:5]
	s_addk_i32 s38, 0x700
	s_cbranch_vccnz .LBB173_22
; %bb.7:
	v_mov_b32_e32 v1, 0
	v_cmp_gt_u32_e32 vcc, s38, v0
	v_mov_b32_e32 v2, v1
	v_mov_b32_e32 v3, v1
	;; [unrolled: 1-line block ×13, first 2 shown]
	s_and_saveexec_b64 s[4:5], vcc
	s_cbranch_execz .LBB173_9
; %bb.8:
	v_lshlrev_b32_e32 v2, 3, v0
	v_add_co_u32_e32 v2, vcc, v19, v2
	v_addc_co_u32_e32 v3, vcc, 0, v20, vcc
	flat_load_dwordx2 v[2:3], v[2:3]
	v_mov_b32_e32 v4, v1
	v_mov_b32_e32 v5, v1
	;; [unrolled: 1-line block ×12, first 2 shown]
	s_waitcnt vmcnt(0) lgkmcnt(0)
	v_mov_b32_e32 v1, v2
	v_mov_b32_e32 v2, v3
	;; [unrolled: 1-line block ×16, first 2 shown]
.LBB173_9:
	s_or_b64 exec, exec, s[4:5]
	v_or_b32_e32 v15, 0x100, v0
	v_cmp_gt_u32_e32 vcc, s38, v15
	s_and_saveexec_b64 s[4:5], vcc
	s_cbranch_execz .LBB173_11
; %bb.10:
	v_lshlrev_b32_e32 v3, 3, v0
	v_add_co_u32_e32 v3, vcc, v19, v3
	v_addc_co_u32_e32 v4, vcc, 0, v20, vcc
	flat_load_dwordx2 v[3:4], v[3:4] offset:2048
.LBB173_11:
	s_or_b64 exec, exec, s[4:5]
	v_or_b32_e32 v15, 0x200, v0
	v_cmp_gt_u32_e32 vcc, s38, v15
	s_and_saveexec_b64 s[4:5], vcc
	s_cbranch_execz .LBB173_13
; %bb.12:
	v_lshlrev_b32_e32 v5, 3, v15
	v_add_co_u32_e32 v5, vcc, v19, v5
	v_addc_co_u32_e32 v6, vcc, 0, v20, vcc
	flat_load_dwordx2 v[5:6], v[5:6]
.LBB173_13:
	s_or_b64 exec, exec, s[4:5]
	v_or_b32_e32 v15, 0x300, v0
	v_cmp_gt_u32_e32 vcc, s38, v15
	s_and_saveexec_b64 s[4:5], vcc
	s_cbranch_execz .LBB173_15
; %bb.14:
	v_lshlrev_b32_e32 v7, 3, v15
	v_add_co_u32_e32 v7, vcc, v19, v7
	v_addc_co_u32_e32 v8, vcc, 0, v20, vcc
	flat_load_dwordx2 v[7:8], v[7:8]
.LBB173_15:
	;; [unrolled: 11-line block ×5, first 2 shown]
	s_or_b64 exec, exec, s[4:5]
	v_lshlrev_b32_e32 v15, 3, v0
	s_waitcnt vmcnt(0) lgkmcnt(0)
	ds_write2st64_b64 v15, v[1:2], v[3:4] offset1:4
	ds_write2st64_b64 v15, v[5:6], v[7:8] offset0:8 offset1:12
	ds_write2st64_b64 v15, v[9:10], v[11:12] offset0:16 offset1:20
	ds_write_b64 v15, v[13:14] offset:12288
	s_waitcnt lgkmcnt(0)
	s_barrier
.LBB173_22:
	v_mul_u32_u24_e32 v21, 7, v0
	v_lshlrev_b32_e32 v22, 3, v21
	ds_read2_b64 v[9:12], v22 offset1:1
	ds_read2_b64 v[5:8], v22 offset0:2 offset1:3
	ds_read2_b64 v[1:4], v22 offset0:4 offset1:5
	ds_read_b64 v[13:14], v22 offset:48
	s_cmp_lg_u32 s33, 0
	s_cselect_b64 s[18:19], -1, 0
	s_cmp_lg_u64 s[10:11], 0
	s_cselect_b64 s[4:5], -1, 0
	s_or_b64 s[4:5], s[4:5], s[18:19]
	s_mov_b64 s[30:31], 0
	s_and_b64 vcc, exec, s[4:5]
	s_waitcnt vmcnt(0) lgkmcnt(0)
	s_barrier
	s_cbranch_vccz .LBB173_27
; %bb.23:
	v_add_co_u32_e32 v15, vcc, -8, v19
	v_addc_co_u32_e32 v16, vcc, -1, v20, vcc
	flat_load_dwordx2 v[15:16], v[15:16]
	v_lshlrev_b32_e32 v23, 3, v0
	s_and_b64 vcc, exec, s[26:27]
	ds_write_b64 v23, v[13:14]
	s_cbranch_vccz .LBB173_28
; %bb.24:
	s_waitcnt vmcnt(0) lgkmcnt(0)
	v_mov_b32_e32 v20, v16
	v_mov_b32_e32 v19, v15
	s_barrier
	s_and_saveexec_b64 s[4:5], s[2:3]
; %bb.25:
	v_add_u32_e32 v19, -8, v23
	ds_read_b64 v[19:20], v19
; %bb.26:
	s_or_b64 exec, exec, s[4:5]
	v_cmp_ne_u64_e32 vcc, v[3:4], v[13:14]
	s_waitcnt lgkmcnt(0)
	v_cmp_ne_u64_e64 s[34:35], v[19:20], v[9:10]
	v_cndmask_b32_e64 v38, 0, 1, vcc
	v_cmp_ne_u64_e32 vcc, v[1:2], v[3:4]
	v_cndmask_b32_e64 v39, 0, 1, vcc
	v_cmp_ne_u64_e32 vcc, v[7:8], v[1:2]
	;; [unrolled: 2-line block ×5, first 2 shown]
	v_cndmask_b32_e64 v43, 0, 1, vcc
	s_branch .LBB173_32
.LBB173_27:
                                        ; implicit-def: $sgpr34_sgpr35
                                        ; implicit-def: $vgpr38
                                        ; implicit-def: $vgpr39
                                        ; implicit-def: $vgpr40
                                        ; implicit-def: $vgpr41
                                        ; implicit-def: $vgpr42
                                        ; implicit-def: $vgpr43
	s_branch .LBB173_33
.LBB173_28:
                                        ; implicit-def: $sgpr34_sgpr35
                                        ; implicit-def: $vgpr38
                                        ; implicit-def: $vgpr39
                                        ; implicit-def: $vgpr40
                                        ; implicit-def: $vgpr41
                                        ; implicit-def: $vgpr42
                                        ; implicit-def: $vgpr43
	s_cbranch_execz .LBB173_32
; %bb.29:
	s_waitcnt vmcnt(0) lgkmcnt(0)
	s_barrier
	s_and_saveexec_b64 s[4:5], s[2:3]
; %bb.30:
	v_add_u32_e32 v15, -8, v23
	ds_read_b64 v[15:16], v15
; %bb.31:
	s_or_b64 exec, exec, s[4:5]
	v_add_u32_e32 v19, 6, v21
	v_cmp_ne_u64_e32 vcc, v[3:4], v[13:14]
	v_cmp_gt_u32_e64 s[4:5], s38, v19
	s_and_b64 s[4:5], s[4:5], vcc
	v_add_u32_e32 v19, 5, v21
	v_cmp_ne_u64_e32 vcc, v[1:2], v[3:4]
	v_cndmask_b32_e64 v38, 0, 1, s[4:5]
	v_cmp_gt_u32_e64 s[4:5], s38, v19
	s_and_b64 s[4:5], s[4:5], vcc
	v_add_u32_e32 v19, 4, v21
	v_cmp_ne_u64_e32 vcc, v[7:8], v[1:2]
	v_cndmask_b32_e64 v39, 0, 1, s[4:5]
	;; [unrolled: 5-line block ×5, first 2 shown]
	v_cmp_gt_u32_e64 s[4:5], s38, v19
	s_and_b64 s[4:5], s[4:5], vcc
	s_waitcnt lgkmcnt(0)
	v_cmp_ne_u64_e32 vcc, v[15:16], v[9:10]
	v_cndmask_b32_e64 v43, 0, 1, s[4:5]
	v_cmp_gt_u32_e64 s[4:5], s38, v21
	s_and_b64 s[34:35], s[4:5], vcc
.LBB173_32:
	s_mov_b64 s[30:31], -1
	s_cbranch_execnz .LBB173_41
.LBB173_33:
	s_movk_i32 s4, 0xffd0
	s_waitcnt vmcnt(0) lgkmcnt(0)
	v_mad_i32_i24 v15, v0, s4, v22
	v_cmp_ne_u64_e64 s[4:5], v[3:4], v[13:14]
	v_cmp_ne_u64_e64 s[6:7], v[1:2], v[3:4]
	;; [unrolled: 1-line block ×6, first 2 shown]
	s_and_b64 vcc, exec, s[26:27]
	ds_write_b64 v15, v[13:14]
	s_cbranch_vccz .LBB173_37
; %bb.34:
	s_waitcnt lgkmcnt(0)
	s_barrier
                                        ; implicit-def: $sgpr34_sgpr35
	s_and_saveexec_b64 s[36:37], s[2:3]
	s_xor_b64 s[36:37], exec, s[36:37]
	s_cbranch_execz .LBB173_36
; %bb.35:
	v_add_u32_e32 v16, -8, v15
	ds_read_b64 v[19:20], v16
	s_or_b64 s[30:31], s[30:31], exec
	s_waitcnt lgkmcnt(0)
	v_cmp_ne_u64_e64 s[34:35], v[19:20], v[9:10]
.LBB173_36:
	s_or_b64 exec, exec, s[36:37]
	v_cndmask_b32_e64 v38, 0, 1, s[4:5]
	v_cndmask_b32_e64 v39, 0, 1, s[6:7]
	;; [unrolled: 1-line block ×6, first 2 shown]
	s_branch .LBB173_41
.LBB173_37:
                                        ; implicit-def: $sgpr34_sgpr35
                                        ; implicit-def: $vgpr38
                                        ; implicit-def: $vgpr39
                                        ; implicit-def: $vgpr40
                                        ; implicit-def: $vgpr41
                                        ; implicit-def: $vgpr42
                                        ; implicit-def: $vgpr43
	s_cbranch_execz .LBB173_41
; %bb.38:
	v_add_u32_e32 v16, 6, v21
	v_cmp_ne_u64_e32 vcc, v[3:4], v[13:14]
	v_cmp_gt_u32_e64 s[4:5], s38, v16
	s_and_b64 s[6:7], s[4:5], vcc
	v_add_u32_e32 v16, 5, v21
	v_cmp_ne_u64_e32 vcc, v[1:2], v[3:4]
	v_cmp_gt_u32_e64 s[4:5], s38, v16
	s_and_b64 s[8:9], s[4:5], vcc
	;; [unrolled: 4-line block ×6, first 2 shown]
	s_waitcnt lgkmcnt(0)
	s_barrier
                                        ; implicit-def: $sgpr34_sgpr35
	s_and_saveexec_b64 s[36:37], s[2:3]
	s_cbranch_execz .LBB173_40
; %bb.39:
	v_add_u32_e32 v15, -8, v15
	ds_read_b64 v[15:16], v15
	v_cmp_gt_u32_e64 s[2:3], s38, v21
	s_or_b64 s[30:31], s[30:31], exec
	s_waitcnt lgkmcnt(0)
	v_cmp_ne_u64_e32 vcc, v[15:16], v[9:10]
	s_and_b64 s[34:35], s[2:3], vcc
.LBB173_40:
	s_or_b64 exec, exec, s[36:37]
	v_cndmask_b32_e64 v38, 0, 1, s[6:7]
	v_cndmask_b32_e64 v39, 0, 1, s[8:9]
	;; [unrolled: 1-line block ×6, first 2 shown]
.LBB173_41:
	v_mov_b32_e32 v28, 1
	s_and_saveexec_b64 s[2:3], s[30:31]
; %bb.42:
	v_cndmask_b32_e64 v28, 0, 1, s[34:35]
; %bb.43:
	s_or_b64 exec, exec, s[2:3]
	s_andn2_b64 vcc, exec, s[16:17]
	s_cbranch_vccnz .LBB173_45
; %bb.44:
	v_cmp_gt_u32_e32 vcc, s38, v21
	s_waitcnt vmcnt(0) lgkmcnt(0)
	v_add_u32_e32 v15, 1, v21
	v_cndmask_b32_e32 v28, 0, v28, vcc
	v_cmp_gt_u32_e32 vcc, s38, v15
	v_add_u32_e32 v15, 2, v21
	v_cndmask_b32_e32 v43, 0, v43, vcc
	v_cmp_gt_u32_e32 vcc, s38, v15
	;; [unrolled: 3-line block ×6, first 2 shown]
	v_cndmask_b32_e32 v38, 0, v38, vcc
.LBB173_45:
	v_and_b32_e32 v27, 0xffff, v28
	v_and_b32_e32 v30, 0xff, v43
	;; [unrolled: 1-line block ×5, first 2 shown]
	s_waitcnt vmcnt(0) lgkmcnt(0)
	v_add3_u32 v16, v30, v27, v31
	v_and_b32_e32 v36, 0xff, v39
	v_and_b32_e32 v15, 0xff, v38
	v_add3_u32 v16, v16, v32, v34
	v_add3_u32 v44, v16, v36, v15
	v_mbcnt_lo_u32_b32 v15, -1, 0
	v_mbcnt_hi_u32_b32 v33, -1, v15
	v_and_b32_e32 v15, 15, v33
	v_cmp_eq_u32_e64 s[14:15], 0, v15
	v_cmp_lt_u32_e64 s[12:13], 1, v15
	v_cmp_lt_u32_e64 s[10:11], 3, v15
	;; [unrolled: 1-line block ×3, first 2 shown]
	v_and_b32_e32 v15, 16, v33
	v_cmp_eq_u32_e64 s[6:7], 0, v15
	v_or_b32_e32 v15, 63, v0
	v_cmp_lt_u32_e64 s[2:3], 31, v33
	v_lshrrev_b32_e32 v35, 6, v0
	v_cmp_eq_u32_e64 s[4:5], v0, v15
	s_and_b64 vcc, exec, s[18:19]
	s_barrier
	s_cbranch_vccz .LBB173_67
; %bb.46:
	v_mov_b32_dpp v15, v44 row_shr:1 row_mask:0xf bank_mask:0xf
	v_cndmask_b32_e64 v15, v15, 0, s[14:15]
	v_add_u32_e32 v15, v15, v44
	s_nop 1
	v_mov_b32_dpp v16, v15 row_shr:2 row_mask:0xf bank_mask:0xf
	v_cndmask_b32_e64 v16, 0, v16, s[12:13]
	v_add_u32_e32 v15, v15, v16
	s_nop 1
	;; [unrolled: 4-line block ×4, first 2 shown]
	v_mov_b32_dpp v16, v15 row_bcast:15 row_mask:0xf bank_mask:0xf
	v_cndmask_b32_e64 v16, v16, 0, s[6:7]
	v_add_u32_e32 v15, v15, v16
	s_nop 1
	v_mov_b32_dpp v16, v15 row_bcast:31 row_mask:0xf bank_mask:0xf
	v_cndmask_b32_e64 v16, 0, v16, s[2:3]
	v_add_u32_e32 v15, v15, v16
	s_and_saveexec_b64 s[16:17], s[4:5]
; %bb.47:
	v_lshlrev_b32_e32 v16, 2, v35
	ds_write_b32 v16, v15
; %bb.48:
	s_or_b64 exec, exec, s[16:17]
	v_cmp_gt_u32_e32 vcc, 4, v0
	s_waitcnt lgkmcnt(0)
	s_barrier
	s_and_saveexec_b64 s[16:17], vcc
	s_cbranch_execz .LBB173_50
; %bb.49:
	v_lshlrev_b32_e32 v16, 2, v0
	ds_read_b32 v19, v16
	v_and_b32_e32 v20, 3, v33
	v_cmp_ne_u32_e32 vcc, 0, v20
	s_waitcnt lgkmcnt(0)
	v_mov_b32_dpp v21, v19 row_shr:1 row_mask:0xf bank_mask:0xf
	v_cndmask_b32_e32 v21, 0, v21, vcc
	v_add_u32_e32 v19, v21, v19
	v_cmp_lt_u32_e32 vcc, 1, v20
	s_nop 0
	v_mov_b32_dpp v21, v19 row_shr:2 row_mask:0xf bank_mask:0xf
	v_cndmask_b32_e32 v20, 0, v21, vcc
	v_add_u32_e32 v19, v19, v20
	ds_write_b32 v16, v19
.LBB173_50:
	s_or_b64 exec, exec, s[16:17]
	v_cmp_gt_u32_e32 vcc, 64, v0
	v_cmp_lt_u32_e64 s[16:17], 63, v0
	s_waitcnt lgkmcnt(0)
	s_barrier
                                        ; implicit-def: $vgpr29
	s_and_saveexec_b64 s[18:19], s[16:17]
	s_cbranch_execz .LBB173_52
; %bb.51:
	v_lshl_add_u32 v16, v35, 2, -4
	ds_read_b32 v29, v16
	s_waitcnt lgkmcnt(0)
	v_add_u32_e32 v15, v29, v15
.LBB173_52:
	s_or_b64 exec, exec, s[18:19]
	v_subrev_co_u32_e64 v16, s[16:17], 1, v33
	v_and_b32_e32 v19, 64, v33
	v_cmp_lt_i32_e64 s[18:19], v16, v19
	v_cndmask_b32_e64 v16, v16, v33, s[18:19]
	v_lshlrev_b32_e32 v16, 2, v16
	ds_bpermute_b32 v45, v16, v15
	s_and_saveexec_b64 s[18:19], vcc
	s_cbranch_execz .LBB173_72
; %bb.53:
	v_mov_b32_e32 v23, 0
	ds_read_b32 v15, v23 offset:12
	s_and_saveexec_b64 s[30:31], s[16:17]
	s_cbranch_execz .LBB173_55
; %bb.54:
	s_add_i32 s34, s33, 64
	s_mov_b32 s35, 0
	s_lshl_b64 s[34:35], s[34:35], 3
	s_add_u32 s34, s28, s34
	v_mov_b32_e32 v16, 1
	s_addc_u32 s35, s29, s35
	s_waitcnt lgkmcnt(0)
	global_store_dwordx2 v23, v[15:16], s[34:35]
.LBB173_55:
	s_or_b64 exec, exec, s[30:31]
	v_xad_u32 v19, v33, -1, s33
	v_add_u32_e32 v22, 64, v19
	v_lshlrev_b64 v[20:21], 3, v[22:23]
	v_mov_b32_e32 v16, s29
	v_add_co_u32_e32 v24, vcc, s28, v20
	v_addc_co_u32_e32 v25, vcc, v16, v21, vcc
	global_load_dwordx2 v[21:22], v[24:25], off glc
	s_waitcnt vmcnt(0)
	v_cmp_eq_u16_sdwa s[34:35], v22, v23 src0_sel:BYTE_0 src1_sel:DWORD
	s_and_saveexec_b64 s[30:31], s[34:35]
	s_cbranch_execz .LBB173_59
; %bb.56:
	s_mov_b64 s[34:35], 0
	v_mov_b32_e32 v16, 0
.LBB173_57:                             ; =>This Inner Loop Header: Depth=1
	global_load_dwordx2 v[21:22], v[24:25], off glc
	s_waitcnt vmcnt(0)
	v_cmp_ne_u16_sdwa s[36:37], v22, v16 src0_sel:BYTE_0 src1_sel:DWORD
	s_or_b64 s[34:35], s[36:37], s[34:35]
	s_andn2_b64 exec, exec, s[34:35]
	s_cbranch_execnz .LBB173_57
; %bb.58:
	s_or_b64 exec, exec, s[34:35]
.LBB173_59:
	s_or_b64 exec, exec, s[30:31]
	v_and_b32_e32 v47, 63, v33
	v_mov_b32_e32 v46, 2
	v_lshlrev_b64 v[23:24], v33, -1
	v_cmp_ne_u32_e32 vcc, 63, v47
	v_cmp_eq_u16_sdwa s[30:31], v22, v46 src0_sel:BYTE_0 src1_sel:DWORD
	v_addc_co_u32_e32 v25, vcc, 0, v33, vcc
	v_and_b32_e32 v16, s31, v24
	v_lshlrev_b32_e32 v48, 2, v25
	v_or_b32_e32 v16, 0x80000000, v16
	ds_bpermute_b32 v25, v48, v21
	v_and_b32_e32 v20, s30, v23
	v_ffbl_b32_e32 v16, v16
	v_add_u32_e32 v16, 32, v16
	v_ffbl_b32_e32 v20, v20
	v_min_u32_e32 v16, v20, v16
	v_cmp_lt_u32_e32 vcc, v47, v16
	s_waitcnt lgkmcnt(0)
	v_cndmask_b32_e32 v20, 0, v25, vcc
	v_cmp_gt_u32_e32 vcc, 62, v47
	v_add_u32_e32 v20, v20, v21
	v_cndmask_b32_e64 v21, 0, 2, vcc
	v_add_lshl_u32 v49, v21, v33, 2
	ds_bpermute_b32 v21, v49, v20
	v_add_u32_e32 v50, 2, v47
	v_cmp_le_u32_e32 vcc, v50, v16
	v_add_u32_e32 v52, 4, v47
	v_add_u32_e32 v54, 8, v47
	s_waitcnt lgkmcnt(0)
	v_cndmask_b32_e32 v21, 0, v21, vcc
	v_cmp_gt_u32_e32 vcc, 60, v47
	v_add_u32_e32 v20, v20, v21
	v_cndmask_b32_e64 v21, 0, 4, vcc
	v_add_lshl_u32 v51, v21, v33, 2
	ds_bpermute_b32 v21, v51, v20
	v_cmp_le_u32_e32 vcc, v52, v16
	v_add_u32_e32 v56, 16, v47
	v_add_u32_e32 v58, 32, v47
	s_waitcnt lgkmcnt(0)
	v_cndmask_b32_e32 v21, 0, v21, vcc
	v_cmp_gt_u32_e32 vcc, 56, v47
	v_add_u32_e32 v20, v20, v21
	v_cndmask_b32_e64 v21, 0, 8, vcc
	v_add_lshl_u32 v53, v21, v33, 2
	ds_bpermute_b32 v21, v53, v20
	v_cmp_le_u32_e32 vcc, v54, v16
	s_waitcnt lgkmcnt(0)
	v_cndmask_b32_e32 v21, 0, v21, vcc
	v_cmp_gt_u32_e32 vcc, 48, v47
	v_add_u32_e32 v20, v20, v21
	v_cndmask_b32_e64 v21, 0, 16, vcc
	v_add_lshl_u32 v55, v21, v33, 2
	ds_bpermute_b32 v21, v55, v20
	v_cmp_le_u32_e32 vcc, v56, v16
	s_waitcnt lgkmcnt(0)
	v_cndmask_b32_e32 v21, 0, v21, vcc
	v_add_u32_e32 v20, v20, v21
	v_mov_b32_e32 v21, 0x80
	v_lshl_or_b32 v57, v33, 2, v21
	ds_bpermute_b32 v21, v57, v20
	v_cmp_le_u32_e32 vcc, v58, v16
	s_waitcnt lgkmcnt(0)
	v_cndmask_b32_e32 v16, 0, v21, vcc
	v_add_u32_e32 v21, v20, v16
	v_mov_b32_e32 v20, 0
	s_branch .LBB173_62
.LBB173_60:                             ;   in Loop: Header=BB173_62 Depth=1
	s_or_b64 exec, exec, s[30:31]
	v_cmp_eq_u16_sdwa s[30:31], v22, v46 src0_sel:BYTE_0 src1_sel:DWORD
	v_and_b32_e32 v25, s31, v24
	v_or_b32_e32 v25, 0x80000000, v25
	ds_bpermute_b32 v59, v48, v21
	v_and_b32_e32 v26, s30, v23
	v_ffbl_b32_e32 v25, v25
	v_add_u32_e32 v25, 32, v25
	v_ffbl_b32_e32 v26, v26
	v_min_u32_e32 v25, v26, v25
	v_cmp_lt_u32_e32 vcc, v47, v25
	s_waitcnt lgkmcnt(0)
	v_cndmask_b32_e32 v26, 0, v59, vcc
	v_add_u32_e32 v21, v26, v21
	ds_bpermute_b32 v26, v49, v21
	v_cmp_le_u32_e32 vcc, v50, v25
	v_subrev_u32_e32 v19, 64, v19
	s_mov_b64 s[30:31], 0
	s_waitcnt lgkmcnt(0)
	v_cndmask_b32_e32 v26, 0, v26, vcc
	v_add_u32_e32 v21, v21, v26
	ds_bpermute_b32 v26, v51, v21
	v_cmp_le_u32_e32 vcc, v52, v25
	s_waitcnt lgkmcnt(0)
	v_cndmask_b32_e32 v26, 0, v26, vcc
	v_add_u32_e32 v21, v21, v26
	ds_bpermute_b32 v26, v53, v21
	v_cmp_le_u32_e32 vcc, v54, v25
	;; [unrolled: 5-line block ×4, first 2 shown]
	s_waitcnt lgkmcnt(0)
	v_cndmask_b32_e32 v25, 0, v26, vcc
	v_add3_u32 v21, v25, v16, v21
.LBB173_61:                             ;   in Loop: Header=BB173_62 Depth=1
	s_and_b64 vcc, exec, s[30:31]
	s_cbranch_vccnz .LBB173_68
.LBB173_62:                             ; =>This Loop Header: Depth=1
                                        ;     Child Loop BB173_65 Depth 2
	v_cmp_ne_u16_sdwa s[30:31], v22, v46 src0_sel:BYTE_0 src1_sel:DWORD
	v_mov_b32_e32 v16, v21
	s_cmp_lg_u64 s[30:31], exec
	s_mov_b64 s[30:31], -1
                                        ; implicit-def: $vgpr21
                                        ; implicit-def: $vgpr22
	s_cbranch_scc1 .LBB173_61
; %bb.63:                               ;   in Loop: Header=BB173_62 Depth=1
	v_lshlrev_b64 v[21:22], 3, v[19:20]
	v_mov_b32_e32 v26, s29
	v_add_co_u32_e32 v25, vcc, s28, v21
	v_addc_co_u32_e32 v26, vcc, v26, v22, vcc
	global_load_dwordx2 v[21:22], v[25:26], off glc
	s_waitcnt vmcnt(0)
	v_cmp_eq_u16_sdwa s[34:35], v22, v20 src0_sel:BYTE_0 src1_sel:DWORD
	s_and_saveexec_b64 s[30:31], s[34:35]
	s_cbranch_execz .LBB173_60
; %bb.64:                               ;   in Loop: Header=BB173_62 Depth=1
	s_mov_b64 s[34:35], 0
.LBB173_65:                             ;   Parent Loop BB173_62 Depth=1
                                        ; =>  This Inner Loop Header: Depth=2
	global_load_dwordx2 v[21:22], v[25:26], off glc
	s_waitcnt vmcnt(0)
	v_cmp_ne_u16_sdwa s[36:37], v22, v20 src0_sel:BYTE_0 src1_sel:DWORD
	s_or_b64 s[34:35], s[36:37], s[34:35]
	s_andn2_b64 exec, exec, s[34:35]
	s_cbranch_execnz .LBB173_65
; %bb.66:                               ;   in Loop: Header=BB173_62 Depth=1
	s_or_b64 exec, exec, s[34:35]
	s_branch .LBB173_60
.LBB173_67:
                                        ; implicit-def: $vgpr19
                                        ; implicit-def: $vgpr15
                                        ; implicit-def: $vgpr29
	s_cbranch_execnz .LBB173_73
	s_branch .LBB173_82
.LBB173_68:
	s_and_saveexec_b64 s[30:31], s[16:17]
	s_cbranch_execz .LBB173_70
; %bb.69:
	s_add_i32 s34, s33, 64
	s_mov_b32 s35, 0
	s_lshl_b64 s[34:35], s[34:35], 3
	s_add_u32 s34, s28, s34
	v_add_u32_e32 v19, v16, v15
	v_mov_b32_e32 v20, 2
	s_addc_u32 s35, s29, s35
	v_mov_b32_e32 v21, 0
	global_store_dwordx2 v21, v[19:20], s[34:35]
	ds_write_b64 v21, v[15:16] offset:14336
.LBB173_70:
	s_or_b64 exec, exec, s[30:31]
	s_and_b64 exec, exec, s[0:1]
; %bb.71:
	v_mov_b32_e32 v15, 0
	ds_write_b32 v15, v16 offset:12
.LBB173_72:
	s_or_b64 exec, exec, s[18:19]
	v_mov_b32_e32 v15, 0
	s_waitcnt vmcnt(0) lgkmcnt(0)
	s_barrier
	ds_read_b32 v19, v15 offset:12
	s_waitcnt lgkmcnt(0)
	s_barrier
	ds_read_b64 v[15:16], v15 offset:14336
	v_cndmask_b32_e64 v20, v45, v29, s[16:17]
	v_cndmask_b32_e64 v20, v20, 0, s[0:1]
	v_add_u32_e32 v29, v19, v20
	s_waitcnt lgkmcnt(0)
	v_mov_b32_e32 v19, v16
	s_branch .LBB173_82
.LBB173_73:
	v_mov_b32_dpp v15, v44 row_shr:1 row_mask:0xf bank_mask:0xf
	v_cndmask_b32_e64 v15, v15, 0, s[14:15]
	v_add_u32_e32 v15, v15, v44
	s_nop 1
	v_mov_b32_dpp v16, v15 row_shr:2 row_mask:0xf bank_mask:0xf
	v_cndmask_b32_e64 v16, 0, v16, s[12:13]
	v_add_u32_e32 v15, v15, v16
	s_nop 1
	;; [unrolled: 4-line block ×4, first 2 shown]
	v_mov_b32_dpp v16, v15 row_bcast:15 row_mask:0xf bank_mask:0xf
	v_cndmask_b32_e64 v16, v16, 0, s[6:7]
	v_add_u32_e32 v15, v15, v16
	s_nop 1
	v_mov_b32_dpp v16, v15 row_bcast:31 row_mask:0xf bank_mask:0xf
	v_cndmask_b32_e64 v16, 0, v16, s[2:3]
	v_add_u32_e32 v15, v15, v16
	s_and_saveexec_b64 s[2:3], s[4:5]
; %bb.74:
	v_lshlrev_b32_e32 v16, 2, v35
	ds_write_b32 v16, v15
; %bb.75:
	s_or_b64 exec, exec, s[2:3]
	v_cmp_gt_u32_e32 vcc, 4, v0
	s_waitcnt lgkmcnt(0)
	s_barrier
	s_and_saveexec_b64 s[2:3], vcc
	s_cbranch_execz .LBB173_77
; %bb.76:
	v_lshlrev_b32_e32 v16, 2, v0
	ds_read_b32 v19, v16
	v_and_b32_e32 v20, 3, v33
	v_cmp_ne_u32_e32 vcc, 0, v20
	s_waitcnt lgkmcnt(0)
	v_mov_b32_dpp v21, v19 row_shr:1 row_mask:0xf bank_mask:0xf
	v_cndmask_b32_e32 v21, 0, v21, vcc
	v_add_u32_e32 v19, v21, v19
	v_cmp_lt_u32_e32 vcc, 1, v20
	s_nop 0
	v_mov_b32_dpp v21, v19 row_shr:2 row_mask:0xf bank_mask:0xf
	v_cndmask_b32_e32 v20, 0, v21, vcc
	v_add_u32_e32 v19, v19, v20
	ds_write_b32 v16, v19
.LBB173_77:
	s_or_b64 exec, exec, s[2:3]
	v_cmp_lt_u32_e32 vcc, 63, v0
	v_mov_b32_e32 v16, 0
	v_mov_b32_e32 v19, 0
	s_waitcnt lgkmcnt(0)
	s_barrier
	s_and_saveexec_b64 s[2:3], vcc
; %bb.78:
	v_lshl_add_u32 v19, v35, 2, -4
	ds_read_b32 v19, v19
; %bb.79:
	s_or_b64 exec, exec, s[2:3]
	v_subrev_co_u32_e32 v20, vcc, 1, v33
	v_and_b32_e32 v21, 64, v33
	v_cmp_lt_i32_e64 s[2:3], v20, v21
	v_cndmask_b32_e64 v20, v20, v33, s[2:3]
	s_waitcnt lgkmcnt(0)
	v_add_u32_e32 v15, v19, v15
	v_lshlrev_b32_e32 v20, 2, v20
	ds_bpermute_b32 v20, v20, v15
	ds_read_b32 v15, v16 offset:12
	s_and_saveexec_b64 s[2:3], s[0:1]
	s_cbranch_execz .LBB173_81
; %bb.80:
	v_mov_b32_e32 v21, 0
	v_mov_b32_e32 v16, 2
	s_waitcnt lgkmcnt(0)
	global_store_dwordx2 v21, v[15:16], s[28:29] offset:512
.LBB173_81:
	s_or_b64 exec, exec, s[2:3]
	s_waitcnt lgkmcnt(1)
	v_cndmask_b32_e32 v16, v20, v19, vcc
	v_cndmask_b32_e64 v29, v16, 0, s[0:1]
	s_waitcnt vmcnt(0) lgkmcnt(0)
	s_barrier
	v_mov_b32_e32 v19, 0
.LBB173_82:
	v_add_u32_e32 v35, v29, v27
	v_add_u32_e32 v33, v35, v30
	;; [unrolled: 1-line block ×4, first 2 shown]
	s_movk_i32 s4, 0x101
	v_add_u32_e32 v25, v27, v34
	v_cmp_gt_u32_e32 vcc, s4, v15
	v_lshlrev_b64 v[21:22], 3, v[17:18]
	v_add_u32_e32 v23, v25, v36
	s_mov_b64 s[2:3], -1
	v_and_b32_e32 v16, 1, v28
	s_cbranch_vccnz .LBB173_86
; %bb.83:
	s_and_b64 vcc, exec, s[2:3]
	s_cbranch_vccnz .LBB173_101
.LBB173_84:
	s_and_b64 s[0:1], s[0:1], s[22:23]
	s_and_saveexec_b64 s[2:3], s[0:1]
	s_cbranch_execnz .LBB173_118
.LBB173_85:
	s_endpgm
.LBB173_86:
	v_mov_b32_e32 v26, s25
	v_add_co_u32_e32 v20, vcc, s24, v21
	v_add_u32_e32 v24, v19, v15
	v_addc_co_u32_e32 v44, vcc, v26, v22, vcc
	v_cmp_lt_u32_e32 vcc, v29, v24
	s_or_b64 s[2:3], s[26:27], vcc
	v_cmp_eq_u32_e32 vcc, 1, v16
	s_and_b64 s[4:5], s[2:3], vcc
	s_and_saveexec_b64 s[2:3], s[4:5]
	s_cbranch_execz .LBB173_88
; %bb.87:
	v_mov_b32_e32 v30, 0
	v_lshlrev_b64 v[45:46], 3, v[29:30]
	v_add_co_u32_e32 v45, vcc, v20, v45
	v_addc_co_u32_e32 v46, vcc, v44, v46, vcc
	global_store_dwordx2 v[45:46], v[9:10], off
.LBB173_88:
	s_or_b64 exec, exec, s[2:3]
	v_cmp_lt_u32_e32 vcc, v35, v24
	v_and_b32_e32 v26, 1, v43
	s_or_b64 s[2:3], s[26:27], vcc
	v_cmp_eq_u32_e32 vcc, 1, v26
	s_and_b64 s[4:5], s[2:3], vcc
	s_and_saveexec_b64 s[2:3], s[4:5]
	s_cbranch_execz .LBB173_90
; %bb.89:
	v_mov_b32_e32 v36, 0
	v_lshlrev_b64 v[45:46], 3, v[35:36]
	v_add_co_u32_e32 v45, vcc, v20, v45
	v_addc_co_u32_e32 v46, vcc, v44, v46, vcc
	global_store_dwordx2 v[45:46], v[11:12], off
.LBB173_90:
	s_or_b64 exec, exec, s[2:3]
	v_cmp_lt_u32_e32 vcc, v33, v24
	v_and_b32_e32 v26, 1, v42
	;; [unrolled: 15-line block ×6, first 2 shown]
	s_or_b64 s[2:3], s[26:27], vcc
	v_cmp_eq_u32_e32 vcc, 1, v24
	s_and_b64 s[4:5], s[2:3], vcc
	s_and_saveexec_b64 s[2:3], s[4:5]
	s_cbranch_execz .LBB173_100
; %bb.99:
	v_mov_b32_e32 v24, 0
	v_lshlrev_b64 v[45:46], 3, v[23:24]
	v_add_co_u32_e32 v45, vcc, v20, v45
	v_addc_co_u32_e32 v46, vcc, v44, v46, vcc
	global_store_dwordx2 v[45:46], v[13:14], off
.LBB173_100:
	s_or_b64 exec, exec, s[2:3]
	s_branch .LBB173_84
.LBB173_101:
	v_cmp_eq_u32_e32 vcc, 1, v16
	s_and_saveexec_b64 s[2:3], vcc
; %bb.102:
	v_sub_u32_e32 v16, v29, v19
	v_lshlrev_b32_e32 v16, 3, v16
	ds_write_b64 v16, v[9:10]
; %bb.103:
	s_or_b64 exec, exec, s[2:3]
	v_and_b32_e32 v9, 1, v43
	v_cmp_eq_u32_e32 vcc, 1, v9
	s_and_saveexec_b64 s[2:3], vcc
; %bb.104:
	v_sub_u32_e32 v9, v35, v19
	v_lshlrev_b32_e32 v9, 3, v9
	ds_write_b64 v9, v[11:12]
; %bb.105:
	s_or_b64 exec, exec, s[2:3]
	v_and_b32_e32 v9, 1, v42
	;; [unrolled: 9-line block ×6, first 2 shown]
	v_cmp_eq_u32_e32 vcc, 1, v1
	s_and_saveexec_b64 s[2:3], vcc
; %bb.114:
	v_sub_u32_e32 v1, v23, v19
	v_lshlrev_b32_e32 v1, 3, v1
	ds_write_b64 v1, v[13:14]
; %bb.115:
	s_or_b64 exec, exec, s[2:3]
	v_mov_b32_e32 v1, 0
	v_mov_b32_e32 v20, v1
	;; [unrolled: 1-line block ×3, first 2 shown]
	v_add_co_u32_e32 v4, vcc, s24, v21
	v_addc_co_u32_e32 v5, vcc, v2, v22, vcc
	v_lshlrev_b64 v[2:3], 3, v[19:20]
	s_mov_b64 s[4:5], 0
	v_add_co_u32_e32 v2, vcc, v4, v2
	v_addc_co_u32_e32 v3, vcc, v5, v3, vcc
	s_waitcnt vmcnt(0) lgkmcnt(0)
	s_barrier
.LBB173_116:                            ; =>This Inner Loop Header: Depth=1
	ds_read_b64 v[6:7], v37
	v_lshlrev_b64 v[4:5], 3, v[0:1]
	v_add_u32_e32 v0, 0x100, v0
	v_cmp_ge_u32_e32 vcc, v0, v15
	v_add_co_u32_e64 v4, s[2:3], v2, v4
	v_add_u32_e32 v37, 0x800, v37
	v_addc_co_u32_e64 v5, s[2:3], v3, v5, s[2:3]
	s_or_b64 s[4:5], vcc, s[4:5]
	s_waitcnt lgkmcnt(0)
	global_store_dwordx2 v[4:5], v[6:7], off
	s_andn2_b64 exec, exec, s[4:5]
	s_cbranch_execnz .LBB173_116
; %bb.117:
	s_or_b64 exec, exec, s[4:5]
	s_and_b64 s[0:1], s[0:1], s[22:23]
	s_and_saveexec_b64 s[2:3], s[0:1]
	s_cbranch_execz .LBB173_85
.LBB173_118:
	v_add_co_u32_e32 v0, vcc, v17, v15
	v_addc_co_u32_e32 v1, vcc, 0, v18, vcc
	v_add_co_u32_e32 v0, vcc, v0, v19
	v_mov_b32_e32 v2, 0
	v_addc_co_u32_e32 v1, vcc, 0, v1, vcc
	global_store_dwordx2 v2, v[0:1], s[20:21]
	s_endpgm
	.section	.rodata,"a",@progbits
	.p2align	6, 0x0
	.amdhsa_kernel _ZN7rocprim17ROCPRIM_400000_NS6detail17trampoline_kernelINS0_14default_configENS1_25partition_config_selectorILNS1_17partition_subalgoE8EyNS0_10empty_typeEbEEZZNS1_14partition_implILS5_8ELb0ES3_jN6thrust23THRUST_200600_302600_NS6detail15normal_iteratorINSA_10device_ptrIyEEEEPS6_PKS6_NS0_5tupleIJSF_S6_EEENSJ_IJSG_SG_EEENS0_18inequality_wrapperINSA_8equal_toIyEEEEPmJS6_EEE10hipError_tPvRmT3_T4_T5_T6_T7_T9_mT8_P12ihipStream_tbDpT10_ENKUlT_T0_E_clISt17integral_constantIbLb0EES19_IbLb1EEEEDaS15_S16_EUlS15_E_NS1_11comp_targetILNS1_3genE2ELNS1_11target_archE906ELNS1_3gpuE6ELNS1_3repE0EEENS1_30default_config_static_selectorELNS0_4arch9wavefront6targetE1EEEvT1_
		.amdhsa_group_segment_fixed_size 14344
		.amdhsa_private_segment_fixed_size 0
		.amdhsa_kernarg_size 128
		.amdhsa_user_sgpr_count 6
		.amdhsa_user_sgpr_private_segment_buffer 1
		.amdhsa_user_sgpr_dispatch_ptr 0
		.amdhsa_user_sgpr_queue_ptr 0
		.amdhsa_user_sgpr_kernarg_segment_ptr 1
		.amdhsa_user_sgpr_dispatch_id 0
		.amdhsa_user_sgpr_flat_scratch_init 0
		.amdhsa_user_sgpr_private_segment_size 0
		.amdhsa_uses_dynamic_stack 0
		.amdhsa_system_sgpr_private_segment_wavefront_offset 0
		.amdhsa_system_sgpr_workgroup_id_x 1
		.amdhsa_system_sgpr_workgroup_id_y 0
		.amdhsa_system_sgpr_workgroup_id_z 0
		.amdhsa_system_sgpr_workgroup_info 0
		.amdhsa_system_vgpr_workitem_id 0
		.amdhsa_next_free_vgpr 60
		.amdhsa_next_free_sgpr 98
		.amdhsa_reserve_vcc 1
		.amdhsa_reserve_flat_scratch 0
		.amdhsa_float_round_mode_32 0
		.amdhsa_float_round_mode_16_64 0
		.amdhsa_float_denorm_mode_32 3
		.amdhsa_float_denorm_mode_16_64 3
		.amdhsa_dx10_clamp 1
		.amdhsa_ieee_mode 1
		.amdhsa_fp16_overflow 0
		.amdhsa_exception_fp_ieee_invalid_op 0
		.amdhsa_exception_fp_denorm_src 0
		.amdhsa_exception_fp_ieee_div_zero 0
		.amdhsa_exception_fp_ieee_overflow 0
		.amdhsa_exception_fp_ieee_underflow 0
		.amdhsa_exception_fp_ieee_inexact 0
		.amdhsa_exception_int_div_zero 0
	.end_amdhsa_kernel
	.section	.text._ZN7rocprim17ROCPRIM_400000_NS6detail17trampoline_kernelINS0_14default_configENS1_25partition_config_selectorILNS1_17partition_subalgoE8EyNS0_10empty_typeEbEEZZNS1_14partition_implILS5_8ELb0ES3_jN6thrust23THRUST_200600_302600_NS6detail15normal_iteratorINSA_10device_ptrIyEEEEPS6_PKS6_NS0_5tupleIJSF_S6_EEENSJ_IJSG_SG_EEENS0_18inequality_wrapperINSA_8equal_toIyEEEEPmJS6_EEE10hipError_tPvRmT3_T4_T5_T6_T7_T9_mT8_P12ihipStream_tbDpT10_ENKUlT_T0_E_clISt17integral_constantIbLb0EES19_IbLb1EEEEDaS15_S16_EUlS15_E_NS1_11comp_targetILNS1_3genE2ELNS1_11target_archE906ELNS1_3gpuE6ELNS1_3repE0EEENS1_30default_config_static_selectorELNS0_4arch9wavefront6targetE1EEEvT1_,"axG",@progbits,_ZN7rocprim17ROCPRIM_400000_NS6detail17trampoline_kernelINS0_14default_configENS1_25partition_config_selectorILNS1_17partition_subalgoE8EyNS0_10empty_typeEbEEZZNS1_14partition_implILS5_8ELb0ES3_jN6thrust23THRUST_200600_302600_NS6detail15normal_iteratorINSA_10device_ptrIyEEEEPS6_PKS6_NS0_5tupleIJSF_S6_EEENSJ_IJSG_SG_EEENS0_18inequality_wrapperINSA_8equal_toIyEEEEPmJS6_EEE10hipError_tPvRmT3_T4_T5_T6_T7_T9_mT8_P12ihipStream_tbDpT10_ENKUlT_T0_E_clISt17integral_constantIbLb0EES19_IbLb1EEEEDaS15_S16_EUlS15_E_NS1_11comp_targetILNS1_3genE2ELNS1_11target_archE906ELNS1_3gpuE6ELNS1_3repE0EEENS1_30default_config_static_selectorELNS0_4arch9wavefront6targetE1EEEvT1_,comdat
.Lfunc_end173:
	.size	_ZN7rocprim17ROCPRIM_400000_NS6detail17trampoline_kernelINS0_14default_configENS1_25partition_config_selectorILNS1_17partition_subalgoE8EyNS0_10empty_typeEbEEZZNS1_14partition_implILS5_8ELb0ES3_jN6thrust23THRUST_200600_302600_NS6detail15normal_iteratorINSA_10device_ptrIyEEEEPS6_PKS6_NS0_5tupleIJSF_S6_EEENSJ_IJSG_SG_EEENS0_18inequality_wrapperINSA_8equal_toIyEEEEPmJS6_EEE10hipError_tPvRmT3_T4_T5_T6_T7_T9_mT8_P12ihipStream_tbDpT10_ENKUlT_T0_E_clISt17integral_constantIbLb0EES19_IbLb1EEEEDaS15_S16_EUlS15_E_NS1_11comp_targetILNS1_3genE2ELNS1_11target_archE906ELNS1_3gpuE6ELNS1_3repE0EEENS1_30default_config_static_selectorELNS0_4arch9wavefront6targetE1EEEvT1_, .Lfunc_end173-_ZN7rocprim17ROCPRIM_400000_NS6detail17trampoline_kernelINS0_14default_configENS1_25partition_config_selectorILNS1_17partition_subalgoE8EyNS0_10empty_typeEbEEZZNS1_14partition_implILS5_8ELb0ES3_jN6thrust23THRUST_200600_302600_NS6detail15normal_iteratorINSA_10device_ptrIyEEEEPS6_PKS6_NS0_5tupleIJSF_S6_EEENSJ_IJSG_SG_EEENS0_18inequality_wrapperINSA_8equal_toIyEEEEPmJS6_EEE10hipError_tPvRmT3_T4_T5_T6_T7_T9_mT8_P12ihipStream_tbDpT10_ENKUlT_T0_E_clISt17integral_constantIbLb0EES19_IbLb1EEEEDaS15_S16_EUlS15_E_NS1_11comp_targetILNS1_3genE2ELNS1_11target_archE906ELNS1_3gpuE6ELNS1_3repE0EEENS1_30default_config_static_selectorELNS0_4arch9wavefront6targetE1EEEvT1_
                                        ; -- End function
	.set _ZN7rocprim17ROCPRIM_400000_NS6detail17trampoline_kernelINS0_14default_configENS1_25partition_config_selectorILNS1_17partition_subalgoE8EyNS0_10empty_typeEbEEZZNS1_14partition_implILS5_8ELb0ES3_jN6thrust23THRUST_200600_302600_NS6detail15normal_iteratorINSA_10device_ptrIyEEEEPS6_PKS6_NS0_5tupleIJSF_S6_EEENSJ_IJSG_SG_EEENS0_18inequality_wrapperINSA_8equal_toIyEEEEPmJS6_EEE10hipError_tPvRmT3_T4_T5_T6_T7_T9_mT8_P12ihipStream_tbDpT10_ENKUlT_T0_E_clISt17integral_constantIbLb0EES19_IbLb1EEEEDaS15_S16_EUlS15_E_NS1_11comp_targetILNS1_3genE2ELNS1_11target_archE906ELNS1_3gpuE6ELNS1_3repE0EEENS1_30default_config_static_selectorELNS0_4arch9wavefront6targetE1EEEvT1_.num_vgpr, 60
	.set _ZN7rocprim17ROCPRIM_400000_NS6detail17trampoline_kernelINS0_14default_configENS1_25partition_config_selectorILNS1_17partition_subalgoE8EyNS0_10empty_typeEbEEZZNS1_14partition_implILS5_8ELb0ES3_jN6thrust23THRUST_200600_302600_NS6detail15normal_iteratorINSA_10device_ptrIyEEEEPS6_PKS6_NS0_5tupleIJSF_S6_EEENSJ_IJSG_SG_EEENS0_18inequality_wrapperINSA_8equal_toIyEEEEPmJS6_EEE10hipError_tPvRmT3_T4_T5_T6_T7_T9_mT8_P12ihipStream_tbDpT10_ENKUlT_T0_E_clISt17integral_constantIbLb0EES19_IbLb1EEEEDaS15_S16_EUlS15_E_NS1_11comp_targetILNS1_3genE2ELNS1_11target_archE906ELNS1_3gpuE6ELNS1_3repE0EEENS1_30default_config_static_selectorELNS0_4arch9wavefront6targetE1EEEvT1_.num_agpr, 0
	.set _ZN7rocprim17ROCPRIM_400000_NS6detail17trampoline_kernelINS0_14default_configENS1_25partition_config_selectorILNS1_17partition_subalgoE8EyNS0_10empty_typeEbEEZZNS1_14partition_implILS5_8ELb0ES3_jN6thrust23THRUST_200600_302600_NS6detail15normal_iteratorINSA_10device_ptrIyEEEEPS6_PKS6_NS0_5tupleIJSF_S6_EEENSJ_IJSG_SG_EEENS0_18inequality_wrapperINSA_8equal_toIyEEEEPmJS6_EEE10hipError_tPvRmT3_T4_T5_T6_T7_T9_mT8_P12ihipStream_tbDpT10_ENKUlT_T0_E_clISt17integral_constantIbLb0EES19_IbLb1EEEEDaS15_S16_EUlS15_E_NS1_11comp_targetILNS1_3genE2ELNS1_11target_archE906ELNS1_3gpuE6ELNS1_3repE0EEENS1_30default_config_static_selectorELNS0_4arch9wavefront6targetE1EEEvT1_.numbered_sgpr, 39
	.set _ZN7rocprim17ROCPRIM_400000_NS6detail17trampoline_kernelINS0_14default_configENS1_25partition_config_selectorILNS1_17partition_subalgoE8EyNS0_10empty_typeEbEEZZNS1_14partition_implILS5_8ELb0ES3_jN6thrust23THRUST_200600_302600_NS6detail15normal_iteratorINSA_10device_ptrIyEEEEPS6_PKS6_NS0_5tupleIJSF_S6_EEENSJ_IJSG_SG_EEENS0_18inequality_wrapperINSA_8equal_toIyEEEEPmJS6_EEE10hipError_tPvRmT3_T4_T5_T6_T7_T9_mT8_P12ihipStream_tbDpT10_ENKUlT_T0_E_clISt17integral_constantIbLb0EES19_IbLb1EEEEDaS15_S16_EUlS15_E_NS1_11comp_targetILNS1_3genE2ELNS1_11target_archE906ELNS1_3gpuE6ELNS1_3repE0EEENS1_30default_config_static_selectorELNS0_4arch9wavefront6targetE1EEEvT1_.num_named_barrier, 0
	.set _ZN7rocprim17ROCPRIM_400000_NS6detail17trampoline_kernelINS0_14default_configENS1_25partition_config_selectorILNS1_17partition_subalgoE8EyNS0_10empty_typeEbEEZZNS1_14partition_implILS5_8ELb0ES3_jN6thrust23THRUST_200600_302600_NS6detail15normal_iteratorINSA_10device_ptrIyEEEEPS6_PKS6_NS0_5tupleIJSF_S6_EEENSJ_IJSG_SG_EEENS0_18inequality_wrapperINSA_8equal_toIyEEEEPmJS6_EEE10hipError_tPvRmT3_T4_T5_T6_T7_T9_mT8_P12ihipStream_tbDpT10_ENKUlT_T0_E_clISt17integral_constantIbLb0EES19_IbLb1EEEEDaS15_S16_EUlS15_E_NS1_11comp_targetILNS1_3genE2ELNS1_11target_archE906ELNS1_3gpuE6ELNS1_3repE0EEENS1_30default_config_static_selectorELNS0_4arch9wavefront6targetE1EEEvT1_.private_seg_size, 0
	.set _ZN7rocprim17ROCPRIM_400000_NS6detail17trampoline_kernelINS0_14default_configENS1_25partition_config_selectorILNS1_17partition_subalgoE8EyNS0_10empty_typeEbEEZZNS1_14partition_implILS5_8ELb0ES3_jN6thrust23THRUST_200600_302600_NS6detail15normal_iteratorINSA_10device_ptrIyEEEEPS6_PKS6_NS0_5tupleIJSF_S6_EEENSJ_IJSG_SG_EEENS0_18inequality_wrapperINSA_8equal_toIyEEEEPmJS6_EEE10hipError_tPvRmT3_T4_T5_T6_T7_T9_mT8_P12ihipStream_tbDpT10_ENKUlT_T0_E_clISt17integral_constantIbLb0EES19_IbLb1EEEEDaS15_S16_EUlS15_E_NS1_11comp_targetILNS1_3genE2ELNS1_11target_archE906ELNS1_3gpuE6ELNS1_3repE0EEENS1_30default_config_static_selectorELNS0_4arch9wavefront6targetE1EEEvT1_.uses_vcc, 1
	.set _ZN7rocprim17ROCPRIM_400000_NS6detail17trampoline_kernelINS0_14default_configENS1_25partition_config_selectorILNS1_17partition_subalgoE8EyNS0_10empty_typeEbEEZZNS1_14partition_implILS5_8ELb0ES3_jN6thrust23THRUST_200600_302600_NS6detail15normal_iteratorINSA_10device_ptrIyEEEEPS6_PKS6_NS0_5tupleIJSF_S6_EEENSJ_IJSG_SG_EEENS0_18inequality_wrapperINSA_8equal_toIyEEEEPmJS6_EEE10hipError_tPvRmT3_T4_T5_T6_T7_T9_mT8_P12ihipStream_tbDpT10_ENKUlT_T0_E_clISt17integral_constantIbLb0EES19_IbLb1EEEEDaS15_S16_EUlS15_E_NS1_11comp_targetILNS1_3genE2ELNS1_11target_archE906ELNS1_3gpuE6ELNS1_3repE0EEENS1_30default_config_static_selectorELNS0_4arch9wavefront6targetE1EEEvT1_.uses_flat_scratch, 0
	.set _ZN7rocprim17ROCPRIM_400000_NS6detail17trampoline_kernelINS0_14default_configENS1_25partition_config_selectorILNS1_17partition_subalgoE8EyNS0_10empty_typeEbEEZZNS1_14partition_implILS5_8ELb0ES3_jN6thrust23THRUST_200600_302600_NS6detail15normal_iteratorINSA_10device_ptrIyEEEEPS6_PKS6_NS0_5tupleIJSF_S6_EEENSJ_IJSG_SG_EEENS0_18inequality_wrapperINSA_8equal_toIyEEEEPmJS6_EEE10hipError_tPvRmT3_T4_T5_T6_T7_T9_mT8_P12ihipStream_tbDpT10_ENKUlT_T0_E_clISt17integral_constantIbLb0EES19_IbLb1EEEEDaS15_S16_EUlS15_E_NS1_11comp_targetILNS1_3genE2ELNS1_11target_archE906ELNS1_3gpuE6ELNS1_3repE0EEENS1_30default_config_static_selectorELNS0_4arch9wavefront6targetE1EEEvT1_.has_dyn_sized_stack, 0
	.set _ZN7rocprim17ROCPRIM_400000_NS6detail17trampoline_kernelINS0_14default_configENS1_25partition_config_selectorILNS1_17partition_subalgoE8EyNS0_10empty_typeEbEEZZNS1_14partition_implILS5_8ELb0ES3_jN6thrust23THRUST_200600_302600_NS6detail15normal_iteratorINSA_10device_ptrIyEEEEPS6_PKS6_NS0_5tupleIJSF_S6_EEENSJ_IJSG_SG_EEENS0_18inequality_wrapperINSA_8equal_toIyEEEEPmJS6_EEE10hipError_tPvRmT3_T4_T5_T6_T7_T9_mT8_P12ihipStream_tbDpT10_ENKUlT_T0_E_clISt17integral_constantIbLb0EES19_IbLb1EEEEDaS15_S16_EUlS15_E_NS1_11comp_targetILNS1_3genE2ELNS1_11target_archE906ELNS1_3gpuE6ELNS1_3repE0EEENS1_30default_config_static_selectorELNS0_4arch9wavefront6targetE1EEEvT1_.has_recursion, 0
	.set _ZN7rocprim17ROCPRIM_400000_NS6detail17trampoline_kernelINS0_14default_configENS1_25partition_config_selectorILNS1_17partition_subalgoE8EyNS0_10empty_typeEbEEZZNS1_14partition_implILS5_8ELb0ES3_jN6thrust23THRUST_200600_302600_NS6detail15normal_iteratorINSA_10device_ptrIyEEEEPS6_PKS6_NS0_5tupleIJSF_S6_EEENSJ_IJSG_SG_EEENS0_18inequality_wrapperINSA_8equal_toIyEEEEPmJS6_EEE10hipError_tPvRmT3_T4_T5_T6_T7_T9_mT8_P12ihipStream_tbDpT10_ENKUlT_T0_E_clISt17integral_constantIbLb0EES19_IbLb1EEEEDaS15_S16_EUlS15_E_NS1_11comp_targetILNS1_3genE2ELNS1_11target_archE906ELNS1_3gpuE6ELNS1_3repE0EEENS1_30default_config_static_selectorELNS0_4arch9wavefront6targetE1EEEvT1_.has_indirect_call, 0
	.section	.AMDGPU.csdata,"",@progbits
; Kernel info:
; codeLenInByte = 4848
; TotalNumSgprs: 43
; NumVgprs: 60
; ScratchSize: 0
; MemoryBound: 0
; FloatMode: 240
; IeeeMode: 1
; LDSByteSize: 14344 bytes/workgroup (compile time only)
; SGPRBlocks: 12
; VGPRBlocks: 14
; NumSGPRsForWavesPerEU: 102
; NumVGPRsForWavesPerEU: 60
; Occupancy: 4
; WaveLimiterHint : 1
; COMPUTE_PGM_RSRC2:SCRATCH_EN: 0
; COMPUTE_PGM_RSRC2:USER_SGPR: 6
; COMPUTE_PGM_RSRC2:TRAP_HANDLER: 0
; COMPUTE_PGM_RSRC2:TGID_X_EN: 1
; COMPUTE_PGM_RSRC2:TGID_Y_EN: 0
; COMPUTE_PGM_RSRC2:TGID_Z_EN: 0
; COMPUTE_PGM_RSRC2:TIDIG_COMP_CNT: 0
	.section	.text._ZN7rocprim17ROCPRIM_400000_NS6detail17trampoline_kernelINS0_14default_configENS1_25partition_config_selectorILNS1_17partition_subalgoE8EyNS0_10empty_typeEbEEZZNS1_14partition_implILS5_8ELb0ES3_jN6thrust23THRUST_200600_302600_NS6detail15normal_iteratorINSA_10device_ptrIyEEEEPS6_PKS6_NS0_5tupleIJSF_S6_EEENSJ_IJSG_SG_EEENS0_18inequality_wrapperINSA_8equal_toIyEEEEPmJS6_EEE10hipError_tPvRmT3_T4_T5_T6_T7_T9_mT8_P12ihipStream_tbDpT10_ENKUlT_T0_E_clISt17integral_constantIbLb0EES19_IbLb1EEEEDaS15_S16_EUlS15_E_NS1_11comp_targetILNS1_3genE10ELNS1_11target_archE1200ELNS1_3gpuE4ELNS1_3repE0EEENS1_30default_config_static_selectorELNS0_4arch9wavefront6targetE1EEEvT1_,"axG",@progbits,_ZN7rocprim17ROCPRIM_400000_NS6detail17trampoline_kernelINS0_14default_configENS1_25partition_config_selectorILNS1_17partition_subalgoE8EyNS0_10empty_typeEbEEZZNS1_14partition_implILS5_8ELb0ES3_jN6thrust23THRUST_200600_302600_NS6detail15normal_iteratorINSA_10device_ptrIyEEEEPS6_PKS6_NS0_5tupleIJSF_S6_EEENSJ_IJSG_SG_EEENS0_18inequality_wrapperINSA_8equal_toIyEEEEPmJS6_EEE10hipError_tPvRmT3_T4_T5_T6_T7_T9_mT8_P12ihipStream_tbDpT10_ENKUlT_T0_E_clISt17integral_constantIbLb0EES19_IbLb1EEEEDaS15_S16_EUlS15_E_NS1_11comp_targetILNS1_3genE10ELNS1_11target_archE1200ELNS1_3gpuE4ELNS1_3repE0EEENS1_30default_config_static_selectorELNS0_4arch9wavefront6targetE1EEEvT1_,comdat
	.protected	_ZN7rocprim17ROCPRIM_400000_NS6detail17trampoline_kernelINS0_14default_configENS1_25partition_config_selectorILNS1_17partition_subalgoE8EyNS0_10empty_typeEbEEZZNS1_14partition_implILS5_8ELb0ES3_jN6thrust23THRUST_200600_302600_NS6detail15normal_iteratorINSA_10device_ptrIyEEEEPS6_PKS6_NS0_5tupleIJSF_S6_EEENSJ_IJSG_SG_EEENS0_18inequality_wrapperINSA_8equal_toIyEEEEPmJS6_EEE10hipError_tPvRmT3_T4_T5_T6_T7_T9_mT8_P12ihipStream_tbDpT10_ENKUlT_T0_E_clISt17integral_constantIbLb0EES19_IbLb1EEEEDaS15_S16_EUlS15_E_NS1_11comp_targetILNS1_3genE10ELNS1_11target_archE1200ELNS1_3gpuE4ELNS1_3repE0EEENS1_30default_config_static_selectorELNS0_4arch9wavefront6targetE1EEEvT1_ ; -- Begin function _ZN7rocprim17ROCPRIM_400000_NS6detail17trampoline_kernelINS0_14default_configENS1_25partition_config_selectorILNS1_17partition_subalgoE8EyNS0_10empty_typeEbEEZZNS1_14partition_implILS5_8ELb0ES3_jN6thrust23THRUST_200600_302600_NS6detail15normal_iteratorINSA_10device_ptrIyEEEEPS6_PKS6_NS0_5tupleIJSF_S6_EEENSJ_IJSG_SG_EEENS0_18inequality_wrapperINSA_8equal_toIyEEEEPmJS6_EEE10hipError_tPvRmT3_T4_T5_T6_T7_T9_mT8_P12ihipStream_tbDpT10_ENKUlT_T0_E_clISt17integral_constantIbLb0EES19_IbLb1EEEEDaS15_S16_EUlS15_E_NS1_11comp_targetILNS1_3genE10ELNS1_11target_archE1200ELNS1_3gpuE4ELNS1_3repE0EEENS1_30default_config_static_selectorELNS0_4arch9wavefront6targetE1EEEvT1_
	.globl	_ZN7rocprim17ROCPRIM_400000_NS6detail17trampoline_kernelINS0_14default_configENS1_25partition_config_selectorILNS1_17partition_subalgoE8EyNS0_10empty_typeEbEEZZNS1_14partition_implILS5_8ELb0ES3_jN6thrust23THRUST_200600_302600_NS6detail15normal_iteratorINSA_10device_ptrIyEEEEPS6_PKS6_NS0_5tupleIJSF_S6_EEENSJ_IJSG_SG_EEENS0_18inequality_wrapperINSA_8equal_toIyEEEEPmJS6_EEE10hipError_tPvRmT3_T4_T5_T6_T7_T9_mT8_P12ihipStream_tbDpT10_ENKUlT_T0_E_clISt17integral_constantIbLb0EES19_IbLb1EEEEDaS15_S16_EUlS15_E_NS1_11comp_targetILNS1_3genE10ELNS1_11target_archE1200ELNS1_3gpuE4ELNS1_3repE0EEENS1_30default_config_static_selectorELNS0_4arch9wavefront6targetE1EEEvT1_
	.p2align	8
	.type	_ZN7rocprim17ROCPRIM_400000_NS6detail17trampoline_kernelINS0_14default_configENS1_25partition_config_selectorILNS1_17partition_subalgoE8EyNS0_10empty_typeEbEEZZNS1_14partition_implILS5_8ELb0ES3_jN6thrust23THRUST_200600_302600_NS6detail15normal_iteratorINSA_10device_ptrIyEEEEPS6_PKS6_NS0_5tupleIJSF_S6_EEENSJ_IJSG_SG_EEENS0_18inequality_wrapperINSA_8equal_toIyEEEEPmJS6_EEE10hipError_tPvRmT3_T4_T5_T6_T7_T9_mT8_P12ihipStream_tbDpT10_ENKUlT_T0_E_clISt17integral_constantIbLb0EES19_IbLb1EEEEDaS15_S16_EUlS15_E_NS1_11comp_targetILNS1_3genE10ELNS1_11target_archE1200ELNS1_3gpuE4ELNS1_3repE0EEENS1_30default_config_static_selectorELNS0_4arch9wavefront6targetE1EEEvT1_,@function
_ZN7rocprim17ROCPRIM_400000_NS6detail17trampoline_kernelINS0_14default_configENS1_25partition_config_selectorILNS1_17partition_subalgoE8EyNS0_10empty_typeEbEEZZNS1_14partition_implILS5_8ELb0ES3_jN6thrust23THRUST_200600_302600_NS6detail15normal_iteratorINSA_10device_ptrIyEEEEPS6_PKS6_NS0_5tupleIJSF_S6_EEENSJ_IJSG_SG_EEENS0_18inequality_wrapperINSA_8equal_toIyEEEEPmJS6_EEE10hipError_tPvRmT3_T4_T5_T6_T7_T9_mT8_P12ihipStream_tbDpT10_ENKUlT_T0_E_clISt17integral_constantIbLb0EES19_IbLb1EEEEDaS15_S16_EUlS15_E_NS1_11comp_targetILNS1_3genE10ELNS1_11target_archE1200ELNS1_3gpuE4ELNS1_3repE0EEENS1_30default_config_static_selectorELNS0_4arch9wavefront6targetE1EEEvT1_: ; @_ZN7rocprim17ROCPRIM_400000_NS6detail17trampoline_kernelINS0_14default_configENS1_25partition_config_selectorILNS1_17partition_subalgoE8EyNS0_10empty_typeEbEEZZNS1_14partition_implILS5_8ELb0ES3_jN6thrust23THRUST_200600_302600_NS6detail15normal_iteratorINSA_10device_ptrIyEEEEPS6_PKS6_NS0_5tupleIJSF_S6_EEENSJ_IJSG_SG_EEENS0_18inequality_wrapperINSA_8equal_toIyEEEEPmJS6_EEE10hipError_tPvRmT3_T4_T5_T6_T7_T9_mT8_P12ihipStream_tbDpT10_ENKUlT_T0_E_clISt17integral_constantIbLb0EES19_IbLb1EEEEDaS15_S16_EUlS15_E_NS1_11comp_targetILNS1_3genE10ELNS1_11target_archE1200ELNS1_3gpuE4ELNS1_3repE0EEENS1_30default_config_static_selectorELNS0_4arch9wavefront6targetE1EEEvT1_
; %bb.0:
	.section	.rodata,"a",@progbits
	.p2align	6, 0x0
	.amdhsa_kernel _ZN7rocprim17ROCPRIM_400000_NS6detail17trampoline_kernelINS0_14default_configENS1_25partition_config_selectorILNS1_17partition_subalgoE8EyNS0_10empty_typeEbEEZZNS1_14partition_implILS5_8ELb0ES3_jN6thrust23THRUST_200600_302600_NS6detail15normal_iteratorINSA_10device_ptrIyEEEEPS6_PKS6_NS0_5tupleIJSF_S6_EEENSJ_IJSG_SG_EEENS0_18inequality_wrapperINSA_8equal_toIyEEEEPmJS6_EEE10hipError_tPvRmT3_T4_T5_T6_T7_T9_mT8_P12ihipStream_tbDpT10_ENKUlT_T0_E_clISt17integral_constantIbLb0EES19_IbLb1EEEEDaS15_S16_EUlS15_E_NS1_11comp_targetILNS1_3genE10ELNS1_11target_archE1200ELNS1_3gpuE4ELNS1_3repE0EEENS1_30default_config_static_selectorELNS0_4arch9wavefront6targetE1EEEvT1_
		.amdhsa_group_segment_fixed_size 0
		.amdhsa_private_segment_fixed_size 0
		.amdhsa_kernarg_size 128
		.amdhsa_user_sgpr_count 6
		.amdhsa_user_sgpr_private_segment_buffer 1
		.amdhsa_user_sgpr_dispatch_ptr 0
		.amdhsa_user_sgpr_queue_ptr 0
		.amdhsa_user_sgpr_kernarg_segment_ptr 1
		.amdhsa_user_sgpr_dispatch_id 0
		.amdhsa_user_sgpr_flat_scratch_init 0
		.amdhsa_user_sgpr_private_segment_size 0
		.amdhsa_uses_dynamic_stack 0
		.amdhsa_system_sgpr_private_segment_wavefront_offset 0
		.amdhsa_system_sgpr_workgroup_id_x 1
		.amdhsa_system_sgpr_workgroup_id_y 0
		.amdhsa_system_sgpr_workgroup_id_z 0
		.amdhsa_system_sgpr_workgroup_info 0
		.amdhsa_system_vgpr_workitem_id 0
		.amdhsa_next_free_vgpr 1
		.amdhsa_next_free_sgpr 0
		.amdhsa_reserve_vcc 0
		.amdhsa_reserve_flat_scratch 0
		.amdhsa_float_round_mode_32 0
		.amdhsa_float_round_mode_16_64 0
		.amdhsa_float_denorm_mode_32 3
		.amdhsa_float_denorm_mode_16_64 3
		.amdhsa_dx10_clamp 1
		.amdhsa_ieee_mode 1
		.amdhsa_fp16_overflow 0
		.amdhsa_exception_fp_ieee_invalid_op 0
		.amdhsa_exception_fp_denorm_src 0
		.amdhsa_exception_fp_ieee_div_zero 0
		.amdhsa_exception_fp_ieee_overflow 0
		.amdhsa_exception_fp_ieee_underflow 0
		.amdhsa_exception_fp_ieee_inexact 0
		.amdhsa_exception_int_div_zero 0
	.end_amdhsa_kernel
	.section	.text._ZN7rocprim17ROCPRIM_400000_NS6detail17trampoline_kernelINS0_14default_configENS1_25partition_config_selectorILNS1_17partition_subalgoE8EyNS0_10empty_typeEbEEZZNS1_14partition_implILS5_8ELb0ES3_jN6thrust23THRUST_200600_302600_NS6detail15normal_iteratorINSA_10device_ptrIyEEEEPS6_PKS6_NS0_5tupleIJSF_S6_EEENSJ_IJSG_SG_EEENS0_18inequality_wrapperINSA_8equal_toIyEEEEPmJS6_EEE10hipError_tPvRmT3_T4_T5_T6_T7_T9_mT8_P12ihipStream_tbDpT10_ENKUlT_T0_E_clISt17integral_constantIbLb0EES19_IbLb1EEEEDaS15_S16_EUlS15_E_NS1_11comp_targetILNS1_3genE10ELNS1_11target_archE1200ELNS1_3gpuE4ELNS1_3repE0EEENS1_30default_config_static_selectorELNS0_4arch9wavefront6targetE1EEEvT1_,"axG",@progbits,_ZN7rocprim17ROCPRIM_400000_NS6detail17trampoline_kernelINS0_14default_configENS1_25partition_config_selectorILNS1_17partition_subalgoE8EyNS0_10empty_typeEbEEZZNS1_14partition_implILS5_8ELb0ES3_jN6thrust23THRUST_200600_302600_NS6detail15normal_iteratorINSA_10device_ptrIyEEEEPS6_PKS6_NS0_5tupleIJSF_S6_EEENSJ_IJSG_SG_EEENS0_18inequality_wrapperINSA_8equal_toIyEEEEPmJS6_EEE10hipError_tPvRmT3_T4_T5_T6_T7_T9_mT8_P12ihipStream_tbDpT10_ENKUlT_T0_E_clISt17integral_constantIbLb0EES19_IbLb1EEEEDaS15_S16_EUlS15_E_NS1_11comp_targetILNS1_3genE10ELNS1_11target_archE1200ELNS1_3gpuE4ELNS1_3repE0EEENS1_30default_config_static_selectorELNS0_4arch9wavefront6targetE1EEEvT1_,comdat
.Lfunc_end174:
	.size	_ZN7rocprim17ROCPRIM_400000_NS6detail17trampoline_kernelINS0_14default_configENS1_25partition_config_selectorILNS1_17partition_subalgoE8EyNS0_10empty_typeEbEEZZNS1_14partition_implILS5_8ELb0ES3_jN6thrust23THRUST_200600_302600_NS6detail15normal_iteratorINSA_10device_ptrIyEEEEPS6_PKS6_NS0_5tupleIJSF_S6_EEENSJ_IJSG_SG_EEENS0_18inequality_wrapperINSA_8equal_toIyEEEEPmJS6_EEE10hipError_tPvRmT3_T4_T5_T6_T7_T9_mT8_P12ihipStream_tbDpT10_ENKUlT_T0_E_clISt17integral_constantIbLb0EES19_IbLb1EEEEDaS15_S16_EUlS15_E_NS1_11comp_targetILNS1_3genE10ELNS1_11target_archE1200ELNS1_3gpuE4ELNS1_3repE0EEENS1_30default_config_static_selectorELNS0_4arch9wavefront6targetE1EEEvT1_, .Lfunc_end174-_ZN7rocprim17ROCPRIM_400000_NS6detail17trampoline_kernelINS0_14default_configENS1_25partition_config_selectorILNS1_17partition_subalgoE8EyNS0_10empty_typeEbEEZZNS1_14partition_implILS5_8ELb0ES3_jN6thrust23THRUST_200600_302600_NS6detail15normal_iteratorINSA_10device_ptrIyEEEEPS6_PKS6_NS0_5tupleIJSF_S6_EEENSJ_IJSG_SG_EEENS0_18inequality_wrapperINSA_8equal_toIyEEEEPmJS6_EEE10hipError_tPvRmT3_T4_T5_T6_T7_T9_mT8_P12ihipStream_tbDpT10_ENKUlT_T0_E_clISt17integral_constantIbLb0EES19_IbLb1EEEEDaS15_S16_EUlS15_E_NS1_11comp_targetILNS1_3genE10ELNS1_11target_archE1200ELNS1_3gpuE4ELNS1_3repE0EEENS1_30default_config_static_selectorELNS0_4arch9wavefront6targetE1EEEvT1_
                                        ; -- End function
	.set _ZN7rocprim17ROCPRIM_400000_NS6detail17trampoline_kernelINS0_14default_configENS1_25partition_config_selectorILNS1_17partition_subalgoE8EyNS0_10empty_typeEbEEZZNS1_14partition_implILS5_8ELb0ES3_jN6thrust23THRUST_200600_302600_NS6detail15normal_iteratorINSA_10device_ptrIyEEEEPS6_PKS6_NS0_5tupleIJSF_S6_EEENSJ_IJSG_SG_EEENS0_18inequality_wrapperINSA_8equal_toIyEEEEPmJS6_EEE10hipError_tPvRmT3_T4_T5_T6_T7_T9_mT8_P12ihipStream_tbDpT10_ENKUlT_T0_E_clISt17integral_constantIbLb0EES19_IbLb1EEEEDaS15_S16_EUlS15_E_NS1_11comp_targetILNS1_3genE10ELNS1_11target_archE1200ELNS1_3gpuE4ELNS1_3repE0EEENS1_30default_config_static_selectorELNS0_4arch9wavefront6targetE1EEEvT1_.num_vgpr, 0
	.set _ZN7rocprim17ROCPRIM_400000_NS6detail17trampoline_kernelINS0_14default_configENS1_25partition_config_selectorILNS1_17partition_subalgoE8EyNS0_10empty_typeEbEEZZNS1_14partition_implILS5_8ELb0ES3_jN6thrust23THRUST_200600_302600_NS6detail15normal_iteratorINSA_10device_ptrIyEEEEPS6_PKS6_NS0_5tupleIJSF_S6_EEENSJ_IJSG_SG_EEENS0_18inequality_wrapperINSA_8equal_toIyEEEEPmJS6_EEE10hipError_tPvRmT3_T4_T5_T6_T7_T9_mT8_P12ihipStream_tbDpT10_ENKUlT_T0_E_clISt17integral_constantIbLb0EES19_IbLb1EEEEDaS15_S16_EUlS15_E_NS1_11comp_targetILNS1_3genE10ELNS1_11target_archE1200ELNS1_3gpuE4ELNS1_3repE0EEENS1_30default_config_static_selectorELNS0_4arch9wavefront6targetE1EEEvT1_.num_agpr, 0
	.set _ZN7rocprim17ROCPRIM_400000_NS6detail17trampoline_kernelINS0_14default_configENS1_25partition_config_selectorILNS1_17partition_subalgoE8EyNS0_10empty_typeEbEEZZNS1_14partition_implILS5_8ELb0ES3_jN6thrust23THRUST_200600_302600_NS6detail15normal_iteratorINSA_10device_ptrIyEEEEPS6_PKS6_NS0_5tupleIJSF_S6_EEENSJ_IJSG_SG_EEENS0_18inequality_wrapperINSA_8equal_toIyEEEEPmJS6_EEE10hipError_tPvRmT3_T4_T5_T6_T7_T9_mT8_P12ihipStream_tbDpT10_ENKUlT_T0_E_clISt17integral_constantIbLb0EES19_IbLb1EEEEDaS15_S16_EUlS15_E_NS1_11comp_targetILNS1_3genE10ELNS1_11target_archE1200ELNS1_3gpuE4ELNS1_3repE0EEENS1_30default_config_static_selectorELNS0_4arch9wavefront6targetE1EEEvT1_.numbered_sgpr, 0
	.set _ZN7rocprim17ROCPRIM_400000_NS6detail17trampoline_kernelINS0_14default_configENS1_25partition_config_selectorILNS1_17partition_subalgoE8EyNS0_10empty_typeEbEEZZNS1_14partition_implILS5_8ELb0ES3_jN6thrust23THRUST_200600_302600_NS6detail15normal_iteratorINSA_10device_ptrIyEEEEPS6_PKS6_NS0_5tupleIJSF_S6_EEENSJ_IJSG_SG_EEENS0_18inequality_wrapperINSA_8equal_toIyEEEEPmJS6_EEE10hipError_tPvRmT3_T4_T5_T6_T7_T9_mT8_P12ihipStream_tbDpT10_ENKUlT_T0_E_clISt17integral_constantIbLb0EES19_IbLb1EEEEDaS15_S16_EUlS15_E_NS1_11comp_targetILNS1_3genE10ELNS1_11target_archE1200ELNS1_3gpuE4ELNS1_3repE0EEENS1_30default_config_static_selectorELNS0_4arch9wavefront6targetE1EEEvT1_.num_named_barrier, 0
	.set _ZN7rocprim17ROCPRIM_400000_NS6detail17trampoline_kernelINS0_14default_configENS1_25partition_config_selectorILNS1_17partition_subalgoE8EyNS0_10empty_typeEbEEZZNS1_14partition_implILS5_8ELb0ES3_jN6thrust23THRUST_200600_302600_NS6detail15normal_iteratorINSA_10device_ptrIyEEEEPS6_PKS6_NS0_5tupleIJSF_S6_EEENSJ_IJSG_SG_EEENS0_18inequality_wrapperINSA_8equal_toIyEEEEPmJS6_EEE10hipError_tPvRmT3_T4_T5_T6_T7_T9_mT8_P12ihipStream_tbDpT10_ENKUlT_T0_E_clISt17integral_constantIbLb0EES19_IbLb1EEEEDaS15_S16_EUlS15_E_NS1_11comp_targetILNS1_3genE10ELNS1_11target_archE1200ELNS1_3gpuE4ELNS1_3repE0EEENS1_30default_config_static_selectorELNS0_4arch9wavefront6targetE1EEEvT1_.private_seg_size, 0
	.set _ZN7rocprim17ROCPRIM_400000_NS6detail17trampoline_kernelINS0_14default_configENS1_25partition_config_selectorILNS1_17partition_subalgoE8EyNS0_10empty_typeEbEEZZNS1_14partition_implILS5_8ELb0ES3_jN6thrust23THRUST_200600_302600_NS6detail15normal_iteratorINSA_10device_ptrIyEEEEPS6_PKS6_NS0_5tupleIJSF_S6_EEENSJ_IJSG_SG_EEENS0_18inequality_wrapperINSA_8equal_toIyEEEEPmJS6_EEE10hipError_tPvRmT3_T4_T5_T6_T7_T9_mT8_P12ihipStream_tbDpT10_ENKUlT_T0_E_clISt17integral_constantIbLb0EES19_IbLb1EEEEDaS15_S16_EUlS15_E_NS1_11comp_targetILNS1_3genE10ELNS1_11target_archE1200ELNS1_3gpuE4ELNS1_3repE0EEENS1_30default_config_static_selectorELNS0_4arch9wavefront6targetE1EEEvT1_.uses_vcc, 0
	.set _ZN7rocprim17ROCPRIM_400000_NS6detail17trampoline_kernelINS0_14default_configENS1_25partition_config_selectorILNS1_17partition_subalgoE8EyNS0_10empty_typeEbEEZZNS1_14partition_implILS5_8ELb0ES3_jN6thrust23THRUST_200600_302600_NS6detail15normal_iteratorINSA_10device_ptrIyEEEEPS6_PKS6_NS0_5tupleIJSF_S6_EEENSJ_IJSG_SG_EEENS0_18inequality_wrapperINSA_8equal_toIyEEEEPmJS6_EEE10hipError_tPvRmT3_T4_T5_T6_T7_T9_mT8_P12ihipStream_tbDpT10_ENKUlT_T0_E_clISt17integral_constantIbLb0EES19_IbLb1EEEEDaS15_S16_EUlS15_E_NS1_11comp_targetILNS1_3genE10ELNS1_11target_archE1200ELNS1_3gpuE4ELNS1_3repE0EEENS1_30default_config_static_selectorELNS0_4arch9wavefront6targetE1EEEvT1_.uses_flat_scratch, 0
	.set _ZN7rocprim17ROCPRIM_400000_NS6detail17trampoline_kernelINS0_14default_configENS1_25partition_config_selectorILNS1_17partition_subalgoE8EyNS0_10empty_typeEbEEZZNS1_14partition_implILS5_8ELb0ES3_jN6thrust23THRUST_200600_302600_NS6detail15normal_iteratorINSA_10device_ptrIyEEEEPS6_PKS6_NS0_5tupleIJSF_S6_EEENSJ_IJSG_SG_EEENS0_18inequality_wrapperINSA_8equal_toIyEEEEPmJS6_EEE10hipError_tPvRmT3_T4_T5_T6_T7_T9_mT8_P12ihipStream_tbDpT10_ENKUlT_T0_E_clISt17integral_constantIbLb0EES19_IbLb1EEEEDaS15_S16_EUlS15_E_NS1_11comp_targetILNS1_3genE10ELNS1_11target_archE1200ELNS1_3gpuE4ELNS1_3repE0EEENS1_30default_config_static_selectorELNS0_4arch9wavefront6targetE1EEEvT1_.has_dyn_sized_stack, 0
	.set _ZN7rocprim17ROCPRIM_400000_NS6detail17trampoline_kernelINS0_14default_configENS1_25partition_config_selectorILNS1_17partition_subalgoE8EyNS0_10empty_typeEbEEZZNS1_14partition_implILS5_8ELb0ES3_jN6thrust23THRUST_200600_302600_NS6detail15normal_iteratorINSA_10device_ptrIyEEEEPS6_PKS6_NS0_5tupleIJSF_S6_EEENSJ_IJSG_SG_EEENS0_18inequality_wrapperINSA_8equal_toIyEEEEPmJS6_EEE10hipError_tPvRmT3_T4_T5_T6_T7_T9_mT8_P12ihipStream_tbDpT10_ENKUlT_T0_E_clISt17integral_constantIbLb0EES19_IbLb1EEEEDaS15_S16_EUlS15_E_NS1_11comp_targetILNS1_3genE10ELNS1_11target_archE1200ELNS1_3gpuE4ELNS1_3repE0EEENS1_30default_config_static_selectorELNS0_4arch9wavefront6targetE1EEEvT1_.has_recursion, 0
	.set _ZN7rocprim17ROCPRIM_400000_NS6detail17trampoline_kernelINS0_14default_configENS1_25partition_config_selectorILNS1_17partition_subalgoE8EyNS0_10empty_typeEbEEZZNS1_14partition_implILS5_8ELb0ES3_jN6thrust23THRUST_200600_302600_NS6detail15normal_iteratorINSA_10device_ptrIyEEEEPS6_PKS6_NS0_5tupleIJSF_S6_EEENSJ_IJSG_SG_EEENS0_18inequality_wrapperINSA_8equal_toIyEEEEPmJS6_EEE10hipError_tPvRmT3_T4_T5_T6_T7_T9_mT8_P12ihipStream_tbDpT10_ENKUlT_T0_E_clISt17integral_constantIbLb0EES19_IbLb1EEEEDaS15_S16_EUlS15_E_NS1_11comp_targetILNS1_3genE10ELNS1_11target_archE1200ELNS1_3gpuE4ELNS1_3repE0EEENS1_30default_config_static_selectorELNS0_4arch9wavefront6targetE1EEEvT1_.has_indirect_call, 0
	.section	.AMDGPU.csdata,"",@progbits
; Kernel info:
; codeLenInByte = 0
; TotalNumSgprs: 4
; NumVgprs: 0
; ScratchSize: 0
; MemoryBound: 0
; FloatMode: 240
; IeeeMode: 1
; LDSByteSize: 0 bytes/workgroup (compile time only)
; SGPRBlocks: 0
; VGPRBlocks: 0
; NumSGPRsForWavesPerEU: 4
; NumVGPRsForWavesPerEU: 1
; Occupancy: 10
; WaveLimiterHint : 0
; COMPUTE_PGM_RSRC2:SCRATCH_EN: 0
; COMPUTE_PGM_RSRC2:USER_SGPR: 6
; COMPUTE_PGM_RSRC2:TRAP_HANDLER: 0
; COMPUTE_PGM_RSRC2:TGID_X_EN: 1
; COMPUTE_PGM_RSRC2:TGID_Y_EN: 0
; COMPUTE_PGM_RSRC2:TGID_Z_EN: 0
; COMPUTE_PGM_RSRC2:TIDIG_COMP_CNT: 0
	.section	.text._ZN7rocprim17ROCPRIM_400000_NS6detail17trampoline_kernelINS0_14default_configENS1_25partition_config_selectorILNS1_17partition_subalgoE8EyNS0_10empty_typeEbEEZZNS1_14partition_implILS5_8ELb0ES3_jN6thrust23THRUST_200600_302600_NS6detail15normal_iteratorINSA_10device_ptrIyEEEEPS6_PKS6_NS0_5tupleIJSF_S6_EEENSJ_IJSG_SG_EEENS0_18inequality_wrapperINSA_8equal_toIyEEEEPmJS6_EEE10hipError_tPvRmT3_T4_T5_T6_T7_T9_mT8_P12ihipStream_tbDpT10_ENKUlT_T0_E_clISt17integral_constantIbLb0EES19_IbLb1EEEEDaS15_S16_EUlS15_E_NS1_11comp_targetILNS1_3genE9ELNS1_11target_archE1100ELNS1_3gpuE3ELNS1_3repE0EEENS1_30default_config_static_selectorELNS0_4arch9wavefront6targetE1EEEvT1_,"axG",@progbits,_ZN7rocprim17ROCPRIM_400000_NS6detail17trampoline_kernelINS0_14default_configENS1_25partition_config_selectorILNS1_17partition_subalgoE8EyNS0_10empty_typeEbEEZZNS1_14partition_implILS5_8ELb0ES3_jN6thrust23THRUST_200600_302600_NS6detail15normal_iteratorINSA_10device_ptrIyEEEEPS6_PKS6_NS0_5tupleIJSF_S6_EEENSJ_IJSG_SG_EEENS0_18inequality_wrapperINSA_8equal_toIyEEEEPmJS6_EEE10hipError_tPvRmT3_T4_T5_T6_T7_T9_mT8_P12ihipStream_tbDpT10_ENKUlT_T0_E_clISt17integral_constantIbLb0EES19_IbLb1EEEEDaS15_S16_EUlS15_E_NS1_11comp_targetILNS1_3genE9ELNS1_11target_archE1100ELNS1_3gpuE3ELNS1_3repE0EEENS1_30default_config_static_selectorELNS0_4arch9wavefront6targetE1EEEvT1_,comdat
	.protected	_ZN7rocprim17ROCPRIM_400000_NS6detail17trampoline_kernelINS0_14default_configENS1_25partition_config_selectorILNS1_17partition_subalgoE8EyNS0_10empty_typeEbEEZZNS1_14partition_implILS5_8ELb0ES3_jN6thrust23THRUST_200600_302600_NS6detail15normal_iteratorINSA_10device_ptrIyEEEEPS6_PKS6_NS0_5tupleIJSF_S6_EEENSJ_IJSG_SG_EEENS0_18inequality_wrapperINSA_8equal_toIyEEEEPmJS6_EEE10hipError_tPvRmT3_T4_T5_T6_T7_T9_mT8_P12ihipStream_tbDpT10_ENKUlT_T0_E_clISt17integral_constantIbLb0EES19_IbLb1EEEEDaS15_S16_EUlS15_E_NS1_11comp_targetILNS1_3genE9ELNS1_11target_archE1100ELNS1_3gpuE3ELNS1_3repE0EEENS1_30default_config_static_selectorELNS0_4arch9wavefront6targetE1EEEvT1_ ; -- Begin function _ZN7rocprim17ROCPRIM_400000_NS6detail17trampoline_kernelINS0_14default_configENS1_25partition_config_selectorILNS1_17partition_subalgoE8EyNS0_10empty_typeEbEEZZNS1_14partition_implILS5_8ELb0ES3_jN6thrust23THRUST_200600_302600_NS6detail15normal_iteratorINSA_10device_ptrIyEEEEPS6_PKS6_NS0_5tupleIJSF_S6_EEENSJ_IJSG_SG_EEENS0_18inequality_wrapperINSA_8equal_toIyEEEEPmJS6_EEE10hipError_tPvRmT3_T4_T5_T6_T7_T9_mT8_P12ihipStream_tbDpT10_ENKUlT_T0_E_clISt17integral_constantIbLb0EES19_IbLb1EEEEDaS15_S16_EUlS15_E_NS1_11comp_targetILNS1_3genE9ELNS1_11target_archE1100ELNS1_3gpuE3ELNS1_3repE0EEENS1_30default_config_static_selectorELNS0_4arch9wavefront6targetE1EEEvT1_
	.globl	_ZN7rocprim17ROCPRIM_400000_NS6detail17trampoline_kernelINS0_14default_configENS1_25partition_config_selectorILNS1_17partition_subalgoE8EyNS0_10empty_typeEbEEZZNS1_14partition_implILS5_8ELb0ES3_jN6thrust23THRUST_200600_302600_NS6detail15normal_iteratorINSA_10device_ptrIyEEEEPS6_PKS6_NS0_5tupleIJSF_S6_EEENSJ_IJSG_SG_EEENS0_18inequality_wrapperINSA_8equal_toIyEEEEPmJS6_EEE10hipError_tPvRmT3_T4_T5_T6_T7_T9_mT8_P12ihipStream_tbDpT10_ENKUlT_T0_E_clISt17integral_constantIbLb0EES19_IbLb1EEEEDaS15_S16_EUlS15_E_NS1_11comp_targetILNS1_3genE9ELNS1_11target_archE1100ELNS1_3gpuE3ELNS1_3repE0EEENS1_30default_config_static_selectorELNS0_4arch9wavefront6targetE1EEEvT1_
	.p2align	8
	.type	_ZN7rocprim17ROCPRIM_400000_NS6detail17trampoline_kernelINS0_14default_configENS1_25partition_config_selectorILNS1_17partition_subalgoE8EyNS0_10empty_typeEbEEZZNS1_14partition_implILS5_8ELb0ES3_jN6thrust23THRUST_200600_302600_NS6detail15normal_iteratorINSA_10device_ptrIyEEEEPS6_PKS6_NS0_5tupleIJSF_S6_EEENSJ_IJSG_SG_EEENS0_18inequality_wrapperINSA_8equal_toIyEEEEPmJS6_EEE10hipError_tPvRmT3_T4_T5_T6_T7_T9_mT8_P12ihipStream_tbDpT10_ENKUlT_T0_E_clISt17integral_constantIbLb0EES19_IbLb1EEEEDaS15_S16_EUlS15_E_NS1_11comp_targetILNS1_3genE9ELNS1_11target_archE1100ELNS1_3gpuE3ELNS1_3repE0EEENS1_30default_config_static_selectorELNS0_4arch9wavefront6targetE1EEEvT1_,@function
_ZN7rocprim17ROCPRIM_400000_NS6detail17trampoline_kernelINS0_14default_configENS1_25partition_config_selectorILNS1_17partition_subalgoE8EyNS0_10empty_typeEbEEZZNS1_14partition_implILS5_8ELb0ES3_jN6thrust23THRUST_200600_302600_NS6detail15normal_iteratorINSA_10device_ptrIyEEEEPS6_PKS6_NS0_5tupleIJSF_S6_EEENSJ_IJSG_SG_EEENS0_18inequality_wrapperINSA_8equal_toIyEEEEPmJS6_EEE10hipError_tPvRmT3_T4_T5_T6_T7_T9_mT8_P12ihipStream_tbDpT10_ENKUlT_T0_E_clISt17integral_constantIbLb0EES19_IbLb1EEEEDaS15_S16_EUlS15_E_NS1_11comp_targetILNS1_3genE9ELNS1_11target_archE1100ELNS1_3gpuE3ELNS1_3repE0EEENS1_30default_config_static_selectorELNS0_4arch9wavefront6targetE1EEEvT1_: ; @_ZN7rocprim17ROCPRIM_400000_NS6detail17trampoline_kernelINS0_14default_configENS1_25partition_config_selectorILNS1_17partition_subalgoE8EyNS0_10empty_typeEbEEZZNS1_14partition_implILS5_8ELb0ES3_jN6thrust23THRUST_200600_302600_NS6detail15normal_iteratorINSA_10device_ptrIyEEEEPS6_PKS6_NS0_5tupleIJSF_S6_EEENSJ_IJSG_SG_EEENS0_18inequality_wrapperINSA_8equal_toIyEEEEPmJS6_EEE10hipError_tPvRmT3_T4_T5_T6_T7_T9_mT8_P12ihipStream_tbDpT10_ENKUlT_T0_E_clISt17integral_constantIbLb0EES19_IbLb1EEEEDaS15_S16_EUlS15_E_NS1_11comp_targetILNS1_3genE9ELNS1_11target_archE1100ELNS1_3gpuE3ELNS1_3repE0EEENS1_30default_config_static_selectorELNS0_4arch9wavefront6targetE1EEEvT1_
; %bb.0:
	.section	.rodata,"a",@progbits
	.p2align	6, 0x0
	.amdhsa_kernel _ZN7rocprim17ROCPRIM_400000_NS6detail17trampoline_kernelINS0_14default_configENS1_25partition_config_selectorILNS1_17partition_subalgoE8EyNS0_10empty_typeEbEEZZNS1_14partition_implILS5_8ELb0ES3_jN6thrust23THRUST_200600_302600_NS6detail15normal_iteratorINSA_10device_ptrIyEEEEPS6_PKS6_NS0_5tupleIJSF_S6_EEENSJ_IJSG_SG_EEENS0_18inequality_wrapperINSA_8equal_toIyEEEEPmJS6_EEE10hipError_tPvRmT3_T4_T5_T6_T7_T9_mT8_P12ihipStream_tbDpT10_ENKUlT_T0_E_clISt17integral_constantIbLb0EES19_IbLb1EEEEDaS15_S16_EUlS15_E_NS1_11comp_targetILNS1_3genE9ELNS1_11target_archE1100ELNS1_3gpuE3ELNS1_3repE0EEENS1_30default_config_static_selectorELNS0_4arch9wavefront6targetE1EEEvT1_
		.amdhsa_group_segment_fixed_size 0
		.amdhsa_private_segment_fixed_size 0
		.amdhsa_kernarg_size 128
		.amdhsa_user_sgpr_count 6
		.amdhsa_user_sgpr_private_segment_buffer 1
		.amdhsa_user_sgpr_dispatch_ptr 0
		.amdhsa_user_sgpr_queue_ptr 0
		.amdhsa_user_sgpr_kernarg_segment_ptr 1
		.amdhsa_user_sgpr_dispatch_id 0
		.amdhsa_user_sgpr_flat_scratch_init 0
		.amdhsa_user_sgpr_private_segment_size 0
		.amdhsa_uses_dynamic_stack 0
		.amdhsa_system_sgpr_private_segment_wavefront_offset 0
		.amdhsa_system_sgpr_workgroup_id_x 1
		.amdhsa_system_sgpr_workgroup_id_y 0
		.amdhsa_system_sgpr_workgroup_id_z 0
		.amdhsa_system_sgpr_workgroup_info 0
		.amdhsa_system_vgpr_workitem_id 0
		.amdhsa_next_free_vgpr 1
		.amdhsa_next_free_sgpr 0
		.amdhsa_reserve_vcc 0
		.amdhsa_reserve_flat_scratch 0
		.amdhsa_float_round_mode_32 0
		.amdhsa_float_round_mode_16_64 0
		.amdhsa_float_denorm_mode_32 3
		.amdhsa_float_denorm_mode_16_64 3
		.amdhsa_dx10_clamp 1
		.amdhsa_ieee_mode 1
		.amdhsa_fp16_overflow 0
		.amdhsa_exception_fp_ieee_invalid_op 0
		.amdhsa_exception_fp_denorm_src 0
		.amdhsa_exception_fp_ieee_div_zero 0
		.amdhsa_exception_fp_ieee_overflow 0
		.amdhsa_exception_fp_ieee_underflow 0
		.amdhsa_exception_fp_ieee_inexact 0
		.amdhsa_exception_int_div_zero 0
	.end_amdhsa_kernel
	.section	.text._ZN7rocprim17ROCPRIM_400000_NS6detail17trampoline_kernelINS0_14default_configENS1_25partition_config_selectorILNS1_17partition_subalgoE8EyNS0_10empty_typeEbEEZZNS1_14partition_implILS5_8ELb0ES3_jN6thrust23THRUST_200600_302600_NS6detail15normal_iteratorINSA_10device_ptrIyEEEEPS6_PKS6_NS0_5tupleIJSF_S6_EEENSJ_IJSG_SG_EEENS0_18inequality_wrapperINSA_8equal_toIyEEEEPmJS6_EEE10hipError_tPvRmT3_T4_T5_T6_T7_T9_mT8_P12ihipStream_tbDpT10_ENKUlT_T0_E_clISt17integral_constantIbLb0EES19_IbLb1EEEEDaS15_S16_EUlS15_E_NS1_11comp_targetILNS1_3genE9ELNS1_11target_archE1100ELNS1_3gpuE3ELNS1_3repE0EEENS1_30default_config_static_selectorELNS0_4arch9wavefront6targetE1EEEvT1_,"axG",@progbits,_ZN7rocprim17ROCPRIM_400000_NS6detail17trampoline_kernelINS0_14default_configENS1_25partition_config_selectorILNS1_17partition_subalgoE8EyNS0_10empty_typeEbEEZZNS1_14partition_implILS5_8ELb0ES3_jN6thrust23THRUST_200600_302600_NS6detail15normal_iteratorINSA_10device_ptrIyEEEEPS6_PKS6_NS0_5tupleIJSF_S6_EEENSJ_IJSG_SG_EEENS0_18inequality_wrapperINSA_8equal_toIyEEEEPmJS6_EEE10hipError_tPvRmT3_T4_T5_T6_T7_T9_mT8_P12ihipStream_tbDpT10_ENKUlT_T0_E_clISt17integral_constantIbLb0EES19_IbLb1EEEEDaS15_S16_EUlS15_E_NS1_11comp_targetILNS1_3genE9ELNS1_11target_archE1100ELNS1_3gpuE3ELNS1_3repE0EEENS1_30default_config_static_selectorELNS0_4arch9wavefront6targetE1EEEvT1_,comdat
.Lfunc_end175:
	.size	_ZN7rocprim17ROCPRIM_400000_NS6detail17trampoline_kernelINS0_14default_configENS1_25partition_config_selectorILNS1_17partition_subalgoE8EyNS0_10empty_typeEbEEZZNS1_14partition_implILS5_8ELb0ES3_jN6thrust23THRUST_200600_302600_NS6detail15normal_iteratorINSA_10device_ptrIyEEEEPS6_PKS6_NS0_5tupleIJSF_S6_EEENSJ_IJSG_SG_EEENS0_18inequality_wrapperINSA_8equal_toIyEEEEPmJS6_EEE10hipError_tPvRmT3_T4_T5_T6_T7_T9_mT8_P12ihipStream_tbDpT10_ENKUlT_T0_E_clISt17integral_constantIbLb0EES19_IbLb1EEEEDaS15_S16_EUlS15_E_NS1_11comp_targetILNS1_3genE9ELNS1_11target_archE1100ELNS1_3gpuE3ELNS1_3repE0EEENS1_30default_config_static_selectorELNS0_4arch9wavefront6targetE1EEEvT1_, .Lfunc_end175-_ZN7rocprim17ROCPRIM_400000_NS6detail17trampoline_kernelINS0_14default_configENS1_25partition_config_selectorILNS1_17partition_subalgoE8EyNS0_10empty_typeEbEEZZNS1_14partition_implILS5_8ELb0ES3_jN6thrust23THRUST_200600_302600_NS6detail15normal_iteratorINSA_10device_ptrIyEEEEPS6_PKS6_NS0_5tupleIJSF_S6_EEENSJ_IJSG_SG_EEENS0_18inequality_wrapperINSA_8equal_toIyEEEEPmJS6_EEE10hipError_tPvRmT3_T4_T5_T6_T7_T9_mT8_P12ihipStream_tbDpT10_ENKUlT_T0_E_clISt17integral_constantIbLb0EES19_IbLb1EEEEDaS15_S16_EUlS15_E_NS1_11comp_targetILNS1_3genE9ELNS1_11target_archE1100ELNS1_3gpuE3ELNS1_3repE0EEENS1_30default_config_static_selectorELNS0_4arch9wavefront6targetE1EEEvT1_
                                        ; -- End function
	.set _ZN7rocprim17ROCPRIM_400000_NS6detail17trampoline_kernelINS0_14default_configENS1_25partition_config_selectorILNS1_17partition_subalgoE8EyNS0_10empty_typeEbEEZZNS1_14partition_implILS5_8ELb0ES3_jN6thrust23THRUST_200600_302600_NS6detail15normal_iteratorINSA_10device_ptrIyEEEEPS6_PKS6_NS0_5tupleIJSF_S6_EEENSJ_IJSG_SG_EEENS0_18inequality_wrapperINSA_8equal_toIyEEEEPmJS6_EEE10hipError_tPvRmT3_T4_T5_T6_T7_T9_mT8_P12ihipStream_tbDpT10_ENKUlT_T0_E_clISt17integral_constantIbLb0EES19_IbLb1EEEEDaS15_S16_EUlS15_E_NS1_11comp_targetILNS1_3genE9ELNS1_11target_archE1100ELNS1_3gpuE3ELNS1_3repE0EEENS1_30default_config_static_selectorELNS0_4arch9wavefront6targetE1EEEvT1_.num_vgpr, 0
	.set _ZN7rocprim17ROCPRIM_400000_NS6detail17trampoline_kernelINS0_14default_configENS1_25partition_config_selectorILNS1_17partition_subalgoE8EyNS0_10empty_typeEbEEZZNS1_14partition_implILS5_8ELb0ES3_jN6thrust23THRUST_200600_302600_NS6detail15normal_iteratorINSA_10device_ptrIyEEEEPS6_PKS6_NS0_5tupleIJSF_S6_EEENSJ_IJSG_SG_EEENS0_18inequality_wrapperINSA_8equal_toIyEEEEPmJS6_EEE10hipError_tPvRmT3_T4_T5_T6_T7_T9_mT8_P12ihipStream_tbDpT10_ENKUlT_T0_E_clISt17integral_constantIbLb0EES19_IbLb1EEEEDaS15_S16_EUlS15_E_NS1_11comp_targetILNS1_3genE9ELNS1_11target_archE1100ELNS1_3gpuE3ELNS1_3repE0EEENS1_30default_config_static_selectorELNS0_4arch9wavefront6targetE1EEEvT1_.num_agpr, 0
	.set _ZN7rocprim17ROCPRIM_400000_NS6detail17trampoline_kernelINS0_14default_configENS1_25partition_config_selectorILNS1_17partition_subalgoE8EyNS0_10empty_typeEbEEZZNS1_14partition_implILS5_8ELb0ES3_jN6thrust23THRUST_200600_302600_NS6detail15normal_iteratorINSA_10device_ptrIyEEEEPS6_PKS6_NS0_5tupleIJSF_S6_EEENSJ_IJSG_SG_EEENS0_18inequality_wrapperINSA_8equal_toIyEEEEPmJS6_EEE10hipError_tPvRmT3_T4_T5_T6_T7_T9_mT8_P12ihipStream_tbDpT10_ENKUlT_T0_E_clISt17integral_constantIbLb0EES19_IbLb1EEEEDaS15_S16_EUlS15_E_NS1_11comp_targetILNS1_3genE9ELNS1_11target_archE1100ELNS1_3gpuE3ELNS1_3repE0EEENS1_30default_config_static_selectorELNS0_4arch9wavefront6targetE1EEEvT1_.numbered_sgpr, 0
	.set _ZN7rocprim17ROCPRIM_400000_NS6detail17trampoline_kernelINS0_14default_configENS1_25partition_config_selectorILNS1_17partition_subalgoE8EyNS0_10empty_typeEbEEZZNS1_14partition_implILS5_8ELb0ES3_jN6thrust23THRUST_200600_302600_NS6detail15normal_iteratorINSA_10device_ptrIyEEEEPS6_PKS6_NS0_5tupleIJSF_S6_EEENSJ_IJSG_SG_EEENS0_18inequality_wrapperINSA_8equal_toIyEEEEPmJS6_EEE10hipError_tPvRmT3_T4_T5_T6_T7_T9_mT8_P12ihipStream_tbDpT10_ENKUlT_T0_E_clISt17integral_constantIbLb0EES19_IbLb1EEEEDaS15_S16_EUlS15_E_NS1_11comp_targetILNS1_3genE9ELNS1_11target_archE1100ELNS1_3gpuE3ELNS1_3repE0EEENS1_30default_config_static_selectorELNS0_4arch9wavefront6targetE1EEEvT1_.num_named_barrier, 0
	.set _ZN7rocprim17ROCPRIM_400000_NS6detail17trampoline_kernelINS0_14default_configENS1_25partition_config_selectorILNS1_17partition_subalgoE8EyNS0_10empty_typeEbEEZZNS1_14partition_implILS5_8ELb0ES3_jN6thrust23THRUST_200600_302600_NS6detail15normal_iteratorINSA_10device_ptrIyEEEEPS6_PKS6_NS0_5tupleIJSF_S6_EEENSJ_IJSG_SG_EEENS0_18inequality_wrapperINSA_8equal_toIyEEEEPmJS6_EEE10hipError_tPvRmT3_T4_T5_T6_T7_T9_mT8_P12ihipStream_tbDpT10_ENKUlT_T0_E_clISt17integral_constantIbLb0EES19_IbLb1EEEEDaS15_S16_EUlS15_E_NS1_11comp_targetILNS1_3genE9ELNS1_11target_archE1100ELNS1_3gpuE3ELNS1_3repE0EEENS1_30default_config_static_selectorELNS0_4arch9wavefront6targetE1EEEvT1_.private_seg_size, 0
	.set _ZN7rocprim17ROCPRIM_400000_NS6detail17trampoline_kernelINS0_14default_configENS1_25partition_config_selectorILNS1_17partition_subalgoE8EyNS0_10empty_typeEbEEZZNS1_14partition_implILS5_8ELb0ES3_jN6thrust23THRUST_200600_302600_NS6detail15normal_iteratorINSA_10device_ptrIyEEEEPS6_PKS6_NS0_5tupleIJSF_S6_EEENSJ_IJSG_SG_EEENS0_18inequality_wrapperINSA_8equal_toIyEEEEPmJS6_EEE10hipError_tPvRmT3_T4_T5_T6_T7_T9_mT8_P12ihipStream_tbDpT10_ENKUlT_T0_E_clISt17integral_constantIbLb0EES19_IbLb1EEEEDaS15_S16_EUlS15_E_NS1_11comp_targetILNS1_3genE9ELNS1_11target_archE1100ELNS1_3gpuE3ELNS1_3repE0EEENS1_30default_config_static_selectorELNS0_4arch9wavefront6targetE1EEEvT1_.uses_vcc, 0
	.set _ZN7rocprim17ROCPRIM_400000_NS6detail17trampoline_kernelINS0_14default_configENS1_25partition_config_selectorILNS1_17partition_subalgoE8EyNS0_10empty_typeEbEEZZNS1_14partition_implILS5_8ELb0ES3_jN6thrust23THRUST_200600_302600_NS6detail15normal_iteratorINSA_10device_ptrIyEEEEPS6_PKS6_NS0_5tupleIJSF_S6_EEENSJ_IJSG_SG_EEENS0_18inequality_wrapperINSA_8equal_toIyEEEEPmJS6_EEE10hipError_tPvRmT3_T4_T5_T6_T7_T9_mT8_P12ihipStream_tbDpT10_ENKUlT_T0_E_clISt17integral_constantIbLb0EES19_IbLb1EEEEDaS15_S16_EUlS15_E_NS1_11comp_targetILNS1_3genE9ELNS1_11target_archE1100ELNS1_3gpuE3ELNS1_3repE0EEENS1_30default_config_static_selectorELNS0_4arch9wavefront6targetE1EEEvT1_.uses_flat_scratch, 0
	.set _ZN7rocprim17ROCPRIM_400000_NS6detail17trampoline_kernelINS0_14default_configENS1_25partition_config_selectorILNS1_17partition_subalgoE8EyNS0_10empty_typeEbEEZZNS1_14partition_implILS5_8ELb0ES3_jN6thrust23THRUST_200600_302600_NS6detail15normal_iteratorINSA_10device_ptrIyEEEEPS6_PKS6_NS0_5tupleIJSF_S6_EEENSJ_IJSG_SG_EEENS0_18inequality_wrapperINSA_8equal_toIyEEEEPmJS6_EEE10hipError_tPvRmT3_T4_T5_T6_T7_T9_mT8_P12ihipStream_tbDpT10_ENKUlT_T0_E_clISt17integral_constantIbLb0EES19_IbLb1EEEEDaS15_S16_EUlS15_E_NS1_11comp_targetILNS1_3genE9ELNS1_11target_archE1100ELNS1_3gpuE3ELNS1_3repE0EEENS1_30default_config_static_selectorELNS0_4arch9wavefront6targetE1EEEvT1_.has_dyn_sized_stack, 0
	.set _ZN7rocprim17ROCPRIM_400000_NS6detail17trampoline_kernelINS0_14default_configENS1_25partition_config_selectorILNS1_17partition_subalgoE8EyNS0_10empty_typeEbEEZZNS1_14partition_implILS5_8ELb0ES3_jN6thrust23THRUST_200600_302600_NS6detail15normal_iteratorINSA_10device_ptrIyEEEEPS6_PKS6_NS0_5tupleIJSF_S6_EEENSJ_IJSG_SG_EEENS0_18inequality_wrapperINSA_8equal_toIyEEEEPmJS6_EEE10hipError_tPvRmT3_T4_T5_T6_T7_T9_mT8_P12ihipStream_tbDpT10_ENKUlT_T0_E_clISt17integral_constantIbLb0EES19_IbLb1EEEEDaS15_S16_EUlS15_E_NS1_11comp_targetILNS1_3genE9ELNS1_11target_archE1100ELNS1_3gpuE3ELNS1_3repE0EEENS1_30default_config_static_selectorELNS0_4arch9wavefront6targetE1EEEvT1_.has_recursion, 0
	.set _ZN7rocprim17ROCPRIM_400000_NS6detail17trampoline_kernelINS0_14default_configENS1_25partition_config_selectorILNS1_17partition_subalgoE8EyNS0_10empty_typeEbEEZZNS1_14partition_implILS5_8ELb0ES3_jN6thrust23THRUST_200600_302600_NS6detail15normal_iteratorINSA_10device_ptrIyEEEEPS6_PKS6_NS0_5tupleIJSF_S6_EEENSJ_IJSG_SG_EEENS0_18inequality_wrapperINSA_8equal_toIyEEEEPmJS6_EEE10hipError_tPvRmT3_T4_T5_T6_T7_T9_mT8_P12ihipStream_tbDpT10_ENKUlT_T0_E_clISt17integral_constantIbLb0EES19_IbLb1EEEEDaS15_S16_EUlS15_E_NS1_11comp_targetILNS1_3genE9ELNS1_11target_archE1100ELNS1_3gpuE3ELNS1_3repE0EEENS1_30default_config_static_selectorELNS0_4arch9wavefront6targetE1EEEvT1_.has_indirect_call, 0
	.section	.AMDGPU.csdata,"",@progbits
; Kernel info:
; codeLenInByte = 0
; TotalNumSgprs: 4
; NumVgprs: 0
; ScratchSize: 0
; MemoryBound: 0
; FloatMode: 240
; IeeeMode: 1
; LDSByteSize: 0 bytes/workgroup (compile time only)
; SGPRBlocks: 0
; VGPRBlocks: 0
; NumSGPRsForWavesPerEU: 4
; NumVGPRsForWavesPerEU: 1
; Occupancy: 10
; WaveLimiterHint : 0
; COMPUTE_PGM_RSRC2:SCRATCH_EN: 0
; COMPUTE_PGM_RSRC2:USER_SGPR: 6
; COMPUTE_PGM_RSRC2:TRAP_HANDLER: 0
; COMPUTE_PGM_RSRC2:TGID_X_EN: 1
; COMPUTE_PGM_RSRC2:TGID_Y_EN: 0
; COMPUTE_PGM_RSRC2:TGID_Z_EN: 0
; COMPUTE_PGM_RSRC2:TIDIG_COMP_CNT: 0
	.section	.text._ZN7rocprim17ROCPRIM_400000_NS6detail17trampoline_kernelINS0_14default_configENS1_25partition_config_selectorILNS1_17partition_subalgoE8EyNS0_10empty_typeEbEEZZNS1_14partition_implILS5_8ELb0ES3_jN6thrust23THRUST_200600_302600_NS6detail15normal_iteratorINSA_10device_ptrIyEEEEPS6_PKS6_NS0_5tupleIJSF_S6_EEENSJ_IJSG_SG_EEENS0_18inequality_wrapperINSA_8equal_toIyEEEEPmJS6_EEE10hipError_tPvRmT3_T4_T5_T6_T7_T9_mT8_P12ihipStream_tbDpT10_ENKUlT_T0_E_clISt17integral_constantIbLb0EES19_IbLb1EEEEDaS15_S16_EUlS15_E_NS1_11comp_targetILNS1_3genE8ELNS1_11target_archE1030ELNS1_3gpuE2ELNS1_3repE0EEENS1_30default_config_static_selectorELNS0_4arch9wavefront6targetE1EEEvT1_,"axG",@progbits,_ZN7rocprim17ROCPRIM_400000_NS6detail17trampoline_kernelINS0_14default_configENS1_25partition_config_selectorILNS1_17partition_subalgoE8EyNS0_10empty_typeEbEEZZNS1_14partition_implILS5_8ELb0ES3_jN6thrust23THRUST_200600_302600_NS6detail15normal_iteratorINSA_10device_ptrIyEEEEPS6_PKS6_NS0_5tupleIJSF_S6_EEENSJ_IJSG_SG_EEENS0_18inequality_wrapperINSA_8equal_toIyEEEEPmJS6_EEE10hipError_tPvRmT3_T4_T5_T6_T7_T9_mT8_P12ihipStream_tbDpT10_ENKUlT_T0_E_clISt17integral_constantIbLb0EES19_IbLb1EEEEDaS15_S16_EUlS15_E_NS1_11comp_targetILNS1_3genE8ELNS1_11target_archE1030ELNS1_3gpuE2ELNS1_3repE0EEENS1_30default_config_static_selectorELNS0_4arch9wavefront6targetE1EEEvT1_,comdat
	.protected	_ZN7rocprim17ROCPRIM_400000_NS6detail17trampoline_kernelINS0_14default_configENS1_25partition_config_selectorILNS1_17partition_subalgoE8EyNS0_10empty_typeEbEEZZNS1_14partition_implILS5_8ELb0ES3_jN6thrust23THRUST_200600_302600_NS6detail15normal_iteratorINSA_10device_ptrIyEEEEPS6_PKS6_NS0_5tupleIJSF_S6_EEENSJ_IJSG_SG_EEENS0_18inequality_wrapperINSA_8equal_toIyEEEEPmJS6_EEE10hipError_tPvRmT3_T4_T5_T6_T7_T9_mT8_P12ihipStream_tbDpT10_ENKUlT_T0_E_clISt17integral_constantIbLb0EES19_IbLb1EEEEDaS15_S16_EUlS15_E_NS1_11comp_targetILNS1_3genE8ELNS1_11target_archE1030ELNS1_3gpuE2ELNS1_3repE0EEENS1_30default_config_static_selectorELNS0_4arch9wavefront6targetE1EEEvT1_ ; -- Begin function _ZN7rocprim17ROCPRIM_400000_NS6detail17trampoline_kernelINS0_14default_configENS1_25partition_config_selectorILNS1_17partition_subalgoE8EyNS0_10empty_typeEbEEZZNS1_14partition_implILS5_8ELb0ES3_jN6thrust23THRUST_200600_302600_NS6detail15normal_iteratorINSA_10device_ptrIyEEEEPS6_PKS6_NS0_5tupleIJSF_S6_EEENSJ_IJSG_SG_EEENS0_18inequality_wrapperINSA_8equal_toIyEEEEPmJS6_EEE10hipError_tPvRmT3_T4_T5_T6_T7_T9_mT8_P12ihipStream_tbDpT10_ENKUlT_T0_E_clISt17integral_constantIbLb0EES19_IbLb1EEEEDaS15_S16_EUlS15_E_NS1_11comp_targetILNS1_3genE8ELNS1_11target_archE1030ELNS1_3gpuE2ELNS1_3repE0EEENS1_30default_config_static_selectorELNS0_4arch9wavefront6targetE1EEEvT1_
	.globl	_ZN7rocprim17ROCPRIM_400000_NS6detail17trampoline_kernelINS0_14default_configENS1_25partition_config_selectorILNS1_17partition_subalgoE8EyNS0_10empty_typeEbEEZZNS1_14partition_implILS5_8ELb0ES3_jN6thrust23THRUST_200600_302600_NS6detail15normal_iteratorINSA_10device_ptrIyEEEEPS6_PKS6_NS0_5tupleIJSF_S6_EEENSJ_IJSG_SG_EEENS0_18inequality_wrapperINSA_8equal_toIyEEEEPmJS6_EEE10hipError_tPvRmT3_T4_T5_T6_T7_T9_mT8_P12ihipStream_tbDpT10_ENKUlT_T0_E_clISt17integral_constantIbLb0EES19_IbLb1EEEEDaS15_S16_EUlS15_E_NS1_11comp_targetILNS1_3genE8ELNS1_11target_archE1030ELNS1_3gpuE2ELNS1_3repE0EEENS1_30default_config_static_selectorELNS0_4arch9wavefront6targetE1EEEvT1_
	.p2align	8
	.type	_ZN7rocprim17ROCPRIM_400000_NS6detail17trampoline_kernelINS0_14default_configENS1_25partition_config_selectorILNS1_17partition_subalgoE8EyNS0_10empty_typeEbEEZZNS1_14partition_implILS5_8ELb0ES3_jN6thrust23THRUST_200600_302600_NS6detail15normal_iteratorINSA_10device_ptrIyEEEEPS6_PKS6_NS0_5tupleIJSF_S6_EEENSJ_IJSG_SG_EEENS0_18inequality_wrapperINSA_8equal_toIyEEEEPmJS6_EEE10hipError_tPvRmT3_T4_T5_T6_T7_T9_mT8_P12ihipStream_tbDpT10_ENKUlT_T0_E_clISt17integral_constantIbLb0EES19_IbLb1EEEEDaS15_S16_EUlS15_E_NS1_11comp_targetILNS1_3genE8ELNS1_11target_archE1030ELNS1_3gpuE2ELNS1_3repE0EEENS1_30default_config_static_selectorELNS0_4arch9wavefront6targetE1EEEvT1_,@function
_ZN7rocprim17ROCPRIM_400000_NS6detail17trampoline_kernelINS0_14default_configENS1_25partition_config_selectorILNS1_17partition_subalgoE8EyNS0_10empty_typeEbEEZZNS1_14partition_implILS5_8ELb0ES3_jN6thrust23THRUST_200600_302600_NS6detail15normal_iteratorINSA_10device_ptrIyEEEEPS6_PKS6_NS0_5tupleIJSF_S6_EEENSJ_IJSG_SG_EEENS0_18inequality_wrapperINSA_8equal_toIyEEEEPmJS6_EEE10hipError_tPvRmT3_T4_T5_T6_T7_T9_mT8_P12ihipStream_tbDpT10_ENKUlT_T0_E_clISt17integral_constantIbLb0EES19_IbLb1EEEEDaS15_S16_EUlS15_E_NS1_11comp_targetILNS1_3genE8ELNS1_11target_archE1030ELNS1_3gpuE2ELNS1_3repE0EEENS1_30default_config_static_selectorELNS0_4arch9wavefront6targetE1EEEvT1_: ; @_ZN7rocprim17ROCPRIM_400000_NS6detail17trampoline_kernelINS0_14default_configENS1_25partition_config_selectorILNS1_17partition_subalgoE8EyNS0_10empty_typeEbEEZZNS1_14partition_implILS5_8ELb0ES3_jN6thrust23THRUST_200600_302600_NS6detail15normal_iteratorINSA_10device_ptrIyEEEEPS6_PKS6_NS0_5tupleIJSF_S6_EEENSJ_IJSG_SG_EEENS0_18inequality_wrapperINSA_8equal_toIyEEEEPmJS6_EEE10hipError_tPvRmT3_T4_T5_T6_T7_T9_mT8_P12ihipStream_tbDpT10_ENKUlT_T0_E_clISt17integral_constantIbLb0EES19_IbLb1EEEEDaS15_S16_EUlS15_E_NS1_11comp_targetILNS1_3genE8ELNS1_11target_archE1030ELNS1_3gpuE2ELNS1_3repE0EEENS1_30default_config_static_selectorELNS0_4arch9wavefront6targetE1EEEvT1_
; %bb.0:
	.section	.rodata,"a",@progbits
	.p2align	6, 0x0
	.amdhsa_kernel _ZN7rocprim17ROCPRIM_400000_NS6detail17trampoline_kernelINS0_14default_configENS1_25partition_config_selectorILNS1_17partition_subalgoE8EyNS0_10empty_typeEbEEZZNS1_14partition_implILS5_8ELb0ES3_jN6thrust23THRUST_200600_302600_NS6detail15normal_iteratorINSA_10device_ptrIyEEEEPS6_PKS6_NS0_5tupleIJSF_S6_EEENSJ_IJSG_SG_EEENS0_18inequality_wrapperINSA_8equal_toIyEEEEPmJS6_EEE10hipError_tPvRmT3_T4_T5_T6_T7_T9_mT8_P12ihipStream_tbDpT10_ENKUlT_T0_E_clISt17integral_constantIbLb0EES19_IbLb1EEEEDaS15_S16_EUlS15_E_NS1_11comp_targetILNS1_3genE8ELNS1_11target_archE1030ELNS1_3gpuE2ELNS1_3repE0EEENS1_30default_config_static_selectorELNS0_4arch9wavefront6targetE1EEEvT1_
		.amdhsa_group_segment_fixed_size 0
		.amdhsa_private_segment_fixed_size 0
		.amdhsa_kernarg_size 128
		.amdhsa_user_sgpr_count 6
		.amdhsa_user_sgpr_private_segment_buffer 1
		.amdhsa_user_sgpr_dispatch_ptr 0
		.amdhsa_user_sgpr_queue_ptr 0
		.amdhsa_user_sgpr_kernarg_segment_ptr 1
		.amdhsa_user_sgpr_dispatch_id 0
		.amdhsa_user_sgpr_flat_scratch_init 0
		.amdhsa_user_sgpr_private_segment_size 0
		.amdhsa_uses_dynamic_stack 0
		.amdhsa_system_sgpr_private_segment_wavefront_offset 0
		.amdhsa_system_sgpr_workgroup_id_x 1
		.amdhsa_system_sgpr_workgroup_id_y 0
		.amdhsa_system_sgpr_workgroup_id_z 0
		.amdhsa_system_sgpr_workgroup_info 0
		.amdhsa_system_vgpr_workitem_id 0
		.amdhsa_next_free_vgpr 1
		.amdhsa_next_free_sgpr 0
		.amdhsa_reserve_vcc 0
		.amdhsa_reserve_flat_scratch 0
		.amdhsa_float_round_mode_32 0
		.amdhsa_float_round_mode_16_64 0
		.amdhsa_float_denorm_mode_32 3
		.amdhsa_float_denorm_mode_16_64 3
		.amdhsa_dx10_clamp 1
		.amdhsa_ieee_mode 1
		.amdhsa_fp16_overflow 0
		.amdhsa_exception_fp_ieee_invalid_op 0
		.amdhsa_exception_fp_denorm_src 0
		.amdhsa_exception_fp_ieee_div_zero 0
		.amdhsa_exception_fp_ieee_overflow 0
		.amdhsa_exception_fp_ieee_underflow 0
		.amdhsa_exception_fp_ieee_inexact 0
		.amdhsa_exception_int_div_zero 0
	.end_amdhsa_kernel
	.section	.text._ZN7rocprim17ROCPRIM_400000_NS6detail17trampoline_kernelINS0_14default_configENS1_25partition_config_selectorILNS1_17partition_subalgoE8EyNS0_10empty_typeEbEEZZNS1_14partition_implILS5_8ELb0ES3_jN6thrust23THRUST_200600_302600_NS6detail15normal_iteratorINSA_10device_ptrIyEEEEPS6_PKS6_NS0_5tupleIJSF_S6_EEENSJ_IJSG_SG_EEENS0_18inequality_wrapperINSA_8equal_toIyEEEEPmJS6_EEE10hipError_tPvRmT3_T4_T5_T6_T7_T9_mT8_P12ihipStream_tbDpT10_ENKUlT_T0_E_clISt17integral_constantIbLb0EES19_IbLb1EEEEDaS15_S16_EUlS15_E_NS1_11comp_targetILNS1_3genE8ELNS1_11target_archE1030ELNS1_3gpuE2ELNS1_3repE0EEENS1_30default_config_static_selectorELNS0_4arch9wavefront6targetE1EEEvT1_,"axG",@progbits,_ZN7rocprim17ROCPRIM_400000_NS6detail17trampoline_kernelINS0_14default_configENS1_25partition_config_selectorILNS1_17partition_subalgoE8EyNS0_10empty_typeEbEEZZNS1_14partition_implILS5_8ELb0ES3_jN6thrust23THRUST_200600_302600_NS6detail15normal_iteratorINSA_10device_ptrIyEEEEPS6_PKS6_NS0_5tupleIJSF_S6_EEENSJ_IJSG_SG_EEENS0_18inequality_wrapperINSA_8equal_toIyEEEEPmJS6_EEE10hipError_tPvRmT3_T4_T5_T6_T7_T9_mT8_P12ihipStream_tbDpT10_ENKUlT_T0_E_clISt17integral_constantIbLb0EES19_IbLb1EEEEDaS15_S16_EUlS15_E_NS1_11comp_targetILNS1_3genE8ELNS1_11target_archE1030ELNS1_3gpuE2ELNS1_3repE0EEENS1_30default_config_static_selectorELNS0_4arch9wavefront6targetE1EEEvT1_,comdat
.Lfunc_end176:
	.size	_ZN7rocprim17ROCPRIM_400000_NS6detail17trampoline_kernelINS0_14default_configENS1_25partition_config_selectorILNS1_17partition_subalgoE8EyNS0_10empty_typeEbEEZZNS1_14partition_implILS5_8ELb0ES3_jN6thrust23THRUST_200600_302600_NS6detail15normal_iteratorINSA_10device_ptrIyEEEEPS6_PKS6_NS0_5tupleIJSF_S6_EEENSJ_IJSG_SG_EEENS0_18inequality_wrapperINSA_8equal_toIyEEEEPmJS6_EEE10hipError_tPvRmT3_T4_T5_T6_T7_T9_mT8_P12ihipStream_tbDpT10_ENKUlT_T0_E_clISt17integral_constantIbLb0EES19_IbLb1EEEEDaS15_S16_EUlS15_E_NS1_11comp_targetILNS1_3genE8ELNS1_11target_archE1030ELNS1_3gpuE2ELNS1_3repE0EEENS1_30default_config_static_selectorELNS0_4arch9wavefront6targetE1EEEvT1_, .Lfunc_end176-_ZN7rocprim17ROCPRIM_400000_NS6detail17trampoline_kernelINS0_14default_configENS1_25partition_config_selectorILNS1_17partition_subalgoE8EyNS0_10empty_typeEbEEZZNS1_14partition_implILS5_8ELb0ES3_jN6thrust23THRUST_200600_302600_NS6detail15normal_iteratorINSA_10device_ptrIyEEEEPS6_PKS6_NS0_5tupleIJSF_S6_EEENSJ_IJSG_SG_EEENS0_18inequality_wrapperINSA_8equal_toIyEEEEPmJS6_EEE10hipError_tPvRmT3_T4_T5_T6_T7_T9_mT8_P12ihipStream_tbDpT10_ENKUlT_T0_E_clISt17integral_constantIbLb0EES19_IbLb1EEEEDaS15_S16_EUlS15_E_NS1_11comp_targetILNS1_3genE8ELNS1_11target_archE1030ELNS1_3gpuE2ELNS1_3repE0EEENS1_30default_config_static_selectorELNS0_4arch9wavefront6targetE1EEEvT1_
                                        ; -- End function
	.set _ZN7rocprim17ROCPRIM_400000_NS6detail17trampoline_kernelINS0_14default_configENS1_25partition_config_selectorILNS1_17partition_subalgoE8EyNS0_10empty_typeEbEEZZNS1_14partition_implILS5_8ELb0ES3_jN6thrust23THRUST_200600_302600_NS6detail15normal_iteratorINSA_10device_ptrIyEEEEPS6_PKS6_NS0_5tupleIJSF_S6_EEENSJ_IJSG_SG_EEENS0_18inequality_wrapperINSA_8equal_toIyEEEEPmJS6_EEE10hipError_tPvRmT3_T4_T5_T6_T7_T9_mT8_P12ihipStream_tbDpT10_ENKUlT_T0_E_clISt17integral_constantIbLb0EES19_IbLb1EEEEDaS15_S16_EUlS15_E_NS1_11comp_targetILNS1_3genE8ELNS1_11target_archE1030ELNS1_3gpuE2ELNS1_3repE0EEENS1_30default_config_static_selectorELNS0_4arch9wavefront6targetE1EEEvT1_.num_vgpr, 0
	.set _ZN7rocprim17ROCPRIM_400000_NS6detail17trampoline_kernelINS0_14default_configENS1_25partition_config_selectorILNS1_17partition_subalgoE8EyNS0_10empty_typeEbEEZZNS1_14partition_implILS5_8ELb0ES3_jN6thrust23THRUST_200600_302600_NS6detail15normal_iteratorINSA_10device_ptrIyEEEEPS6_PKS6_NS0_5tupleIJSF_S6_EEENSJ_IJSG_SG_EEENS0_18inequality_wrapperINSA_8equal_toIyEEEEPmJS6_EEE10hipError_tPvRmT3_T4_T5_T6_T7_T9_mT8_P12ihipStream_tbDpT10_ENKUlT_T0_E_clISt17integral_constantIbLb0EES19_IbLb1EEEEDaS15_S16_EUlS15_E_NS1_11comp_targetILNS1_3genE8ELNS1_11target_archE1030ELNS1_3gpuE2ELNS1_3repE0EEENS1_30default_config_static_selectorELNS0_4arch9wavefront6targetE1EEEvT1_.num_agpr, 0
	.set _ZN7rocprim17ROCPRIM_400000_NS6detail17trampoline_kernelINS0_14default_configENS1_25partition_config_selectorILNS1_17partition_subalgoE8EyNS0_10empty_typeEbEEZZNS1_14partition_implILS5_8ELb0ES3_jN6thrust23THRUST_200600_302600_NS6detail15normal_iteratorINSA_10device_ptrIyEEEEPS6_PKS6_NS0_5tupleIJSF_S6_EEENSJ_IJSG_SG_EEENS0_18inequality_wrapperINSA_8equal_toIyEEEEPmJS6_EEE10hipError_tPvRmT3_T4_T5_T6_T7_T9_mT8_P12ihipStream_tbDpT10_ENKUlT_T0_E_clISt17integral_constantIbLb0EES19_IbLb1EEEEDaS15_S16_EUlS15_E_NS1_11comp_targetILNS1_3genE8ELNS1_11target_archE1030ELNS1_3gpuE2ELNS1_3repE0EEENS1_30default_config_static_selectorELNS0_4arch9wavefront6targetE1EEEvT1_.numbered_sgpr, 0
	.set _ZN7rocprim17ROCPRIM_400000_NS6detail17trampoline_kernelINS0_14default_configENS1_25partition_config_selectorILNS1_17partition_subalgoE8EyNS0_10empty_typeEbEEZZNS1_14partition_implILS5_8ELb0ES3_jN6thrust23THRUST_200600_302600_NS6detail15normal_iteratorINSA_10device_ptrIyEEEEPS6_PKS6_NS0_5tupleIJSF_S6_EEENSJ_IJSG_SG_EEENS0_18inequality_wrapperINSA_8equal_toIyEEEEPmJS6_EEE10hipError_tPvRmT3_T4_T5_T6_T7_T9_mT8_P12ihipStream_tbDpT10_ENKUlT_T0_E_clISt17integral_constantIbLb0EES19_IbLb1EEEEDaS15_S16_EUlS15_E_NS1_11comp_targetILNS1_3genE8ELNS1_11target_archE1030ELNS1_3gpuE2ELNS1_3repE0EEENS1_30default_config_static_selectorELNS0_4arch9wavefront6targetE1EEEvT1_.num_named_barrier, 0
	.set _ZN7rocprim17ROCPRIM_400000_NS6detail17trampoline_kernelINS0_14default_configENS1_25partition_config_selectorILNS1_17partition_subalgoE8EyNS0_10empty_typeEbEEZZNS1_14partition_implILS5_8ELb0ES3_jN6thrust23THRUST_200600_302600_NS6detail15normal_iteratorINSA_10device_ptrIyEEEEPS6_PKS6_NS0_5tupleIJSF_S6_EEENSJ_IJSG_SG_EEENS0_18inequality_wrapperINSA_8equal_toIyEEEEPmJS6_EEE10hipError_tPvRmT3_T4_T5_T6_T7_T9_mT8_P12ihipStream_tbDpT10_ENKUlT_T0_E_clISt17integral_constantIbLb0EES19_IbLb1EEEEDaS15_S16_EUlS15_E_NS1_11comp_targetILNS1_3genE8ELNS1_11target_archE1030ELNS1_3gpuE2ELNS1_3repE0EEENS1_30default_config_static_selectorELNS0_4arch9wavefront6targetE1EEEvT1_.private_seg_size, 0
	.set _ZN7rocprim17ROCPRIM_400000_NS6detail17trampoline_kernelINS0_14default_configENS1_25partition_config_selectorILNS1_17partition_subalgoE8EyNS0_10empty_typeEbEEZZNS1_14partition_implILS5_8ELb0ES3_jN6thrust23THRUST_200600_302600_NS6detail15normal_iteratorINSA_10device_ptrIyEEEEPS6_PKS6_NS0_5tupleIJSF_S6_EEENSJ_IJSG_SG_EEENS0_18inequality_wrapperINSA_8equal_toIyEEEEPmJS6_EEE10hipError_tPvRmT3_T4_T5_T6_T7_T9_mT8_P12ihipStream_tbDpT10_ENKUlT_T0_E_clISt17integral_constantIbLb0EES19_IbLb1EEEEDaS15_S16_EUlS15_E_NS1_11comp_targetILNS1_3genE8ELNS1_11target_archE1030ELNS1_3gpuE2ELNS1_3repE0EEENS1_30default_config_static_selectorELNS0_4arch9wavefront6targetE1EEEvT1_.uses_vcc, 0
	.set _ZN7rocprim17ROCPRIM_400000_NS6detail17trampoline_kernelINS0_14default_configENS1_25partition_config_selectorILNS1_17partition_subalgoE8EyNS0_10empty_typeEbEEZZNS1_14partition_implILS5_8ELb0ES3_jN6thrust23THRUST_200600_302600_NS6detail15normal_iteratorINSA_10device_ptrIyEEEEPS6_PKS6_NS0_5tupleIJSF_S6_EEENSJ_IJSG_SG_EEENS0_18inequality_wrapperINSA_8equal_toIyEEEEPmJS6_EEE10hipError_tPvRmT3_T4_T5_T6_T7_T9_mT8_P12ihipStream_tbDpT10_ENKUlT_T0_E_clISt17integral_constantIbLb0EES19_IbLb1EEEEDaS15_S16_EUlS15_E_NS1_11comp_targetILNS1_3genE8ELNS1_11target_archE1030ELNS1_3gpuE2ELNS1_3repE0EEENS1_30default_config_static_selectorELNS0_4arch9wavefront6targetE1EEEvT1_.uses_flat_scratch, 0
	.set _ZN7rocprim17ROCPRIM_400000_NS6detail17trampoline_kernelINS0_14default_configENS1_25partition_config_selectorILNS1_17partition_subalgoE8EyNS0_10empty_typeEbEEZZNS1_14partition_implILS5_8ELb0ES3_jN6thrust23THRUST_200600_302600_NS6detail15normal_iteratorINSA_10device_ptrIyEEEEPS6_PKS6_NS0_5tupleIJSF_S6_EEENSJ_IJSG_SG_EEENS0_18inequality_wrapperINSA_8equal_toIyEEEEPmJS6_EEE10hipError_tPvRmT3_T4_T5_T6_T7_T9_mT8_P12ihipStream_tbDpT10_ENKUlT_T0_E_clISt17integral_constantIbLb0EES19_IbLb1EEEEDaS15_S16_EUlS15_E_NS1_11comp_targetILNS1_3genE8ELNS1_11target_archE1030ELNS1_3gpuE2ELNS1_3repE0EEENS1_30default_config_static_selectorELNS0_4arch9wavefront6targetE1EEEvT1_.has_dyn_sized_stack, 0
	.set _ZN7rocprim17ROCPRIM_400000_NS6detail17trampoline_kernelINS0_14default_configENS1_25partition_config_selectorILNS1_17partition_subalgoE8EyNS0_10empty_typeEbEEZZNS1_14partition_implILS5_8ELb0ES3_jN6thrust23THRUST_200600_302600_NS6detail15normal_iteratorINSA_10device_ptrIyEEEEPS6_PKS6_NS0_5tupleIJSF_S6_EEENSJ_IJSG_SG_EEENS0_18inequality_wrapperINSA_8equal_toIyEEEEPmJS6_EEE10hipError_tPvRmT3_T4_T5_T6_T7_T9_mT8_P12ihipStream_tbDpT10_ENKUlT_T0_E_clISt17integral_constantIbLb0EES19_IbLb1EEEEDaS15_S16_EUlS15_E_NS1_11comp_targetILNS1_3genE8ELNS1_11target_archE1030ELNS1_3gpuE2ELNS1_3repE0EEENS1_30default_config_static_selectorELNS0_4arch9wavefront6targetE1EEEvT1_.has_recursion, 0
	.set _ZN7rocprim17ROCPRIM_400000_NS6detail17trampoline_kernelINS0_14default_configENS1_25partition_config_selectorILNS1_17partition_subalgoE8EyNS0_10empty_typeEbEEZZNS1_14partition_implILS5_8ELb0ES3_jN6thrust23THRUST_200600_302600_NS6detail15normal_iteratorINSA_10device_ptrIyEEEEPS6_PKS6_NS0_5tupleIJSF_S6_EEENSJ_IJSG_SG_EEENS0_18inequality_wrapperINSA_8equal_toIyEEEEPmJS6_EEE10hipError_tPvRmT3_T4_T5_T6_T7_T9_mT8_P12ihipStream_tbDpT10_ENKUlT_T0_E_clISt17integral_constantIbLb0EES19_IbLb1EEEEDaS15_S16_EUlS15_E_NS1_11comp_targetILNS1_3genE8ELNS1_11target_archE1030ELNS1_3gpuE2ELNS1_3repE0EEENS1_30default_config_static_selectorELNS0_4arch9wavefront6targetE1EEEvT1_.has_indirect_call, 0
	.section	.AMDGPU.csdata,"",@progbits
; Kernel info:
; codeLenInByte = 0
; TotalNumSgprs: 4
; NumVgprs: 0
; ScratchSize: 0
; MemoryBound: 0
; FloatMode: 240
; IeeeMode: 1
; LDSByteSize: 0 bytes/workgroup (compile time only)
; SGPRBlocks: 0
; VGPRBlocks: 0
; NumSGPRsForWavesPerEU: 4
; NumVGPRsForWavesPerEU: 1
; Occupancy: 10
; WaveLimiterHint : 0
; COMPUTE_PGM_RSRC2:SCRATCH_EN: 0
; COMPUTE_PGM_RSRC2:USER_SGPR: 6
; COMPUTE_PGM_RSRC2:TRAP_HANDLER: 0
; COMPUTE_PGM_RSRC2:TGID_X_EN: 1
; COMPUTE_PGM_RSRC2:TGID_Y_EN: 0
; COMPUTE_PGM_RSRC2:TGID_Z_EN: 0
; COMPUTE_PGM_RSRC2:TIDIG_COMP_CNT: 0
	.section	.text._ZN7rocprim17ROCPRIM_400000_NS6detail17trampoline_kernelINS0_14default_configENS1_25partition_config_selectorILNS1_17partition_subalgoE8EyNS0_10empty_typeEbEEZZNS1_14partition_implILS5_8ELb0ES3_jN6thrust23THRUST_200600_302600_NS6detail15normal_iteratorINSA_10device_ptrIyEEEEPS6_PKS6_NS0_5tupleIJSF_S6_EEENSJ_IJSG_SG_EEENS0_18inequality_wrapperI22is_equal_div_10_uniqueIyEEEPmJS6_EEE10hipError_tPvRmT3_T4_T5_T6_T7_T9_mT8_P12ihipStream_tbDpT10_ENKUlT_T0_E_clISt17integral_constantIbLb0EES1A_EEDaS15_S16_EUlS15_E_NS1_11comp_targetILNS1_3genE0ELNS1_11target_archE4294967295ELNS1_3gpuE0ELNS1_3repE0EEENS1_30default_config_static_selectorELNS0_4arch9wavefront6targetE1EEEvT1_,"axG",@progbits,_ZN7rocprim17ROCPRIM_400000_NS6detail17trampoline_kernelINS0_14default_configENS1_25partition_config_selectorILNS1_17partition_subalgoE8EyNS0_10empty_typeEbEEZZNS1_14partition_implILS5_8ELb0ES3_jN6thrust23THRUST_200600_302600_NS6detail15normal_iteratorINSA_10device_ptrIyEEEEPS6_PKS6_NS0_5tupleIJSF_S6_EEENSJ_IJSG_SG_EEENS0_18inequality_wrapperI22is_equal_div_10_uniqueIyEEEPmJS6_EEE10hipError_tPvRmT3_T4_T5_T6_T7_T9_mT8_P12ihipStream_tbDpT10_ENKUlT_T0_E_clISt17integral_constantIbLb0EES1A_EEDaS15_S16_EUlS15_E_NS1_11comp_targetILNS1_3genE0ELNS1_11target_archE4294967295ELNS1_3gpuE0ELNS1_3repE0EEENS1_30default_config_static_selectorELNS0_4arch9wavefront6targetE1EEEvT1_,comdat
	.protected	_ZN7rocprim17ROCPRIM_400000_NS6detail17trampoline_kernelINS0_14default_configENS1_25partition_config_selectorILNS1_17partition_subalgoE8EyNS0_10empty_typeEbEEZZNS1_14partition_implILS5_8ELb0ES3_jN6thrust23THRUST_200600_302600_NS6detail15normal_iteratorINSA_10device_ptrIyEEEEPS6_PKS6_NS0_5tupleIJSF_S6_EEENSJ_IJSG_SG_EEENS0_18inequality_wrapperI22is_equal_div_10_uniqueIyEEEPmJS6_EEE10hipError_tPvRmT3_T4_T5_T6_T7_T9_mT8_P12ihipStream_tbDpT10_ENKUlT_T0_E_clISt17integral_constantIbLb0EES1A_EEDaS15_S16_EUlS15_E_NS1_11comp_targetILNS1_3genE0ELNS1_11target_archE4294967295ELNS1_3gpuE0ELNS1_3repE0EEENS1_30default_config_static_selectorELNS0_4arch9wavefront6targetE1EEEvT1_ ; -- Begin function _ZN7rocprim17ROCPRIM_400000_NS6detail17trampoline_kernelINS0_14default_configENS1_25partition_config_selectorILNS1_17partition_subalgoE8EyNS0_10empty_typeEbEEZZNS1_14partition_implILS5_8ELb0ES3_jN6thrust23THRUST_200600_302600_NS6detail15normal_iteratorINSA_10device_ptrIyEEEEPS6_PKS6_NS0_5tupleIJSF_S6_EEENSJ_IJSG_SG_EEENS0_18inequality_wrapperI22is_equal_div_10_uniqueIyEEEPmJS6_EEE10hipError_tPvRmT3_T4_T5_T6_T7_T9_mT8_P12ihipStream_tbDpT10_ENKUlT_T0_E_clISt17integral_constantIbLb0EES1A_EEDaS15_S16_EUlS15_E_NS1_11comp_targetILNS1_3genE0ELNS1_11target_archE4294967295ELNS1_3gpuE0ELNS1_3repE0EEENS1_30default_config_static_selectorELNS0_4arch9wavefront6targetE1EEEvT1_
	.globl	_ZN7rocprim17ROCPRIM_400000_NS6detail17trampoline_kernelINS0_14default_configENS1_25partition_config_selectorILNS1_17partition_subalgoE8EyNS0_10empty_typeEbEEZZNS1_14partition_implILS5_8ELb0ES3_jN6thrust23THRUST_200600_302600_NS6detail15normal_iteratorINSA_10device_ptrIyEEEEPS6_PKS6_NS0_5tupleIJSF_S6_EEENSJ_IJSG_SG_EEENS0_18inequality_wrapperI22is_equal_div_10_uniqueIyEEEPmJS6_EEE10hipError_tPvRmT3_T4_T5_T6_T7_T9_mT8_P12ihipStream_tbDpT10_ENKUlT_T0_E_clISt17integral_constantIbLb0EES1A_EEDaS15_S16_EUlS15_E_NS1_11comp_targetILNS1_3genE0ELNS1_11target_archE4294967295ELNS1_3gpuE0ELNS1_3repE0EEENS1_30default_config_static_selectorELNS0_4arch9wavefront6targetE1EEEvT1_
	.p2align	8
	.type	_ZN7rocprim17ROCPRIM_400000_NS6detail17trampoline_kernelINS0_14default_configENS1_25partition_config_selectorILNS1_17partition_subalgoE8EyNS0_10empty_typeEbEEZZNS1_14partition_implILS5_8ELb0ES3_jN6thrust23THRUST_200600_302600_NS6detail15normal_iteratorINSA_10device_ptrIyEEEEPS6_PKS6_NS0_5tupleIJSF_S6_EEENSJ_IJSG_SG_EEENS0_18inequality_wrapperI22is_equal_div_10_uniqueIyEEEPmJS6_EEE10hipError_tPvRmT3_T4_T5_T6_T7_T9_mT8_P12ihipStream_tbDpT10_ENKUlT_T0_E_clISt17integral_constantIbLb0EES1A_EEDaS15_S16_EUlS15_E_NS1_11comp_targetILNS1_3genE0ELNS1_11target_archE4294967295ELNS1_3gpuE0ELNS1_3repE0EEENS1_30default_config_static_selectorELNS0_4arch9wavefront6targetE1EEEvT1_,@function
_ZN7rocprim17ROCPRIM_400000_NS6detail17trampoline_kernelINS0_14default_configENS1_25partition_config_selectorILNS1_17partition_subalgoE8EyNS0_10empty_typeEbEEZZNS1_14partition_implILS5_8ELb0ES3_jN6thrust23THRUST_200600_302600_NS6detail15normal_iteratorINSA_10device_ptrIyEEEEPS6_PKS6_NS0_5tupleIJSF_S6_EEENSJ_IJSG_SG_EEENS0_18inequality_wrapperI22is_equal_div_10_uniqueIyEEEPmJS6_EEE10hipError_tPvRmT3_T4_T5_T6_T7_T9_mT8_P12ihipStream_tbDpT10_ENKUlT_T0_E_clISt17integral_constantIbLb0EES1A_EEDaS15_S16_EUlS15_E_NS1_11comp_targetILNS1_3genE0ELNS1_11target_archE4294967295ELNS1_3gpuE0ELNS1_3repE0EEENS1_30default_config_static_selectorELNS0_4arch9wavefront6targetE1EEEvT1_: ; @_ZN7rocprim17ROCPRIM_400000_NS6detail17trampoline_kernelINS0_14default_configENS1_25partition_config_selectorILNS1_17partition_subalgoE8EyNS0_10empty_typeEbEEZZNS1_14partition_implILS5_8ELb0ES3_jN6thrust23THRUST_200600_302600_NS6detail15normal_iteratorINSA_10device_ptrIyEEEEPS6_PKS6_NS0_5tupleIJSF_S6_EEENSJ_IJSG_SG_EEENS0_18inequality_wrapperI22is_equal_div_10_uniqueIyEEEPmJS6_EEE10hipError_tPvRmT3_T4_T5_T6_T7_T9_mT8_P12ihipStream_tbDpT10_ENKUlT_T0_E_clISt17integral_constantIbLb0EES1A_EEDaS15_S16_EUlS15_E_NS1_11comp_targetILNS1_3genE0ELNS1_11target_archE4294967295ELNS1_3gpuE0ELNS1_3repE0EEENS1_30default_config_static_selectorELNS0_4arch9wavefront6targetE1EEEvT1_
; %bb.0:
	.section	.rodata,"a",@progbits
	.p2align	6, 0x0
	.amdhsa_kernel _ZN7rocprim17ROCPRIM_400000_NS6detail17trampoline_kernelINS0_14default_configENS1_25partition_config_selectorILNS1_17partition_subalgoE8EyNS0_10empty_typeEbEEZZNS1_14partition_implILS5_8ELb0ES3_jN6thrust23THRUST_200600_302600_NS6detail15normal_iteratorINSA_10device_ptrIyEEEEPS6_PKS6_NS0_5tupleIJSF_S6_EEENSJ_IJSG_SG_EEENS0_18inequality_wrapperI22is_equal_div_10_uniqueIyEEEPmJS6_EEE10hipError_tPvRmT3_T4_T5_T6_T7_T9_mT8_P12ihipStream_tbDpT10_ENKUlT_T0_E_clISt17integral_constantIbLb0EES1A_EEDaS15_S16_EUlS15_E_NS1_11comp_targetILNS1_3genE0ELNS1_11target_archE4294967295ELNS1_3gpuE0ELNS1_3repE0EEENS1_30default_config_static_selectorELNS0_4arch9wavefront6targetE1EEEvT1_
		.amdhsa_group_segment_fixed_size 0
		.amdhsa_private_segment_fixed_size 0
		.amdhsa_kernarg_size 112
		.amdhsa_user_sgpr_count 6
		.amdhsa_user_sgpr_private_segment_buffer 1
		.amdhsa_user_sgpr_dispatch_ptr 0
		.amdhsa_user_sgpr_queue_ptr 0
		.amdhsa_user_sgpr_kernarg_segment_ptr 1
		.amdhsa_user_sgpr_dispatch_id 0
		.amdhsa_user_sgpr_flat_scratch_init 0
		.amdhsa_user_sgpr_private_segment_size 0
		.amdhsa_uses_dynamic_stack 0
		.amdhsa_system_sgpr_private_segment_wavefront_offset 0
		.amdhsa_system_sgpr_workgroup_id_x 1
		.amdhsa_system_sgpr_workgroup_id_y 0
		.amdhsa_system_sgpr_workgroup_id_z 0
		.amdhsa_system_sgpr_workgroup_info 0
		.amdhsa_system_vgpr_workitem_id 0
		.amdhsa_next_free_vgpr 1
		.amdhsa_next_free_sgpr 0
		.amdhsa_reserve_vcc 0
		.amdhsa_reserve_flat_scratch 0
		.amdhsa_float_round_mode_32 0
		.amdhsa_float_round_mode_16_64 0
		.amdhsa_float_denorm_mode_32 3
		.amdhsa_float_denorm_mode_16_64 3
		.amdhsa_dx10_clamp 1
		.amdhsa_ieee_mode 1
		.amdhsa_fp16_overflow 0
		.amdhsa_exception_fp_ieee_invalid_op 0
		.amdhsa_exception_fp_denorm_src 0
		.amdhsa_exception_fp_ieee_div_zero 0
		.amdhsa_exception_fp_ieee_overflow 0
		.amdhsa_exception_fp_ieee_underflow 0
		.amdhsa_exception_fp_ieee_inexact 0
		.amdhsa_exception_int_div_zero 0
	.end_amdhsa_kernel
	.section	.text._ZN7rocprim17ROCPRIM_400000_NS6detail17trampoline_kernelINS0_14default_configENS1_25partition_config_selectorILNS1_17partition_subalgoE8EyNS0_10empty_typeEbEEZZNS1_14partition_implILS5_8ELb0ES3_jN6thrust23THRUST_200600_302600_NS6detail15normal_iteratorINSA_10device_ptrIyEEEEPS6_PKS6_NS0_5tupleIJSF_S6_EEENSJ_IJSG_SG_EEENS0_18inequality_wrapperI22is_equal_div_10_uniqueIyEEEPmJS6_EEE10hipError_tPvRmT3_T4_T5_T6_T7_T9_mT8_P12ihipStream_tbDpT10_ENKUlT_T0_E_clISt17integral_constantIbLb0EES1A_EEDaS15_S16_EUlS15_E_NS1_11comp_targetILNS1_3genE0ELNS1_11target_archE4294967295ELNS1_3gpuE0ELNS1_3repE0EEENS1_30default_config_static_selectorELNS0_4arch9wavefront6targetE1EEEvT1_,"axG",@progbits,_ZN7rocprim17ROCPRIM_400000_NS6detail17trampoline_kernelINS0_14default_configENS1_25partition_config_selectorILNS1_17partition_subalgoE8EyNS0_10empty_typeEbEEZZNS1_14partition_implILS5_8ELb0ES3_jN6thrust23THRUST_200600_302600_NS6detail15normal_iteratorINSA_10device_ptrIyEEEEPS6_PKS6_NS0_5tupleIJSF_S6_EEENSJ_IJSG_SG_EEENS0_18inequality_wrapperI22is_equal_div_10_uniqueIyEEEPmJS6_EEE10hipError_tPvRmT3_T4_T5_T6_T7_T9_mT8_P12ihipStream_tbDpT10_ENKUlT_T0_E_clISt17integral_constantIbLb0EES1A_EEDaS15_S16_EUlS15_E_NS1_11comp_targetILNS1_3genE0ELNS1_11target_archE4294967295ELNS1_3gpuE0ELNS1_3repE0EEENS1_30default_config_static_selectorELNS0_4arch9wavefront6targetE1EEEvT1_,comdat
.Lfunc_end177:
	.size	_ZN7rocprim17ROCPRIM_400000_NS6detail17trampoline_kernelINS0_14default_configENS1_25partition_config_selectorILNS1_17partition_subalgoE8EyNS0_10empty_typeEbEEZZNS1_14partition_implILS5_8ELb0ES3_jN6thrust23THRUST_200600_302600_NS6detail15normal_iteratorINSA_10device_ptrIyEEEEPS6_PKS6_NS0_5tupleIJSF_S6_EEENSJ_IJSG_SG_EEENS0_18inequality_wrapperI22is_equal_div_10_uniqueIyEEEPmJS6_EEE10hipError_tPvRmT3_T4_T5_T6_T7_T9_mT8_P12ihipStream_tbDpT10_ENKUlT_T0_E_clISt17integral_constantIbLb0EES1A_EEDaS15_S16_EUlS15_E_NS1_11comp_targetILNS1_3genE0ELNS1_11target_archE4294967295ELNS1_3gpuE0ELNS1_3repE0EEENS1_30default_config_static_selectorELNS0_4arch9wavefront6targetE1EEEvT1_, .Lfunc_end177-_ZN7rocprim17ROCPRIM_400000_NS6detail17trampoline_kernelINS0_14default_configENS1_25partition_config_selectorILNS1_17partition_subalgoE8EyNS0_10empty_typeEbEEZZNS1_14partition_implILS5_8ELb0ES3_jN6thrust23THRUST_200600_302600_NS6detail15normal_iteratorINSA_10device_ptrIyEEEEPS6_PKS6_NS0_5tupleIJSF_S6_EEENSJ_IJSG_SG_EEENS0_18inequality_wrapperI22is_equal_div_10_uniqueIyEEEPmJS6_EEE10hipError_tPvRmT3_T4_T5_T6_T7_T9_mT8_P12ihipStream_tbDpT10_ENKUlT_T0_E_clISt17integral_constantIbLb0EES1A_EEDaS15_S16_EUlS15_E_NS1_11comp_targetILNS1_3genE0ELNS1_11target_archE4294967295ELNS1_3gpuE0ELNS1_3repE0EEENS1_30default_config_static_selectorELNS0_4arch9wavefront6targetE1EEEvT1_
                                        ; -- End function
	.set _ZN7rocprim17ROCPRIM_400000_NS6detail17trampoline_kernelINS0_14default_configENS1_25partition_config_selectorILNS1_17partition_subalgoE8EyNS0_10empty_typeEbEEZZNS1_14partition_implILS5_8ELb0ES3_jN6thrust23THRUST_200600_302600_NS6detail15normal_iteratorINSA_10device_ptrIyEEEEPS6_PKS6_NS0_5tupleIJSF_S6_EEENSJ_IJSG_SG_EEENS0_18inequality_wrapperI22is_equal_div_10_uniqueIyEEEPmJS6_EEE10hipError_tPvRmT3_T4_T5_T6_T7_T9_mT8_P12ihipStream_tbDpT10_ENKUlT_T0_E_clISt17integral_constantIbLb0EES1A_EEDaS15_S16_EUlS15_E_NS1_11comp_targetILNS1_3genE0ELNS1_11target_archE4294967295ELNS1_3gpuE0ELNS1_3repE0EEENS1_30default_config_static_selectorELNS0_4arch9wavefront6targetE1EEEvT1_.num_vgpr, 0
	.set _ZN7rocprim17ROCPRIM_400000_NS6detail17trampoline_kernelINS0_14default_configENS1_25partition_config_selectorILNS1_17partition_subalgoE8EyNS0_10empty_typeEbEEZZNS1_14partition_implILS5_8ELb0ES3_jN6thrust23THRUST_200600_302600_NS6detail15normal_iteratorINSA_10device_ptrIyEEEEPS6_PKS6_NS0_5tupleIJSF_S6_EEENSJ_IJSG_SG_EEENS0_18inequality_wrapperI22is_equal_div_10_uniqueIyEEEPmJS6_EEE10hipError_tPvRmT3_T4_T5_T6_T7_T9_mT8_P12ihipStream_tbDpT10_ENKUlT_T0_E_clISt17integral_constantIbLb0EES1A_EEDaS15_S16_EUlS15_E_NS1_11comp_targetILNS1_3genE0ELNS1_11target_archE4294967295ELNS1_3gpuE0ELNS1_3repE0EEENS1_30default_config_static_selectorELNS0_4arch9wavefront6targetE1EEEvT1_.num_agpr, 0
	.set _ZN7rocprim17ROCPRIM_400000_NS6detail17trampoline_kernelINS0_14default_configENS1_25partition_config_selectorILNS1_17partition_subalgoE8EyNS0_10empty_typeEbEEZZNS1_14partition_implILS5_8ELb0ES3_jN6thrust23THRUST_200600_302600_NS6detail15normal_iteratorINSA_10device_ptrIyEEEEPS6_PKS6_NS0_5tupleIJSF_S6_EEENSJ_IJSG_SG_EEENS0_18inequality_wrapperI22is_equal_div_10_uniqueIyEEEPmJS6_EEE10hipError_tPvRmT3_T4_T5_T6_T7_T9_mT8_P12ihipStream_tbDpT10_ENKUlT_T0_E_clISt17integral_constantIbLb0EES1A_EEDaS15_S16_EUlS15_E_NS1_11comp_targetILNS1_3genE0ELNS1_11target_archE4294967295ELNS1_3gpuE0ELNS1_3repE0EEENS1_30default_config_static_selectorELNS0_4arch9wavefront6targetE1EEEvT1_.numbered_sgpr, 0
	.set _ZN7rocprim17ROCPRIM_400000_NS6detail17trampoline_kernelINS0_14default_configENS1_25partition_config_selectorILNS1_17partition_subalgoE8EyNS0_10empty_typeEbEEZZNS1_14partition_implILS5_8ELb0ES3_jN6thrust23THRUST_200600_302600_NS6detail15normal_iteratorINSA_10device_ptrIyEEEEPS6_PKS6_NS0_5tupleIJSF_S6_EEENSJ_IJSG_SG_EEENS0_18inequality_wrapperI22is_equal_div_10_uniqueIyEEEPmJS6_EEE10hipError_tPvRmT3_T4_T5_T6_T7_T9_mT8_P12ihipStream_tbDpT10_ENKUlT_T0_E_clISt17integral_constantIbLb0EES1A_EEDaS15_S16_EUlS15_E_NS1_11comp_targetILNS1_3genE0ELNS1_11target_archE4294967295ELNS1_3gpuE0ELNS1_3repE0EEENS1_30default_config_static_selectorELNS0_4arch9wavefront6targetE1EEEvT1_.num_named_barrier, 0
	.set _ZN7rocprim17ROCPRIM_400000_NS6detail17trampoline_kernelINS0_14default_configENS1_25partition_config_selectorILNS1_17partition_subalgoE8EyNS0_10empty_typeEbEEZZNS1_14partition_implILS5_8ELb0ES3_jN6thrust23THRUST_200600_302600_NS6detail15normal_iteratorINSA_10device_ptrIyEEEEPS6_PKS6_NS0_5tupleIJSF_S6_EEENSJ_IJSG_SG_EEENS0_18inequality_wrapperI22is_equal_div_10_uniqueIyEEEPmJS6_EEE10hipError_tPvRmT3_T4_T5_T6_T7_T9_mT8_P12ihipStream_tbDpT10_ENKUlT_T0_E_clISt17integral_constantIbLb0EES1A_EEDaS15_S16_EUlS15_E_NS1_11comp_targetILNS1_3genE0ELNS1_11target_archE4294967295ELNS1_3gpuE0ELNS1_3repE0EEENS1_30default_config_static_selectorELNS0_4arch9wavefront6targetE1EEEvT1_.private_seg_size, 0
	.set _ZN7rocprim17ROCPRIM_400000_NS6detail17trampoline_kernelINS0_14default_configENS1_25partition_config_selectorILNS1_17partition_subalgoE8EyNS0_10empty_typeEbEEZZNS1_14partition_implILS5_8ELb0ES3_jN6thrust23THRUST_200600_302600_NS6detail15normal_iteratorINSA_10device_ptrIyEEEEPS6_PKS6_NS0_5tupleIJSF_S6_EEENSJ_IJSG_SG_EEENS0_18inequality_wrapperI22is_equal_div_10_uniqueIyEEEPmJS6_EEE10hipError_tPvRmT3_T4_T5_T6_T7_T9_mT8_P12ihipStream_tbDpT10_ENKUlT_T0_E_clISt17integral_constantIbLb0EES1A_EEDaS15_S16_EUlS15_E_NS1_11comp_targetILNS1_3genE0ELNS1_11target_archE4294967295ELNS1_3gpuE0ELNS1_3repE0EEENS1_30default_config_static_selectorELNS0_4arch9wavefront6targetE1EEEvT1_.uses_vcc, 0
	.set _ZN7rocprim17ROCPRIM_400000_NS6detail17trampoline_kernelINS0_14default_configENS1_25partition_config_selectorILNS1_17partition_subalgoE8EyNS0_10empty_typeEbEEZZNS1_14partition_implILS5_8ELb0ES3_jN6thrust23THRUST_200600_302600_NS6detail15normal_iteratorINSA_10device_ptrIyEEEEPS6_PKS6_NS0_5tupleIJSF_S6_EEENSJ_IJSG_SG_EEENS0_18inequality_wrapperI22is_equal_div_10_uniqueIyEEEPmJS6_EEE10hipError_tPvRmT3_T4_T5_T6_T7_T9_mT8_P12ihipStream_tbDpT10_ENKUlT_T0_E_clISt17integral_constantIbLb0EES1A_EEDaS15_S16_EUlS15_E_NS1_11comp_targetILNS1_3genE0ELNS1_11target_archE4294967295ELNS1_3gpuE0ELNS1_3repE0EEENS1_30default_config_static_selectorELNS0_4arch9wavefront6targetE1EEEvT1_.uses_flat_scratch, 0
	.set _ZN7rocprim17ROCPRIM_400000_NS6detail17trampoline_kernelINS0_14default_configENS1_25partition_config_selectorILNS1_17partition_subalgoE8EyNS0_10empty_typeEbEEZZNS1_14partition_implILS5_8ELb0ES3_jN6thrust23THRUST_200600_302600_NS6detail15normal_iteratorINSA_10device_ptrIyEEEEPS6_PKS6_NS0_5tupleIJSF_S6_EEENSJ_IJSG_SG_EEENS0_18inequality_wrapperI22is_equal_div_10_uniqueIyEEEPmJS6_EEE10hipError_tPvRmT3_T4_T5_T6_T7_T9_mT8_P12ihipStream_tbDpT10_ENKUlT_T0_E_clISt17integral_constantIbLb0EES1A_EEDaS15_S16_EUlS15_E_NS1_11comp_targetILNS1_3genE0ELNS1_11target_archE4294967295ELNS1_3gpuE0ELNS1_3repE0EEENS1_30default_config_static_selectorELNS0_4arch9wavefront6targetE1EEEvT1_.has_dyn_sized_stack, 0
	.set _ZN7rocprim17ROCPRIM_400000_NS6detail17trampoline_kernelINS0_14default_configENS1_25partition_config_selectorILNS1_17partition_subalgoE8EyNS0_10empty_typeEbEEZZNS1_14partition_implILS5_8ELb0ES3_jN6thrust23THRUST_200600_302600_NS6detail15normal_iteratorINSA_10device_ptrIyEEEEPS6_PKS6_NS0_5tupleIJSF_S6_EEENSJ_IJSG_SG_EEENS0_18inequality_wrapperI22is_equal_div_10_uniqueIyEEEPmJS6_EEE10hipError_tPvRmT3_T4_T5_T6_T7_T9_mT8_P12ihipStream_tbDpT10_ENKUlT_T0_E_clISt17integral_constantIbLb0EES1A_EEDaS15_S16_EUlS15_E_NS1_11comp_targetILNS1_3genE0ELNS1_11target_archE4294967295ELNS1_3gpuE0ELNS1_3repE0EEENS1_30default_config_static_selectorELNS0_4arch9wavefront6targetE1EEEvT1_.has_recursion, 0
	.set _ZN7rocprim17ROCPRIM_400000_NS6detail17trampoline_kernelINS0_14default_configENS1_25partition_config_selectorILNS1_17partition_subalgoE8EyNS0_10empty_typeEbEEZZNS1_14partition_implILS5_8ELb0ES3_jN6thrust23THRUST_200600_302600_NS6detail15normal_iteratorINSA_10device_ptrIyEEEEPS6_PKS6_NS0_5tupleIJSF_S6_EEENSJ_IJSG_SG_EEENS0_18inequality_wrapperI22is_equal_div_10_uniqueIyEEEPmJS6_EEE10hipError_tPvRmT3_T4_T5_T6_T7_T9_mT8_P12ihipStream_tbDpT10_ENKUlT_T0_E_clISt17integral_constantIbLb0EES1A_EEDaS15_S16_EUlS15_E_NS1_11comp_targetILNS1_3genE0ELNS1_11target_archE4294967295ELNS1_3gpuE0ELNS1_3repE0EEENS1_30default_config_static_selectorELNS0_4arch9wavefront6targetE1EEEvT1_.has_indirect_call, 0
	.section	.AMDGPU.csdata,"",@progbits
; Kernel info:
; codeLenInByte = 0
; TotalNumSgprs: 4
; NumVgprs: 0
; ScratchSize: 0
; MemoryBound: 0
; FloatMode: 240
; IeeeMode: 1
; LDSByteSize: 0 bytes/workgroup (compile time only)
; SGPRBlocks: 0
; VGPRBlocks: 0
; NumSGPRsForWavesPerEU: 4
; NumVGPRsForWavesPerEU: 1
; Occupancy: 10
; WaveLimiterHint : 0
; COMPUTE_PGM_RSRC2:SCRATCH_EN: 0
; COMPUTE_PGM_RSRC2:USER_SGPR: 6
; COMPUTE_PGM_RSRC2:TRAP_HANDLER: 0
; COMPUTE_PGM_RSRC2:TGID_X_EN: 1
; COMPUTE_PGM_RSRC2:TGID_Y_EN: 0
; COMPUTE_PGM_RSRC2:TGID_Z_EN: 0
; COMPUTE_PGM_RSRC2:TIDIG_COMP_CNT: 0
	.section	.text._ZN7rocprim17ROCPRIM_400000_NS6detail17trampoline_kernelINS0_14default_configENS1_25partition_config_selectorILNS1_17partition_subalgoE8EyNS0_10empty_typeEbEEZZNS1_14partition_implILS5_8ELb0ES3_jN6thrust23THRUST_200600_302600_NS6detail15normal_iteratorINSA_10device_ptrIyEEEEPS6_PKS6_NS0_5tupleIJSF_S6_EEENSJ_IJSG_SG_EEENS0_18inequality_wrapperI22is_equal_div_10_uniqueIyEEEPmJS6_EEE10hipError_tPvRmT3_T4_T5_T6_T7_T9_mT8_P12ihipStream_tbDpT10_ENKUlT_T0_E_clISt17integral_constantIbLb0EES1A_EEDaS15_S16_EUlS15_E_NS1_11comp_targetILNS1_3genE5ELNS1_11target_archE942ELNS1_3gpuE9ELNS1_3repE0EEENS1_30default_config_static_selectorELNS0_4arch9wavefront6targetE1EEEvT1_,"axG",@progbits,_ZN7rocprim17ROCPRIM_400000_NS6detail17trampoline_kernelINS0_14default_configENS1_25partition_config_selectorILNS1_17partition_subalgoE8EyNS0_10empty_typeEbEEZZNS1_14partition_implILS5_8ELb0ES3_jN6thrust23THRUST_200600_302600_NS6detail15normal_iteratorINSA_10device_ptrIyEEEEPS6_PKS6_NS0_5tupleIJSF_S6_EEENSJ_IJSG_SG_EEENS0_18inequality_wrapperI22is_equal_div_10_uniqueIyEEEPmJS6_EEE10hipError_tPvRmT3_T4_T5_T6_T7_T9_mT8_P12ihipStream_tbDpT10_ENKUlT_T0_E_clISt17integral_constantIbLb0EES1A_EEDaS15_S16_EUlS15_E_NS1_11comp_targetILNS1_3genE5ELNS1_11target_archE942ELNS1_3gpuE9ELNS1_3repE0EEENS1_30default_config_static_selectorELNS0_4arch9wavefront6targetE1EEEvT1_,comdat
	.protected	_ZN7rocprim17ROCPRIM_400000_NS6detail17trampoline_kernelINS0_14default_configENS1_25partition_config_selectorILNS1_17partition_subalgoE8EyNS0_10empty_typeEbEEZZNS1_14partition_implILS5_8ELb0ES3_jN6thrust23THRUST_200600_302600_NS6detail15normal_iteratorINSA_10device_ptrIyEEEEPS6_PKS6_NS0_5tupleIJSF_S6_EEENSJ_IJSG_SG_EEENS0_18inequality_wrapperI22is_equal_div_10_uniqueIyEEEPmJS6_EEE10hipError_tPvRmT3_T4_T5_T6_T7_T9_mT8_P12ihipStream_tbDpT10_ENKUlT_T0_E_clISt17integral_constantIbLb0EES1A_EEDaS15_S16_EUlS15_E_NS1_11comp_targetILNS1_3genE5ELNS1_11target_archE942ELNS1_3gpuE9ELNS1_3repE0EEENS1_30default_config_static_selectorELNS0_4arch9wavefront6targetE1EEEvT1_ ; -- Begin function _ZN7rocprim17ROCPRIM_400000_NS6detail17trampoline_kernelINS0_14default_configENS1_25partition_config_selectorILNS1_17partition_subalgoE8EyNS0_10empty_typeEbEEZZNS1_14partition_implILS5_8ELb0ES3_jN6thrust23THRUST_200600_302600_NS6detail15normal_iteratorINSA_10device_ptrIyEEEEPS6_PKS6_NS0_5tupleIJSF_S6_EEENSJ_IJSG_SG_EEENS0_18inequality_wrapperI22is_equal_div_10_uniqueIyEEEPmJS6_EEE10hipError_tPvRmT3_T4_T5_T6_T7_T9_mT8_P12ihipStream_tbDpT10_ENKUlT_T0_E_clISt17integral_constantIbLb0EES1A_EEDaS15_S16_EUlS15_E_NS1_11comp_targetILNS1_3genE5ELNS1_11target_archE942ELNS1_3gpuE9ELNS1_3repE0EEENS1_30default_config_static_selectorELNS0_4arch9wavefront6targetE1EEEvT1_
	.globl	_ZN7rocprim17ROCPRIM_400000_NS6detail17trampoline_kernelINS0_14default_configENS1_25partition_config_selectorILNS1_17partition_subalgoE8EyNS0_10empty_typeEbEEZZNS1_14partition_implILS5_8ELb0ES3_jN6thrust23THRUST_200600_302600_NS6detail15normal_iteratorINSA_10device_ptrIyEEEEPS6_PKS6_NS0_5tupleIJSF_S6_EEENSJ_IJSG_SG_EEENS0_18inequality_wrapperI22is_equal_div_10_uniqueIyEEEPmJS6_EEE10hipError_tPvRmT3_T4_T5_T6_T7_T9_mT8_P12ihipStream_tbDpT10_ENKUlT_T0_E_clISt17integral_constantIbLb0EES1A_EEDaS15_S16_EUlS15_E_NS1_11comp_targetILNS1_3genE5ELNS1_11target_archE942ELNS1_3gpuE9ELNS1_3repE0EEENS1_30default_config_static_selectorELNS0_4arch9wavefront6targetE1EEEvT1_
	.p2align	8
	.type	_ZN7rocprim17ROCPRIM_400000_NS6detail17trampoline_kernelINS0_14default_configENS1_25partition_config_selectorILNS1_17partition_subalgoE8EyNS0_10empty_typeEbEEZZNS1_14partition_implILS5_8ELb0ES3_jN6thrust23THRUST_200600_302600_NS6detail15normal_iteratorINSA_10device_ptrIyEEEEPS6_PKS6_NS0_5tupleIJSF_S6_EEENSJ_IJSG_SG_EEENS0_18inequality_wrapperI22is_equal_div_10_uniqueIyEEEPmJS6_EEE10hipError_tPvRmT3_T4_T5_T6_T7_T9_mT8_P12ihipStream_tbDpT10_ENKUlT_T0_E_clISt17integral_constantIbLb0EES1A_EEDaS15_S16_EUlS15_E_NS1_11comp_targetILNS1_3genE5ELNS1_11target_archE942ELNS1_3gpuE9ELNS1_3repE0EEENS1_30default_config_static_selectorELNS0_4arch9wavefront6targetE1EEEvT1_,@function
_ZN7rocprim17ROCPRIM_400000_NS6detail17trampoline_kernelINS0_14default_configENS1_25partition_config_selectorILNS1_17partition_subalgoE8EyNS0_10empty_typeEbEEZZNS1_14partition_implILS5_8ELb0ES3_jN6thrust23THRUST_200600_302600_NS6detail15normal_iteratorINSA_10device_ptrIyEEEEPS6_PKS6_NS0_5tupleIJSF_S6_EEENSJ_IJSG_SG_EEENS0_18inequality_wrapperI22is_equal_div_10_uniqueIyEEEPmJS6_EEE10hipError_tPvRmT3_T4_T5_T6_T7_T9_mT8_P12ihipStream_tbDpT10_ENKUlT_T0_E_clISt17integral_constantIbLb0EES1A_EEDaS15_S16_EUlS15_E_NS1_11comp_targetILNS1_3genE5ELNS1_11target_archE942ELNS1_3gpuE9ELNS1_3repE0EEENS1_30default_config_static_selectorELNS0_4arch9wavefront6targetE1EEEvT1_: ; @_ZN7rocprim17ROCPRIM_400000_NS6detail17trampoline_kernelINS0_14default_configENS1_25partition_config_selectorILNS1_17partition_subalgoE8EyNS0_10empty_typeEbEEZZNS1_14partition_implILS5_8ELb0ES3_jN6thrust23THRUST_200600_302600_NS6detail15normal_iteratorINSA_10device_ptrIyEEEEPS6_PKS6_NS0_5tupleIJSF_S6_EEENSJ_IJSG_SG_EEENS0_18inequality_wrapperI22is_equal_div_10_uniqueIyEEEPmJS6_EEE10hipError_tPvRmT3_T4_T5_T6_T7_T9_mT8_P12ihipStream_tbDpT10_ENKUlT_T0_E_clISt17integral_constantIbLb0EES1A_EEDaS15_S16_EUlS15_E_NS1_11comp_targetILNS1_3genE5ELNS1_11target_archE942ELNS1_3gpuE9ELNS1_3repE0EEENS1_30default_config_static_selectorELNS0_4arch9wavefront6targetE1EEEvT1_
; %bb.0:
	.section	.rodata,"a",@progbits
	.p2align	6, 0x0
	.amdhsa_kernel _ZN7rocprim17ROCPRIM_400000_NS6detail17trampoline_kernelINS0_14default_configENS1_25partition_config_selectorILNS1_17partition_subalgoE8EyNS0_10empty_typeEbEEZZNS1_14partition_implILS5_8ELb0ES3_jN6thrust23THRUST_200600_302600_NS6detail15normal_iteratorINSA_10device_ptrIyEEEEPS6_PKS6_NS0_5tupleIJSF_S6_EEENSJ_IJSG_SG_EEENS0_18inequality_wrapperI22is_equal_div_10_uniqueIyEEEPmJS6_EEE10hipError_tPvRmT3_T4_T5_T6_T7_T9_mT8_P12ihipStream_tbDpT10_ENKUlT_T0_E_clISt17integral_constantIbLb0EES1A_EEDaS15_S16_EUlS15_E_NS1_11comp_targetILNS1_3genE5ELNS1_11target_archE942ELNS1_3gpuE9ELNS1_3repE0EEENS1_30default_config_static_selectorELNS0_4arch9wavefront6targetE1EEEvT1_
		.amdhsa_group_segment_fixed_size 0
		.amdhsa_private_segment_fixed_size 0
		.amdhsa_kernarg_size 112
		.amdhsa_user_sgpr_count 6
		.amdhsa_user_sgpr_private_segment_buffer 1
		.amdhsa_user_sgpr_dispatch_ptr 0
		.amdhsa_user_sgpr_queue_ptr 0
		.amdhsa_user_sgpr_kernarg_segment_ptr 1
		.amdhsa_user_sgpr_dispatch_id 0
		.amdhsa_user_sgpr_flat_scratch_init 0
		.amdhsa_user_sgpr_private_segment_size 0
		.amdhsa_uses_dynamic_stack 0
		.amdhsa_system_sgpr_private_segment_wavefront_offset 0
		.amdhsa_system_sgpr_workgroup_id_x 1
		.amdhsa_system_sgpr_workgroup_id_y 0
		.amdhsa_system_sgpr_workgroup_id_z 0
		.amdhsa_system_sgpr_workgroup_info 0
		.amdhsa_system_vgpr_workitem_id 0
		.amdhsa_next_free_vgpr 1
		.amdhsa_next_free_sgpr 0
		.amdhsa_reserve_vcc 0
		.amdhsa_reserve_flat_scratch 0
		.amdhsa_float_round_mode_32 0
		.amdhsa_float_round_mode_16_64 0
		.amdhsa_float_denorm_mode_32 3
		.amdhsa_float_denorm_mode_16_64 3
		.amdhsa_dx10_clamp 1
		.amdhsa_ieee_mode 1
		.amdhsa_fp16_overflow 0
		.amdhsa_exception_fp_ieee_invalid_op 0
		.amdhsa_exception_fp_denorm_src 0
		.amdhsa_exception_fp_ieee_div_zero 0
		.amdhsa_exception_fp_ieee_overflow 0
		.amdhsa_exception_fp_ieee_underflow 0
		.amdhsa_exception_fp_ieee_inexact 0
		.amdhsa_exception_int_div_zero 0
	.end_amdhsa_kernel
	.section	.text._ZN7rocprim17ROCPRIM_400000_NS6detail17trampoline_kernelINS0_14default_configENS1_25partition_config_selectorILNS1_17partition_subalgoE8EyNS0_10empty_typeEbEEZZNS1_14partition_implILS5_8ELb0ES3_jN6thrust23THRUST_200600_302600_NS6detail15normal_iteratorINSA_10device_ptrIyEEEEPS6_PKS6_NS0_5tupleIJSF_S6_EEENSJ_IJSG_SG_EEENS0_18inequality_wrapperI22is_equal_div_10_uniqueIyEEEPmJS6_EEE10hipError_tPvRmT3_T4_T5_T6_T7_T9_mT8_P12ihipStream_tbDpT10_ENKUlT_T0_E_clISt17integral_constantIbLb0EES1A_EEDaS15_S16_EUlS15_E_NS1_11comp_targetILNS1_3genE5ELNS1_11target_archE942ELNS1_3gpuE9ELNS1_3repE0EEENS1_30default_config_static_selectorELNS0_4arch9wavefront6targetE1EEEvT1_,"axG",@progbits,_ZN7rocprim17ROCPRIM_400000_NS6detail17trampoline_kernelINS0_14default_configENS1_25partition_config_selectorILNS1_17partition_subalgoE8EyNS0_10empty_typeEbEEZZNS1_14partition_implILS5_8ELb0ES3_jN6thrust23THRUST_200600_302600_NS6detail15normal_iteratorINSA_10device_ptrIyEEEEPS6_PKS6_NS0_5tupleIJSF_S6_EEENSJ_IJSG_SG_EEENS0_18inequality_wrapperI22is_equal_div_10_uniqueIyEEEPmJS6_EEE10hipError_tPvRmT3_T4_T5_T6_T7_T9_mT8_P12ihipStream_tbDpT10_ENKUlT_T0_E_clISt17integral_constantIbLb0EES1A_EEDaS15_S16_EUlS15_E_NS1_11comp_targetILNS1_3genE5ELNS1_11target_archE942ELNS1_3gpuE9ELNS1_3repE0EEENS1_30default_config_static_selectorELNS0_4arch9wavefront6targetE1EEEvT1_,comdat
.Lfunc_end178:
	.size	_ZN7rocprim17ROCPRIM_400000_NS6detail17trampoline_kernelINS0_14default_configENS1_25partition_config_selectorILNS1_17partition_subalgoE8EyNS0_10empty_typeEbEEZZNS1_14partition_implILS5_8ELb0ES3_jN6thrust23THRUST_200600_302600_NS6detail15normal_iteratorINSA_10device_ptrIyEEEEPS6_PKS6_NS0_5tupleIJSF_S6_EEENSJ_IJSG_SG_EEENS0_18inequality_wrapperI22is_equal_div_10_uniqueIyEEEPmJS6_EEE10hipError_tPvRmT3_T4_T5_T6_T7_T9_mT8_P12ihipStream_tbDpT10_ENKUlT_T0_E_clISt17integral_constantIbLb0EES1A_EEDaS15_S16_EUlS15_E_NS1_11comp_targetILNS1_3genE5ELNS1_11target_archE942ELNS1_3gpuE9ELNS1_3repE0EEENS1_30default_config_static_selectorELNS0_4arch9wavefront6targetE1EEEvT1_, .Lfunc_end178-_ZN7rocprim17ROCPRIM_400000_NS6detail17trampoline_kernelINS0_14default_configENS1_25partition_config_selectorILNS1_17partition_subalgoE8EyNS0_10empty_typeEbEEZZNS1_14partition_implILS5_8ELb0ES3_jN6thrust23THRUST_200600_302600_NS6detail15normal_iteratorINSA_10device_ptrIyEEEEPS6_PKS6_NS0_5tupleIJSF_S6_EEENSJ_IJSG_SG_EEENS0_18inequality_wrapperI22is_equal_div_10_uniqueIyEEEPmJS6_EEE10hipError_tPvRmT3_T4_T5_T6_T7_T9_mT8_P12ihipStream_tbDpT10_ENKUlT_T0_E_clISt17integral_constantIbLb0EES1A_EEDaS15_S16_EUlS15_E_NS1_11comp_targetILNS1_3genE5ELNS1_11target_archE942ELNS1_3gpuE9ELNS1_3repE0EEENS1_30default_config_static_selectorELNS0_4arch9wavefront6targetE1EEEvT1_
                                        ; -- End function
	.set _ZN7rocprim17ROCPRIM_400000_NS6detail17trampoline_kernelINS0_14default_configENS1_25partition_config_selectorILNS1_17partition_subalgoE8EyNS0_10empty_typeEbEEZZNS1_14partition_implILS5_8ELb0ES3_jN6thrust23THRUST_200600_302600_NS6detail15normal_iteratorINSA_10device_ptrIyEEEEPS6_PKS6_NS0_5tupleIJSF_S6_EEENSJ_IJSG_SG_EEENS0_18inequality_wrapperI22is_equal_div_10_uniqueIyEEEPmJS6_EEE10hipError_tPvRmT3_T4_T5_T6_T7_T9_mT8_P12ihipStream_tbDpT10_ENKUlT_T0_E_clISt17integral_constantIbLb0EES1A_EEDaS15_S16_EUlS15_E_NS1_11comp_targetILNS1_3genE5ELNS1_11target_archE942ELNS1_3gpuE9ELNS1_3repE0EEENS1_30default_config_static_selectorELNS0_4arch9wavefront6targetE1EEEvT1_.num_vgpr, 0
	.set _ZN7rocprim17ROCPRIM_400000_NS6detail17trampoline_kernelINS0_14default_configENS1_25partition_config_selectorILNS1_17partition_subalgoE8EyNS0_10empty_typeEbEEZZNS1_14partition_implILS5_8ELb0ES3_jN6thrust23THRUST_200600_302600_NS6detail15normal_iteratorINSA_10device_ptrIyEEEEPS6_PKS6_NS0_5tupleIJSF_S6_EEENSJ_IJSG_SG_EEENS0_18inequality_wrapperI22is_equal_div_10_uniqueIyEEEPmJS6_EEE10hipError_tPvRmT3_T4_T5_T6_T7_T9_mT8_P12ihipStream_tbDpT10_ENKUlT_T0_E_clISt17integral_constantIbLb0EES1A_EEDaS15_S16_EUlS15_E_NS1_11comp_targetILNS1_3genE5ELNS1_11target_archE942ELNS1_3gpuE9ELNS1_3repE0EEENS1_30default_config_static_selectorELNS0_4arch9wavefront6targetE1EEEvT1_.num_agpr, 0
	.set _ZN7rocprim17ROCPRIM_400000_NS6detail17trampoline_kernelINS0_14default_configENS1_25partition_config_selectorILNS1_17partition_subalgoE8EyNS0_10empty_typeEbEEZZNS1_14partition_implILS5_8ELb0ES3_jN6thrust23THRUST_200600_302600_NS6detail15normal_iteratorINSA_10device_ptrIyEEEEPS6_PKS6_NS0_5tupleIJSF_S6_EEENSJ_IJSG_SG_EEENS0_18inequality_wrapperI22is_equal_div_10_uniqueIyEEEPmJS6_EEE10hipError_tPvRmT3_T4_T5_T6_T7_T9_mT8_P12ihipStream_tbDpT10_ENKUlT_T0_E_clISt17integral_constantIbLb0EES1A_EEDaS15_S16_EUlS15_E_NS1_11comp_targetILNS1_3genE5ELNS1_11target_archE942ELNS1_3gpuE9ELNS1_3repE0EEENS1_30default_config_static_selectorELNS0_4arch9wavefront6targetE1EEEvT1_.numbered_sgpr, 0
	.set _ZN7rocprim17ROCPRIM_400000_NS6detail17trampoline_kernelINS0_14default_configENS1_25partition_config_selectorILNS1_17partition_subalgoE8EyNS0_10empty_typeEbEEZZNS1_14partition_implILS5_8ELb0ES3_jN6thrust23THRUST_200600_302600_NS6detail15normal_iteratorINSA_10device_ptrIyEEEEPS6_PKS6_NS0_5tupleIJSF_S6_EEENSJ_IJSG_SG_EEENS0_18inequality_wrapperI22is_equal_div_10_uniqueIyEEEPmJS6_EEE10hipError_tPvRmT3_T4_T5_T6_T7_T9_mT8_P12ihipStream_tbDpT10_ENKUlT_T0_E_clISt17integral_constantIbLb0EES1A_EEDaS15_S16_EUlS15_E_NS1_11comp_targetILNS1_3genE5ELNS1_11target_archE942ELNS1_3gpuE9ELNS1_3repE0EEENS1_30default_config_static_selectorELNS0_4arch9wavefront6targetE1EEEvT1_.num_named_barrier, 0
	.set _ZN7rocprim17ROCPRIM_400000_NS6detail17trampoline_kernelINS0_14default_configENS1_25partition_config_selectorILNS1_17partition_subalgoE8EyNS0_10empty_typeEbEEZZNS1_14partition_implILS5_8ELb0ES3_jN6thrust23THRUST_200600_302600_NS6detail15normal_iteratorINSA_10device_ptrIyEEEEPS6_PKS6_NS0_5tupleIJSF_S6_EEENSJ_IJSG_SG_EEENS0_18inequality_wrapperI22is_equal_div_10_uniqueIyEEEPmJS6_EEE10hipError_tPvRmT3_T4_T5_T6_T7_T9_mT8_P12ihipStream_tbDpT10_ENKUlT_T0_E_clISt17integral_constantIbLb0EES1A_EEDaS15_S16_EUlS15_E_NS1_11comp_targetILNS1_3genE5ELNS1_11target_archE942ELNS1_3gpuE9ELNS1_3repE0EEENS1_30default_config_static_selectorELNS0_4arch9wavefront6targetE1EEEvT1_.private_seg_size, 0
	.set _ZN7rocprim17ROCPRIM_400000_NS6detail17trampoline_kernelINS0_14default_configENS1_25partition_config_selectorILNS1_17partition_subalgoE8EyNS0_10empty_typeEbEEZZNS1_14partition_implILS5_8ELb0ES3_jN6thrust23THRUST_200600_302600_NS6detail15normal_iteratorINSA_10device_ptrIyEEEEPS6_PKS6_NS0_5tupleIJSF_S6_EEENSJ_IJSG_SG_EEENS0_18inequality_wrapperI22is_equal_div_10_uniqueIyEEEPmJS6_EEE10hipError_tPvRmT3_T4_T5_T6_T7_T9_mT8_P12ihipStream_tbDpT10_ENKUlT_T0_E_clISt17integral_constantIbLb0EES1A_EEDaS15_S16_EUlS15_E_NS1_11comp_targetILNS1_3genE5ELNS1_11target_archE942ELNS1_3gpuE9ELNS1_3repE0EEENS1_30default_config_static_selectorELNS0_4arch9wavefront6targetE1EEEvT1_.uses_vcc, 0
	.set _ZN7rocprim17ROCPRIM_400000_NS6detail17trampoline_kernelINS0_14default_configENS1_25partition_config_selectorILNS1_17partition_subalgoE8EyNS0_10empty_typeEbEEZZNS1_14partition_implILS5_8ELb0ES3_jN6thrust23THRUST_200600_302600_NS6detail15normal_iteratorINSA_10device_ptrIyEEEEPS6_PKS6_NS0_5tupleIJSF_S6_EEENSJ_IJSG_SG_EEENS0_18inequality_wrapperI22is_equal_div_10_uniqueIyEEEPmJS6_EEE10hipError_tPvRmT3_T4_T5_T6_T7_T9_mT8_P12ihipStream_tbDpT10_ENKUlT_T0_E_clISt17integral_constantIbLb0EES1A_EEDaS15_S16_EUlS15_E_NS1_11comp_targetILNS1_3genE5ELNS1_11target_archE942ELNS1_3gpuE9ELNS1_3repE0EEENS1_30default_config_static_selectorELNS0_4arch9wavefront6targetE1EEEvT1_.uses_flat_scratch, 0
	.set _ZN7rocprim17ROCPRIM_400000_NS6detail17trampoline_kernelINS0_14default_configENS1_25partition_config_selectorILNS1_17partition_subalgoE8EyNS0_10empty_typeEbEEZZNS1_14partition_implILS5_8ELb0ES3_jN6thrust23THRUST_200600_302600_NS6detail15normal_iteratorINSA_10device_ptrIyEEEEPS6_PKS6_NS0_5tupleIJSF_S6_EEENSJ_IJSG_SG_EEENS0_18inequality_wrapperI22is_equal_div_10_uniqueIyEEEPmJS6_EEE10hipError_tPvRmT3_T4_T5_T6_T7_T9_mT8_P12ihipStream_tbDpT10_ENKUlT_T0_E_clISt17integral_constantIbLb0EES1A_EEDaS15_S16_EUlS15_E_NS1_11comp_targetILNS1_3genE5ELNS1_11target_archE942ELNS1_3gpuE9ELNS1_3repE0EEENS1_30default_config_static_selectorELNS0_4arch9wavefront6targetE1EEEvT1_.has_dyn_sized_stack, 0
	.set _ZN7rocprim17ROCPRIM_400000_NS6detail17trampoline_kernelINS0_14default_configENS1_25partition_config_selectorILNS1_17partition_subalgoE8EyNS0_10empty_typeEbEEZZNS1_14partition_implILS5_8ELb0ES3_jN6thrust23THRUST_200600_302600_NS6detail15normal_iteratorINSA_10device_ptrIyEEEEPS6_PKS6_NS0_5tupleIJSF_S6_EEENSJ_IJSG_SG_EEENS0_18inequality_wrapperI22is_equal_div_10_uniqueIyEEEPmJS6_EEE10hipError_tPvRmT3_T4_T5_T6_T7_T9_mT8_P12ihipStream_tbDpT10_ENKUlT_T0_E_clISt17integral_constantIbLb0EES1A_EEDaS15_S16_EUlS15_E_NS1_11comp_targetILNS1_3genE5ELNS1_11target_archE942ELNS1_3gpuE9ELNS1_3repE0EEENS1_30default_config_static_selectorELNS0_4arch9wavefront6targetE1EEEvT1_.has_recursion, 0
	.set _ZN7rocprim17ROCPRIM_400000_NS6detail17trampoline_kernelINS0_14default_configENS1_25partition_config_selectorILNS1_17partition_subalgoE8EyNS0_10empty_typeEbEEZZNS1_14partition_implILS5_8ELb0ES3_jN6thrust23THRUST_200600_302600_NS6detail15normal_iteratorINSA_10device_ptrIyEEEEPS6_PKS6_NS0_5tupleIJSF_S6_EEENSJ_IJSG_SG_EEENS0_18inequality_wrapperI22is_equal_div_10_uniqueIyEEEPmJS6_EEE10hipError_tPvRmT3_T4_T5_T6_T7_T9_mT8_P12ihipStream_tbDpT10_ENKUlT_T0_E_clISt17integral_constantIbLb0EES1A_EEDaS15_S16_EUlS15_E_NS1_11comp_targetILNS1_3genE5ELNS1_11target_archE942ELNS1_3gpuE9ELNS1_3repE0EEENS1_30default_config_static_selectorELNS0_4arch9wavefront6targetE1EEEvT1_.has_indirect_call, 0
	.section	.AMDGPU.csdata,"",@progbits
; Kernel info:
; codeLenInByte = 0
; TotalNumSgprs: 4
; NumVgprs: 0
; ScratchSize: 0
; MemoryBound: 0
; FloatMode: 240
; IeeeMode: 1
; LDSByteSize: 0 bytes/workgroup (compile time only)
; SGPRBlocks: 0
; VGPRBlocks: 0
; NumSGPRsForWavesPerEU: 4
; NumVGPRsForWavesPerEU: 1
; Occupancy: 10
; WaveLimiterHint : 0
; COMPUTE_PGM_RSRC2:SCRATCH_EN: 0
; COMPUTE_PGM_RSRC2:USER_SGPR: 6
; COMPUTE_PGM_RSRC2:TRAP_HANDLER: 0
; COMPUTE_PGM_RSRC2:TGID_X_EN: 1
; COMPUTE_PGM_RSRC2:TGID_Y_EN: 0
; COMPUTE_PGM_RSRC2:TGID_Z_EN: 0
; COMPUTE_PGM_RSRC2:TIDIG_COMP_CNT: 0
	.section	.text._ZN7rocprim17ROCPRIM_400000_NS6detail17trampoline_kernelINS0_14default_configENS1_25partition_config_selectorILNS1_17partition_subalgoE8EyNS0_10empty_typeEbEEZZNS1_14partition_implILS5_8ELb0ES3_jN6thrust23THRUST_200600_302600_NS6detail15normal_iteratorINSA_10device_ptrIyEEEEPS6_PKS6_NS0_5tupleIJSF_S6_EEENSJ_IJSG_SG_EEENS0_18inequality_wrapperI22is_equal_div_10_uniqueIyEEEPmJS6_EEE10hipError_tPvRmT3_T4_T5_T6_T7_T9_mT8_P12ihipStream_tbDpT10_ENKUlT_T0_E_clISt17integral_constantIbLb0EES1A_EEDaS15_S16_EUlS15_E_NS1_11comp_targetILNS1_3genE4ELNS1_11target_archE910ELNS1_3gpuE8ELNS1_3repE0EEENS1_30default_config_static_selectorELNS0_4arch9wavefront6targetE1EEEvT1_,"axG",@progbits,_ZN7rocprim17ROCPRIM_400000_NS6detail17trampoline_kernelINS0_14default_configENS1_25partition_config_selectorILNS1_17partition_subalgoE8EyNS0_10empty_typeEbEEZZNS1_14partition_implILS5_8ELb0ES3_jN6thrust23THRUST_200600_302600_NS6detail15normal_iteratorINSA_10device_ptrIyEEEEPS6_PKS6_NS0_5tupleIJSF_S6_EEENSJ_IJSG_SG_EEENS0_18inequality_wrapperI22is_equal_div_10_uniqueIyEEEPmJS6_EEE10hipError_tPvRmT3_T4_T5_T6_T7_T9_mT8_P12ihipStream_tbDpT10_ENKUlT_T0_E_clISt17integral_constantIbLb0EES1A_EEDaS15_S16_EUlS15_E_NS1_11comp_targetILNS1_3genE4ELNS1_11target_archE910ELNS1_3gpuE8ELNS1_3repE0EEENS1_30default_config_static_selectorELNS0_4arch9wavefront6targetE1EEEvT1_,comdat
	.protected	_ZN7rocprim17ROCPRIM_400000_NS6detail17trampoline_kernelINS0_14default_configENS1_25partition_config_selectorILNS1_17partition_subalgoE8EyNS0_10empty_typeEbEEZZNS1_14partition_implILS5_8ELb0ES3_jN6thrust23THRUST_200600_302600_NS6detail15normal_iteratorINSA_10device_ptrIyEEEEPS6_PKS6_NS0_5tupleIJSF_S6_EEENSJ_IJSG_SG_EEENS0_18inequality_wrapperI22is_equal_div_10_uniqueIyEEEPmJS6_EEE10hipError_tPvRmT3_T4_T5_T6_T7_T9_mT8_P12ihipStream_tbDpT10_ENKUlT_T0_E_clISt17integral_constantIbLb0EES1A_EEDaS15_S16_EUlS15_E_NS1_11comp_targetILNS1_3genE4ELNS1_11target_archE910ELNS1_3gpuE8ELNS1_3repE0EEENS1_30default_config_static_selectorELNS0_4arch9wavefront6targetE1EEEvT1_ ; -- Begin function _ZN7rocprim17ROCPRIM_400000_NS6detail17trampoline_kernelINS0_14default_configENS1_25partition_config_selectorILNS1_17partition_subalgoE8EyNS0_10empty_typeEbEEZZNS1_14partition_implILS5_8ELb0ES3_jN6thrust23THRUST_200600_302600_NS6detail15normal_iteratorINSA_10device_ptrIyEEEEPS6_PKS6_NS0_5tupleIJSF_S6_EEENSJ_IJSG_SG_EEENS0_18inequality_wrapperI22is_equal_div_10_uniqueIyEEEPmJS6_EEE10hipError_tPvRmT3_T4_T5_T6_T7_T9_mT8_P12ihipStream_tbDpT10_ENKUlT_T0_E_clISt17integral_constantIbLb0EES1A_EEDaS15_S16_EUlS15_E_NS1_11comp_targetILNS1_3genE4ELNS1_11target_archE910ELNS1_3gpuE8ELNS1_3repE0EEENS1_30default_config_static_selectorELNS0_4arch9wavefront6targetE1EEEvT1_
	.globl	_ZN7rocprim17ROCPRIM_400000_NS6detail17trampoline_kernelINS0_14default_configENS1_25partition_config_selectorILNS1_17partition_subalgoE8EyNS0_10empty_typeEbEEZZNS1_14partition_implILS5_8ELb0ES3_jN6thrust23THRUST_200600_302600_NS6detail15normal_iteratorINSA_10device_ptrIyEEEEPS6_PKS6_NS0_5tupleIJSF_S6_EEENSJ_IJSG_SG_EEENS0_18inequality_wrapperI22is_equal_div_10_uniqueIyEEEPmJS6_EEE10hipError_tPvRmT3_T4_T5_T6_T7_T9_mT8_P12ihipStream_tbDpT10_ENKUlT_T0_E_clISt17integral_constantIbLb0EES1A_EEDaS15_S16_EUlS15_E_NS1_11comp_targetILNS1_3genE4ELNS1_11target_archE910ELNS1_3gpuE8ELNS1_3repE0EEENS1_30default_config_static_selectorELNS0_4arch9wavefront6targetE1EEEvT1_
	.p2align	8
	.type	_ZN7rocprim17ROCPRIM_400000_NS6detail17trampoline_kernelINS0_14default_configENS1_25partition_config_selectorILNS1_17partition_subalgoE8EyNS0_10empty_typeEbEEZZNS1_14partition_implILS5_8ELb0ES3_jN6thrust23THRUST_200600_302600_NS6detail15normal_iteratorINSA_10device_ptrIyEEEEPS6_PKS6_NS0_5tupleIJSF_S6_EEENSJ_IJSG_SG_EEENS0_18inequality_wrapperI22is_equal_div_10_uniqueIyEEEPmJS6_EEE10hipError_tPvRmT3_T4_T5_T6_T7_T9_mT8_P12ihipStream_tbDpT10_ENKUlT_T0_E_clISt17integral_constantIbLb0EES1A_EEDaS15_S16_EUlS15_E_NS1_11comp_targetILNS1_3genE4ELNS1_11target_archE910ELNS1_3gpuE8ELNS1_3repE0EEENS1_30default_config_static_selectorELNS0_4arch9wavefront6targetE1EEEvT1_,@function
_ZN7rocprim17ROCPRIM_400000_NS6detail17trampoline_kernelINS0_14default_configENS1_25partition_config_selectorILNS1_17partition_subalgoE8EyNS0_10empty_typeEbEEZZNS1_14partition_implILS5_8ELb0ES3_jN6thrust23THRUST_200600_302600_NS6detail15normal_iteratorINSA_10device_ptrIyEEEEPS6_PKS6_NS0_5tupleIJSF_S6_EEENSJ_IJSG_SG_EEENS0_18inequality_wrapperI22is_equal_div_10_uniqueIyEEEPmJS6_EEE10hipError_tPvRmT3_T4_T5_T6_T7_T9_mT8_P12ihipStream_tbDpT10_ENKUlT_T0_E_clISt17integral_constantIbLb0EES1A_EEDaS15_S16_EUlS15_E_NS1_11comp_targetILNS1_3genE4ELNS1_11target_archE910ELNS1_3gpuE8ELNS1_3repE0EEENS1_30default_config_static_selectorELNS0_4arch9wavefront6targetE1EEEvT1_: ; @_ZN7rocprim17ROCPRIM_400000_NS6detail17trampoline_kernelINS0_14default_configENS1_25partition_config_selectorILNS1_17partition_subalgoE8EyNS0_10empty_typeEbEEZZNS1_14partition_implILS5_8ELb0ES3_jN6thrust23THRUST_200600_302600_NS6detail15normal_iteratorINSA_10device_ptrIyEEEEPS6_PKS6_NS0_5tupleIJSF_S6_EEENSJ_IJSG_SG_EEENS0_18inequality_wrapperI22is_equal_div_10_uniqueIyEEEPmJS6_EEE10hipError_tPvRmT3_T4_T5_T6_T7_T9_mT8_P12ihipStream_tbDpT10_ENKUlT_T0_E_clISt17integral_constantIbLb0EES1A_EEDaS15_S16_EUlS15_E_NS1_11comp_targetILNS1_3genE4ELNS1_11target_archE910ELNS1_3gpuE8ELNS1_3repE0EEENS1_30default_config_static_selectorELNS0_4arch9wavefront6targetE1EEEvT1_
; %bb.0:
	.section	.rodata,"a",@progbits
	.p2align	6, 0x0
	.amdhsa_kernel _ZN7rocprim17ROCPRIM_400000_NS6detail17trampoline_kernelINS0_14default_configENS1_25partition_config_selectorILNS1_17partition_subalgoE8EyNS0_10empty_typeEbEEZZNS1_14partition_implILS5_8ELb0ES3_jN6thrust23THRUST_200600_302600_NS6detail15normal_iteratorINSA_10device_ptrIyEEEEPS6_PKS6_NS0_5tupleIJSF_S6_EEENSJ_IJSG_SG_EEENS0_18inequality_wrapperI22is_equal_div_10_uniqueIyEEEPmJS6_EEE10hipError_tPvRmT3_T4_T5_T6_T7_T9_mT8_P12ihipStream_tbDpT10_ENKUlT_T0_E_clISt17integral_constantIbLb0EES1A_EEDaS15_S16_EUlS15_E_NS1_11comp_targetILNS1_3genE4ELNS1_11target_archE910ELNS1_3gpuE8ELNS1_3repE0EEENS1_30default_config_static_selectorELNS0_4arch9wavefront6targetE1EEEvT1_
		.amdhsa_group_segment_fixed_size 0
		.amdhsa_private_segment_fixed_size 0
		.amdhsa_kernarg_size 112
		.amdhsa_user_sgpr_count 6
		.amdhsa_user_sgpr_private_segment_buffer 1
		.amdhsa_user_sgpr_dispatch_ptr 0
		.amdhsa_user_sgpr_queue_ptr 0
		.amdhsa_user_sgpr_kernarg_segment_ptr 1
		.amdhsa_user_sgpr_dispatch_id 0
		.amdhsa_user_sgpr_flat_scratch_init 0
		.amdhsa_user_sgpr_private_segment_size 0
		.amdhsa_uses_dynamic_stack 0
		.amdhsa_system_sgpr_private_segment_wavefront_offset 0
		.amdhsa_system_sgpr_workgroup_id_x 1
		.amdhsa_system_sgpr_workgroup_id_y 0
		.amdhsa_system_sgpr_workgroup_id_z 0
		.amdhsa_system_sgpr_workgroup_info 0
		.amdhsa_system_vgpr_workitem_id 0
		.amdhsa_next_free_vgpr 1
		.amdhsa_next_free_sgpr 0
		.amdhsa_reserve_vcc 0
		.amdhsa_reserve_flat_scratch 0
		.amdhsa_float_round_mode_32 0
		.amdhsa_float_round_mode_16_64 0
		.amdhsa_float_denorm_mode_32 3
		.amdhsa_float_denorm_mode_16_64 3
		.amdhsa_dx10_clamp 1
		.amdhsa_ieee_mode 1
		.amdhsa_fp16_overflow 0
		.amdhsa_exception_fp_ieee_invalid_op 0
		.amdhsa_exception_fp_denorm_src 0
		.amdhsa_exception_fp_ieee_div_zero 0
		.amdhsa_exception_fp_ieee_overflow 0
		.amdhsa_exception_fp_ieee_underflow 0
		.amdhsa_exception_fp_ieee_inexact 0
		.amdhsa_exception_int_div_zero 0
	.end_amdhsa_kernel
	.section	.text._ZN7rocprim17ROCPRIM_400000_NS6detail17trampoline_kernelINS0_14default_configENS1_25partition_config_selectorILNS1_17partition_subalgoE8EyNS0_10empty_typeEbEEZZNS1_14partition_implILS5_8ELb0ES3_jN6thrust23THRUST_200600_302600_NS6detail15normal_iteratorINSA_10device_ptrIyEEEEPS6_PKS6_NS0_5tupleIJSF_S6_EEENSJ_IJSG_SG_EEENS0_18inequality_wrapperI22is_equal_div_10_uniqueIyEEEPmJS6_EEE10hipError_tPvRmT3_T4_T5_T6_T7_T9_mT8_P12ihipStream_tbDpT10_ENKUlT_T0_E_clISt17integral_constantIbLb0EES1A_EEDaS15_S16_EUlS15_E_NS1_11comp_targetILNS1_3genE4ELNS1_11target_archE910ELNS1_3gpuE8ELNS1_3repE0EEENS1_30default_config_static_selectorELNS0_4arch9wavefront6targetE1EEEvT1_,"axG",@progbits,_ZN7rocprim17ROCPRIM_400000_NS6detail17trampoline_kernelINS0_14default_configENS1_25partition_config_selectorILNS1_17partition_subalgoE8EyNS0_10empty_typeEbEEZZNS1_14partition_implILS5_8ELb0ES3_jN6thrust23THRUST_200600_302600_NS6detail15normal_iteratorINSA_10device_ptrIyEEEEPS6_PKS6_NS0_5tupleIJSF_S6_EEENSJ_IJSG_SG_EEENS0_18inequality_wrapperI22is_equal_div_10_uniqueIyEEEPmJS6_EEE10hipError_tPvRmT3_T4_T5_T6_T7_T9_mT8_P12ihipStream_tbDpT10_ENKUlT_T0_E_clISt17integral_constantIbLb0EES1A_EEDaS15_S16_EUlS15_E_NS1_11comp_targetILNS1_3genE4ELNS1_11target_archE910ELNS1_3gpuE8ELNS1_3repE0EEENS1_30default_config_static_selectorELNS0_4arch9wavefront6targetE1EEEvT1_,comdat
.Lfunc_end179:
	.size	_ZN7rocprim17ROCPRIM_400000_NS6detail17trampoline_kernelINS0_14default_configENS1_25partition_config_selectorILNS1_17partition_subalgoE8EyNS0_10empty_typeEbEEZZNS1_14partition_implILS5_8ELb0ES3_jN6thrust23THRUST_200600_302600_NS6detail15normal_iteratorINSA_10device_ptrIyEEEEPS6_PKS6_NS0_5tupleIJSF_S6_EEENSJ_IJSG_SG_EEENS0_18inequality_wrapperI22is_equal_div_10_uniqueIyEEEPmJS6_EEE10hipError_tPvRmT3_T4_T5_T6_T7_T9_mT8_P12ihipStream_tbDpT10_ENKUlT_T0_E_clISt17integral_constantIbLb0EES1A_EEDaS15_S16_EUlS15_E_NS1_11comp_targetILNS1_3genE4ELNS1_11target_archE910ELNS1_3gpuE8ELNS1_3repE0EEENS1_30default_config_static_selectorELNS0_4arch9wavefront6targetE1EEEvT1_, .Lfunc_end179-_ZN7rocprim17ROCPRIM_400000_NS6detail17trampoline_kernelINS0_14default_configENS1_25partition_config_selectorILNS1_17partition_subalgoE8EyNS0_10empty_typeEbEEZZNS1_14partition_implILS5_8ELb0ES3_jN6thrust23THRUST_200600_302600_NS6detail15normal_iteratorINSA_10device_ptrIyEEEEPS6_PKS6_NS0_5tupleIJSF_S6_EEENSJ_IJSG_SG_EEENS0_18inequality_wrapperI22is_equal_div_10_uniqueIyEEEPmJS6_EEE10hipError_tPvRmT3_T4_T5_T6_T7_T9_mT8_P12ihipStream_tbDpT10_ENKUlT_T0_E_clISt17integral_constantIbLb0EES1A_EEDaS15_S16_EUlS15_E_NS1_11comp_targetILNS1_3genE4ELNS1_11target_archE910ELNS1_3gpuE8ELNS1_3repE0EEENS1_30default_config_static_selectorELNS0_4arch9wavefront6targetE1EEEvT1_
                                        ; -- End function
	.set _ZN7rocprim17ROCPRIM_400000_NS6detail17trampoline_kernelINS0_14default_configENS1_25partition_config_selectorILNS1_17partition_subalgoE8EyNS0_10empty_typeEbEEZZNS1_14partition_implILS5_8ELb0ES3_jN6thrust23THRUST_200600_302600_NS6detail15normal_iteratorINSA_10device_ptrIyEEEEPS6_PKS6_NS0_5tupleIJSF_S6_EEENSJ_IJSG_SG_EEENS0_18inequality_wrapperI22is_equal_div_10_uniqueIyEEEPmJS6_EEE10hipError_tPvRmT3_T4_T5_T6_T7_T9_mT8_P12ihipStream_tbDpT10_ENKUlT_T0_E_clISt17integral_constantIbLb0EES1A_EEDaS15_S16_EUlS15_E_NS1_11comp_targetILNS1_3genE4ELNS1_11target_archE910ELNS1_3gpuE8ELNS1_3repE0EEENS1_30default_config_static_selectorELNS0_4arch9wavefront6targetE1EEEvT1_.num_vgpr, 0
	.set _ZN7rocprim17ROCPRIM_400000_NS6detail17trampoline_kernelINS0_14default_configENS1_25partition_config_selectorILNS1_17partition_subalgoE8EyNS0_10empty_typeEbEEZZNS1_14partition_implILS5_8ELb0ES3_jN6thrust23THRUST_200600_302600_NS6detail15normal_iteratorINSA_10device_ptrIyEEEEPS6_PKS6_NS0_5tupleIJSF_S6_EEENSJ_IJSG_SG_EEENS0_18inequality_wrapperI22is_equal_div_10_uniqueIyEEEPmJS6_EEE10hipError_tPvRmT3_T4_T5_T6_T7_T9_mT8_P12ihipStream_tbDpT10_ENKUlT_T0_E_clISt17integral_constantIbLb0EES1A_EEDaS15_S16_EUlS15_E_NS1_11comp_targetILNS1_3genE4ELNS1_11target_archE910ELNS1_3gpuE8ELNS1_3repE0EEENS1_30default_config_static_selectorELNS0_4arch9wavefront6targetE1EEEvT1_.num_agpr, 0
	.set _ZN7rocprim17ROCPRIM_400000_NS6detail17trampoline_kernelINS0_14default_configENS1_25partition_config_selectorILNS1_17partition_subalgoE8EyNS0_10empty_typeEbEEZZNS1_14partition_implILS5_8ELb0ES3_jN6thrust23THRUST_200600_302600_NS6detail15normal_iteratorINSA_10device_ptrIyEEEEPS6_PKS6_NS0_5tupleIJSF_S6_EEENSJ_IJSG_SG_EEENS0_18inequality_wrapperI22is_equal_div_10_uniqueIyEEEPmJS6_EEE10hipError_tPvRmT3_T4_T5_T6_T7_T9_mT8_P12ihipStream_tbDpT10_ENKUlT_T0_E_clISt17integral_constantIbLb0EES1A_EEDaS15_S16_EUlS15_E_NS1_11comp_targetILNS1_3genE4ELNS1_11target_archE910ELNS1_3gpuE8ELNS1_3repE0EEENS1_30default_config_static_selectorELNS0_4arch9wavefront6targetE1EEEvT1_.numbered_sgpr, 0
	.set _ZN7rocprim17ROCPRIM_400000_NS6detail17trampoline_kernelINS0_14default_configENS1_25partition_config_selectorILNS1_17partition_subalgoE8EyNS0_10empty_typeEbEEZZNS1_14partition_implILS5_8ELb0ES3_jN6thrust23THRUST_200600_302600_NS6detail15normal_iteratorINSA_10device_ptrIyEEEEPS6_PKS6_NS0_5tupleIJSF_S6_EEENSJ_IJSG_SG_EEENS0_18inequality_wrapperI22is_equal_div_10_uniqueIyEEEPmJS6_EEE10hipError_tPvRmT3_T4_T5_T6_T7_T9_mT8_P12ihipStream_tbDpT10_ENKUlT_T0_E_clISt17integral_constantIbLb0EES1A_EEDaS15_S16_EUlS15_E_NS1_11comp_targetILNS1_3genE4ELNS1_11target_archE910ELNS1_3gpuE8ELNS1_3repE0EEENS1_30default_config_static_selectorELNS0_4arch9wavefront6targetE1EEEvT1_.num_named_barrier, 0
	.set _ZN7rocprim17ROCPRIM_400000_NS6detail17trampoline_kernelINS0_14default_configENS1_25partition_config_selectorILNS1_17partition_subalgoE8EyNS0_10empty_typeEbEEZZNS1_14partition_implILS5_8ELb0ES3_jN6thrust23THRUST_200600_302600_NS6detail15normal_iteratorINSA_10device_ptrIyEEEEPS6_PKS6_NS0_5tupleIJSF_S6_EEENSJ_IJSG_SG_EEENS0_18inequality_wrapperI22is_equal_div_10_uniqueIyEEEPmJS6_EEE10hipError_tPvRmT3_T4_T5_T6_T7_T9_mT8_P12ihipStream_tbDpT10_ENKUlT_T0_E_clISt17integral_constantIbLb0EES1A_EEDaS15_S16_EUlS15_E_NS1_11comp_targetILNS1_3genE4ELNS1_11target_archE910ELNS1_3gpuE8ELNS1_3repE0EEENS1_30default_config_static_selectorELNS0_4arch9wavefront6targetE1EEEvT1_.private_seg_size, 0
	.set _ZN7rocprim17ROCPRIM_400000_NS6detail17trampoline_kernelINS0_14default_configENS1_25partition_config_selectorILNS1_17partition_subalgoE8EyNS0_10empty_typeEbEEZZNS1_14partition_implILS5_8ELb0ES3_jN6thrust23THRUST_200600_302600_NS6detail15normal_iteratorINSA_10device_ptrIyEEEEPS6_PKS6_NS0_5tupleIJSF_S6_EEENSJ_IJSG_SG_EEENS0_18inequality_wrapperI22is_equal_div_10_uniqueIyEEEPmJS6_EEE10hipError_tPvRmT3_T4_T5_T6_T7_T9_mT8_P12ihipStream_tbDpT10_ENKUlT_T0_E_clISt17integral_constantIbLb0EES1A_EEDaS15_S16_EUlS15_E_NS1_11comp_targetILNS1_3genE4ELNS1_11target_archE910ELNS1_3gpuE8ELNS1_3repE0EEENS1_30default_config_static_selectorELNS0_4arch9wavefront6targetE1EEEvT1_.uses_vcc, 0
	.set _ZN7rocprim17ROCPRIM_400000_NS6detail17trampoline_kernelINS0_14default_configENS1_25partition_config_selectorILNS1_17partition_subalgoE8EyNS0_10empty_typeEbEEZZNS1_14partition_implILS5_8ELb0ES3_jN6thrust23THRUST_200600_302600_NS6detail15normal_iteratorINSA_10device_ptrIyEEEEPS6_PKS6_NS0_5tupleIJSF_S6_EEENSJ_IJSG_SG_EEENS0_18inequality_wrapperI22is_equal_div_10_uniqueIyEEEPmJS6_EEE10hipError_tPvRmT3_T4_T5_T6_T7_T9_mT8_P12ihipStream_tbDpT10_ENKUlT_T0_E_clISt17integral_constantIbLb0EES1A_EEDaS15_S16_EUlS15_E_NS1_11comp_targetILNS1_3genE4ELNS1_11target_archE910ELNS1_3gpuE8ELNS1_3repE0EEENS1_30default_config_static_selectorELNS0_4arch9wavefront6targetE1EEEvT1_.uses_flat_scratch, 0
	.set _ZN7rocprim17ROCPRIM_400000_NS6detail17trampoline_kernelINS0_14default_configENS1_25partition_config_selectorILNS1_17partition_subalgoE8EyNS0_10empty_typeEbEEZZNS1_14partition_implILS5_8ELb0ES3_jN6thrust23THRUST_200600_302600_NS6detail15normal_iteratorINSA_10device_ptrIyEEEEPS6_PKS6_NS0_5tupleIJSF_S6_EEENSJ_IJSG_SG_EEENS0_18inequality_wrapperI22is_equal_div_10_uniqueIyEEEPmJS6_EEE10hipError_tPvRmT3_T4_T5_T6_T7_T9_mT8_P12ihipStream_tbDpT10_ENKUlT_T0_E_clISt17integral_constantIbLb0EES1A_EEDaS15_S16_EUlS15_E_NS1_11comp_targetILNS1_3genE4ELNS1_11target_archE910ELNS1_3gpuE8ELNS1_3repE0EEENS1_30default_config_static_selectorELNS0_4arch9wavefront6targetE1EEEvT1_.has_dyn_sized_stack, 0
	.set _ZN7rocprim17ROCPRIM_400000_NS6detail17trampoline_kernelINS0_14default_configENS1_25partition_config_selectorILNS1_17partition_subalgoE8EyNS0_10empty_typeEbEEZZNS1_14partition_implILS5_8ELb0ES3_jN6thrust23THRUST_200600_302600_NS6detail15normal_iteratorINSA_10device_ptrIyEEEEPS6_PKS6_NS0_5tupleIJSF_S6_EEENSJ_IJSG_SG_EEENS0_18inequality_wrapperI22is_equal_div_10_uniqueIyEEEPmJS6_EEE10hipError_tPvRmT3_T4_T5_T6_T7_T9_mT8_P12ihipStream_tbDpT10_ENKUlT_T0_E_clISt17integral_constantIbLb0EES1A_EEDaS15_S16_EUlS15_E_NS1_11comp_targetILNS1_3genE4ELNS1_11target_archE910ELNS1_3gpuE8ELNS1_3repE0EEENS1_30default_config_static_selectorELNS0_4arch9wavefront6targetE1EEEvT1_.has_recursion, 0
	.set _ZN7rocprim17ROCPRIM_400000_NS6detail17trampoline_kernelINS0_14default_configENS1_25partition_config_selectorILNS1_17partition_subalgoE8EyNS0_10empty_typeEbEEZZNS1_14partition_implILS5_8ELb0ES3_jN6thrust23THRUST_200600_302600_NS6detail15normal_iteratorINSA_10device_ptrIyEEEEPS6_PKS6_NS0_5tupleIJSF_S6_EEENSJ_IJSG_SG_EEENS0_18inequality_wrapperI22is_equal_div_10_uniqueIyEEEPmJS6_EEE10hipError_tPvRmT3_T4_T5_T6_T7_T9_mT8_P12ihipStream_tbDpT10_ENKUlT_T0_E_clISt17integral_constantIbLb0EES1A_EEDaS15_S16_EUlS15_E_NS1_11comp_targetILNS1_3genE4ELNS1_11target_archE910ELNS1_3gpuE8ELNS1_3repE0EEENS1_30default_config_static_selectorELNS0_4arch9wavefront6targetE1EEEvT1_.has_indirect_call, 0
	.section	.AMDGPU.csdata,"",@progbits
; Kernel info:
; codeLenInByte = 0
; TotalNumSgprs: 4
; NumVgprs: 0
; ScratchSize: 0
; MemoryBound: 0
; FloatMode: 240
; IeeeMode: 1
; LDSByteSize: 0 bytes/workgroup (compile time only)
; SGPRBlocks: 0
; VGPRBlocks: 0
; NumSGPRsForWavesPerEU: 4
; NumVGPRsForWavesPerEU: 1
; Occupancy: 10
; WaveLimiterHint : 0
; COMPUTE_PGM_RSRC2:SCRATCH_EN: 0
; COMPUTE_PGM_RSRC2:USER_SGPR: 6
; COMPUTE_PGM_RSRC2:TRAP_HANDLER: 0
; COMPUTE_PGM_RSRC2:TGID_X_EN: 1
; COMPUTE_PGM_RSRC2:TGID_Y_EN: 0
; COMPUTE_PGM_RSRC2:TGID_Z_EN: 0
; COMPUTE_PGM_RSRC2:TIDIG_COMP_CNT: 0
	.section	.text._ZN7rocprim17ROCPRIM_400000_NS6detail17trampoline_kernelINS0_14default_configENS1_25partition_config_selectorILNS1_17partition_subalgoE8EyNS0_10empty_typeEbEEZZNS1_14partition_implILS5_8ELb0ES3_jN6thrust23THRUST_200600_302600_NS6detail15normal_iteratorINSA_10device_ptrIyEEEEPS6_PKS6_NS0_5tupleIJSF_S6_EEENSJ_IJSG_SG_EEENS0_18inequality_wrapperI22is_equal_div_10_uniqueIyEEEPmJS6_EEE10hipError_tPvRmT3_T4_T5_T6_T7_T9_mT8_P12ihipStream_tbDpT10_ENKUlT_T0_E_clISt17integral_constantIbLb0EES1A_EEDaS15_S16_EUlS15_E_NS1_11comp_targetILNS1_3genE3ELNS1_11target_archE908ELNS1_3gpuE7ELNS1_3repE0EEENS1_30default_config_static_selectorELNS0_4arch9wavefront6targetE1EEEvT1_,"axG",@progbits,_ZN7rocprim17ROCPRIM_400000_NS6detail17trampoline_kernelINS0_14default_configENS1_25partition_config_selectorILNS1_17partition_subalgoE8EyNS0_10empty_typeEbEEZZNS1_14partition_implILS5_8ELb0ES3_jN6thrust23THRUST_200600_302600_NS6detail15normal_iteratorINSA_10device_ptrIyEEEEPS6_PKS6_NS0_5tupleIJSF_S6_EEENSJ_IJSG_SG_EEENS0_18inequality_wrapperI22is_equal_div_10_uniqueIyEEEPmJS6_EEE10hipError_tPvRmT3_T4_T5_T6_T7_T9_mT8_P12ihipStream_tbDpT10_ENKUlT_T0_E_clISt17integral_constantIbLb0EES1A_EEDaS15_S16_EUlS15_E_NS1_11comp_targetILNS1_3genE3ELNS1_11target_archE908ELNS1_3gpuE7ELNS1_3repE0EEENS1_30default_config_static_selectorELNS0_4arch9wavefront6targetE1EEEvT1_,comdat
	.protected	_ZN7rocprim17ROCPRIM_400000_NS6detail17trampoline_kernelINS0_14default_configENS1_25partition_config_selectorILNS1_17partition_subalgoE8EyNS0_10empty_typeEbEEZZNS1_14partition_implILS5_8ELb0ES3_jN6thrust23THRUST_200600_302600_NS6detail15normal_iteratorINSA_10device_ptrIyEEEEPS6_PKS6_NS0_5tupleIJSF_S6_EEENSJ_IJSG_SG_EEENS0_18inequality_wrapperI22is_equal_div_10_uniqueIyEEEPmJS6_EEE10hipError_tPvRmT3_T4_T5_T6_T7_T9_mT8_P12ihipStream_tbDpT10_ENKUlT_T0_E_clISt17integral_constantIbLb0EES1A_EEDaS15_S16_EUlS15_E_NS1_11comp_targetILNS1_3genE3ELNS1_11target_archE908ELNS1_3gpuE7ELNS1_3repE0EEENS1_30default_config_static_selectorELNS0_4arch9wavefront6targetE1EEEvT1_ ; -- Begin function _ZN7rocprim17ROCPRIM_400000_NS6detail17trampoline_kernelINS0_14default_configENS1_25partition_config_selectorILNS1_17partition_subalgoE8EyNS0_10empty_typeEbEEZZNS1_14partition_implILS5_8ELb0ES3_jN6thrust23THRUST_200600_302600_NS6detail15normal_iteratorINSA_10device_ptrIyEEEEPS6_PKS6_NS0_5tupleIJSF_S6_EEENSJ_IJSG_SG_EEENS0_18inequality_wrapperI22is_equal_div_10_uniqueIyEEEPmJS6_EEE10hipError_tPvRmT3_T4_T5_T6_T7_T9_mT8_P12ihipStream_tbDpT10_ENKUlT_T0_E_clISt17integral_constantIbLb0EES1A_EEDaS15_S16_EUlS15_E_NS1_11comp_targetILNS1_3genE3ELNS1_11target_archE908ELNS1_3gpuE7ELNS1_3repE0EEENS1_30default_config_static_selectorELNS0_4arch9wavefront6targetE1EEEvT1_
	.globl	_ZN7rocprim17ROCPRIM_400000_NS6detail17trampoline_kernelINS0_14default_configENS1_25partition_config_selectorILNS1_17partition_subalgoE8EyNS0_10empty_typeEbEEZZNS1_14partition_implILS5_8ELb0ES3_jN6thrust23THRUST_200600_302600_NS6detail15normal_iteratorINSA_10device_ptrIyEEEEPS6_PKS6_NS0_5tupleIJSF_S6_EEENSJ_IJSG_SG_EEENS0_18inequality_wrapperI22is_equal_div_10_uniqueIyEEEPmJS6_EEE10hipError_tPvRmT3_T4_T5_T6_T7_T9_mT8_P12ihipStream_tbDpT10_ENKUlT_T0_E_clISt17integral_constantIbLb0EES1A_EEDaS15_S16_EUlS15_E_NS1_11comp_targetILNS1_3genE3ELNS1_11target_archE908ELNS1_3gpuE7ELNS1_3repE0EEENS1_30default_config_static_selectorELNS0_4arch9wavefront6targetE1EEEvT1_
	.p2align	8
	.type	_ZN7rocprim17ROCPRIM_400000_NS6detail17trampoline_kernelINS0_14default_configENS1_25partition_config_selectorILNS1_17partition_subalgoE8EyNS0_10empty_typeEbEEZZNS1_14partition_implILS5_8ELb0ES3_jN6thrust23THRUST_200600_302600_NS6detail15normal_iteratorINSA_10device_ptrIyEEEEPS6_PKS6_NS0_5tupleIJSF_S6_EEENSJ_IJSG_SG_EEENS0_18inequality_wrapperI22is_equal_div_10_uniqueIyEEEPmJS6_EEE10hipError_tPvRmT3_T4_T5_T6_T7_T9_mT8_P12ihipStream_tbDpT10_ENKUlT_T0_E_clISt17integral_constantIbLb0EES1A_EEDaS15_S16_EUlS15_E_NS1_11comp_targetILNS1_3genE3ELNS1_11target_archE908ELNS1_3gpuE7ELNS1_3repE0EEENS1_30default_config_static_selectorELNS0_4arch9wavefront6targetE1EEEvT1_,@function
_ZN7rocprim17ROCPRIM_400000_NS6detail17trampoline_kernelINS0_14default_configENS1_25partition_config_selectorILNS1_17partition_subalgoE8EyNS0_10empty_typeEbEEZZNS1_14partition_implILS5_8ELb0ES3_jN6thrust23THRUST_200600_302600_NS6detail15normal_iteratorINSA_10device_ptrIyEEEEPS6_PKS6_NS0_5tupleIJSF_S6_EEENSJ_IJSG_SG_EEENS0_18inequality_wrapperI22is_equal_div_10_uniqueIyEEEPmJS6_EEE10hipError_tPvRmT3_T4_T5_T6_T7_T9_mT8_P12ihipStream_tbDpT10_ENKUlT_T0_E_clISt17integral_constantIbLb0EES1A_EEDaS15_S16_EUlS15_E_NS1_11comp_targetILNS1_3genE3ELNS1_11target_archE908ELNS1_3gpuE7ELNS1_3repE0EEENS1_30default_config_static_selectorELNS0_4arch9wavefront6targetE1EEEvT1_: ; @_ZN7rocprim17ROCPRIM_400000_NS6detail17trampoline_kernelINS0_14default_configENS1_25partition_config_selectorILNS1_17partition_subalgoE8EyNS0_10empty_typeEbEEZZNS1_14partition_implILS5_8ELb0ES3_jN6thrust23THRUST_200600_302600_NS6detail15normal_iteratorINSA_10device_ptrIyEEEEPS6_PKS6_NS0_5tupleIJSF_S6_EEENSJ_IJSG_SG_EEENS0_18inequality_wrapperI22is_equal_div_10_uniqueIyEEEPmJS6_EEE10hipError_tPvRmT3_T4_T5_T6_T7_T9_mT8_P12ihipStream_tbDpT10_ENKUlT_T0_E_clISt17integral_constantIbLb0EES1A_EEDaS15_S16_EUlS15_E_NS1_11comp_targetILNS1_3genE3ELNS1_11target_archE908ELNS1_3gpuE7ELNS1_3repE0EEENS1_30default_config_static_selectorELNS0_4arch9wavefront6targetE1EEEvT1_
; %bb.0:
	.section	.rodata,"a",@progbits
	.p2align	6, 0x0
	.amdhsa_kernel _ZN7rocprim17ROCPRIM_400000_NS6detail17trampoline_kernelINS0_14default_configENS1_25partition_config_selectorILNS1_17partition_subalgoE8EyNS0_10empty_typeEbEEZZNS1_14partition_implILS5_8ELb0ES3_jN6thrust23THRUST_200600_302600_NS6detail15normal_iteratorINSA_10device_ptrIyEEEEPS6_PKS6_NS0_5tupleIJSF_S6_EEENSJ_IJSG_SG_EEENS0_18inequality_wrapperI22is_equal_div_10_uniqueIyEEEPmJS6_EEE10hipError_tPvRmT3_T4_T5_T6_T7_T9_mT8_P12ihipStream_tbDpT10_ENKUlT_T0_E_clISt17integral_constantIbLb0EES1A_EEDaS15_S16_EUlS15_E_NS1_11comp_targetILNS1_3genE3ELNS1_11target_archE908ELNS1_3gpuE7ELNS1_3repE0EEENS1_30default_config_static_selectorELNS0_4arch9wavefront6targetE1EEEvT1_
		.amdhsa_group_segment_fixed_size 0
		.amdhsa_private_segment_fixed_size 0
		.amdhsa_kernarg_size 112
		.amdhsa_user_sgpr_count 6
		.amdhsa_user_sgpr_private_segment_buffer 1
		.amdhsa_user_sgpr_dispatch_ptr 0
		.amdhsa_user_sgpr_queue_ptr 0
		.amdhsa_user_sgpr_kernarg_segment_ptr 1
		.amdhsa_user_sgpr_dispatch_id 0
		.amdhsa_user_sgpr_flat_scratch_init 0
		.amdhsa_user_sgpr_private_segment_size 0
		.amdhsa_uses_dynamic_stack 0
		.amdhsa_system_sgpr_private_segment_wavefront_offset 0
		.amdhsa_system_sgpr_workgroup_id_x 1
		.amdhsa_system_sgpr_workgroup_id_y 0
		.amdhsa_system_sgpr_workgroup_id_z 0
		.amdhsa_system_sgpr_workgroup_info 0
		.amdhsa_system_vgpr_workitem_id 0
		.amdhsa_next_free_vgpr 1
		.amdhsa_next_free_sgpr 0
		.amdhsa_reserve_vcc 0
		.amdhsa_reserve_flat_scratch 0
		.amdhsa_float_round_mode_32 0
		.amdhsa_float_round_mode_16_64 0
		.amdhsa_float_denorm_mode_32 3
		.amdhsa_float_denorm_mode_16_64 3
		.amdhsa_dx10_clamp 1
		.amdhsa_ieee_mode 1
		.amdhsa_fp16_overflow 0
		.amdhsa_exception_fp_ieee_invalid_op 0
		.amdhsa_exception_fp_denorm_src 0
		.amdhsa_exception_fp_ieee_div_zero 0
		.amdhsa_exception_fp_ieee_overflow 0
		.amdhsa_exception_fp_ieee_underflow 0
		.amdhsa_exception_fp_ieee_inexact 0
		.amdhsa_exception_int_div_zero 0
	.end_amdhsa_kernel
	.section	.text._ZN7rocprim17ROCPRIM_400000_NS6detail17trampoline_kernelINS0_14default_configENS1_25partition_config_selectorILNS1_17partition_subalgoE8EyNS0_10empty_typeEbEEZZNS1_14partition_implILS5_8ELb0ES3_jN6thrust23THRUST_200600_302600_NS6detail15normal_iteratorINSA_10device_ptrIyEEEEPS6_PKS6_NS0_5tupleIJSF_S6_EEENSJ_IJSG_SG_EEENS0_18inequality_wrapperI22is_equal_div_10_uniqueIyEEEPmJS6_EEE10hipError_tPvRmT3_T4_T5_T6_T7_T9_mT8_P12ihipStream_tbDpT10_ENKUlT_T0_E_clISt17integral_constantIbLb0EES1A_EEDaS15_S16_EUlS15_E_NS1_11comp_targetILNS1_3genE3ELNS1_11target_archE908ELNS1_3gpuE7ELNS1_3repE0EEENS1_30default_config_static_selectorELNS0_4arch9wavefront6targetE1EEEvT1_,"axG",@progbits,_ZN7rocprim17ROCPRIM_400000_NS6detail17trampoline_kernelINS0_14default_configENS1_25partition_config_selectorILNS1_17partition_subalgoE8EyNS0_10empty_typeEbEEZZNS1_14partition_implILS5_8ELb0ES3_jN6thrust23THRUST_200600_302600_NS6detail15normal_iteratorINSA_10device_ptrIyEEEEPS6_PKS6_NS0_5tupleIJSF_S6_EEENSJ_IJSG_SG_EEENS0_18inequality_wrapperI22is_equal_div_10_uniqueIyEEEPmJS6_EEE10hipError_tPvRmT3_T4_T5_T6_T7_T9_mT8_P12ihipStream_tbDpT10_ENKUlT_T0_E_clISt17integral_constantIbLb0EES1A_EEDaS15_S16_EUlS15_E_NS1_11comp_targetILNS1_3genE3ELNS1_11target_archE908ELNS1_3gpuE7ELNS1_3repE0EEENS1_30default_config_static_selectorELNS0_4arch9wavefront6targetE1EEEvT1_,comdat
.Lfunc_end180:
	.size	_ZN7rocprim17ROCPRIM_400000_NS6detail17trampoline_kernelINS0_14default_configENS1_25partition_config_selectorILNS1_17partition_subalgoE8EyNS0_10empty_typeEbEEZZNS1_14partition_implILS5_8ELb0ES3_jN6thrust23THRUST_200600_302600_NS6detail15normal_iteratorINSA_10device_ptrIyEEEEPS6_PKS6_NS0_5tupleIJSF_S6_EEENSJ_IJSG_SG_EEENS0_18inequality_wrapperI22is_equal_div_10_uniqueIyEEEPmJS6_EEE10hipError_tPvRmT3_T4_T5_T6_T7_T9_mT8_P12ihipStream_tbDpT10_ENKUlT_T0_E_clISt17integral_constantIbLb0EES1A_EEDaS15_S16_EUlS15_E_NS1_11comp_targetILNS1_3genE3ELNS1_11target_archE908ELNS1_3gpuE7ELNS1_3repE0EEENS1_30default_config_static_selectorELNS0_4arch9wavefront6targetE1EEEvT1_, .Lfunc_end180-_ZN7rocprim17ROCPRIM_400000_NS6detail17trampoline_kernelINS0_14default_configENS1_25partition_config_selectorILNS1_17partition_subalgoE8EyNS0_10empty_typeEbEEZZNS1_14partition_implILS5_8ELb0ES3_jN6thrust23THRUST_200600_302600_NS6detail15normal_iteratorINSA_10device_ptrIyEEEEPS6_PKS6_NS0_5tupleIJSF_S6_EEENSJ_IJSG_SG_EEENS0_18inequality_wrapperI22is_equal_div_10_uniqueIyEEEPmJS6_EEE10hipError_tPvRmT3_T4_T5_T6_T7_T9_mT8_P12ihipStream_tbDpT10_ENKUlT_T0_E_clISt17integral_constantIbLb0EES1A_EEDaS15_S16_EUlS15_E_NS1_11comp_targetILNS1_3genE3ELNS1_11target_archE908ELNS1_3gpuE7ELNS1_3repE0EEENS1_30default_config_static_selectorELNS0_4arch9wavefront6targetE1EEEvT1_
                                        ; -- End function
	.set _ZN7rocprim17ROCPRIM_400000_NS6detail17trampoline_kernelINS0_14default_configENS1_25partition_config_selectorILNS1_17partition_subalgoE8EyNS0_10empty_typeEbEEZZNS1_14partition_implILS5_8ELb0ES3_jN6thrust23THRUST_200600_302600_NS6detail15normal_iteratorINSA_10device_ptrIyEEEEPS6_PKS6_NS0_5tupleIJSF_S6_EEENSJ_IJSG_SG_EEENS0_18inequality_wrapperI22is_equal_div_10_uniqueIyEEEPmJS6_EEE10hipError_tPvRmT3_T4_T5_T6_T7_T9_mT8_P12ihipStream_tbDpT10_ENKUlT_T0_E_clISt17integral_constantIbLb0EES1A_EEDaS15_S16_EUlS15_E_NS1_11comp_targetILNS1_3genE3ELNS1_11target_archE908ELNS1_3gpuE7ELNS1_3repE0EEENS1_30default_config_static_selectorELNS0_4arch9wavefront6targetE1EEEvT1_.num_vgpr, 0
	.set _ZN7rocprim17ROCPRIM_400000_NS6detail17trampoline_kernelINS0_14default_configENS1_25partition_config_selectorILNS1_17partition_subalgoE8EyNS0_10empty_typeEbEEZZNS1_14partition_implILS5_8ELb0ES3_jN6thrust23THRUST_200600_302600_NS6detail15normal_iteratorINSA_10device_ptrIyEEEEPS6_PKS6_NS0_5tupleIJSF_S6_EEENSJ_IJSG_SG_EEENS0_18inequality_wrapperI22is_equal_div_10_uniqueIyEEEPmJS6_EEE10hipError_tPvRmT3_T4_T5_T6_T7_T9_mT8_P12ihipStream_tbDpT10_ENKUlT_T0_E_clISt17integral_constantIbLb0EES1A_EEDaS15_S16_EUlS15_E_NS1_11comp_targetILNS1_3genE3ELNS1_11target_archE908ELNS1_3gpuE7ELNS1_3repE0EEENS1_30default_config_static_selectorELNS0_4arch9wavefront6targetE1EEEvT1_.num_agpr, 0
	.set _ZN7rocprim17ROCPRIM_400000_NS6detail17trampoline_kernelINS0_14default_configENS1_25partition_config_selectorILNS1_17partition_subalgoE8EyNS0_10empty_typeEbEEZZNS1_14partition_implILS5_8ELb0ES3_jN6thrust23THRUST_200600_302600_NS6detail15normal_iteratorINSA_10device_ptrIyEEEEPS6_PKS6_NS0_5tupleIJSF_S6_EEENSJ_IJSG_SG_EEENS0_18inequality_wrapperI22is_equal_div_10_uniqueIyEEEPmJS6_EEE10hipError_tPvRmT3_T4_T5_T6_T7_T9_mT8_P12ihipStream_tbDpT10_ENKUlT_T0_E_clISt17integral_constantIbLb0EES1A_EEDaS15_S16_EUlS15_E_NS1_11comp_targetILNS1_3genE3ELNS1_11target_archE908ELNS1_3gpuE7ELNS1_3repE0EEENS1_30default_config_static_selectorELNS0_4arch9wavefront6targetE1EEEvT1_.numbered_sgpr, 0
	.set _ZN7rocprim17ROCPRIM_400000_NS6detail17trampoline_kernelINS0_14default_configENS1_25partition_config_selectorILNS1_17partition_subalgoE8EyNS0_10empty_typeEbEEZZNS1_14partition_implILS5_8ELb0ES3_jN6thrust23THRUST_200600_302600_NS6detail15normal_iteratorINSA_10device_ptrIyEEEEPS6_PKS6_NS0_5tupleIJSF_S6_EEENSJ_IJSG_SG_EEENS0_18inequality_wrapperI22is_equal_div_10_uniqueIyEEEPmJS6_EEE10hipError_tPvRmT3_T4_T5_T6_T7_T9_mT8_P12ihipStream_tbDpT10_ENKUlT_T0_E_clISt17integral_constantIbLb0EES1A_EEDaS15_S16_EUlS15_E_NS1_11comp_targetILNS1_3genE3ELNS1_11target_archE908ELNS1_3gpuE7ELNS1_3repE0EEENS1_30default_config_static_selectorELNS0_4arch9wavefront6targetE1EEEvT1_.num_named_barrier, 0
	.set _ZN7rocprim17ROCPRIM_400000_NS6detail17trampoline_kernelINS0_14default_configENS1_25partition_config_selectorILNS1_17partition_subalgoE8EyNS0_10empty_typeEbEEZZNS1_14partition_implILS5_8ELb0ES3_jN6thrust23THRUST_200600_302600_NS6detail15normal_iteratorINSA_10device_ptrIyEEEEPS6_PKS6_NS0_5tupleIJSF_S6_EEENSJ_IJSG_SG_EEENS0_18inequality_wrapperI22is_equal_div_10_uniqueIyEEEPmJS6_EEE10hipError_tPvRmT3_T4_T5_T6_T7_T9_mT8_P12ihipStream_tbDpT10_ENKUlT_T0_E_clISt17integral_constantIbLb0EES1A_EEDaS15_S16_EUlS15_E_NS1_11comp_targetILNS1_3genE3ELNS1_11target_archE908ELNS1_3gpuE7ELNS1_3repE0EEENS1_30default_config_static_selectorELNS0_4arch9wavefront6targetE1EEEvT1_.private_seg_size, 0
	.set _ZN7rocprim17ROCPRIM_400000_NS6detail17trampoline_kernelINS0_14default_configENS1_25partition_config_selectorILNS1_17partition_subalgoE8EyNS0_10empty_typeEbEEZZNS1_14partition_implILS5_8ELb0ES3_jN6thrust23THRUST_200600_302600_NS6detail15normal_iteratorINSA_10device_ptrIyEEEEPS6_PKS6_NS0_5tupleIJSF_S6_EEENSJ_IJSG_SG_EEENS0_18inequality_wrapperI22is_equal_div_10_uniqueIyEEEPmJS6_EEE10hipError_tPvRmT3_T4_T5_T6_T7_T9_mT8_P12ihipStream_tbDpT10_ENKUlT_T0_E_clISt17integral_constantIbLb0EES1A_EEDaS15_S16_EUlS15_E_NS1_11comp_targetILNS1_3genE3ELNS1_11target_archE908ELNS1_3gpuE7ELNS1_3repE0EEENS1_30default_config_static_selectorELNS0_4arch9wavefront6targetE1EEEvT1_.uses_vcc, 0
	.set _ZN7rocprim17ROCPRIM_400000_NS6detail17trampoline_kernelINS0_14default_configENS1_25partition_config_selectorILNS1_17partition_subalgoE8EyNS0_10empty_typeEbEEZZNS1_14partition_implILS5_8ELb0ES3_jN6thrust23THRUST_200600_302600_NS6detail15normal_iteratorINSA_10device_ptrIyEEEEPS6_PKS6_NS0_5tupleIJSF_S6_EEENSJ_IJSG_SG_EEENS0_18inequality_wrapperI22is_equal_div_10_uniqueIyEEEPmJS6_EEE10hipError_tPvRmT3_T4_T5_T6_T7_T9_mT8_P12ihipStream_tbDpT10_ENKUlT_T0_E_clISt17integral_constantIbLb0EES1A_EEDaS15_S16_EUlS15_E_NS1_11comp_targetILNS1_3genE3ELNS1_11target_archE908ELNS1_3gpuE7ELNS1_3repE0EEENS1_30default_config_static_selectorELNS0_4arch9wavefront6targetE1EEEvT1_.uses_flat_scratch, 0
	.set _ZN7rocprim17ROCPRIM_400000_NS6detail17trampoline_kernelINS0_14default_configENS1_25partition_config_selectorILNS1_17partition_subalgoE8EyNS0_10empty_typeEbEEZZNS1_14partition_implILS5_8ELb0ES3_jN6thrust23THRUST_200600_302600_NS6detail15normal_iteratorINSA_10device_ptrIyEEEEPS6_PKS6_NS0_5tupleIJSF_S6_EEENSJ_IJSG_SG_EEENS0_18inequality_wrapperI22is_equal_div_10_uniqueIyEEEPmJS6_EEE10hipError_tPvRmT3_T4_T5_T6_T7_T9_mT8_P12ihipStream_tbDpT10_ENKUlT_T0_E_clISt17integral_constantIbLb0EES1A_EEDaS15_S16_EUlS15_E_NS1_11comp_targetILNS1_3genE3ELNS1_11target_archE908ELNS1_3gpuE7ELNS1_3repE0EEENS1_30default_config_static_selectorELNS0_4arch9wavefront6targetE1EEEvT1_.has_dyn_sized_stack, 0
	.set _ZN7rocprim17ROCPRIM_400000_NS6detail17trampoline_kernelINS0_14default_configENS1_25partition_config_selectorILNS1_17partition_subalgoE8EyNS0_10empty_typeEbEEZZNS1_14partition_implILS5_8ELb0ES3_jN6thrust23THRUST_200600_302600_NS6detail15normal_iteratorINSA_10device_ptrIyEEEEPS6_PKS6_NS0_5tupleIJSF_S6_EEENSJ_IJSG_SG_EEENS0_18inequality_wrapperI22is_equal_div_10_uniqueIyEEEPmJS6_EEE10hipError_tPvRmT3_T4_T5_T6_T7_T9_mT8_P12ihipStream_tbDpT10_ENKUlT_T0_E_clISt17integral_constantIbLb0EES1A_EEDaS15_S16_EUlS15_E_NS1_11comp_targetILNS1_3genE3ELNS1_11target_archE908ELNS1_3gpuE7ELNS1_3repE0EEENS1_30default_config_static_selectorELNS0_4arch9wavefront6targetE1EEEvT1_.has_recursion, 0
	.set _ZN7rocprim17ROCPRIM_400000_NS6detail17trampoline_kernelINS0_14default_configENS1_25partition_config_selectorILNS1_17partition_subalgoE8EyNS0_10empty_typeEbEEZZNS1_14partition_implILS5_8ELb0ES3_jN6thrust23THRUST_200600_302600_NS6detail15normal_iteratorINSA_10device_ptrIyEEEEPS6_PKS6_NS0_5tupleIJSF_S6_EEENSJ_IJSG_SG_EEENS0_18inequality_wrapperI22is_equal_div_10_uniqueIyEEEPmJS6_EEE10hipError_tPvRmT3_T4_T5_T6_T7_T9_mT8_P12ihipStream_tbDpT10_ENKUlT_T0_E_clISt17integral_constantIbLb0EES1A_EEDaS15_S16_EUlS15_E_NS1_11comp_targetILNS1_3genE3ELNS1_11target_archE908ELNS1_3gpuE7ELNS1_3repE0EEENS1_30default_config_static_selectorELNS0_4arch9wavefront6targetE1EEEvT1_.has_indirect_call, 0
	.section	.AMDGPU.csdata,"",@progbits
; Kernel info:
; codeLenInByte = 0
; TotalNumSgprs: 4
; NumVgprs: 0
; ScratchSize: 0
; MemoryBound: 0
; FloatMode: 240
; IeeeMode: 1
; LDSByteSize: 0 bytes/workgroup (compile time only)
; SGPRBlocks: 0
; VGPRBlocks: 0
; NumSGPRsForWavesPerEU: 4
; NumVGPRsForWavesPerEU: 1
; Occupancy: 10
; WaveLimiterHint : 0
; COMPUTE_PGM_RSRC2:SCRATCH_EN: 0
; COMPUTE_PGM_RSRC2:USER_SGPR: 6
; COMPUTE_PGM_RSRC2:TRAP_HANDLER: 0
; COMPUTE_PGM_RSRC2:TGID_X_EN: 1
; COMPUTE_PGM_RSRC2:TGID_Y_EN: 0
; COMPUTE_PGM_RSRC2:TGID_Z_EN: 0
; COMPUTE_PGM_RSRC2:TIDIG_COMP_CNT: 0
	.section	.text._ZN7rocprim17ROCPRIM_400000_NS6detail17trampoline_kernelINS0_14default_configENS1_25partition_config_selectorILNS1_17partition_subalgoE8EyNS0_10empty_typeEbEEZZNS1_14partition_implILS5_8ELb0ES3_jN6thrust23THRUST_200600_302600_NS6detail15normal_iteratorINSA_10device_ptrIyEEEEPS6_PKS6_NS0_5tupleIJSF_S6_EEENSJ_IJSG_SG_EEENS0_18inequality_wrapperI22is_equal_div_10_uniqueIyEEEPmJS6_EEE10hipError_tPvRmT3_T4_T5_T6_T7_T9_mT8_P12ihipStream_tbDpT10_ENKUlT_T0_E_clISt17integral_constantIbLb0EES1A_EEDaS15_S16_EUlS15_E_NS1_11comp_targetILNS1_3genE2ELNS1_11target_archE906ELNS1_3gpuE6ELNS1_3repE0EEENS1_30default_config_static_selectorELNS0_4arch9wavefront6targetE1EEEvT1_,"axG",@progbits,_ZN7rocprim17ROCPRIM_400000_NS6detail17trampoline_kernelINS0_14default_configENS1_25partition_config_selectorILNS1_17partition_subalgoE8EyNS0_10empty_typeEbEEZZNS1_14partition_implILS5_8ELb0ES3_jN6thrust23THRUST_200600_302600_NS6detail15normal_iteratorINSA_10device_ptrIyEEEEPS6_PKS6_NS0_5tupleIJSF_S6_EEENSJ_IJSG_SG_EEENS0_18inequality_wrapperI22is_equal_div_10_uniqueIyEEEPmJS6_EEE10hipError_tPvRmT3_T4_T5_T6_T7_T9_mT8_P12ihipStream_tbDpT10_ENKUlT_T0_E_clISt17integral_constantIbLb0EES1A_EEDaS15_S16_EUlS15_E_NS1_11comp_targetILNS1_3genE2ELNS1_11target_archE906ELNS1_3gpuE6ELNS1_3repE0EEENS1_30default_config_static_selectorELNS0_4arch9wavefront6targetE1EEEvT1_,comdat
	.protected	_ZN7rocprim17ROCPRIM_400000_NS6detail17trampoline_kernelINS0_14default_configENS1_25partition_config_selectorILNS1_17partition_subalgoE8EyNS0_10empty_typeEbEEZZNS1_14partition_implILS5_8ELb0ES3_jN6thrust23THRUST_200600_302600_NS6detail15normal_iteratorINSA_10device_ptrIyEEEEPS6_PKS6_NS0_5tupleIJSF_S6_EEENSJ_IJSG_SG_EEENS0_18inequality_wrapperI22is_equal_div_10_uniqueIyEEEPmJS6_EEE10hipError_tPvRmT3_T4_T5_T6_T7_T9_mT8_P12ihipStream_tbDpT10_ENKUlT_T0_E_clISt17integral_constantIbLb0EES1A_EEDaS15_S16_EUlS15_E_NS1_11comp_targetILNS1_3genE2ELNS1_11target_archE906ELNS1_3gpuE6ELNS1_3repE0EEENS1_30default_config_static_selectorELNS0_4arch9wavefront6targetE1EEEvT1_ ; -- Begin function _ZN7rocprim17ROCPRIM_400000_NS6detail17trampoline_kernelINS0_14default_configENS1_25partition_config_selectorILNS1_17partition_subalgoE8EyNS0_10empty_typeEbEEZZNS1_14partition_implILS5_8ELb0ES3_jN6thrust23THRUST_200600_302600_NS6detail15normal_iteratorINSA_10device_ptrIyEEEEPS6_PKS6_NS0_5tupleIJSF_S6_EEENSJ_IJSG_SG_EEENS0_18inequality_wrapperI22is_equal_div_10_uniqueIyEEEPmJS6_EEE10hipError_tPvRmT3_T4_T5_T6_T7_T9_mT8_P12ihipStream_tbDpT10_ENKUlT_T0_E_clISt17integral_constantIbLb0EES1A_EEDaS15_S16_EUlS15_E_NS1_11comp_targetILNS1_3genE2ELNS1_11target_archE906ELNS1_3gpuE6ELNS1_3repE0EEENS1_30default_config_static_selectorELNS0_4arch9wavefront6targetE1EEEvT1_
	.globl	_ZN7rocprim17ROCPRIM_400000_NS6detail17trampoline_kernelINS0_14default_configENS1_25partition_config_selectorILNS1_17partition_subalgoE8EyNS0_10empty_typeEbEEZZNS1_14partition_implILS5_8ELb0ES3_jN6thrust23THRUST_200600_302600_NS6detail15normal_iteratorINSA_10device_ptrIyEEEEPS6_PKS6_NS0_5tupleIJSF_S6_EEENSJ_IJSG_SG_EEENS0_18inequality_wrapperI22is_equal_div_10_uniqueIyEEEPmJS6_EEE10hipError_tPvRmT3_T4_T5_T6_T7_T9_mT8_P12ihipStream_tbDpT10_ENKUlT_T0_E_clISt17integral_constantIbLb0EES1A_EEDaS15_S16_EUlS15_E_NS1_11comp_targetILNS1_3genE2ELNS1_11target_archE906ELNS1_3gpuE6ELNS1_3repE0EEENS1_30default_config_static_selectorELNS0_4arch9wavefront6targetE1EEEvT1_
	.p2align	8
	.type	_ZN7rocprim17ROCPRIM_400000_NS6detail17trampoline_kernelINS0_14default_configENS1_25partition_config_selectorILNS1_17partition_subalgoE8EyNS0_10empty_typeEbEEZZNS1_14partition_implILS5_8ELb0ES3_jN6thrust23THRUST_200600_302600_NS6detail15normal_iteratorINSA_10device_ptrIyEEEEPS6_PKS6_NS0_5tupleIJSF_S6_EEENSJ_IJSG_SG_EEENS0_18inequality_wrapperI22is_equal_div_10_uniqueIyEEEPmJS6_EEE10hipError_tPvRmT3_T4_T5_T6_T7_T9_mT8_P12ihipStream_tbDpT10_ENKUlT_T0_E_clISt17integral_constantIbLb0EES1A_EEDaS15_S16_EUlS15_E_NS1_11comp_targetILNS1_3genE2ELNS1_11target_archE906ELNS1_3gpuE6ELNS1_3repE0EEENS1_30default_config_static_selectorELNS0_4arch9wavefront6targetE1EEEvT1_,@function
_ZN7rocprim17ROCPRIM_400000_NS6detail17trampoline_kernelINS0_14default_configENS1_25partition_config_selectorILNS1_17partition_subalgoE8EyNS0_10empty_typeEbEEZZNS1_14partition_implILS5_8ELb0ES3_jN6thrust23THRUST_200600_302600_NS6detail15normal_iteratorINSA_10device_ptrIyEEEEPS6_PKS6_NS0_5tupleIJSF_S6_EEENSJ_IJSG_SG_EEENS0_18inequality_wrapperI22is_equal_div_10_uniqueIyEEEPmJS6_EEE10hipError_tPvRmT3_T4_T5_T6_T7_T9_mT8_P12ihipStream_tbDpT10_ENKUlT_T0_E_clISt17integral_constantIbLb0EES1A_EEDaS15_S16_EUlS15_E_NS1_11comp_targetILNS1_3genE2ELNS1_11target_archE906ELNS1_3gpuE6ELNS1_3repE0EEENS1_30default_config_static_selectorELNS0_4arch9wavefront6targetE1EEEvT1_: ; @_ZN7rocprim17ROCPRIM_400000_NS6detail17trampoline_kernelINS0_14default_configENS1_25partition_config_selectorILNS1_17partition_subalgoE8EyNS0_10empty_typeEbEEZZNS1_14partition_implILS5_8ELb0ES3_jN6thrust23THRUST_200600_302600_NS6detail15normal_iteratorINSA_10device_ptrIyEEEEPS6_PKS6_NS0_5tupleIJSF_S6_EEENSJ_IJSG_SG_EEENS0_18inequality_wrapperI22is_equal_div_10_uniqueIyEEEPmJS6_EEE10hipError_tPvRmT3_T4_T5_T6_T7_T9_mT8_P12ihipStream_tbDpT10_ENKUlT_T0_E_clISt17integral_constantIbLb0EES1A_EEDaS15_S16_EUlS15_E_NS1_11comp_targetILNS1_3genE2ELNS1_11target_archE906ELNS1_3gpuE6ELNS1_3repE0EEENS1_30default_config_static_selectorELNS0_4arch9wavefront6targetE1EEEvT1_
; %bb.0:
	s_load_dwordx4 s[0:3], s[4:5], 0x8
	s_load_dwordx4 s[24:27], s[4:5], 0x40
	s_load_dwordx2 s[8:9], s[4:5], 0x50
	s_load_dword s7, s[4:5], 0x68
	v_lshlrev_b32_e32 v31, 3, v0
	s_waitcnt lgkmcnt(0)
	s_lshl_b64 s[10:11], s[2:3], 3
	s_add_u32 s12, s0, s10
	s_addc_u32 s13, s1, s11
	s_mul_i32 s0, s7, 0x700
	s_add_i32 s1, s0, s2
	s_add_i32 s14, s7, -1
	s_sub_i32 s7, s8, s1
	s_add_u32 s0, s2, s0
	s_addc_u32 s1, s3, 0
	v_mov_b32_e32 v2, s1
	v_mov_b32_e32 v1, s0
	v_cmp_le_u64_e32 vcc, s[8:9], v[1:2]
	s_cmp_eq_u32 s6, s14
	s_load_dwordx2 s[22:23], s[26:27], 0x0
	s_cselect_b64 s[26:27], -1, 0
	s_mul_i32 s10, s6, 0x700
	s_mov_b32 s11, 0
	s_and_b64 s[16:17], s[26:27], vcc
	s_xor_b64 s[28:29], s[16:17], -1
	s_lshl_b64 s[8:9], s[10:11], 3
	s_add_u32 s8, s12, s8
	s_mov_b64 s[0:1], -1
	s_addc_u32 s9, s13, s9
	s_and_b64 vcc, exec, s[28:29]
	s_cbranch_vccz .LBB181_2
; %bb.1:
	v_lshlrev_b32_e32 v19, 3, v0
	v_mov_b32_e32 v2, s9
	v_add_co_u32_e32 v1, vcc, s8, v19
	v_addc_co_u32_e32 v2, vcc, 0, v2, vcc
	v_add_co_u32_e32 v3, vcc, 0x1000, v1
	v_addc_co_u32_e32 v4, vcc, 0, v2, vcc
	flat_load_dwordx2 v[5:6], v[1:2]
	flat_load_dwordx2 v[7:8], v[1:2] offset:2048
	flat_load_dwordx2 v[9:10], v[3:4]
	flat_load_dwordx2 v[11:12], v[3:4] offset:2048
	v_add_co_u32_e32 v3, vcc, 0x2000, v1
	v_addc_co_u32_e32 v4, vcc, 0, v2, vcc
	v_add_co_u32_e32 v1, vcc, 0x3000, v1
	v_addc_co_u32_e32 v2, vcc, 0, v2, vcc
	flat_load_dwordx2 v[13:14], v[3:4]
	flat_load_dwordx2 v[15:16], v[3:4] offset:2048
	flat_load_dwordx2 v[17:18], v[1:2]
	s_mov_b64 s[0:1], 0
	s_waitcnt vmcnt(0) lgkmcnt(0)
	ds_write2st64_b64 v19, v[5:6], v[7:8] offset1:4
	ds_write2st64_b64 v19, v[9:10], v[11:12] offset0:8 offset1:12
	ds_write2st64_b64 v19, v[13:14], v[15:16] offset0:16 offset1:20
	ds_write_b64 v19, v[17:18] offset:12288
	s_waitcnt lgkmcnt(0)
	s_barrier
.LBB181_2:
	s_andn2_b64 vcc, exec, s[0:1]
	s_addk_i32 s7, 0x700
	s_cbranch_vccnz .LBB181_18
; %bb.3:
	v_mov_b32_e32 v1, 0
	v_cmp_gt_u32_e32 vcc, s7, v0
	v_mov_b32_e32 v2, v1
	v_mov_b32_e32 v3, v1
	;; [unrolled: 1-line block ×13, first 2 shown]
	s_and_saveexec_b64 s[0:1], vcc
	s_cbranch_execz .LBB181_5
; %bb.4:
	v_lshlrev_b32_e32 v2, 3, v0
	v_mov_b32_e32 v3, s9
	v_add_co_u32_e32 v2, vcc, s8, v2
	v_addc_co_u32_e32 v3, vcc, 0, v3, vcc
	flat_load_dwordx2 v[2:3], v[2:3]
	v_mov_b32_e32 v4, v1
	v_mov_b32_e32 v5, v1
	;; [unrolled: 1-line block ×12, first 2 shown]
	s_waitcnt vmcnt(0) lgkmcnt(0)
	v_mov_b32_e32 v1, v2
	v_mov_b32_e32 v2, v3
	;; [unrolled: 1-line block ×16, first 2 shown]
.LBB181_5:
	s_or_b64 exec, exec, s[0:1]
	v_or_b32_e32 v15, 0x100, v0
	v_cmp_gt_u32_e32 vcc, s7, v15
	s_and_saveexec_b64 s[0:1], vcc
	s_cbranch_execz .LBB181_7
; %bb.6:
	v_lshlrev_b32_e32 v3, 3, v0
	v_mov_b32_e32 v4, s9
	v_add_co_u32_e32 v3, vcc, s8, v3
	v_addc_co_u32_e32 v4, vcc, 0, v4, vcc
	flat_load_dwordx2 v[3:4], v[3:4] offset:2048
.LBB181_7:
	s_or_b64 exec, exec, s[0:1]
	v_or_b32_e32 v15, 0x200, v0
	v_cmp_gt_u32_e32 vcc, s7, v15
	s_and_saveexec_b64 s[0:1], vcc
	s_cbranch_execz .LBB181_9
; %bb.8:
	v_lshlrev_b32_e32 v5, 3, v15
	v_mov_b32_e32 v6, s9
	v_add_co_u32_e32 v5, vcc, s8, v5
	v_addc_co_u32_e32 v6, vcc, 0, v6, vcc
	flat_load_dwordx2 v[5:6], v[5:6]
.LBB181_9:
	s_or_b64 exec, exec, s[0:1]
	v_or_b32_e32 v15, 0x300, v0
	v_cmp_gt_u32_e32 vcc, s7, v15
	s_and_saveexec_b64 s[0:1], vcc
	s_cbranch_execz .LBB181_11
; %bb.10:
	v_lshlrev_b32_e32 v7, 3, v15
	v_mov_b32_e32 v8, s9
	v_add_co_u32_e32 v7, vcc, s8, v7
	v_addc_co_u32_e32 v8, vcc, 0, v8, vcc
	flat_load_dwordx2 v[7:8], v[7:8]
.LBB181_11:
	;; [unrolled: 12-line block ×5, first 2 shown]
	s_or_b64 exec, exec, s[0:1]
	v_lshlrev_b32_e32 v15, 3, v0
	s_waitcnt vmcnt(0) lgkmcnt(0)
	ds_write2st64_b64 v15, v[1:2], v[3:4] offset1:4
	ds_write2st64_b64 v15, v[5:6], v[7:8] offset0:8 offset1:12
	ds_write2st64_b64 v15, v[9:10], v[11:12] offset0:16 offset1:20
	ds_write_b64 v15, v[13:14] offset:12288
	s_waitcnt lgkmcnt(0)
	s_barrier
.LBB181_18:
	v_mul_u32_u24_e32 v18, 7, v0
	v_lshlrev_b32_e32 v19, 3, v18
	s_waitcnt lgkmcnt(0)
	ds_read2_b64 v[9:12], v19 offset1:1
	ds_read2_b64 v[5:8], v19 offset0:2 offset1:3
	ds_read2_b64 v[1:4], v19 offset0:4 offset1:5
	ds_read_b64 v[13:14], v19 offset:48
	s_cmp_lg_u32 s6, 0
	s_cselect_b64 s[20:21], -1, 0
	s_cmp_lg_u64 s[2:3], 0
	s_cselect_b64 s[0:1], -1, 0
	s_or_b64 s[0:1], s[20:21], s[0:1]
	s_mov_b64 s[18:19], 0
	s_and_b64 vcc, exec, s[0:1]
	s_waitcnt lgkmcnt(0)
	s_barrier
	s_cbranch_vccz .LBB181_23
; %bb.19:
	v_mov_b32_e32 v16, s9
	v_add_co_u32_e64 v15, vcc, -8, s8
	v_addc_co_u32_e32 v16, vcc, -1, v16, vcc
	flat_load_dwordx2 v[15:16], v[15:16]
	v_lshlrev_b32_e32 v20, 3, v0
	s_and_b64 vcc, exec, s[28:29]
	ds_write_b64 v20, v[13:14]
	s_cbranch_vccz .LBB181_24
; %bb.20:
	s_waitcnt vmcnt(0) lgkmcnt(0)
	v_mov_b32_e32 v17, v16
	v_cmp_ne_u32_e32 vcc, 0, v0
	v_mov_b32_e32 v16, v15
	s_barrier
	s_and_saveexec_b64 s[0:1], vcc
; %bb.21:
	v_add_u32_e32 v16, -8, v20
	ds_read_b64 v[16:17], v16
; %bb.22:
	s_or_b64 exec, exec, s[0:1]
	s_mov_b32 s0, 0x66666667
	s_waitcnt lgkmcnt(0)
	v_mul_hi_i32 v17, v3, s0
	v_mul_hi_i32 v21, v13, s0
	;; [unrolled: 1-line block ×3, first 2 shown]
	v_lshrrev_b32_e32 v22, 31, v17
	v_ashrrev_i32_e32 v17, 2, v17
	v_add_u32_e32 v17, v17, v22
	v_mul_hi_i32 v22, v1, s0
	v_lshrrev_b32_e32 v23, 31, v21
	v_ashrrev_i32_e32 v21, 2, v21
	v_add_u32_e32 v21, v21, v23
	v_mul_hi_i32 v23, v7, s0
	v_cmp_ne_u32_e32 vcc, v17, v21
	v_lshrrev_b32_e32 v21, 31, v22
	v_ashrrev_i32_e32 v22, 2, v22
	v_add_u32_e32 v21, v22, v21
	v_cndmask_b32_e64 v32, 0, 1, vcc
	v_cmp_ne_u32_e32 vcc, v21, v17
	v_lshrrev_b32_e32 v17, 31, v23
	v_ashrrev_i32_e32 v22, 2, v23
	v_mul_hi_i32 v23, v5, s0
	v_add_u32_e32 v17, v22, v17
	v_cndmask_b32_e64 v33, 0, 1, vcc
	v_cmp_ne_u32_e32 vcc, v17, v21
	v_lshrrev_b32_e32 v21, 31, v23
	v_ashrrev_i32_e32 v22, 2, v23
	v_mul_hi_i32 v23, v11, s0
	;; [unrolled: 6-line block ×3, first 2 shown]
	v_add_u32_e32 v17, v22, v17
	v_cndmask_b32_e64 v35, 0, 1, vcc
	v_cmp_ne_u32_e32 vcc, v17, v21
	v_lshrrev_b32_e32 v21, 31, v23
	v_ashrrev_i32_e32 v22, 2, v23
	v_add_u32_e32 v21, v22, v21
	v_cndmask_b32_e64 v36, 0, 1, vcc
	v_cmp_ne_u32_e32 vcc, v21, v17
	v_lshrrev_b32_e32 v17, 31, v16
	v_ashrrev_i32_e32 v16, 2, v16
	v_add_u32_e32 v16, v16, v17
	v_cndmask_b32_e64 v37, 0, 1, vcc
	v_cmp_ne_u32_e64 s[30:31], v16, v21
	s_branch .LBB181_42
.LBB181_23:
                                        ; implicit-def: $sgpr30_sgpr31
                                        ; implicit-def: $vgpr32
                                        ; implicit-def: $vgpr33
                                        ; implicit-def: $vgpr34
                                        ; implicit-def: $vgpr35
                                        ; implicit-def: $vgpr36
                                        ; implicit-def: $vgpr37
	s_branch .LBB181_43
.LBB181_24:
                                        ; implicit-def: $sgpr30_sgpr31
                                        ; implicit-def: $vgpr32
                                        ; implicit-def: $vgpr33
                                        ; implicit-def: $vgpr34
                                        ; implicit-def: $vgpr35
                                        ; implicit-def: $vgpr36
                                        ; implicit-def: $vgpr37
	s_cbranch_execz .LBB181_42
; %bb.25:
	s_waitcnt vmcnt(0) lgkmcnt(0)
	v_add_u32_e32 v16, 6, v18
	v_cmp_gt_u32_e32 vcc, s7, v16
	s_mov_b64 s[2:3], 0
	s_mov_b64 s[0:1], 0
	s_and_saveexec_b64 s[8:9], vcc
	s_cbranch_execz .LBB181_27
; %bb.26:
	s_mov_b32 s0, 0x66666667
	v_mul_hi_i32 v16, v3, s0
	v_mul_hi_i32 v17, v13, s0
	v_lshrrev_b32_e32 v21, 31, v16
	v_ashrrev_i32_e32 v16, 2, v16
	v_lshrrev_b32_e32 v22, 31, v17
	v_ashrrev_i32_e32 v17, 2, v17
	v_add_u32_e32 v16, v16, v21
	v_add_u32_e32 v17, v17, v22
	v_cmp_ne_u32_e32 vcc, v16, v17
	s_and_b64 s[0:1], vcc, exec
.LBB181_27:
	s_or_b64 exec, exec, s[8:9]
	v_add_u32_e32 v16, 5, v18
	v_cmp_gt_u32_e32 vcc, s7, v16
	s_and_saveexec_b64 s[8:9], vcc
	s_cbranch_execz .LBB181_29
; %bb.28:
	s_mov_b32 s2, 0x66666667
	v_mul_hi_i32 v16, v1, s2
	v_mul_hi_i32 v17, v3, s2
	v_lshrrev_b32_e32 v21, 31, v16
	v_ashrrev_i32_e32 v16, 2, v16
	v_lshrrev_b32_e32 v22, 31, v17
	v_ashrrev_i32_e32 v17, 2, v17
	v_add_u32_e32 v16, v16, v21
	v_add_u32_e32 v17, v17, v22
	v_cmp_ne_u32_e32 vcc, v16, v17
	s_and_b64 s[2:3], vcc, exec
.LBB181_29:
	s_or_b64 exec, exec, s[8:9]
	v_add_u32_e32 v16, 4, v18
	v_cmp_gt_u32_e32 vcc, s7, v16
	s_mov_b64 s[10:11], 0
	s_mov_b64 s[8:9], 0
	s_and_saveexec_b64 s[12:13], vcc
	s_cbranch_execz .LBB181_31
; %bb.30:
	s_mov_b32 s8, 0x66666667
	v_mul_hi_i32 v16, v7, s8
	v_mul_hi_i32 v17, v1, s8
	v_lshrrev_b32_e32 v21, 31, v16
	v_ashrrev_i32_e32 v16, 2, v16
	v_lshrrev_b32_e32 v22, 31, v17
	v_ashrrev_i32_e32 v17, 2, v17
	v_add_u32_e32 v16, v16, v21
	v_add_u32_e32 v17, v17, v22
	v_cmp_ne_u32_e32 vcc, v16, v17
	s_and_b64 s[8:9], vcc, exec
.LBB181_31:
	s_or_b64 exec, exec, s[12:13]
	v_add_u32_e32 v16, 3, v18
	v_cmp_gt_u32_e32 vcc, s7, v16
	s_and_saveexec_b64 s[12:13], vcc
	s_cbranch_execz .LBB181_33
; %bb.32:
	s_mov_b32 s10, 0x66666667
	v_mul_hi_i32 v16, v5, s10
	v_mul_hi_i32 v17, v7, s10
	v_lshrrev_b32_e32 v21, 31, v16
	v_ashrrev_i32_e32 v16, 2, v16
	v_lshrrev_b32_e32 v22, 31, v17
	v_ashrrev_i32_e32 v17, 2, v17
	v_add_u32_e32 v16, v16, v21
	v_add_u32_e32 v17, v17, v22
	v_cmp_ne_u32_e32 vcc, v16, v17
	s_and_b64 s[10:11], vcc, exec
.LBB181_33:
	s_or_b64 exec, exec, s[12:13]
	;; [unrolled: 38-line block ×3, first 2 shown]
	v_cmp_ne_u32_e32 vcc, 0, v0
	s_barrier
	s_and_saveexec_b64 s[18:19], vcc
; %bb.38:
	v_add_u32_e32 v15, -8, v20
	ds_read_b64 v[15:16], v15
; %bb.39:
	s_or_b64 exec, exec, s[18:19]
	v_cmp_gt_u32_e32 vcc, s7, v18
	s_mov_b64 s[30:31], 0
	s_and_saveexec_b64 s[18:19], vcc
	s_cbranch_execz .LBB181_41
; %bb.40:
	s_mov_b32 s30, 0x66666667
	s_waitcnt lgkmcnt(0)
	v_mul_hi_i32 v15, v15, s30
	v_mul_hi_i32 v16, v9, s30
	v_lshrrev_b32_e32 v17, 31, v15
	v_ashrrev_i32_e32 v15, 2, v15
	v_lshrrev_b32_e32 v20, 31, v16
	v_ashrrev_i32_e32 v16, 2, v16
	v_add_u32_e32 v15, v15, v17
	v_add_u32_e32 v16, v16, v20
	v_cmp_ne_u32_e32 vcc, v15, v16
	s_and_b64 s[30:31], vcc, exec
.LBB181_41:
	s_or_b64 exec, exec, s[18:19]
	v_cndmask_b32_e64 v37, 0, 1, s[14:15]
	v_cndmask_b32_e64 v36, 0, 1, s[12:13]
	;; [unrolled: 1-line block ×6, first 2 shown]
.LBB181_42:
	s_mov_b64 s[18:19], -1
	s_cbranch_execnz .LBB181_65
.LBB181_43:
	s_movk_i32 s0, 0xffd0
	s_waitcnt vmcnt(0) lgkmcnt(0)
	v_mad_i32_i24 v15, v0, s0, v19
	s_and_b64 vcc, exec, s[28:29]
	ds_write_b64 v15, v[13:14]
	s_cbranch_vccz .LBB181_47
; %bb.44:
	s_mov_b32 s33, 0x66666667
	v_mul_hi_i32 v16, v3, s33
	v_mul_hi_i32 v17, v13, s33
	v_cmp_ne_u32_e64 s[14:15], 0, v0
	s_waitcnt lgkmcnt(0)
	v_lshrrev_b32_e32 v19, 31, v16
	v_ashrrev_i32_e32 v16, 2, v16
	v_add_u32_e32 v16, v16, v19
	v_mul_hi_i32 v19, v1, s33
	v_lshrrev_b32_e32 v20, 31, v17
	v_ashrrev_i32_e32 v17, 2, v17
	v_add_u32_e32 v17, v17, v20
	v_mul_hi_i32 v20, v7, s33
	v_cmp_ne_u32_e32 vcc, v16, v17
	v_lshrrev_b32_e32 v17, 31, v19
	v_ashrrev_i32_e32 v19, 2, v19
	v_add_u32_e32 v17, v19, v17
	v_mul_hi_i32 v19, v5, s33
	v_cmp_ne_u32_e64 s[0:1], v17, v16
	v_lshrrev_b32_e32 v16, 31, v20
	v_ashrrev_i32_e32 v20, 2, v20
	v_add_u32_e32 v16, v20, v16
	v_mul_hi_i32 v20, v11, s33
	v_cmp_ne_u32_e64 s[2:3], v16, v17
	;; [unrolled: 5-line block ×3, first 2 shown]
	v_lshrrev_b32_e32 v16, 31, v20
	v_ashrrev_i32_e32 v20, 2, v20
	v_add_u32_e32 v20, v20, v16
	v_cmp_ne_u32_e64 s[8:9], v20, v17
	v_lshrrev_b32_e32 v16, 31, v19
	v_ashrrev_i32_e32 v17, 2, v19
	v_add_u32_e32 v16, v17, v16
	v_cmp_ne_u32_e64 s[10:11], v16, v20
	s_barrier
                                        ; implicit-def: $sgpr30_sgpr31
	s_and_saveexec_b64 s[34:35], s[14:15]
	s_xor_b64 s[14:15], exec, s[34:35]
	s_cbranch_execz .LBB181_46
; %bb.45:
	v_add_u32_e32 v17, -8, v15
	ds_read_b32 v17, v17
	s_or_b64 s[18:19], s[18:19], exec
	s_waitcnt lgkmcnt(0)
	v_mul_hi_i32 v17, v17, s33
	v_lshrrev_b32_e32 v19, 31, v17
	v_ashrrev_i32_e32 v17, 2, v17
	v_add_u32_e32 v17, v17, v19
	v_cmp_ne_u32_e64 s[30:31], v17, v16
.LBB181_46:
	s_or_b64 exec, exec, s[14:15]
	v_cndmask_b32_e64 v32, 0, 1, vcc
	v_cndmask_b32_e64 v33, 0, 1, s[0:1]
	v_cndmask_b32_e64 v34, 0, 1, s[2:3]
	;; [unrolled: 1-line block ×5, first 2 shown]
	s_branch .LBB181_65
.LBB181_47:
                                        ; implicit-def: $sgpr30_sgpr31
                                        ; implicit-def: $vgpr32
                                        ; implicit-def: $vgpr33
                                        ; implicit-def: $vgpr34
                                        ; implicit-def: $vgpr35
                                        ; implicit-def: $vgpr36
                                        ; implicit-def: $vgpr37
	s_cbranch_execz .LBB181_65
; %bb.48:
	v_add_u32_e32 v16, 6, v18
	v_cmp_gt_u32_e32 vcc, s7, v16
	s_mov_b64 s[2:3], 0
	s_mov_b64 s[0:1], 0
	s_and_saveexec_b64 s[8:9], vcc
	s_cbranch_execz .LBB181_50
; %bb.49:
	s_mov_b32 s0, 0x66666667
	v_mul_hi_i32 v16, v3, s0
	v_mul_hi_i32 v17, v13, s0
	v_lshrrev_b32_e32 v19, 31, v16
	v_ashrrev_i32_e32 v16, 2, v16
	v_lshrrev_b32_e32 v20, 31, v17
	v_ashrrev_i32_e32 v17, 2, v17
	v_add_u32_e32 v16, v16, v19
	v_add_u32_e32 v17, v17, v20
	v_cmp_ne_u32_e32 vcc, v16, v17
	s_and_b64 s[0:1], vcc, exec
.LBB181_50:
	s_or_b64 exec, exec, s[8:9]
	v_add_u32_e32 v16, 5, v18
	v_cmp_gt_u32_e32 vcc, s7, v16
	s_and_saveexec_b64 s[8:9], vcc
	s_cbranch_execz .LBB181_52
; %bb.51:
	s_mov_b32 s2, 0x66666667
	v_mul_hi_i32 v16, v1, s2
	v_mul_hi_i32 v17, v3, s2
	v_lshrrev_b32_e32 v19, 31, v16
	v_ashrrev_i32_e32 v16, 2, v16
	v_lshrrev_b32_e32 v20, 31, v17
	v_ashrrev_i32_e32 v17, 2, v17
	v_add_u32_e32 v16, v16, v19
	v_add_u32_e32 v17, v17, v20
	v_cmp_ne_u32_e32 vcc, v16, v17
	s_and_b64 s[2:3], vcc, exec
.LBB181_52:
	s_or_b64 exec, exec, s[8:9]
	v_add_u32_e32 v16, 4, v18
	v_cmp_gt_u32_e32 vcc, s7, v16
	s_mov_b64 s[10:11], 0
	s_mov_b64 s[8:9], 0
	s_and_saveexec_b64 s[12:13], vcc
	s_cbranch_execz .LBB181_54
; %bb.53:
	s_mov_b32 s8, 0x66666667
	v_mul_hi_i32 v16, v7, s8
	v_mul_hi_i32 v17, v1, s8
	v_lshrrev_b32_e32 v19, 31, v16
	v_ashrrev_i32_e32 v16, 2, v16
	v_lshrrev_b32_e32 v20, 31, v17
	v_ashrrev_i32_e32 v17, 2, v17
	v_add_u32_e32 v16, v16, v19
	v_add_u32_e32 v17, v17, v20
	v_cmp_ne_u32_e32 vcc, v16, v17
	s_and_b64 s[8:9], vcc, exec
.LBB181_54:
	s_or_b64 exec, exec, s[12:13]
	v_add_u32_e32 v16, 3, v18
	v_cmp_gt_u32_e32 vcc, s7, v16
	s_and_saveexec_b64 s[12:13], vcc
	s_cbranch_execz .LBB181_56
; %bb.55:
	s_mov_b32 s10, 0x66666667
	v_mul_hi_i32 v16, v5, s10
	v_mul_hi_i32 v17, v7, s10
	v_lshrrev_b32_e32 v19, 31, v16
	v_ashrrev_i32_e32 v16, 2, v16
	v_lshrrev_b32_e32 v20, 31, v17
	v_ashrrev_i32_e32 v17, 2, v17
	v_add_u32_e32 v16, v16, v19
	v_add_u32_e32 v17, v17, v20
	v_cmp_ne_u32_e32 vcc, v16, v17
	s_and_b64 s[10:11], vcc, exec
.LBB181_56:
	s_or_b64 exec, exec, s[12:13]
	;; [unrolled: 38-line block ×3, first 2 shown]
	v_cmp_ne_u32_e32 vcc, 0, v0
	s_waitcnt lgkmcnt(0)
	s_barrier
                                        ; implicit-def: $sgpr30_sgpr31
	s_and_saveexec_b64 s[34:35], vcc
	s_cbranch_execz .LBB181_64
; %bb.61:
	v_cmp_gt_u32_e32 vcc, s7, v18
	s_mov_b64 s[30:31], 0
	s_and_saveexec_b64 s[36:37], vcc
	s_cbranch_execz .LBB181_63
; %bb.62:
	v_add_u32_e32 v15, -8, v15
	ds_read_b32 v15, v15
	s_mov_b32 s30, 0x66666667
	v_mul_hi_i32 v16, v9, s30
	s_waitcnt lgkmcnt(0)
	v_mul_hi_i32 v15, v15, s30
	v_lshrrev_b32_e32 v17, 31, v16
	v_ashrrev_i32_e32 v16, 2, v16
	v_add_u32_e32 v16, v16, v17
	v_lshrrev_b32_e32 v19, 31, v15
	v_ashrrev_i32_e32 v15, 2, v15
	v_add_u32_e32 v15, v15, v19
	v_cmp_ne_u32_e32 vcc, v15, v16
	s_and_b64 s[30:31], vcc, exec
.LBB181_63:
	s_or_b64 exec, exec, s[36:37]
	s_or_b64 s[18:19], s[18:19], exec
.LBB181_64:
	s_or_b64 exec, exec, s[34:35]
	v_cndmask_b32_e64 v36, 0, 1, s[14:15]
	v_cndmask_b32_e64 v35, 0, 1, s[10:11]
	;; [unrolled: 1-line block ×6, first 2 shown]
.LBB181_65:
	v_mov_b32_e32 v26, 1
	s_and_saveexec_b64 s[0:1], s[18:19]
; %bb.66:
	v_cndmask_b32_e64 v26, 0, 1, s[30:31]
; %bb.67:
	s_or_b64 exec, exec, s[0:1]
	s_load_dwordx2 s[30:31], s[4:5], 0x60
	s_andn2_b64 vcc, exec, s[16:17]
	s_cbranch_vccnz .LBB181_69
; %bb.68:
	v_cmp_gt_u32_e32 vcc, s7, v18
	s_waitcnt vmcnt(0) lgkmcnt(0)
	v_add_u32_e32 v15, 1, v18
	v_cndmask_b32_e32 v26, 0, v26, vcc
	v_cmp_gt_u32_e32 vcc, s7, v15
	v_add_u32_e32 v15, 2, v18
	v_cndmask_b32_e32 v37, 0, v37, vcc
	v_cmp_gt_u32_e32 vcc, s7, v15
	;; [unrolled: 3-line block ×6, first 2 shown]
	v_cndmask_b32_e32 v32, 0, v32, vcc
.LBB181_69:
	v_and_b32_e32 v25, 0xffff, v26
	v_and_b32_e32 v27, 0xff, v37
	;; [unrolled: 1-line block ×5, first 2 shown]
	s_waitcnt vmcnt(0) lgkmcnt(0)
	v_add3_u32 v16, v27, v25, v28
	v_and_b32_e32 v39, 0xff, v33
	v_and_b32_e32 v15, 0xff, v32
	v_add3_u32 v16, v16, v30, v38
	v_add3_u32 v41, v16, v39, v15
	v_mbcnt_lo_u32_b32 v15, -1, 0
	v_mbcnt_hi_u32_b32 v29, -1, v15
	v_and_b32_e32 v15, 15, v29
	v_cmp_eq_u32_e64 s[14:15], 0, v15
	v_cmp_lt_u32_e64 s[12:13], 1, v15
	v_cmp_lt_u32_e64 s[10:11], 3, v15
	;; [unrolled: 1-line block ×3, first 2 shown]
	v_and_b32_e32 v15, 16, v29
	v_cmp_eq_u32_e64 s[18:19], 0, v15
	v_or_b32_e32 v15, 63, v0
	v_cmp_lt_u32_e64 s[0:1], 31, v29
	v_lshrrev_b32_e32 v40, 6, v0
	v_cmp_eq_u32_e64 s[2:3], v0, v15
	s_and_b64 vcc, exec, s[20:21]
	s_barrier
	s_cbranch_vccz .LBB181_91
; %bb.70:
	v_mov_b32_dpp v15, v41 row_shr:1 row_mask:0xf bank_mask:0xf
	v_cndmask_b32_e64 v15, v15, 0, s[14:15]
	v_add_u32_e32 v15, v15, v41
	s_nop 1
	v_mov_b32_dpp v16, v15 row_shr:2 row_mask:0xf bank_mask:0xf
	v_cndmask_b32_e64 v16, 0, v16, s[12:13]
	v_add_u32_e32 v15, v15, v16
	s_nop 1
	;; [unrolled: 4-line block ×4, first 2 shown]
	v_mov_b32_dpp v16, v15 row_bcast:15 row_mask:0xf bank_mask:0xf
	v_cndmask_b32_e64 v16, v16, 0, s[18:19]
	v_add_u32_e32 v15, v15, v16
	s_nop 1
	v_mov_b32_dpp v16, v15 row_bcast:31 row_mask:0xf bank_mask:0xf
	v_cndmask_b32_e64 v16, 0, v16, s[0:1]
	v_add_u32_e32 v15, v15, v16
	s_and_saveexec_b64 s[16:17], s[2:3]
; %bb.71:
	v_lshlrev_b32_e32 v16, 2, v40
	ds_write_b32 v16, v15
; %bb.72:
	s_or_b64 exec, exec, s[16:17]
	v_cmp_gt_u32_e32 vcc, 4, v0
	s_waitcnt lgkmcnt(0)
	s_barrier
	s_and_saveexec_b64 s[16:17], vcc
	s_cbranch_execz .LBB181_74
; %bb.73:
	v_lshlrev_b32_e32 v16, 2, v0
	ds_read_b32 v17, v16
	v_and_b32_e32 v18, 3, v29
	v_cmp_ne_u32_e32 vcc, 0, v18
	s_waitcnt lgkmcnt(0)
	v_mov_b32_dpp v19, v17 row_shr:1 row_mask:0xf bank_mask:0xf
	v_cndmask_b32_e32 v19, 0, v19, vcc
	v_add_u32_e32 v17, v19, v17
	v_cmp_lt_u32_e32 vcc, 1, v18
	s_nop 0
	v_mov_b32_dpp v19, v17 row_shr:2 row_mask:0xf bank_mask:0xf
	v_cndmask_b32_e32 v18, 0, v19, vcc
	v_add_u32_e32 v17, v17, v18
	ds_write_b32 v16, v17
.LBB181_74:
	s_or_b64 exec, exec, s[16:17]
	v_cmp_gt_u32_e32 vcc, 64, v0
	v_cmp_lt_u32_e64 s[16:17], 63, v0
	s_waitcnt lgkmcnt(0)
	s_barrier
                                        ; implicit-def: $vgpr42
	s_and_saveexec_b64 s[20:21], s[16:17]
	s_cbranch_execz .LBB181_76
; %bb.75:
	v_lshl_add_u32 v16, v40, 2, -4
	ds_read_b32 v42, v16
	s_waitcnt lgkmcnt(0)
	v_add_u32_e32 v15, v42, v15
.LBB181_76:
	s_or_b64 exec, exec, s[20:21]
	v_subrev_co_u32_e64 v16, s[16:17], 1, v29
	v_and_b32_e32 v17, 64, v29
	v_cmp_lt_i32_e64 s[20:21], v16, v17
	v_cndmask_b32_e64 v16, v16, v29, s[20:21]
	v_lshlrev_b32_e32 v16, 2, v16
	ds_bpermute_b32 v43, v16, v15
	s_and_saveexec_b64 s[20:21], vcc
	s_cbranch_execz .LBB181_96
; %bb.77:
	v_mov_b32_e32 v21, 0
	ds_read_b32 v15, v21 offset:12
	s_and_saveexec_b64 s[34:35], s[16:17]
	s_cbranch_execz .LBB181_79
; %bb.78:
	s_add_i32 s36, s6, 64
	s_mov_b32 s37, 0
	s_lshl_b64 s[36:37], s[36:37], 3
	s_add_u32 s36, s30, s36
	v_mov_b32_e32 v16, 1
	s_addc_u32 s37, s31, s37
	s_waitcnt lgkmcnt(0)
	global_store_dwordx2 v21, v[15:16], s[36:37]
.LBB181_79:
	s_or_b64 exec, exec, s[34:35]
	v_xad_u32 v17, v29, -1, s6
	v_add_u32_e32 v20, 64, v17
	v_lshlrev_b64 v[18:19], 3, v[20:21]
	v_mov_b32_e32 v16, s31
	v_add_co_u32_e32 v22, vcc, s30, v18
	v_addc_co_u32_e32 v23, vcc, v16, v19, vcc
	global_load_dwordx2 v[19:20], v[22:23], off glc
	s_waitcnt vmcnt(0)
	v_cmp_eq_u16_sdwa s[36:37], v20, v21 src0_sel:BYTE_0 src1_sel:DWORD
	s_and_saveexec_b64 s[34:35], s[36:37]
	s_cbranch_execz .LBB181_83
; %bb.80:
	s_mov_b64 s[36:37], 0
	v_mov_b32_e32 v16, 0
.LBB181_81:                             ; =>This Inner Loop Header: Depth=1
	global_load_dwordx2 v[19:20], v[22:23], off glc
	s_waitcnt vmcnt(0)
	v_cmp_ne_u16_sdwa s[38:39], v20, v16 src0_sel:BYTE_0 src1_sel:DWORD
	s_or_b64 s[36:37], s[38:39], s[36:37]
	s_andn2_b64 exec, exec, s[36:37]
	s_cbranch_execnz .LBB181_81
; %bb.82:
	s_or_b64 exec, exec, s[36:37]
.LBB181_83:
	s_or_b64 exec, exec, s[34:35]
	v_and_b32_e32 v45, 63, v29
	v_mov_b32_e32 v44, 2
	v_lshlrev_b64 v[21:22], v29, -1
	v_cmp_ne_u32_e32 vcc, 63, v45
	v_cmp_eq_u16_sdwa s[34:35], v20, v44 src0_sel:BYTE_0 src1_sel:DWORD
	v_addc_co_u32_e32 v23, vcc, 0, v29, vcc
	v_and_b32_e32 v16, s35, v22
	v_lshlrev_b32_e32 v46, 2, v23
	v_or_b32_e32 v16, 0x80000000, v16
	ds_bpermute_b32 v23, v46, v19
	v_and_b32_e32 v18, s34, v21
	v_ffbl_b32_e32 v16, v16
	v_add_u32_e32 v16, 32, v16
	v_ffbl_b32_e32 v18, v18
	v_min_u32_e32 v16, v18, v16
	v_cmp_lt_u32_e32 vcc, v45, v16
	s_waitcnt lgkmcnt(0)
	v_cndmask_b32_e32 v18, 0, v23, vcc
	v_cmp_gt_u32_e32 vcc, 62, v45
	v_add_u32_e32 v18, v18, v19
	v_cndmask_b32_e64 v19, 0, 2, vcc
	v_add_lshl_u32 v47, v19, v29, 2
	ds_bpermute_b32 v19, v47, v18
	v_add_u32_e32 v48, 2, v45
	v_cmp_le_u32_e32 vcc, v48, v16
	v_add_u32_e32 v50, 4, v45
	v_add_u32_e32 v52, 8, v45
	s_waitcnt lgkmcnt(0)
	v_cndmask_b32_e32 v19, 0, v19, vcc
	v_cmp_gt_u32_e32 vcc, 60, v45
	v_add_u32_e32 v18, v18, v19
	v_cndmask_b32_e64 v19, 0, 4, vcc
	v_add_lshl_u32 v49, v19, v29, 2
	ds_bpermute_b32 v19, v49, v18
	v_cmp_le_u32_e32 vcc, v50, v16
	v_add_u32_e32 v54, 16, v45
	v_add_u32_e32 v56, 32, v45
	s_waitcnt lgkmcnt(0)
	v_cndmask_b32_e32 v19, 0, v19, vcc
	v_cmp_gt_u32_e32 vcc, 56, v45
	v_add_u32_e32 v18, v18, v19
	v_cndmask_b32_e64 v19, 0, 8, vcc
	v_add_lshl_u32 v51, v19, v29, 2
	ds_bpermute_b32 v19, v51, v18
	v_cmp_le_u32_e32 vcc, v52, v16
	s_waitcnt lgkmcnt(0)
	v_cndmask_b32_e32 v19, 0, v19, vcc
	v_cmp_gt_u32_e32 vcc, 48, v45
	v_add_u32_e32 v18, v18, v19
	v_cndmask_b32_e64 v19, 0, 16, vcc
	v_add_lshl_u32 v53, v19, v29, 2
	ds_bpermute_b32 v19, v53, v18
	v_cmp_le_u32_e32 vcc, v54, v16
	s_waitcnt lgkmcnt(0)
	v_cndmask_b32_e32 v19, 0, v19, vcc
	v_add_u32_e32 v18, v18, v19
	v_mov_b32_e32 v19, 0x80
	v_lshl_or_b32 v55, v29, 2, v19
	ds_bpermute_b32 v19, v55, v18
	v_cmp_le_u32_e32 vcc, v56, v16
	s_waitcnt lgkmcnt(0)
	v_cndmask_b32_e32 v16, 0, v19, vcc
	v_add_u32_e32 v19, v18, v16
	v_mov_b32_e32 v18, 0
	s_branch .LBB181_86
.LBB181_84:                             ;   in Loop: Header=BB181_86 Depth=1
	s_or_b64 exec, exec, s[34:35]
	v_cmp_eq_u16_sdwa s[34:35], v20, v44 src0_sel:BYTE_0 src1_sel:DWORD
	v_and_b32_e32 v23, s35, v22
	v_or_b32_e32 v23, 0x80000000, v23
	ds_bpermute_b32 v57, v46, v19
	v_and_b32_e32 v24, s34, v21
	v_ffbl_b32_e32 v23, v23
	v_add_u32_e32 v23, 32, v23
	v_ffbl_b32_e32 v24, v24
	v_min_u32_e32 v23, v24, v23
	v_cmp_lt_u32_e32 vcc, v45, v23
	s_waitcnt lgkmcnt(0)
	v_cndmask_b32_e32 v24, 0, v57, vcc
	v_add_u32_e32 v19, v24, v19
	ds_bpermute_b32 v24, v47, v19
	v_cmp_le_u32_e32 vcc, v48, v23
	v_subrev_u32_e32 v17, 64, v17
	s_mov_b64 s[34:35], 0
	s_waitcnt lgkmcnt(0)
	v_cndmask_b32_e32 v24, 0, v24, vcc
	v_add_u32_e32 v19, v19, v24
	ds_bpermute_b32 v24, v49, v19
	v_cmp_le_u32_e32 vcc, v50, v23
	s_waitcnt lgkmcnt(0)
	v_cndmask_b32_e32 v24, 0, v24, vcc
	v_add_u32_e32 v19, v19, v24
	ds_bpermute_b32 v24, v51, v19
	v_cmp_le_u32_e32 vcc, v52, v23
	;; [unrolled: 5-line block ×4, first 2 shown]
	s_waitcnt lgkmcnt(0)
	v_cndmask_b32_e32 v23, 0, v24, vcc
	v_add3_u32 v19, v23, v16, v19
.LBB181_85:                             ;   in Loop: Header=BB181_86 Depth=1
	s_and_b64 vcc, exec, s[34:35]
	s_cbranch_vccnz .LBB181_92
.LBB181_86:                             ; =>This Loop Header: Depth=1
                                        ;     Child Loop BB181_89 Depth 2
	v_cmp_ne_u16_sdwa s[34:35], v20, v44 src0_sel:BYTE_0 src1_sel:DWORD
	v_mov_b32_e32 v16, v19
	s_cmp_lg_u64 s[34:35], exec
	s_mov_b64 s[34:35], -1
                                        ; implicit-def: $vgpr19
                                        ; implicit-def: $vgpr20
	s_cbranch_scc1 .LBB181_85
; %bb.87:                               ;   in Loop: Header=BB181_86 Depth=1
	v_lshlrev_b64 v[19:20], 3, v[17:18]
	v_mov_b32_e32 v24, s31
	v_add_co_u32_e32 v23, vcc, s30, v19
	v_addc_co_u32_e32 v24, vcc, v24, v20, vcc
	global_load_dwordx2 v[19:20], v[23:24], off glc
	s_waitcnt vmcnt(0)
	v_cmp_eq_u16_sdwa s[36:37], v20, v18 src0_sel:BYTE_0 src1_sel:DWORD
	s_and_saveexec_b64 s[34:35], s[36:37]
	s_cbranch_execz .LBB181_84
; %bb.88:                               ;   in Loop: Header=BB181_86 Depth=1
	s_mov_b64 s[36:37], 0
.LBB181_89:                             ;   Parent Loop BB181_86 Depth=1
                                        ; =>  This Inner Loop Header: Depth=2
	global_load_dwordx2 v[19:20], v[23:24], off glc
	s_waitcnt vmcnt(0)
	v_cmp_ne_u16_sdwa s[38:39], v20, v18 src0_sel:BYTE_0 src1_sel:DWORD
	s_or_b64 s[36:37], s[38:39], s[36:37]
	s_andn2_b64 exec, exec, s[36:37]
	s_cbranch_execnz .LBB181_89
; %bb.90:                               ;   in Loop: Header=BB181_86 Depth=1
	s_or_b64 exec, exec, s[36:37]
	s_branch .LBB181_84
.LBB181_91:
                                        ; implicit-def: $vgpr16
                                        ; implicit-def: $vgpr15
                                        ; implicit-def: $vgpr21
	s_load_dwordx2 s[4:5], s[4:5], 0x28
	s_cbranch_execnz .LBB181_97
	s_branch .LBB181_106
.LBB181_92:
	s_and_saveexec_b64 s[34:35], s[16:17]
	s_cbranch_execz .LBB181_94
; %bb.93:
	s_add_i32 s6, s6, 64
	s_mov_b32 s7, 0
	s_lshl_b64 s[6:7], s[6:7], 3
	s_add_u32 s6, s30, s6
	v_add_u32_e32 v17, v16, v15
	v_mov_b32_e32 v18, 2
	s_addc_u32 s7, s31, s7
	v_mov_b32_e32 v19, 0
	global_store_dwordx2 v19, v[17:18], s[6:7]
	ds_write_b64 v19, v[15:16] offset:14336
.LBB181_94:
	s_or_b64 exec, exec, s[34:35]
	v_cmp_eq_u32_e32 vcc, 0, v0
	s_and_b64 exec, exec, vcc
; %bb.95:
	v_mov_b32_e32 v15, 0
	ds_write_b32 v15, v16 offset:12
.LBB181_96:
	s_or_b64 exec, exec, s[20:21]
	v_mov_b32_e32 v15, 0
	s_waitcnt vmcnt(0) lgkmcnt(0)
	s_barrier
	ds_read_b32 v18, v15 offset:12
	s_waitcnt lgkmcnt(0)
	s_barrier
	ds_read_b64 v[15:16], v15 offset:14336
	v_cndmask_b32_e64 v17, v43, v42, s[16:17]
	v_cmp_ne_u32_e32 vcc, 0, v0
	v_cndmask_b32_e32 v17, 0, v17, vcc
	v_add_u32_e32 v21, v18, v17
	s_load_dwordx2 s[4:5], s[4:5], 0x28
	s_branch .LBB181_106
.LBB181_97:
	s_waitcnt lgkmcnt(0)
	v_mov_b32_dpp v15, v41 row_shr:1 row_mask:0xf bank_mask:0xf
	v_cndmask_b32_e64 v15, v15, 0, s[14:15]
	v_add_u32_e32 v15, v15, v41
	s_nop 1
	v_mov_b32_dpp v16, v15 row_shr:2 row_mask:0xf bank_mask:0xf
	v_cndmask_b32_e64 v16, 0, v16, s[12:13]
	v_add_u32_e32 v15, v15, v16
	s_nop 1
	;; [unrolled: 4-line block ×4, first 2 shown]
	v_mov_b32_dpp v16, v15 row_bcast:15 row_mask:0xf bank_mask:0xf
	v_cndmask_b32_e64 v16, v16, 0, s[18:19]
	v_add_u32_e32 v15, v15, v16
	s_nop 1
	v_mov_b32_dpp v16, v15 row_bcast:31 row_mask:0xf bank_mask:0xf
	v_cndmask_b32_e64 v16, 0, v16, s[0:1]
	v_add_u32_e32 v15, v15, v16
	s_and_saveexec_b64 s[0:1], s[2:3]
; %bb.98:
	v_lshlrev_b32_e32 v16, 2, v40
	ds_write_b32 v16, v15
; %bb.99:
	s_or_b64 exec, exec, s[0:1]
	v_cmp_gt_u32_e32 vcc, 4, v0
	s_waitcnt lgkmcnt(0)
	s_barrier
	s_and_saveexec_b64 s[0:1], vcc
	s_cbranch_execz .LBB181_101
; %bb.100:
	v_lshlrev_b32_e32 v16, 2, v0
	ds_read_b32 v17, v16
	v_and_b32_e32 v18, 3, v29
	v_cmp_ne_u32_e32 vcc, 0, v18
	s_waitcnt lgkmcnt(0)
	v_mov_b32_dpp v19, v17 row_shr:1 row_mask:0xf bank_mask:0xf
	v_cndmask_b32_e32 v19, 0, v19, vcc
	v_add_u32_e32 v17, v19, v17
	v_cmp_lt_u32_e32 vcc, 1, v18
	s_nop 0
	v_mov_b32_dpp v19, v17 row_shr:2 row_mask:0xf bank_mask:0xf
	v_cndmask_b32_e32 v18, 0, v19, vcc
	v_add_u32_e32 v17, v17, v18
	ds_write_b32 v16, v17
.LBB181_101:
	s_or_b64 exec, exec, s[0:1]
	v_cmp_lt_u32_e32 vcc, 63, v0
	v_mov_b32_e32 v16, 0
	v_mov_b32_e32 v17, 0
	s_waitcnt lgkmcnt(0)
	s_barrier
	s_and_saveexec_b64 s[0:1], vcc
; %bb.102:
	v_lshl_add_u32 v17, v40, 2, -4
	ds_read_b32 v17, v17
; %bb.103:
	s_or_b64 exec, exec, s[0:1]
	v_subrev_co_u32_e32 v18, vcc, 1, v29
	v_and_b32_e32 v19, 64, v29
	v_cmp_lt_i32_e64 s[0:1], v18, v19
	v_cndmask_b32_e64 v18, v18, v29, s[0:1]
	s_waitcnt lgkmcnt(0)
	v_add_u32_e32 v15, v17, v15
	v_lshlrev_b32_e32 v18, 2, v18
	ds_bpermute_b32 v18, v18, v15
	ds_read_b32 v15, v16 offset:12
	v_cmp_eq_u32_e64 s[0:1], 0, v0
	s_and_saveexec_b64 s[2:3], s[0:1]
	s_cbranch_execz .LBB181_105
; %bb.104:
	v_mov_b32_e32 v19, 0
	v_mov_b32_e32 v16, 2
	s_waitcnt lgkmcnt(0)
	global_store_dwordx2 v19, v[15:16], s[30:31] offset:512
.LBB181_105:
	s_or_b64 exec, exec, s[2:3]
	s_waitcnt lgkmcnt(1)
	v_cndmask_b32_e32 v16, v18, v17, vcc
	v_cndmask_b32_e64 v21, v16, 0, s[0:1]
	s_waitcnt vmcnt(0) lgkmcnt(0)
	s_barrier
	v_mov_b32_e32 v16, 0
.LBB181_106:
	v_add_u32_e32 v29, v21, v25
	v_add_u32_e32 v27, v29, v27
	v_add_u32_e32 v25, v27, v28
	v_add_u32_e32 v23, v25, v30
	s_movk_i32 s2, 0x101
	v_add_u32_e32 v19, v23, v38
	s_waitcnt lgkmcnt(0)
	v_cmp_gt_u32_e32 vcc, s2, v15
	v_add_u32_e32 v17, v19, v39
	s_mov_b64 s[0:1], -1
	v_and_b32_e32 v38, 1, v26
	s_cbranch_vccnz .LBB181_110
; %bb.107:
	s_and_b64 vcc, exec, s[0:1]
	s_cbranch_vccnz .LBB181_125
.LBB181_108:
	v_cmp_eq_u32_e32 vcc, 0, v0
	s_and_b64 s[0:1], vcc, s[26:27]
	s_and_saveexec_b64 s[2:3], s[0:1]
	s_cbranch_execnz .LBB181_142
.LBB181_109:
	s_endpgm
.LBB181_110:
	v_add_u32_e32 v18, v16, v15
	s_lshl_b64 s[0:1], s[22:23], 3
	s_add_u32 s2, s4, s0
	v_cmp_lt_u32_e32 vcc, v21, v18
	s_addc_u32 s3, s5, s1
	s_or_b64 s[0:1], s[28:29], vcc
	v_cmp_eq_u32_e32 vcc, 1, v38
	s_and_b64 s[6:7], s[0:1], vcc
	s_and_saveexec_b64 s[0:1], s[6:7]
	s_cbranch_execz .LBB181_112
; %bb.111:
	v_mov_b32_e32 v22, 0
	v_lshlrev_b64 v[39:40], 3, v[21:22]
	v_mov_b32_e32 v20, s3
	v_add_co_u32_e32 v39, vcc, s2, v39
	v_addc_co_u32_e32 v40, vcc, v20, v40, vcc
	global_store_dwordx2 v[39:40], v[9:10], off
.LBB181_112:
	s_or_b64 exec, exec, s[0:1]
	v_cmp_lt_u32_e32 vcc, v29, v18
	v_and_b32_e32 v20, 1, v37
	s_or_b64 s[0:1], s[28:29], vcc
	v_cmp_eq_u32_e32 vcc, 1, v20
	s_and_b64 s[6:7], s[0:1], vcc
	s_and_saveexec_b64 s[0:1], s[6:7]
	s_cbranch_execz .LBB181_114
; %bb.113:
	v_mov_b32_e32 v30, 0
	v_lshlrev_b64 v[39:40], 3, v[29:30]
	v_mov_b32_e32 v20, s3
	v_add_co_u32_e32 v39, vcc, s2, v39
	v_addc_co_u32_e32 v40, vcc, v20, v40, vcc
	global_store_dwordx2 v[39:40], v[11:12], off
.LBB181_114:
	s_or_b64 exec, exec, s[0:1]
	v_cmp_lt_u32_e32 vcc, v27, v18
	v_and_b32_e32 v20, 1, v36
	;; [unrolled: 16-line block ×6, first 2 shown]
	s_or_b64 s[0:1], s[28:29], vcc
	v_cmp_eq_u32_e32 vcc, 1, v18
	s_and_b64 s[6:7], s[0:1], vcc
	s_and_saveexec_b64 s[0:1], s[6:7]
	s_cbranch_execz .LBB181_124
; %bb.123:
	v_mov_b32_e32 v18, 0
	v_lshlrev_b64 v[39:40], 3, v[17:18]
	v_mov_b32_e32 v18, s3
	v_add_co_u32_e32 v39, vcc, s2, v39
	v_addc_co_u32_e32 v40, vcc, v18, v40, vcc
	global_store_dwordx2 v[39:40], v[13:14], off
.LBB181_124:
	s_or_b64 exec, exec, s[0:1]
	s_branch .LBB181_108
.LBB181_125:
	v_cmp_eq_u32_e32 vcc, 1, v38
	s_and_saveexec_b64 s[0:1], vcc
; %bb.126:
	v_sub_u32_e32 v18, v21, v16
	v_lshlrev_b32_e32 v18, 3, v18
	ds_write_b64 v18, v[9:10]
; %bb.127:
	s_or_b64 exec, exec, s[0:1]
	v_and_b32_e32 v9, 1, v37
	v_cmp_eq_u32_e32 vcc, 1, v9
	s_and_saveexec_b64 s[0:1], vcc
; %bb.128:
	v_sub_u32_e32 v9, v29, v16
	v_lshlrev_b32_e32 v9, 3, v9
	ds_write_b64 v9, v[11:12]
; %bb.129:
	s_or_b64 exec, exec, s[0:1]
	v_and_b32_e32 v9, 1, v36
	;; [unrolled: 9-line block ×6, first 2 shown]
	v_cmp_eq_u32_e32 vcc, 1, v1
	s_and_saveexec_b64 s[0:1], vcc
; %bb.138:
	v_sub_u32_e32 v1, v17, v16
	v_lshlrev_b32_e32 v1, 3, v1
	ds_write_b64 v1, v[13:14]
; %bb.139:
	s_or_b64 exec, exec, s[0:1]
	v_mov_b32_e32 v2, 0
	v_mov_b32_e32 v17, v2
	s_lshl_b64 s[0:1], s[22:23], 3
	s_add_u32 s0, s4, s0
	v_lshlrev_b64 v[3:4], 3, v[16:17]
	s_addc_u32 s1, s5, s1
	v_mov_b32_e32 v1, s1
	v_add_co_u32_e32 v3, vcc, s0, v3
	v_addc_co_u32_e32 v4, vcc, v1, v4, vcc
	s_mov_b64 s[2:3], 0
	v_mov_b32_e32 v1, v0
	s_waitcnt vmcnt(0) lgkmcnt(0)
	s_barrier
.LBB181_140:                            ; =>This Inner Loop Header: Depth=1
	ds_read_b64 v[7:8], v31
	v_lshlrev_b64 v[5:6], 3, v[1:2]
	v_add_u32_e32 v1, 0x100, v1
	v_cmp_ge_u32_e32 vcc, v1, v15
	v_add_co_u32_e64 v5, s[0:1], v3, v5
	v_add_u32_e32 v31, 0x800, v31
	v_addc_co_u32_e64 v6, s[0:1], v4, v6, s[0:1]
	s_or_b64 s[2:3], vcc, s[2:3]
	s_waitcnt lgkmcnt(0)
	global_store_dwordx2 v[5:6], v[7:8], off
	s_andn2_b64 exec, exec, s[2:3]
	s_cbranch_execnz .LBB181_140
; %bb.141:
	s_or_b64 exec, exec, s[2:3]
	v_cmp_eq_u32_e32 vcc, 0, v0
	s_and_b64 s[0:1], vcc, s[26:27]
	s_and_saveexec_b64 s[2:3], s[0:1]
	s_cbranch_execz .LBB181_109
.LBB181_142:
	v_mov_b32_e32 v0, s23
	v_add_co_u32_e32 v1, vcc, s22, v15
	v_addc_co_u32_e32 v3, vcc, 0, v0, vcc
	v_add_co_u32_e32 v0, vcc, v1, v16
	v_mov_b32_e32 v2, 0
	v_addc_co_u32_e32 v1, vcc, 0, v3, vcc
	global_store_dwordx2 v2, v[0:1], s[24:25]
	s_endpgm
	.section	.rodata,"a",@progbits
	.p2align	6, 0x0
	.amdhsa_kernel _ZN7rocprim17ROCPRIM_400000_NS6detail17trampoline_kernelINS0_14default_configENS1_25partition_config_selectorILNS1_17partition_subalgoE8EyNS0_10empty_typeEbEEZZNS1_14partition_implILS5_8ELb0ES3_jN6thrust23THRUST_200600_302600_NS6detail15normal_iteratorINSA_10device_ptrIyEEEEPS6_PKS6_NS0_5tupleIJSF_S6_EEENSJ_IJSG_SG_EEENS0_18inequality_wrapperI22is_equal_div_10_uniqueIyEEEPmJS6_EEE10hipError_tPvRmT3_T4_T5_T6_T7_T9_mT8_P12ihipStream_tbDpT10_ENKUlT_T0_E_clISt17integral_constantIbLb0EES1A_EEDaS15_S16_EUlS15_E_NS1_11comp_targetILNS1_3genE2ELNS1_11target_archE906ELNS1_3gpuE6ELNS1_3repE0EEENS1_30default_config_static_selectorELNS0_4arch9wavefront6targetE1EEEvT1_
		.amdhsa_group_segment_fixed_size 14344
		.amdhsa_private_segment_fixed_size 0
		.amdhsa_kernarg_size 112
		.amdhsa_user_sgpr_count 6
		.amdhsa_user_sgpr_private_segment_buffer 1
		.amdhsa_user_sgpr_dispatch_ptr 0
		.amdhsa_user_sgpr_queue_ptr 0
		.amdhsa_user_sgpr_kernarg_segment_ptr 1
		.amdhsa_user_sgpr_dispatch_id 0
		.amdhsa_user_sgpr_flat_scratch_init 0
		.amdhsa_user_sgpr_private_segment_size 0
		.amdhsa_uses_dynamic_stack 0
		.amdhsa_system_sgpr_private_segment_wavefront_offset 0
		.amdhsa_system_sgpr_workgroup_id_x 1
		.amdhsa_system_sgpr_workgroup_id_y 0
		.amdhsa_system_sgpr_workgroup_id_z 0
		.amdhsa_system_sgpr_workgroup_info 0
		.amdhsa_system_vgpr_workitem_id 0
		.amdhsa_next_free_vgpr 58
		.amdhsa_next_free_sgpr 98
		.amdhsa_reserve_vcc 1
		.amdhsa_reserve_flat_scratch 0
		.amdhsa_float_round_mode_32 0
		.amdhsa_float_round_mode_16_64 0
		.amdhsa_float_denorm_mode_32 3
		.amdhsa_float_denorm_mode_16_64 3
		.amdhsa_dx10_clamp 1
		.amdhsa_ieee_mode 1
		.amdhsa_fp16_overflow 0
		.amdhsa_exception_fp_ieee_invalid_op 0
		.amdhsa_exception_fp_denorm_src 0
		.amdhsa_exception_fp_ieee_div_zero 0
		.amdhsa_exception_fp_ieee_overflow 0
		.amdhsa_exception_fp_ieee_underflow 0
		.amdhsa_exception_fp_ieee_inexact 0
		.amdhsa_exception_int_div_zero 0
	.end_amdhsa_kernel
	.section	.text._ZN7rocprim17ROCPRIM_400000_NS6detail17trampoline_kernelINS0_14default_configENS1_25partition_config_selectorILNS1_17partition_subalgoE8EyNS0_10empty_typeEbEEZZNS1_14partition_implILS5_8ELb0ES3_jN6thrust23THRUST_200600_302600_NS6detail15normal_iteratorINSA_10device_ptrIyEEEEPS6_PKS6_NS0_5tupleIJSF_S6_EEENSJ_IJSG_SG_EEENS0_18inequality_wrapperI22is_equal_div_10_uniqueIyEEEPmJS6_EEE10hipError_tPvRmT3_T4_T5_T6_T7_T9_mT8_P12ihipStream_tbDpT10_ENKUlT_T0_E_clISt17integral_constantIbLb0EES1A_EEDaS15_S16_EUlS15_E_NS1_11comp_targetILNS1_3genE2ELNS1_11target_archE906ELNS1_3gpuE6ELNS1_3repE0EEENS1_30default_config_static_selectorELNS0_4arch9wavefront6targetE1EEEvT1_,"axG",@progbits,_ZN7rocprim17ROCPRIM_400000_NS6detail17trampoline_kernelINS0_14default_configENS1_25partition_config_selectorILNS1_17partition_subalgoE8EyNS0_10empty_typeEbEEZZNS1_14partition_implILS5_8ELb0ES3_jN6thrust23THRUST_200600_302600_NS6detail15normal_iteratorINSA_10device_ptrIyEEEEPS6_PKS6_NS0_5tupleIJSF_S6_EEENSJ_IJSG_SG_EEENS0_18inequality_wrapperI22is_equal_div_10_uniqueIyEEEPmJS6_EEE10hipError_tPvRmT3_T4_T5_T6_T7_T9_mT8_P12ihipStream_tbDpT10_ENKUlT_T0_E_clISt17integral_constantIbLb0EES1A_EEDaS15_S16_EUlS15_E_NS1_11comp_targetILNS1_3genE2ELNS1_11target_archE906ELNS1_3gpuE6ELNS1_3repE0EEENS1_30default_config_static_selectorELNS0_4arch9wavefront6targetE1EEEvT1_,comdat
.Lfunc_end181:
	.size	_ZN7rocprim17ROCPRIM_400000_NS6detail17trampoline_kernelINS0_14default_configENS1_25partition_config_selectorILNS1_17partition_subalgoE8EyNS0_10empty_typeEbEEZZNS1_14partition_implILS5_8ELb0ES3_jN6thrust23THRUST_200600_302600_NS6detail15normal_iteratorINSA_10device_ptrIyEEEEPS6_PKS6_NS0_5tupleIJSF_S6_EEENSJ_IJSG_SG_EEENS0_18inequality_wrapperI22is_equal_div_10_uniqueIyEEEPmJS6_EEE10hipError_tPvRmT3_T4_T5_T6_T7_T9_mT8_P12ihipStream_tbDpT10_ENKUlT_T0_E_clISt17integral_constantIbLb0EES1A_EEDaS15_S16_EUlS15_E_NS1_11comp_targetILNS1_3genE2ELNS1_11target_archE906ELNS1_3gpuE6ELNS1_3repE0EEENS1_30default_config_static_selectorELNS0_4arch9wavefront6targetE1EEEvT1_, .Lfunc_end181-_ZN7rocprim17ROCPRIM_400000_NS6detail17trampoline_kernelINS0_14default_configENS1_25partition_config_selectorILNS1_17partition_subalgoE8EyNS0_10empty_typeEbEEZZNS1_14partition_implILS5_8ELb0ES3_jN6thrust23THRUST_200600_302600_NS6detail15normal_iteratorINSA_10device_ptrIyEEEEPS6_PKS6_NS0_5tupleIJSF_S6_EEENSJ_IJSG_SG_EEENS0_18inequality_wrapperI22is_equal_div_10_uniqueIyEEEPmJS6_EEE10hipError_tPvRmT3_T4_T5_T6_T7_T9_mT8_P12ihipStream_tbDpT10_ENKUlT_T0_E_clISt17integral_constantIbLb0EES1A_EEDaS15_S16_EUlS15_E_NS1_11comp_targetILNS1_3genE2ELNS1_11target_archE906ELNS1_3gpuE6ELNS1_3repE0EEENS1_30default_config_static_selectorELNS0_4arch9wavefront6targetE1EEEvT1_
                                        ; -- End function
	.set _ZN7rocprim17ROCPRIM_400000_NS6detail17trampoline_kernelINS0_14default_configENS1_25partition_config_selectorILNS1_17partition_subalgoE8EyNS0_10empty_typeEbEEZZNS1_14partition_implILS5_8ELb0ES3_jN6thrust23THRUST_200600_302600_NS6detail15normal_iteratorINSA_10device_ptrIyEEEEPS6_PKS6_NS0_5tupleIJSF_S6_EEENSJ_IJSG_SG_EEENS0_18inequality_wrapperI22is_equal_div_10_uniqueIyEEEPmJS6_EEE10hipError_tPvRmT3_T4_T5_T6_T7_T9_mT8_P12ihipStream_tbDpT10_ENKUlT_T0_E_clISt17integral_constantIbLb0EES1A_EEDaS15_S16_EUlS15_E_NS1_11comp_targetILNS1_3genE2ELNS1_11target_archE906ELNS1_3gpuE6ELNS1_3repE0EEENS1_30default_config_static_selectorELNS0_4arch9wavefront6targetE1EEEvT1_.num_vgpr, 58
	.set _ZN7rocprim17ROCPRIM_400000_NS6detail17trampoline_kernelINS0_14default_configENS1_25partition_config_selectorILNS1_17partition_subalgoE8EyNS0_10empty_typeEbEEZZNS1_14partition_implILS5_8ELb0ES3_jN6thrust23THRUST_200600_302600_NS6detail15normal_iteratorINSA_10device_ptrIyEEEEPS6_PKS6_NS0_5tupleIJSF_S6_EEENSJ_IJSG_SG_EEENS0_18inequality_wrapperI22is_equal_div_10_uniqueIyEEEPmJS6_EEE10hipError_tPvRmT3_T4_T5_T6_T7_T9_mT8_P12ihipStream_tbDpT10_ENKUlT_T0_E_clISt17integral_constantIbLb0EES1A_EEDaS15_S16_EUlS15_E_NS1_11comp_targetILNS1_3genE2ELNS1_11target_archE906ELNS1_3gpuE6ELNS1_3repE0EEENS1_30default_config_static_selectorELNS0_4arch9wavefront6targetE1EEEvT1_.num_agpr, 0
	.set _ZN7rocprim17ROCPRIM_400000_NS6detail17trampoline_kernelINS0_14default_configENS1_25partition_config_selectorILNS1_17partition_subalgoE8EyNS0_10empty_typeEbEEZZNS1_14partition_implILS5_8ELb0ES3_jN6thrust23THRUST_200600_302600_NS6detail15normal_iteratorINSA_10device_ptrIyEEEEPS6_PKS6_NS0_5tupleIJSF_S6_EEENSJ_IJSG_SG_EEENS0_18inequality_wrapperI22is_equal_div_10_uniqueIyEEEPmJS6_EEE10hipError_tPvRmT3_T4_T5_T6_T7_T9_mT8_P12ihipStream_tbDpT10_ENKUlT_T0_E_clISt17integral_constantIbLb0EES1A_EEDaS15_S16_EUlS15_E_NS1_11comp_targetILNS1_3genE2ELNS1_11target_archE906ELNS1_3gpuE6ELNS1_3repE0EEENS1_30default_config_static_selectorELNS0_4arch9wavefront6targetE1EEEvT1_.numbered_sgpr, 40
	.set _ZN7rocprim17ROCPRIM_400000_NS6detail17trampoline_kernelINS0_14default_configENS1_25partition_config_selectorILNS1_17partition_subalgoE8EyNS0_10empty_typeEbEEZZNS1_14partition_implILS5_8ELb0ES3_jN6thrust23THRUST_200600_302600_NS6detail15normal_iteratorINSA_10device_ptrIyEEEEPS6_PKS6_NS0_5tupleIJSF_S6_EEENSJ_IJSG_SG_EEENS0_18inequality_wrapperI22is_equal_div_10_uniqueIyEEEPmJS6_EEE10hipError_tPvRmT3_T4_T5_T6_T7_T9_mT8_P12ihipStream_tbDpT10_ENKUlT_T0_E_clISt17integral_constantIbLb0EES1A_EEDaS15_S16_EUlS15_E_NS1_11comp_targetILNS1_3genE2ELNS1_11target_archE906ELNS1_3gpuE6ELNS1_3repE0EEENS1_30default_config_static_selectorELNS0_4arch9wavefront6targetE1EEEvT1_.num_named_barrier, 0
	.set _ZN7rocprim17ROCPRIM_400000_NS6detail17trampoline_kernelINS0_14default_configENS1_25partition_config_selectorILNS1_17partition_subalgoE8EyNS0_10empty_typeEbEEZZNS1_14partition_implILS5_8ELb0ES3_jN6thrust23THRUST_200600_302600_NS6detail15normal_iteratorINSA_10device_ptrIyEEEEPS6_PKS6_NS0_5tupleIJSF_S6_EEENSJ_IJSG_SG_EEENS0_18inequality_wrapperI22is_equal_div_10_uniqueIyEEEPmJS6_EEE10hipError_tPvRmT3_T4_T5_T6_T7_T9_mT8_P12ihipStream_tbDpT10_ENKUlT_T0_E_clISt17integral_constantIbLb0EES1A_EEDaS15_S16_EUlS15_E_NS1_11comp_targetILNS1_3genE2ELNS1_11target_archE906ELNS1_3gpuE6ELNS1_3repE0EEENS1_30default_config_static_selectorELNS0_4arch9wavefront6targetE1EEEvT1_.private_seg_size, 0
	.set _ZN7rocprim17ROCPRIM_400000_NS6detail17trampoline_kernelINS0_14default_configENS1_25partition_config_selectorILNS1_17partition_subalgoE8EyNS0_10empty_typeEbEEZZNS1_14partition_implILS5_8ELb0ES3_jN6thrust23THRUST_200600_302600_NS6detail15normal_iteratorINSA_10device_ptrIyEEEEPS6_PKS6_NS0_5tupleIJSF_S6_EEENSJ_IJSG_SG_EEENS0_18inequality_wrapperI22is_equal_div_10_uniqueIyEEEPmJS6_EEE10hipError_tPvRmT3_T4_T5_T6_T7_T9_mT8_P12ihipStream_tbDpT10_ENKUlT_T0_E_clISt17integral_constantIbLb0EES1A_EEDaS15_S16_EUlS15_E_NS1_11comp_targetILNS1_3genE2ELNS1_11target_archE906ELNS1_3gpuE6ELNS1_3repE0EEENS1_30default_config_static_selectorELNS0_4arch9wavefront6targetE1EEEvT1_.uses_vcc, 1
	.set _ZN7rocprim17ROCPRIM_400000_NS6detail17trampoline_kernelINS0_14default_configENS1_25partition_config_selectorILNS1_17partition_subalgoE8EyNS0_10empty_typeEbEEZZNS1_14partition_implILS5_8ELb0ES3_jN6thrust23THRUST_200600_302600_NS6detail15normal_iteratorINSA_10device_ptrIyEEEEPS6_PKS6_NS0_5tupleIJSF_S6_EEENSJ_IJSG_SG_EEENS0_18inequality_wrapperI22is_equal_div_10_uniqueIyEEEPmJS6_EEE10hipError_tPvRmT3_T4_T5_T6_T7_T9_mT8_P12ihipStream_tbDpT10_ENKUlT_T0_E_clISt17integral_constantIbLb0EES1A_EEDaS15_S16_EUlS15_E_NS1_11comp_targetILNS1_3genE2ELNS1_11target_archE906ELNS1_3gpuE6ELNS1_3repE0EEENS1_30default_config_static_selectorELNS0_4arch9wavefront6targetE1EEEvT1_.uses_flat_scratch, 0
	.set _ZN7rocprim17ROCPRIM_400000_NS6detail17trampoline_kernelINS0_14default_configENS1_25partition_config_selectorILNS1_17partition_subalgoE8EyNS0_10empty_typeEbEEZZNS1_14partition_implILS5_8ELb0ES3_jN6thrust23THRUST_200600_302600_NS6detail15normal_iteratorINSA_10device_ptrIyEEEEPS6_PKS6_NS0_5tupleIJSF_S6_EEENSJ_IJSG_SG_EEENS0_18inequality_wrapperI22is_equal_div_10_uniqueIyEEEPmJS6_EEE10hipError_tPvRmT3_T4_T5_T6_T7_T9_mT8_P12ihipStream_tbDpT10_ENKUlT_T0_E_clISt17integral_constantIbLb0EES1A_EEDaS15_S16_EUlS15_E_NS1_11comp_targetILNS1_3genE2ELNS1_11target_archE906ELNS1_3gpuE6ELNS1_3repE0EEENS1_30default_config_static_selectorELNS0_4arch9wavefront6targetE1EEEvT1_.has_dyn_sized_stack, 0
	.set _ZN7rocprim17ROCPRIM_400000_NS6detail17trampoline_kernelINS0_14default_configENS1_25partition_config_selectorILNS1_17partition_subalgoE8EyNS0_10empty_typeEbEEZZNS1_14partition_implILS5_8ELb0ES3_jN6thrust23THRUST_200600_302600_NS6detail15normal_iteratorINSA_10device_ptrIyEEEEPS6_PKS6_NS0_5tupleIJSF_S6_EEENSJ_IJSG_SG_EEENS0_18inequality_wrapperI22is_equal_div_10_uniqueIyEEEPmJS6_EEE10hipError_tPvRmT3_T4_T5_T6_T7_T9_mT8_P12ihipStream_tbDpT10_ENKUlT_T0_E_clISt17integral_constantIbLb0EES1A_EEDaS15_S16_EUlS15_E_NS1_11comp_targetILNS1_3genE2ELNS1_11target_archE906ELNS1_3gpuE6ELNS1_3repE0EEENS1_30default_config_static_selectorELNS0_4arch9wavefront6targetE1EEEvT1_.has_recursion, 0
	.set _ZN7rocprim17ROCPRIM_400000_NS6detail17trampoline_kernelINS0_14default_configENS1_25partition_config_selectorILNS1_17partition_subalgoE8EyNS0_10empty_typeEbEEZZNS1_14partition_implILS5_8ELb0ES3_jN6thrust23THRUST_200600_302600_NS6detail15normal_iteratorINSA_10device_ptrIyEEEEPS6_PKS6_NS0_5tupleIJSF_S6_EEENSJ_IJSG_SG_EEENS0_18inequality_wrapperI22is_equal_div_10_uniqueIyEEEPmJS6_EEE10hipError_tPvRmT3_T4_T5_T6_T7_T9_mT8_P12ihipStream_tbDpT10_ENKUlT_T0_E_clISt17integral_constantIbLb0EES1A_EEDaS15_S16_EUlS15_E_NS1_11comp_targetILNS1_3genE2ELNS1_11target_archE906ELNS1_3gpuE6ELNS1_3repE0EEENS1_30default_config_static_selectorELNS0_4arch9wavefront6targetE1EEEvT1_.has_indirect_call, 0
	.section	.AMDGPU.csdata,"",@progbits
; Kernel info:
; codeLenInByte = 5988
; TotalNumSgprs: 44
; NumVgprs: 58
; ScratchSize: 0
; MemoryBound: 0
; FloatMode: 240
; IeeeMode: 1
; LDSByteSize: 14344 bytes/workgroup (compile time only)
; SGPRBlocks: 12
; VGPRBlocks: 14
; NumSGPRsForWavesPerEU: 102
; NumVGPRsForWavesPerEU: 58
; Occupancy: 4
; WaveLimiterHint : 1
; COMPUTE_PGM_RSRC2:SCRATCH_EN: 0
; COMPUTE_PGM_RSRC2:USER_SGPR: 6
; COMPUTE_PGM_RSRC2:TRAP_HANDLER: 0
; COMPUTE_PGM_RSRC2:TGID_X_EN: 1
; COMPUTE_PGM_RSRC2:TGID_Y_EN: 0
; COMPUTE_PGM_RSRC2:TGID_Z_EN: 0
; COMPUTE_PGM_RSRC2:TIDIG_COMP_CNT: 0
	.section	.text._ZN7rocprim17ROCPRIM_400000_NS6detail17trampoline_kernelINS0_14default_configENS1_25partition_config_selectorILNS1_17partition_subalgoE8EyNS0_10empty_typeEbEEZZNS1_14partition_implILS5_8ELb0ES3_jN6thrust23THRUST_200600_302600_NS6detail15normal_iteratorINSA_10device_ptrIyEEEEPS6_PKS6_NS0_5tupleIJSF_S6_EEENSJ_IJSG_SG_EEENS0_18inequality_wrapperI22is_equal_div_10_uniqueIyEEEPmJS6_EEE10hipError_tPvRmT3_T4_T5_T6_T7_T9_mT8_P12ihipStream_tbDpT10_ENKUlT_T0_E_clISt17integral_constantIbLb0EES1A_EEDaS15_S16_EUlS15_E_NS1_11comp_targetILNS1_3genE10ELNS1_11target_archE1200ELNS1_3gpuE4ELNS1_3repE0EEENS1_30default_config_static_selectorELNS0_4arch9wavefront6targetE1EEEvT1_,"axG",@progbits,_ZN7rocprim17ROCPRIM_400000_NS6detail17trampoline_kernelINS0_14default_configENS1_25partition_config_selectorILNS1_17partition_subalgoE8EyNS0_10empty_typeEbEEZZNS1_14partition_implILS5_8ELb0ES3_jN6thrust23THRUST_200600_302600_NS6detail15normal_iteratorINSA_10device_ptrIyEEEEPS6_PKS6_NS0_5tupleIJSF_S6_EEENSJ_IJSG_SG_EEENS0_18inequality_wrapperI22is_equal_div_10_uniqueIyEEEPmJS6_EEE10hipError_tPvRmT3_T4_T5_T6_T7_T9_mT8_P12ihipStream_tbDpT10_ENKUlT_T0_E_clISt17integral_constantIbLb0EES1A_EEDaS15_S16_EUlS15_E_NS1_11comp_targetILNS1_3genE10ELNS1_11target_archE1200ELNS1_3gpuE4ELNS1_3repE0EEENS1_30default_config_static_selectorELNS0_4arch9wavefront6targetE1EEEvT1_,comdat
	.protected	_ZN7rocprim17ROCPRIM_400000_NS6detail17trampoline_kernelINS0_14default_configENS1_25partition_config_selectorILNS1_17partition_subalgoE8EyNS0_10empty_typeEbEEZZNS1_14partition_implILS5_8ELb0ES3_jN6thrust23THRUST_200600_302600_NS6detail15normal_iteratorINSA_10device_ptrIyEEEEPS6_PKS6_NS0_5tupleIJSF_S6_EEENSJ_IJSG_SG_EEENS0_18inequality_wrapperI22is_equal_div_10_uniqueIyEEEPmJS6_EEE10hipError_tPvRmT3_T4_T5_T6_T7_T9_mT8_P12ihipStream_tbDpT10_ENKUlT_T0_E_clISt17integral_constantIbLb0EES1A_EEDaS15_S16_EUlS15_E_NS1_11comp_targetILNS1_3genE10ELNS1_11target_archE1200ELNS1_3gpuE4ELNS1_3repE0EEENS1_30default_config_static_selectorELNS0_4arch9wavefront6targetE1EEEvT1_ ; -- Begin function _ZN7rocprim17ROCPRIM_400000_NS6detail17trampoline_kernelINS0_14default_configENS1_25partition_config_selectorILNS1_17partition_subalgoE8EyNS0_10empty_typeEbEEZZNS1_14partition_implILS5_8ELb0ES3_jN6thrust23THRUST_200600_302600_NS6detail15normal_iteratorINSA_10device_ptrIyEEEEPS6_PKS6_NS0_5tupleIJSF_S6_EEENSJ_IJSG_SG_EEENS0_18inequality_wrapperI22is_equal_div_10_uniqueIyEEEPmJS6_EEE10hipError_tPvRmT3_T4_T5_T6_T7_T9_mT8_P12ihipStream_tbDpT10_ENKUlT_T0_E_clISt17integral_constantIbLb0EES1A_EEDaS15_S16_EUlS15_E_NS1_11comp_targetILNS1_3genE10ELNS1_11target_archE1200ELNS1_3gpuE4ELNS1_3repE0EEENS1_30default_config_static_selectorELNS0_4arch9wavefront6targetE1EEEvT1_
	.globl	_ZN7rocprim17ROCPRIM_400000_NS6detail17trampoline_kernelINS0_14default_configENS1_25partition_config_selectorILNS1_17partition_subalgoE8EyNS0_10empty_typeEbEEZZNS1_14partition_implILS5_8ELb0ES3_jN6thrust23THRUST_200600_302600_NS6detail15normal_iteratorINSA_10device_ptrIyEEEEPS6_PKS6_NS0_5tupleIJSF_S6_EEENSJ_IJSG_SG_EEENS0_18inequality_wrapperI22is_equal_div_10_uniqueIyEEEPmJS6_EEE10hipError_tPvRmT3_T4_T5_T6_T7_T9_mT8_P12ihipStream_tbDpT10_ENKUlT_T0_E_clISt17integral_constantIbLb0EES1A_EEDaS15_S16_EUlS15_E_NS1_11comp_targetILNS1_3genE10ELNS1_11target_archE1200ELNS1_3gpuE4ELNS1_3repE0EEENS1_30default_config_static_selectorELNS0_4arch9wavefront6targetE1EEEvT1_
	.p2align	8
	.type	_ZN7rocprim17ROCPRIM_400000_NS6detail17trampoline_kernelINS0_14default_configENS1_25partition_config_selectorILNS1_17partition_subalgoE8EyNS0_10empty_typeEbEEZZNS1_14partition_implILS5_8ELb0ES3_jN6thrust23THRUST_200600_302600_NS6detail15normal_iteratorINSA_10device_ptrIyEEEEPS6_PKS6_NS0_5tupleIJSF_S6_EEENSJ_IJSG_SG_EEENS0_18inequality_wrapperI22is_equal_div_10_uniqueIyEEEPmJS6_EEE10hipError_tPvRmT3_T4_T5_T6_T7_T9_mT8_P12ihipStream_tbDpT10_ENKUlT_T0_E_clISt17integral_constantIbLb0EES1A_EEDaS15_S16_EUlS15_E_NS1_11comp_targetILNS1_3genE10ELNS1_11target_archE1200ELNS1_3gpuE4ELNS1_3repE0EEENS1_30default_config_static_selectorELNS0_4arch9wavefront6targetE1EEEvT1_,@function
_ZN7rocprim17ROCPRIM_400000_NS6detail17trampoline_kernelINS0_14default_configENS1_25partition_config_selectorILNS1_17partition_subalgoE8EyNS0_10empty_typeEbEEZZNS1_14partition_implILS5_8ELb0ES3_jN6thrust23THRUST_200600_302600_NS6detail15normal_iteratorINSA_10device_ptrIyEEEEPS6_PKS6_NS0_5tupleIJSF_S6_EEENSJ_IJSG_SG_EEENS0_18inequality_wrapperI22is_equal_div_10_uniqueIyEEEPmJS6_EEE10hipError_tPvRmT3_T4_T5_T6_T7_T9_mT8_P12ihipStream_tbDpT10_ENKUlT_T0_E_clISt17integral_constantIbLb0EES1A_EEDaS15_S16_EUlS15_E_NS1_11comp_targetILNS1_3genE10ELNS1_11target_archE1200ELNS1_3gpuE4ELNS1_3repE0EEENS1_30default_config_static_selectorELNS0_4arch9wavefront6targetE1EEEvT1_: ; @_ZN7rocprim17ROCPRIM_400000_NS6detail17trampoline_kernelINS0_14default_configENS1_25partition_config_selectorILNS1_17partition_subalgoE8EyNS0_10empty_typeEbEEZZNS1_14partition_implILS5_8ELb0ES3_jN6thrust23THRUST_200600_302600_NS6detail15normal_iteratorINSA_10device_ptrIyEEEEPS6_PKS6_NS0_5tupleIJSF_S6_EEENSJ_IJSG_SG_EEENS0_18inequality_wrapperI22is_equal_div_10_uniqueIyEEEPmJS6_EEE10hipError_tPvRmT3_T4_T5_T6_T7_T9_mT8_P12ihipStream_tbDpT10_ENKUlT_T0_E_clISt17integral_constantIbLb0EES1A_EEDaS15_S16_EUlS15_E_NS1_11comp_targetILNS1_3genE10ELNS1_11target_archE1200ELNS1_3gpuE4ELNS1_3repE0EEENS1_30default_config_static_selectorELNS0_4arch9wavefront6targetE1EEEvT1_
; %bb.0:
	.section	.rodata,"a",@progbits
	.p2align	6, 0x0
	.amdhsa_kernel _ZN7rocprim17ROCPRIM_400000_NS6detail17trampoline_kernelINS0_14default_configENS1_25partition_config_selectorILNS1_17partition_subalgoE8EyNS0_10empty_typeEbEEZZNS1_14partition_implILS5_8ELb0ES3_jN6thrust23THRUST_200600_302600_NS6detail15normal_iteratorINSA_10device_ptrIyEEEEPS6_PKS6_NS0_5tupleIJSF_S6_EEENSJ_IJSG_SG_EEENS0_18inequality_wrapperI22is_equal_div_10_uniqueIyEEEPmJS6_EEE10hipError_tPvRmT3_T4_T5_T6_T7_T9_mT8_P12ihipStream_tbDpT10_ENKUlT_T0_E_clISt17integral_constantIbLb0EES1A_EEDaS15_S16_EUlS15_E_NS1_11comp_targetILNS1_3genE10ELNS1_11target_archE1200ELNS1_3gpuE4ELNS1_3repE0EEENS1_30default_config_static_selectorELNS0_4arch9wavefront6targetE1EEEvT1_
		.amdhsa_group_segment_fixed_size 0
		.amdhsa_private_segment_fixed_size 0
		.amdhsa_kernarg_size 112
		.amdhsa_user_sgpr_count 6
		.amdhsa_user_sgpr_private_segment_buffer 1
		.amdhsa_user_sgpr_dispatch_ptr 0
		.amdhsa_user_sgpr_queue_ptr 0
		.amdhsa_user_sgpr_kernarg_segment_ptr 1
		.amdhsa_user_sgpr_dispatch_id 0
		.amdhsa_user_sgpr_flat_scratch_init 0
		.amdhsa_user_sgpr_private_segment_size 0
		.amdhsa_uses_dynamic_stack 0
		.amdhsa_system_sgpr_private_segment_wavefront_offset 0
		.amdhsa_system_sgpr_workgroup_id_x 1
		.amdhsa_system_sgpr_workgroup_id_y 0
		.amdhsa_system_sgpr_workgroup_id_z 0
		.amdhsa_system_sgpr_workgroup_info 0
		.amdhsa_system_vgpr_workitem_id 0
		.amdhsa_next_free_vgpr 1
		.amdhsa_next_free_sgpr 0
		.amdhsa_reserve_vcc 0
		.amdhsa_reserve_flat_scratch 0
		.amdhsa_float_round_mode_32 0
		.amdhsa_float_round_mode_16_64 0
		.amdhsa_float_denorm_mode_32 3
		.amdhsa_float_denorm_mode_16_64 3
		.amdhsa_dx10_clamp 1
		.amdhsa_ieee_mode 1
		.amdhsa_fp16_overflow 0
		.amdhsa_exception_fp_ieee_invalid_op 0
		.amdhsa_exception_fp_denorm_src 0
		.amdhsa_exception_fp_ieee_div_zero 0
		.amdhsa_exception_fp_ieee_overflow 0
		.amdhsa_exception_fp_ieee_underflow 0
		.amdhsa_exception_fp_ieee_inexact 0
		.amdhsa_exception_int_div_zero 0
	.end_amdhsa_kernel
	.section	.text._ZN7rocprim17ROCPRIM_400000_NS6detail17trampoline_kernelINS0_14default_configENS1_25partition_config_selectorILNS1_17partition_subalgoE8EyNS0_10empty_typeEbEEZZNS1_14partition_implILS5_8ELb0ES3_jN6thrust23THRUST_200600_302600_NS6detail15normal_iteratorINSA_10device_ptrIyEEEEPS6_PKS6_NS0_5tupleIJSF_S6_EEENSJ_IJSG_SG_EEENS0_18inequality_wrapperI22is_equal_div_10_uniqueIyEEEPmJS6_EEE10hipError_tPvRmT3_T4_T5_T6_T7_T9_mT8_P12ihipStream_tbDpT10_ENKUlT_T0_E_clISt17integral_constantIbLb0EES1A_EEDaS15_S16_EUlS15_E_NS1_11comp_targetILNS1_3genE10ELNS1_11target_archE1200ELNS1_3gpuE4ELNS1_3repE0EEENS1_30default_config_static_selectorELNS0_4arch9wavefront6targetE1EEEvT1_,"axG",@progbits,_ZN7rocprim17ROCPRIM_400000_NS6detail17trampoline_kernelINS0_14default_configENS1_25partition_config_selectorILNS1_17partition_subalgoE8EyNS0_10empty_typeEbEEZZNS1_14partition_implILS5_8ELb0ES3_jN6thrust23THRUST_200600_302600_NS6detail15normal_iteratorINSA_10device_ptrIyEEEEPS6_PKS6_NS0_5tupleIJSF_S6_EEENSJ_IJSG_SG_EEENS0_18inequality_wrapperI22is_equal_div_10_uniqueIyEEEPmJS6_EEE10hipError_tPvRmT3_T4_T5_T6_T7_T9_mT8_P12ihipStream_tbDpT10_ENKUlT_T0_E_clISt17integral_constantIbLb0EES1A_EEDaS15_S16_EUlS15_E_NS1_11comp_targetILNS1_3genE10ELNS1_11target_archE1200ELNS1_3gpuE4ELNS1_3repE0EEENS1_30default_config_static_selectorELNS0_4arch9wavefront6targetE1EEEvT1_,comdat
.Lfunc_end182:
	.size	_ZN7rocprim17ROCPRIM_400000_NS6detail17trampoline_kernelINS0_14default_configENS1_25partition_config_selectorILNS1_17partition_subalgoE8EyNS0_10empty_typeEbEEZZNS1_14partition_implILS5_8ELb0ES3_jN6thrust23THRUST_200600_302600_NS6detail15normal_iteratorINSA_10device_ptrIyEEEEPS6_PKS6_NS0_5tupleIJSF_S6_EEENSJ_IJSG_SG_EEENS0_18inequality_wrapperI22is_equal_div_10_uniqueIyEEEPmJS6_EEE10hipError_tPvRmT3_T4_T5_T6_T7_T9_mT8_P12ihipStream_tbDpT10_ENKUlT_T0_E_clISt17integral_constantIbLb0EES1A_EEDaS15_S16_EUlS15_E_NS1_11comp_targetILNS1_3genE10ELNS1_11target_archE1200ELNS1_3gpuE4ELNS1_3repE0EEENS1_30default_config_static_selectorELNS0_4arch9wavefront6targetE1EEEvT1_, .Lfunc_end182-_ZN7rocprim17ROCPRIM_400000_NS6detail17trampoline_kernelINS0_14default_configENS1_25partition_config_selectorILNS1_17partition_subalgoE8EyNS0_10empty_typeEbEEZZNS1_14partition_implILS5_8ELb0ES3_jN6thrust23THRUST_200600_302600_NS6detail15normal_iteratorINSA_10device_ptrIyEEEEPS6_PKS6_NS0_5tupleIJSF_S6_EEENSJ_IJSG_SG_EEENS0_18inequality_wrapperI22is_equal_div_10_uniqueIyEEEPmJS6_EEE10hipError_tPvRmT3_T4_T5_T6_T7_T9_mT8_P12ihipStream_tbDpT10_ENKUlT_T0_E_clISt17integral_constantIbLb0EES1A_EEDaS15_S16_EUlS15_E_NS1_11comp_targetILNS1_3genE10ELNS1_11target_archE1200ELNS1_3gpuE4ELNS1_3repE0EEENS1_30default_config_static_selectorELNS0_4arch9wavefront6targetE1EEEvT1_
                                        ; -- End function
	.set _ZN7rocprim17ROCPRIM_400000_NS6detail17trampoline_kernelINS0_14default_configENS1_25partition_config_selectorILNS1_17partition_subalgoE8EyNS0_10empty_typeEbEEZZNS1_14partition_implILS5_8ELb0ES3_jN6thrust23THRUST_200600_302600_NS6detail15normal_iteratorINSA_10device_ptrIyEEEEPS6_PKS6_NS0_5tupleIJSF_S6_EEENSJ_IJSG_SG_EEENS0_18inequality_wrapperI22is_equal_div_10_uniqueIyEEEPmJS6_EEE10hipError_tPvRmT3_T4_T5_T6_T7_T9_mT8_P12ihipStream_tbDpT10_ENKUlT_T0_E_clISt17integral_constantIbLb0EES1A_EEDaS15_S16_EUlS15_E_NS1_11comp_targetILNS1_3genE10ELNS1_11target_archE1200ELNS1_3gpuE4ELNS1_3repE0EEENS1_30default_config_static_selectorELNS0_4arch9wavefront6targetE1EEEvT1_.num_vgpr, 0
	.set _ZN7rocprim17ROCPRIM_400000_NS6detail17trampoline_kernelINS0_14default_configENS1_25partition_config_selectorILNS1_17partition_subalgoE8EyNS0_10empty_typeEbEEZZNS1_14partition_implILS5_8ELb0ES3_jN6thrust23THRUST_200600_302600_NS6detail15normal_iteratorINSA_10device_ptrIyEEEEPS6_PKS6_NS0_5tupleIJSF_S6_EEENSJ_IJSG_SG_EEENS0_18inequality_wrapperI22is_equal_div_10_uniqueIyEEEPmJS6_EEE10hipError_tPvRmT3_T4_T5_T6_T7_T9_mT8_P12ihipStream_tbDpT10_ENKUlT_T0_E_clISt17integral_constantIbLb0EES1A_EEDaS15_S16_EUlS15_E_NS1_11comp_targetILNS1_3genE10ELNS1_11target_archE1200ELNS1_3gpuE4ELNS1_3repE0EEENS1_30default_config_static_selectorELNS0_4arch9wavefront6targetE1EEEvT1_.num_agpr, 0
	.set _ZN7rocprim17ROCPRIM_400000_NS6detail17trampoline_kernelINS0_14default_configENS1_25partition_config_selectorILNS1_17partition_subalgoE8EyNS0_10empty_typeEbEEZZNS1_14partition_implILS5_8ELb0ES3_jN6thrust23THRUST_200600_302600_NS6detail15normal_iteratorINSA_10device_ptrIyEEEEPS6_PKS6_NS0_5tupleIJSF_S6_EEENSJ_IJSG_SG_EEENS0_18inequality_wrapperI22is_equal_div_10_uniqueIyEEEPmJS6_EEE10hipError_tPvRmT3_T4_T5_T6_T7_T9_mT8_P12ihipStream_tbDpT10_ENKUlT_T0_E_clISt17integral_constantIbLb0EES1A_EEDaS15_S16_EUlS15_E_NS1_11comp_targetILNS1_3genE10ELNS1_11target_archE1200ELNS1_3gpuE4ELNS1_3repE0EEENS1_30default_config_static_selectorELNS0_4arch9wavefront6targetE1EEEvT1_.numbered_sgpr, 0
	.set _ZN7rocprim17ROCPRIM_400000_NS6detail17trampoline_kernelINS0_14default_configENS1_25partition_config_selectorILNS1_17partition_subalgoE8EyNS0_10empty_typeEbEEZZNS1_14partition_implILS5_8ELb0ES3_jN6thrust23THRUST_200600_302600_NS6detail15normal_iteratorINSA_10device_ptrIyEEEEPS6_PKS6_NS0_5tupleIJSF_S6_EEENSJ_IJSG_SG_EEENS0_18inequality_wrapperI22is_equal_div_10_uniqueIyEEEPmJS6_EEE10hipError_tPvRmT3_T4_T5_T6_T7_T9_mT8_P12ihipStream_tbDpT10_ENKUlT_T0_E_clISt17integral_constantIbLb0EES1A_EEDaS15_S16_EUlS15_E_NS1_11comp_targetILNS1_3genE10ELNS1_11target_archE1200ELNS1_3gpuE4ELNS1_3repE0EEENS1_30default_config_static_selectorELNS0_4arch9wavefront6targetE1EEEvT1_.num_named_barrier, 0
	.set _ZN7rocprim17ROCPRIM_400000_NS6detail17trampoline_kernelINS0_14default_configENS1_25partition_config_selectorILNS1_17partition_subalgoE8EyNS0_10empty_typeEbEEZZNS1_14partition_implILS5_8ELb0ES3_jN6thrust23THRUST_200600_302600_NS6detail15normal_iteratorINSA_10device_ptrIyEEEEPS6_PKS6_NS0_5tupleIJSF_S6_EEENSJ_IJSG_SG_EEENS0_18inequality_wrapperI22is_equal_div_10_uniqueIyEEEPmJS6_EEE10hipError_tPvRmT3_T4_T5_T6_T7_T9_mT8_P12ihipStream_tbDpT10_ENKUlT_T0_E_clISt17integral_constantIbLb0EES1A_EEDaS15_S16_EUlS15_E_NS1_11comp_targetILNS1_3genE10ELNS1_11target_archE1200ELNS1_3gpuE4ELNS1_3repE0EEENS1_30default_config_static_selectorELNS0_4arch9wavefront6targetE1EEEvT1_.private_seg_size, 0
	.set _ZN7rocprim17ROCPRIM_400000_NS6detail17trampoline_kernelINS0_14default_configENS1_25partition_config_selectorILNS1_17partition_subalgoE8EyNS0_10empty_typeEbEEZZNS1_14partition_implILS5_8ELb0ES3_jN6thrust23THRUST_200600_302600_NS6detail15normal_iteratorINSA_10device_ptrIyEEEEPS6_PKS6_NS0_5tupleIJSF_S6_EEENSJ_IJSG_SG_EEENS0_18inequality_wrapperI22is_equal_div_10_uniqueIyEEEPmJS6_EEE10hipError_tPvRmT3_T4_T5_T6_T7_T9_mT8_P12ihipStream_tbDpT10_ENKUlT_T0_E_clISt17integral_constantIbLb0EES1A_EEDaS15_S16_EUlS15_E_NS1_11comp_targetILNS1_3genE10ELNS1_11target_archE1200ELNS1_3gpuE4ELNS1_3repE0EEENS1_30default_config_static_selectorELNS0_4arch9wavefront6targetE1EEEvT1_.uses_vcc, 0
	.set _ZN7rocprim17ROCPRIM_400000_NS6detail17trampoline_kernelINS0_14default_configENS1_25partition_config_selectorILNS1_17partition_subalgoE8EyNS0_10empty_typeEbEEZZNS1_14partition_implILS5_8ELb0ES3_jN6thrust23THRUST_200600_302600_NS6detail15normal_iteratorINSA_10device_ptrIyEEEEPS6_PKS6_NS0_5tupleIJSF_S6_EEENSJ_IJSG_SG_EEENS0_18inequality_wrapperI22is_equal_div_10_uniqueIyEEEPmJS6_EEE10hipError_tPvRmT3_T4_T5_T6_T7_T9_mT8_P12ihipStream_tbDpT10_ENKUlT_T0_E_clISt17integral_constantIbLb0EES1A_EEDaS15_S16_EUlS15_E_NS1_11comp_targetILNS1_3genE10ELNS1_11target_archE1200ELNS1_3gpuE4ELNS1_3repE0EEENS1_30default_config_static_selectorELNS0_4arch9wavefront6targetE1EEEvT1_.uses_flat_scratch, 0
	.set _ZN7rocprim17ROCPRIM_400000_NS6detail17trampoline_kernelINS0_14default_configENS1_25partition_config_selectorILNS1_17partition_subalgoE8EyNS0_10empty_typeEbEEZZNS1_14partition_implILS5_8ELb0ES3_jN6thrust23THRUST_200600_302600_NS6detail15normal_iteratorINSA_10device_ptrIyEEEEPS6_PKS6_NS0_5tupleIJSF_S6_EEENSJ_IJSG_SG_EEENS0_18inequality_wrapperI22is_equal_div_10_uniqueIyEEEPmJS6_EEE10hipError_tPvRmT3_T4_T5_T6_T7_T9_mT8_P12ihipStream_tbDpT10_ENKUlT_T0_E_clISt17integral_constantIbLb0EES1A_EEDaS15_S16_EUlS15_E_NS1_11comp_targetILNS1_3genE10ELNS1_11target_archE1200ELNS1_3gpuE4ELNS1_3repE0EEENS1_30default_config_static_selectorELNS0_4arch9wavefront6targetE1EEEvT1_.has_dyn_sized_stack, 0
	.set _ZN7rocprim17ROCPRIM_400000_NS6detail17trampoline_kernelINS0_14default_configENS1_25partition_config_selectorILNS1_17partition_subalgoE8EyNS0_10empty_typeEbEEZZNS1_14partition_implILS5_8ELb0ES3_jN6thrust23THRUST_200600_302600_NS6detail15normal_iteratorINSA_10device_ptrIyEEEEPS6_PKS6_NS0_5tupleIJSF_S6_EEENSJ_IJSG_SG_EEENS0_18inequality_wrapperI22is_equal_div_10_uniqueIyEEEPmJS6_EEE10hipError_tPvRmT3_T4_T5_T6_T7_T9_mT8_P12ihipStream_tbDpT10_ENKUlT_T0_E_clISt17integral_constantIbLb0EES1A_EEDaS15_S16_EUlS15_E_NS1_11comp_targetILNS1_3genE10ELNS1_11target_archE1200ELNS1_3gpuE4ELNS1_3repE0EEENS1_30default_config_static_selectorELNS0_4arch9wavefront6targetE1EEEvT1_.has_recursion, 0
	.set _ZN7rocprim17ROCPRIM_400000_NS6detail17trampoline_kernelINS0_14default_configENS1_25partition_config_selectorILNS1_17partition_subalgoE8EyNS0_10empty_typeEbEEZZNS1_14partition_implILS5_8ELb0ES3_jN6thrust23THRUST_200600_302600_NS6detail15normal_iteratorINSA_10device_ptrIyEEEEPS6_PKS6_NS0_5tupleIJSF_S6_EEENSJ_IJSG_SG_EEENS0_18inequality_wrapperI22is_equal_div_10_uniqueIyEEEPmJS6_EEE10hipError_tPvRmT3_T4_T5_T6_T7_T9_mT8_P12ihipStream_tbDpT10_ENKUlT_T0_E_clISt17integral_constantIbLb0EES1A_EEDaS15_S16_EUlS15_E_NS1_11comp_targetILNS1_3genE10ELNS1_11target_archE1200ELNS1_3gpuE4ELNS1_3repE0EEENS1_30default_config_static_selectorELNS0_4arch9wavefront6targetE1EEEvT1_.has_indirect_call, 0
	.section	.AMDGPU.csdata,"",@progbits
; Kernel info:
; codeLenInByte = 0
; TotalNumSgprs: 4
; NumVgprs: 0
; ScratchSize: 0
; MemoryBound: 0
; FloatMode: 240
; IeeeMode: 1
; LDSByteSize: 0 bytes/workgroup (compile time only)
; SGPRBlocks: 0
; VGPRBlocks: 0
; NumSGPRsForWavesPerEU: 4
; NumVGPRsForWavesPerEU: 1
; Occupancy: 10
; WaveLimiterHint : 0
; COMPUTE_PGM_RSRC2:SCRATCH_EN: 0
; COMPUTE_PGM_RSRC2:USER_SGPR: 6
; COMPUTE_PGM_RSRC2:TRAP_HANDLER: 0
; COMPUTE_PGM_RSRC2:TGID_X_EN: 1
; COMPUTE_PGM_RSRC2:TGID_Y_EN: 0
; COMPUTE_PGM_RSRC2:TGID_Z_EN: 0
; COMPUTE_PGM_RSRC2:TIDIG_COMP_CNT: 0
	.section	.text._ZN7rocprim17ROCPRIM_400000_NS6detail17trampoline_kernelINS0_14default_configENS1_25partition_config_selectorILNS1_17partition_subalgoE8EyNS0_10empty_typeEbEEZZNS1_14partition_implILS5_8ELb0ES3_jN6thrust23THRUST_200600_302600_NS6detail15normal_iteratorINSA_10device_ptrIyEEEEPS6_PKS6_NS0_5tupleIJSF_S6_EEENSJ_IJSG_SG_EEENS0_18inequality_wrapperI22is_equal_div_10_uniqueIyEEEPmJS6_EEE10hipError_tPvRmT3_T4_T5_T6_T7_T9_mT8_P12ihipStream_tbDpT10_ENKUlT_T0_E_clISt17integral_constantIbLb0EES1A_EEDaS15_S16_EUlS15_E_NS1_11comp_targetILNS1_3genE9ELNS1_11target_archE1100ELNS1_3gpuE3ELNS1_3repE0EEENS1_30default_config_static_selectorELNS0_4arch9wavefront6targetE1EEEvT1_,"axG",@progbits,_ZN7rocprim17ROCPRIM_400000_NS6detail17trampoline_kernelINS0_14default_configENS1_25partition_config_selectorILNS1_17partition_subalgoE8EyNS0_10empty_typeEbEEZZNS1_14partition_implILS5_8ELb0ES3_jN6thrust23THRUST_200600_302600_NS6detail15normal_iteratorINSA_10device_ptrIyEEEEPS6_PKS6_NS0_5tupleIJSF_S6_EEENSJ_IJSG_SG_EEENS0_18inequality_wrapperI22is_equal_div_10_uniqueIyEEEPmJS6_EEE10hipError_tPvRmT3_T4_T5_T6_T7_T9_mT8_P12ihipStream_tbDpT10_ENKUlT_T0_E_clISt17integral_constantIbLb0EES1A_EEDaS15_S16_EUlS15_E_NS1_11comp_targetILNS1_3genE9ELNS1_11target_archE1100ELNS1_3gpuE3ELNS1_3repE0EEENS1_30default_config_static_selectorELNS0_4arch9wavefront6targetE1EEEvT1_,comdat
	.protected	_ZN7rocprim17ROCPRIM_400000_NS6detail17trampoline_kernelINS0_14default_configENS1_25partition_config_selectorILNS1_17partition_subalgoE8EyNS0_10empty_typeEbEEZZNS1_14partition_implILS5_8ELb0ES3_jN6thrust23THRUST_200600_302600_NS6detail15normal_iteratorINSA_10device_ptrIyEEEEPS6_PKS6_NS0_5tupleIJSF_S6_EEENSJ_IJSG_SG_EEENS0_18inequality_wrapperI22is_equal_div_10_uniqueIyEEEPmJS6_EEE10hipError_tPvRmT3_T4_T5_T6_T7_T9_mT8_P12ihipStream_tbDpT10_ENKUlT_T0_E_clISt17integral_constantIbLb0EES1A_EEDaS15_S16_EUlS15_E_NS1_11comp_targetILNS1_3genE9ELNS1_11target_archE1100ELNS1_3gpuE3ELNS1_3repE0EEENS1_30default_config_static_selectorELNS0_4arch9wavefront6targetE1EEEvT1_ ; -- Begin function _ZN7rocprim17ROCPRIM_400000_NS6detail17trampoline_kernelINS0_14default_configENS1_25partition_config_selectorILNS1_17partition_subalgoE8EyNS0_10empty_typeEbEEZZNS1_14partition_implILS5_8ELb0ES3_jN6thrust23THRUST_200600_302600_NS6detail15normal_iteratorINSA_10device_ptrIyEEEEPS6_PKS6_NS0_5tupleIJSF_S6_EEENSJ_IJSG_SG_EEENS0_18inequality_wrapperI22is_equal_div_10_uniqueIyEEEPmJS6_EEE10hipError_tPvRmT3_T4_T5_T6_T7_T9_mT8_P12ihipStream_tbDpT10_ENKUlT_T0_E_clISt17integral_constantIbLb0EES1A_EEDaS15_S16_EUlS15_E_NS1_11comp_targetILNS1_3genE9ELNS1_11target_archE1100ELNS1_3gpuE3ELNS1_3repE0EEENS1_30default_config_static_selectorELNS0_4arch9wavefront6targetE1EEEvT1_
	.globl	_ZN7rocprim17ROCPRIM_400000_NS6detail17trampoline_kernelINS0_14default_configENS1_25partition_config_selectorILNS1_17partition_subalgoE8EyNS0_10empty_typeEbEEZZNS1_14partition_implILS5_8ELb0ES3_jN6thrust23THRUST_200600_302600_NS6detail15normal_iteratorINSA_10device_ptrIyEEEEPS6_PKS6_NS0_5tupleIJSF_S6_EEENSJ_IJSG_SG_EEENS0_18inequality_wrapperI22is_equal_div_10_uniqueIyEEEPmJS6_EEE10hipError_tPvRmT3_T4_T5_T6_T7_T9_mT8_P12ihipStream_tbDpT10_ENKUlT_T0_E_clISt17integral_constantIbLb0EES1A_EEDaS15_S16_EUlS15_E_NS1_11comp_targetILNS1_3genE9ELNS1_11target_archE1100ELNS1_3gpuE3ELNS1_3repE0EEENS1_30default_config_static_selectorELNS0_4arch9wavefront6targetE1EEEvT1_
	.p2align	8
	.type	_ZN7rocprim17ROCPRIM_400000_NS6detail17trampoline_kernelINS0_14default_configENS1_25partition_config_selectorILNS1_17partition_subalgoE8EyNS0_10empty_typeEbEEZZNS1_14partition_implILS5_8ELb0ES3_jN6thrust23THRUST_200600_302600_NS6detail15normal_iteratorINSA_10device_ptrIyEEEEPS6_PKS6_NS0_5tupleIJSF_S6_EEENSJ_IJSG_SG_EEENS0_18inequality_wrapperI22is_equal_div_10_uniqueIyEEEPmJS6_EEE10hipError_tPvRmT3_T4_T5_T6_T7_T9_mT8_P12ihipStream_tbDpT10_ENKUlT_T0_E_clISt17integral_constantIbLb0EES1A_EEDaS15_S16_EUlS15_E_NS1_11comp_targetILNS1_3genE9ELNS1_11target_archE1100ELNS1_3gpuE3ELNS1_3repE0EEENS1_30default_config_static_selectorELNS0_4arch9wavefront6targetE1EEEvT1_,@function
_ZN7rocprim17ROCPRIM_400000_NS6detail17trampoline_kernelINS0_14default_configENS1_25partition_config_selectorILNS1_17partition_subalgoE8EyNS0_10empty_typeEbEEZZNS1_14partition_implILS5_8ELb0ES3_jN6thrust23THRUST_200600_302600_NS6detail15normal_iteratorINSA_10device_ptrIyEEEEPS6_PKS6_NS0_5tupleIJSF_S6_EEENSJ_IJSG_SG_EEENS0_18inequality_wrapperI22is_equal_div_10_uniqueIyEEEPmJS6_EEE10hipError_tPvRmT3_T4_T5_T6_T7_T9_mT8_P12ihipStream_tbDpT10_ENKUlT_T0_E_clISt17integral_constantIbLb0EES1A_EEDaS15_S16_EUlS15_E_NS1_11comp_targetILNS1_3genE9ELNS1_11target_archE1100ELNS1_3gpuE3ELNS1_3repE0EEENS1_30default_config_static_selectorELNS0_4arch9wavefront6targetE1EEEvT1_: ; @_ZN7rocprim17ROCPRIM_400000_NS6detail17trampoline_kernelINS0_14default_configENS1_25partition_config_selectorILNS1_17partition_subalgoE8EyNS0_10empty_typeEbEEZZNS1_14partition_implILS5_8ELb0ES3_jN6thrust23THRUST_200600_302600_NS6detail15normal_iteratorINSA_10device_ptrIyEEEEPS6_PKS6_NS0_5tupleIJSF_S6_EEENSJ_IJSG_SG_EEENS0_18inequality_wrapperI22is_equal_div_10_uniqueIyEEEPmJS6_EEE10hipError_tPvRmT3_T4_T5_T6_T7_T9_mT8_P12ihipStream_tbDpT10_ENKUlT_T0_E_clISt17integral_constantIbLb0EES1A_EEDaS15_S16_EUlS15_E_NS1_11comp_targetILNS1_3genE9ELNS1_11target_archE1100ELNS1_3gpuE3ELNS1_3repE0EEENS1_30default_config_static_selectorELNS0_4arch9wavefront6targetE1EEEvT1_
; %bb.0:
	.section	.rodata,"a",@progbits
	.p2align	6, 0x0
	.amdhsa_kernel _ZN7rocprim17ROCPRIM_400000_NS6detail17trampoline_kernelINS0_14default_configENS1_25partition_config_selectorILNS1_17partition_subalgoE8EyNS0_10empty_typeEbEEZZNS1_14partition_implILS5_8ELb0ES3_jN6thrust23THRUST_200600_302600_NS6detail15normal_iteratorINSA_10device_ptrIyEEEEPS6_PKS6_NS0_5tupleIJSF_S6_EEENSJ_IJSG_SG_EEENS0_18inequality_wrapperI22is_equal_div_10_uniqueIyEEEPmJS6_EEE10hipError_tPvRmT3_T4_T5_T6_T7_T9_mT8_P12ihipStream_tbDpT10_ENKUlT_T0_E_clISt17integral_constantIbLb0EES1A_EEDaS15_S16_EUlS15_E_NS1_11comp_targetILNS1_3genE9ELNS1_11target_archE1100ELNS1_3gpuE3ELNS1_3repE0EEENS1_30default_config_static_selectorELNS0_4arch9wavefront6targetE1EEEvT1_
		.amdhsa_group_segment_fixed_size 0
		.amdhsa_private_segment_fixed_size 0
		.amdhsa_kernarg_size 112
		.amdhsa_user_sgpr_count 6
		.amdhsa_user_sgpr_private_segment_buffer 1
		.amdhsa_user_sgpr_dispatch_ptr 0
		.amdhsa_user_sgpr_queue_ptr 0
		.amdhsa_user_sgpr_kernarg_segment_ptr 1
		.amdhsa_user_sgpr_dispatch_id 0
		.amdhsa_user_sgpr_flat_scratch_init 0
		.amdhsa_user_sgpr_private_segment_size 0
		.amdhsa_uses_dynamic_stack 0
		.amdhsa_system_sgpr_private_segment_wavefront_offset 0
		.amdhsa_system_sgpr_workgroup_id_x 1
		.amdhsa_system_sgpr_workgroup_id_y 0
		.amdhsa_system_sgpr_workgroup_id_z 0
		.amdhsa_system_sgpr_workgroup_info 0
		.amdhsa_system_vgpr_workitem_id 0
		.amdhsa_next_free_vgpr 1
		.amdhsa_next_free_sgpr 0
		.amdhsa_reserve_vcc 0
		.amdhsa_reserve_flat_scratch 0
		.amdhsa_float_round_mode_32 0
		.amdhsa_float_round_mode_16_64 0
		.amdhsa_float_denorm_mode_32 3
		.amdhsa_float_denorm_mode_16_64 3
		.amdhsa_dx10_clamp 1
		.amdhsa_ieee_mode 1
		.amdhsa_fp16_overflow 0
		.amdhsa_exception_fp_ieee_invalid_op 0
		.amdhsa_exception_fp_denorm_src 0
		.amdhsa_exception_fp_ieee_div_zero 0
		.amdhsa_exception_fp_ieee_overflow 0
		.amdhsa_exception_fp_ieee_underflow 0
		.amdhsa_exception_fp_ieee_inexact 0
		.amdhsa_exception_int_div_zero 0
	.end_amdhsa_kernel
	.section	.text._ZN7rocprim17ROCPRIM_400000_NS6detail17trampoline_kernelINS0_14default_configENS1_25partition_config_selectorILNS1_17partition_subalgoE8EyNS0_10empty_typeEbEEZZNS1_14partition_implILS5_8ELb0ES3_jN6thrust23THRUST_200600_302600_NS6detail15normal_iteratorINSA_10device_ptrIyEEEEPS6_PKS6_NS0_5tupleIJSF_S6_EEENSJ_IJSG_SG_EEENS0_18inequality_wrapperI22is_equal_div_10_uniqueIyEEEPmJS6_EEE10hipError_tPvRmT3_T4_T5_T6_T7_T9_mT8_P12ihipStream_tbDpT10_ENKUlT_T0_E_clISt17integral_constantIbLb0EES1A_EEDaS15_S16_EUlS15_E_NS1_11comp_targetILNS1_3genE9ELNS1_11target_archE1100ELNS1_3gpuE3ELNS1_3repE0EEENS1_30default_config_static_selectorELNS0_4arch9wavefront6targetE1EEEvT1_,"axG",@progbits,_ZN7rocprim17ROCPRIM_400000_NS6detail17trampoline_kernelINS0_14default_configENS1_25partition_config_selectorILNS1_17partition_subalgoE8EyNS0_10empty_typeEbEEZZNS1_14partition_implILS5_8ELb0ES3_jN6thrust23THRUST_200600_302600_NS6detail15normal_iteratorINSA_10device_ptrIyEEEEPS6_PKS6_NS0_5tupleIJSF_S6_EEENSJ_IJSG_SG_EEENS0_18inequality_wrapperI22is_equal_div_10_uniqueIyEEEPmJS6_EEE10hipError_tPvRmT3_T4_T5_T6_T7_T9_mT8_P12ihipStream_tbDpT10_ENKUlT_T0_E_clISt17integral_constantIbLb0EES1A_EEDaS15_S16_EUlS15_E_NS1_11comp_targetILNS1_3genE9ELNS1_11target_archE1100ELNS1_3gpuE3ELNS1_3repE0EEENS1_30default_config_static_selectorELNS0_4arch9wavefront6targetE1EEEvT1_,comdat
.Lfunc_end183:
	.size	_ZN7rocprim17ROCPRIM_400000_NS6detail17trampoline_kernelINS0_14default_configENS1_25partition_config_selectorILNS1_17partition_subalgoE8EyNS0_10empty_typeEbEEZZNS1_14partition_implILS5_8ELb0ES3_jN6thrust23THRUST_200600_302600_NS6detail15normal_iteratorINSA_10device_ptrIyEEEEPS6_PKS6_NS0_5tupleIJSF_S6_EEENSJ_IJSG_SG_EEENS0_18inequality_wrapperI22is_equal_div_10_uniqueIyEEEPmJS6_EEE10hipError_tPvRmT3_T4_T5_T6_T7_T9_mT8_P12ihipStream_tbDpT10_ENKUlT_T0_E_clISt17integral_constantIbLb0EES1A_EEDaS15_S16_EUlS15_E_NS1_11comp_targetILNS1_3genE9ELNS1_11target_archE1100ELNS1_3gpuE3ELNS1_3repE0EEENS1_30default_config_static_selectorELNS0_4arch9wavefront6targetE1EEEvT1_, .Lfunc_end183-_ZN7rocprim17ROCPRIM_400000_NS6detail17trampoline_kernelINS0_14default_configENS1_25partition_config_selectorILNS1_17partition_subalgoE8EyNS0_10empty_typeEbEEZZNS1_14partition_implILS5_8ELb0ES3_jN6thrust23THRUST_200600_302600_NS6detail15normal_iteratorINSA_10device_ptrIyEEEEPS6_PKS6_NS0_5tupleIJSF_S6_EEENSJ_IJSG_SG_EEENS0_18inequality_wrapperI22is_equal_div_10_uniqueIyEEEPmJS6_EEE10hipError_tPvRmT3_T4_T5_T6_T7_T9_mT8_P12ihipStream_tbDpT10_ENKUlT_T0_E_clISt17integral_constantIbLb0EES1A_EEDaS15_S16_EUlS15_E_NS1_11comp_targetILNS1_3genE9ELNS1_11target_archE1100ELNS1_3gpuE3ELNS1_3repE0EEENS1_30default_config_static_selectorELNS0_4arch9wavefront6targetE1EEEvT1_
                                        ; -- End function
	.set _ZN7rocprim17ROCPRIM_400000_NS6detail17trampoline_kernelINS0_14default_configENS1_25partition_config_selectorILNS1_17partition_subalgoE8EyNS0_10empty_typeEbEEZZNS1_14partition_implILS5_8ELb0ES3_jN6thrust23THRUST_200600_302600_NS6detail15normal_iteratorINSA_10device_ptrIyEEEEPS6_PKS6_NS0_5tupleIJSF_S6_EEENSJ_IJSG_SG_EEENS0_18inequality_wrapperI22is_equal_div_10_uniqueIyEEEPmJS6_EEE10hipError_tPvRmT3_T4_T5_T6_T7_T9_mT8_P12ihipStream_tbDpT10_ENKUlT_T0_E_clISt17integral_constantIbLb0EES1A_EEDaS15_S16_EUlS15_E_NS1_11comp_targetILNS1_3genE9ELNS1_11target_archE1100ELNS1_3gpuE3ELNS1_3repE0EEENS1_30default_config_static_selectorELNS0_4arch9wavefront6targetE1EEEvT1_.num_vgpr, 0
	.set _ZN7rocprim17ROCPRIM_400000_NS6detail17trampoline_kernelINS0_14default_configENS1_25partition_config_selectorILNS1_17partition_subalgoE8EyNS0_10empty_typeEbEEZZNS1_14partition_implILS5_8ELb0ES3_jN6thrust23THRUST_200600_302600_NS6detail15normal_iteratorINSA_10device_ptrIyEEEEPS6_PKS6_NS0_5tupleIJSF_S6_EEENSJ_IJSG_SG_EEENS0_18inequality_wrapperI22is_equal_div_10_uniqueIyEEEPmJS6_EEE10hipError_tPvRmT3_T4_T5_T6_T7_T9_mT8_P12ihipStream_tbDpT10_ENKUlT_T0_E_clISt17integral_constantIbLb0EES1A_EEDaS15_S16_EUlS15_E_NS1_11comp_targetILNS1_3genE9ELNS1_11target_archE1100ELNS1_3gpuE3ELNS1_3repE0EEENS1_30default_config_static_selectorELNS0_4arch9wavefront6targetE1EEEvT1_.num_agpr, 0
	.set _ZN7rocprim17ROCPRIM_400000_NS6detail17trampoline_kernelINS0_14default_configENS1_25partition_config_selectorILNS1_17partition_subalgoE8EyNS0_10empty_typeEbEEZZNS1_14partition_implILS5_8ELb0ES3_jN6thrust23THRUST_200600_302600_NS6detail15normal_iteratorINSA_10device_ptrIyEEEEPS6_PKS6_NS0_5tupleIJSF_S6_EEENSJ_IJSG_SG_EEENS0_18inequality_wrapperI22is_equal_div_10_uniqueIyEEEPmJS6_EEE10hipError_tPvRmT3_T4_T5_T6_T7_T9_mT8_P12ihipStream_tbDpT10_ENKUlT_T0_E_clISt17integral_constantIbLb0EES1A_EEDaS15_S16_EUlS15_E_NS1_11comp_targetILNS1_3genE9ELNS1_11target_archE1100ELNS1_3gpuE3ELNS1_3repE0EEENS1_30default_config_static_selectorELNS0_4arch9wavefront6targetE1EEEvT1_.numbered_sgpr, 0
	.set _ZN7rocprim17ROCPRIM_400000_NS6detail17trampoline_kernelINS0_14default_configENS1_25partition_config_selectorILNS1_17partition_subalgoE8EyNS0_10empty_typeEbEEZZNS1_14partition_implILS5_8ELb0ES3_jN6thrust23THRUST_200600_302600_NS6detail15normal_iteratorINSA_10device_ptrIyEEEEPS6_PKS6_NS0_5tupleIJSF_S6_EEENSJ_IJSG_SG_EEENS0_18inequality_wrapperI22is_equal_div_10_uniqueIyEEEPmJS6_EEE10hipError_tPvRmT3_T4_T5_T6_T7_T9_mT8_P12ihipStream_tbDpT10_ENKUlT_T0_E_clISt17integral_constantIbLb0EES1A_EEDaS15_S16_EUlS15_E_NS1_11comp_targetILNS1_3genE9ELNS1_11target_archE1100ELNS1_3gpuE3ELNS1_3repE0EEENS1_30default_config_static_selectorELNS0_4arch9wavefront6targetE1EEEvT1_.num_named_barrier, 0
	.set _ZN7rocprim17ROCPRIM_400000_NS6detail17trampoline_kernelINS0_14default_configENS1_25partition_config_selectorILNS1_17partition_subalgoE8EyNS0_10empty_typeEbEEZZNS1_14partition_implILS5_8ELb0ES3_jN6thrust23THRUST_200600_302600_NS6detail15normal_iteratorINSA_10device_ptrIyEEEEPS6_PKS6_NS0_5tupleIJSF_S6_EEENSJ_IJSG_SG_EEENS0_18inequality_wrapperI22is_equal_div_10_uniqueIyEEEPmJS6_EEE10hipError_tPvRmT3_T4_T5_T6_T7_T9_mT8_P12ihipStream_tbDpT10_ENKUlT_T0_E_clISt17integral_constantIbLb0EES1A_EEDaS15_S16_EUlS15_E_NS1_11comp_targetILNS1_3genE9ELNS1_11target_archE1100ELNS1_3gpuE3ELNS1_3repE0EEENS1_30default_config_static_selectorELNS0_4arch9wavefront6targetE1EEEvT1_.private_seg_size, 0
	.set _ZN7rocprim17ROCPRIM_400000_NS6detail17trampoline_kernelINS0_14default_configENS1_25partition_config_selectorILNS1_17partition_subalgoE8EyNS0_10empty_typeEbEEZZNS1_14partition_implILS5_8ELb0ES3_jN6thrust23THRUST_200600_302600_NS6detail15normal_iteratorINSA_10device_ptrIyEEEEPS6_PKS6_NS0_5tupleIJSF_S6_EEENSJ_IJSG_SG_EEENS0_18inequality_wrapperI22is_equal_div_10_uniqueIyEEEPmJS6_EEE10hipError_tPvRmT3_T4_T5_T6_T7_T9_mT8_P12ihipStream_tbDpT10_ENKUlT_T0_E_clISt17integral_constantIbLb0EES1A_EEDaS15_S16_EUlS15_E_NS1_11comp_targetILNS1_3genE9ELNS1_11target_archE1100ELNS1_3gpuE3ELNS1_3repE0EEENS1_30default_config_static_selectorELNS0_4arch9wavefront6targetE1EEEvT1_.uses_vcc, 0
	.set _ZN7rocprim17ROCPRIM_400000_NS6detail17trampoline_kernelINS0_14default_configENS1_25partition_config_selectorILNS1_17partition_subalgoE8EyNS0_10empty_typeEbEEZZNS1_14partition_implILS5_8ELb0ES3_jN6thrust23THRUST_200600_302600_NS6detail15normal_iteratorINSA_10device_ptrIyEEEEPS6_PKS6_NS0_5tupleIJSF_S6_EEENSJ_IJSG_SG_EEENS0_18inequality_wrapperI22is_equal_div_10_uniqueIyEEEPmJS6_EEE10hipError_tPvRmT3_T4_T5_T6_T7_T9_mT8_P12ihipStream_tbDpT10_ENKUlT_T0_E_clISt17integral_constantIbLb0EES1A_EEDaS15_S16_EUlS15_E_NS1_11comp_targetILNS1_3genE9ELNS1_11target_archE1100ELNS1_3gpuE3ELNS1_3repE0EEENS1_30default_config_static_selectorELNS0_4arch9wavefront6targetE1EEEvT1_.uses_flat_scratch, 0
	.set _ZN7rocprim17ROCPRIM_400000_NS6detail17trampoline_kernelINS0_14default_configENS1_25partition_config_selectorILNS1_17partition_subalgoE8EyNS0_10empty_typeEbEEZZNS1_14partition_implILS5_8ELb0ES3_jN6thrust23THRUST_200600_302600_NS6detail15normal_iteratorINSA_10device_ptrIyEEEEPS6_PKS6_NS0_5tupleIJSF_S6_EEENSJ_IJSG_SG_EEENS0_18inequality_wrapperI22is_equal_div_10_uniqueIyEEEPmJS6_EEE10hipError_tPvRmT3_T4_T5_T6_T7_T9_mT8_P12ihipStream_tbDpT10_ENKUlT_T0_E_clISt17integral_constantIbLb0EES1A_EEDaS15_S16_EUlS15_E_NS1_11comp_targetILNS1_3genE9ELNS1_11target_archE1100ELNS1_3gpuE3ELNS1_3repE0EEENS1_30default_config_static_selectorELNS0_4arch9wavefront6targetE1EEEvT1_.has_dyn_sized_stack, 0
	.set _ZN7rocprim17ROCPRIM_400000_NS6detail17trampoline_kernelINS0_14default_configENS1_25partition_config_selectorILNS1_17partition_subalgoE8EyNS0_10empty_typeEbEEZZNS1_14partition_implILS5_8ELb0ES3_jN6thrust23THRUST_200600_302600_NS6detail15normal_iteratorINSA_10device_ptrIyEEEEPS6_PKS6_NS0_5tupleIJSF_S6_EEENSJ_IJSG_SG_EEENS0_18inequality_wrapperI22is_equal_div_10_uniqueIyEEEPmJS6_EEE10hipError_tPvRmT3_T4_T5_T6_T7_T9_mT8_P12ihipStream_tbDpT10_ENKUlT_T0_E_clISt17integral_constantIbLb0EES1A_EEDaS15_S16_EUlS15_E_NS1_11comp_targetILNS1_3genE9ELNS1_11target_archE1100ELNS1_3gpuE3ELNS1_3repE0EEENS1_30default_config_static_selectorELNS0_4arch9wavefront6targetE1EEEvT1_.has_recursion, 0
	.set _ZN7rocprim17ROCPRIM_400000_NS6detail17trampoline_kernelINS0_14default_configENS1_25partition_config_selectorILNS1_17partition_subalgoE8EyNS0_10empty_typeEbEEZZNS1_14partition_implILS5_8ELb0ES3_jN6thrust23THRUST_200600_302600_NS6detail15normal_iteratorINSA_10device_ptrIyEEEEPS6_PKS6_NS0_5tupleIJSF_S6_EEENSJ_IJSG_SG_EEENS0_18inequality_wrapperI22is_equal_div_10_uniqueIyEEEPmJS6_EEE10hipError_tPvRmT3_T4_T5_T6_T7_T9_mT8_P12ihipStream_tbDpT10_ENKUlT_T0_E_clISt17integral_constantIbLb0EES1A_EEDaS15_S16_EUlS15_E_NS1_11comp_targetILNS1_3genE9ELNS1_11target_archE1100ELNS1_3gpuE3ELNS1_3repE0EEENS1_30default_config_static_selectorELNS0_4arch9wavefront6targetE1EEEvT1_.has_indirect_call, 0
	.section	.AMDGPU.csdata,"",@progbits
; Kernel info:
; codeLenInByte = 0
; TotalNumSgprs: 4
; NumVgprs: 0
; ScratchSize: 0
; MemoryBound: 0
; FloatMode: 240
; IeeeMode: 1
; LDSByteSize: 0 bytes/workgroup (compile time only)
; SGPRBlocks: 0
; VGPRBlocks: 0
; NumSGPRsForWavesPerEU: 4
; NumVGPRsForWavesPerEU: 1
; Occupancy: 10
; WaveLimiterHint : 0
; COMPUTE_PGM_RSRC2:SCRATCH_EN: 0
; COMPUTE_PGM_RSRC2:USER_SGPR: 6
; COMPUTE_PGM_RSRC2:TRAP_HANDLER: 0
; COMPUTE_PGM_RSRC2:TGID_X_EN: 1
; COMPUTE_PGM_RSRC2:TGID_Y_EN: 0
; COMPUTE_PGM_RSRC2:TGID_Z_EN: 0
; COMPUTE_PGM_RSRC2:TIDIG_COMP_CNT: 0
	.section	.text._ZN7rocprim17ROCPRIM_400000_NS6detail17trampoline_kernelINS0_14default_configENS1_25partition_config_selectorILNS1_17partition_subalgoE8EyNS0_10empty_typeEbEEZZNS1_14partition_implILS5_8ELb0ES3_jN6thrust23THRUST_200600_302600_NS6detail15normal_iteratorINSA_10device_ptrIyEEEEPS6_PKS6_NS0_5tupleIJSF_S6_EEENSJ_IJSG_SG_EEENS0_18inequality_wrapperI22is_equal_div_10_uniqueIyEEEPmJS6_EEE10hipError_tPvRmT3_T4_T5_T6_T7_T9_mT8_P12ihipStream_tbDpT10_ENKUlT_T0_E_clISt17integral_constantIbLb0EES1A_EEDaS15_S16_EUlS15_E_NS1_11comp_targetILNS1_3genE8ELNS1_11target_archE1030ELNS1_3gpuE2ELNS1_3repE0EEENS1_30default_config_static_selectorELNS0_4arch9wavefront6targetE1EEEvT1_,"axG",@progbits,_ZN7rocprim17ROCPRIM_400000_NS6detail17trampoline_kernelINS0_14default_configENS1_25partition_config_selectorILNS1_17partition_subalgoE8EyNS0_10empty_typeEbEEZZNS1_14partition_implILS5_8ELb0ES3_jN6thrust23THRUST_200600_302600_NS6detail15normal_iteratorINSA_10device_ptrIyEEEEPS6_PKS6_NS0_5tupleIJSF_S6_EEENSJ_IJSG_SG_EEENS0_18inequality_wrapperI22is_equal_div_10_uniqueIyEEEPmJS6_EEE10hipError_tPvRmT3_T4_T5_T6_T7_T9_mT8_P12ihipStream_tbDpT10_ENKUlT_T0_E_clISt17integral_constantIbLb0EES1A_EEDaS15_S16_EUlS15_E_NS1_11comp_targetILNS1_3genE8ELNS1_11target_archE1030ELNS1_3gpuE2ELNS1_3repE0EEENS1_30default_config_static_selectorELNS0_4arch9wavefront6targetE1EEEvT1_,comdat
	.protected	_ZN7rocprim17ROCPRIM_400000_NS6detail17trampoline_kernelINS0_14default_configENS1_25partition_config_selectorILNS1_17partition_subalgoE8EyNS0_10empty_typeEbEEZZNS1_14partition_implILS5_8ELb0ES3_jN6thrust23THRUST_200600_302600_NS6detail15normal_iteratorINSA_10device_ptrIyEEEEPS6_PKS6_NS0_5tupleIJSF_S6_EEENSJ_IJSG_SG_EEENS0_18inequality_wrapperI22is_equal_div_10_uniqueIyEEEPmJS6_EEE10hipError_tPvRmT3_T4_T5_T6_T7_T9_mT8_P12ihipStream_tbDpT10_ENKUlT_T0_E_clISt17integral_constantIbLb0EES1A_EEDaS15_S16_EUlS15_E_NS1_11comp_targetILNS1_3genE8ELNS1_11target_archE1030ELNS1_3gpuE2ELNS1_3repE0EEENS1_30default_config_static_selectorELNS0_4arch9wavefront6targetE1EEEvT1_ ; -- Begin function _ZN7rocprim17ROCPRIM_400000_NS6detail17trampoline_kernelINS0_14default_configENS1_25partition_config_selectorILNS1_17partition_subalgoE8EyNS0_10empty_typeEbEEZZNS1_14partition_implILS5_8ELb0ES3_jN6thrust23THRUST_200600_302600_NS6detail15normal_iteratorINSA_10device_ptrIyEEEEPS6_PKS6_NS0_5tupleIJSF_S6_EEENSJ_IJSG_SG_EEENS0_18inequality_wrapperI22is_equal_div_10_uniqueIyEEEPmJS6_EEE10hipError_tPvRmT3_T4_T5_T6_T7_T9_mT8_P12ihipStream_tbDpT10_ENKUlT_T0_E_clISt17integral_constantIbLb0EES1A_EEDaS15_S16_EUlS15_E_NS1_11comp_targetILNS1_3genE8ELNS1_11target_archE1030ELNS1_3gpuE2ELNS1_3repE0EEENS1_30default_config_static_selectorELNS0_4arch9wavefront6targetE1EEEvT1_
	.globl	_ZN7rocprim17ROCPRIM_400000_NS6detail17trampoline_kernelINS0_14default_configENS1_25partition_config_selectorILNS1_17partition_subalgoE8EyNS0_10empty_typeEbEEZZNS1_14partition_implILS5_8ELb0ES3_jN6thrust23THRUST_200600_302600_NS6detail15normal_iteratorINSA_10device_ptrIyEEEEPS6_PKS6_NS0_5tupleIJSF_S6_EEENSJ_IJSG_SG_EEENS0_18inequality_wrapperI22is_equal_div_10_uniqueIyEEEPmJS6_EEE10hipError_tPvRmT3_T4_T5_T6_T7_T9_mT8_P12ihipStream_tbDpT10_ENKUlT_T0_E_clISt17integral_constantIbLb0EES1A_EEDaS15_S16_EUlS15_E_NS1_11comp_targetILNS1_3genE8ELNS1_11target_archE1030ELNS1_3gpuE2ELNS1_3repE0EEENS1_30default_config_static_selectorELNS0_4arch9wavefront6targetE1EEEvT1_
	.p2align	8
	.type	_ZN7rocprim17ROCPRIM_400000_NS6detail17trampoline_kernelINS0_14default_configENS1_25partition_config_selectorILNS1_17partition_subalgoE8EyNS0_10empty_typeEbEEZZNS1_14partition_implILS5_8ELb0ES3_jN6thrust23THRUST_200600_302600_NS6detail15normal_iteratorINSA_10device_ptrIyEEEEPS6_PKS6_NS0_5tupleIJSF_S6_EEENSJ_IJSG_SG_EEENS0_18inequality_wrapperI22is_equal_div_10_uniqueIyEEEPmJS6_EEE10hipError_tPvRmT3_T4_T5_T6_T7_T9_mT8_P12ihipStream_tbDpT10_ENKUlT_T0_E_clISt17integral_constantIbLb0EES1A_EEDaS15_S16_EUlS15_E_NS1_11comp_targetILNS1_3genE8ELNS1_11target_archE1030ELNS1_3gpuE2ELNS1_3repE0EEENS1_30default_config_static_selectorELNS0_4arch9wavefront6targetE1EEEvT1_,@function
_ZN7rocprim17ROCPRIM_400000_NS6detail17trampoline_kernelINS0_14default_configENS1_25partition_config_selectorILNS1_17partition_subalgoE8EyNS0_10empty_typeEbEEZZNS1_14partition_implILS5_8ELb0ES3_jN6thrust23THRUST_200600_302600_NS6detail15normal_iteratorINSA_10device_ptrIyEEEEPS6_PKS6_NS0_5tupleIJSF_S6_EEENSJ_IJSG_SG_EEENS0_18inequality_wrapperI22is_equal_div_10_uniqueIyEEEPmJS6_EEE10hipError_tPvRmT3_T4_T5_T6_T7_T9_mT8_P12ihipStream_tbDpT10_ENKUlT_T0_E_clISt17integral_constantIbLb0EES1A_EEDaS15_S16_EUlS15_E_NS1_11comp_targetILNS1_3genE8ELNS1_11target_archE1030ELNS1_3gpuE2ELNS1_3repE0EEENS1_30default_config_static_selectorELNS0_4arch9wavefront6targetE1EEEvT1_: ; @_ZN7rocprim17ROCPRIM_400000_NS6detail17trampoline_kernelINS0_14default_configENS1_25partition_config_selectorILNS1_17partition_subalgoE8EyNS0_10empty_typeEbEEZZNS1_14partition_implILS5_8ELb0ES3_jN6thrust23THRUST_200600_302600_NS6detail15normal_iteratorINSA_10device_ptrIyEEEEPS6_PKS6_NS0_5tupleIJSF_S6_EEENSJ_IJSG_SG_EEENS0_18inequality_wrapperI22is_equal_div_10_uniqueIyEEEPmJS6_EEE10hipError_tPvRmT3_T4_T5_T6_T7_T9_mT8_P12ihipStream_tbDpT10_ENKUlT_T0_E_clISt17integral_constantIbLb0EES1A_EEDaS15_S16_EUlS15_E_NS1_11comp_targetILNS1_3genE8ELNS1_11target_archE1030ELNS1_3gpuE2ELNS1_3repE0EEENS1_30default_config_static_selectorELNS0_4arch9wavefront6targetE1EEEvT1_
; %bb.0:
	.section	.rodata,"a",@progbits
	.p2align	6, 0x0
	.amdhsa_kernel _ZN7rocprim17ROCPRIM_400000_NS6detail17trampoline_kernelINS0_14default_configENS1_25partition_config_selectorILNS1_17partition_subalgoE8EyNS0_10empty_typeEbEEZZNS1_14partition_implILS5_8ELb0ES3_jN6thrust23THRUST_200600_302600_NS6detail15normal_iteratorINSA_10device_ptrIyEEEEPS6_PKS6_NS0_5tupleIJSF_S6_EEENSJ_IJSG_SG_EEENS0_18inequality_wrapperI22is_equal_div_10_uniqueIyEEEPmJS6_EEE10hipError_tPvRmT3_T4_T5_T6_T7_T9_mT8_P12ihipStream_tbDpT10_ENKUlT_T0_E_clISt17integral_constantIbLb0EES1A_EEDaS15_S16_EUlS15_E_NS1_11comp_targetILNS1_3genE8ELNS1_11target_archE1030ELNS1_3gpuE2ELNS1_3repE0EEENS1_30default_config_static_selectorELNS0_4arch9wavefront6targetE1EEEvT1_
		.amdhsa_group_segment_fixed_size 0
		.amdhsa_private_segment_fixed_size 0
		.amdhsa_kernarg_size 112
		.amdhsa_user_sgpr_count 6
		.amdhsa_user_sgpr_private_segment_buffer 1
		.amdhsa_user_sgpr_dispatch_ptr 0
		.amdhsa_user_sgpr_queue_ptr 0
		.amdhsa_user_sgpr_kernarg_segment_ptr 1
		.amdhsa_user_sgpr_dispatch_id 0
		.amdhsa_user_sgpr_flat_scratch_init 0
		.amdhsa_user_sgpr_private_segment_size 0
		.amdhsa_uses_dynamic_stack 0
		.amdhsa_system_sgpr_private_segment_wavefront_offset 0
		.amdhsa_system_sgpr_workgroup_id_x 1
		.amdhsa_system_sgpr_workgroup_id_y 0
		.amdhsa_system_sgpr_workgroup_id_z 0
		.amdhsa_system_sgpr_workgroup_info 0
		.amdhsa_system_vgpr_workitem_id 0
		.amdhsa_next_free_vgpr 1
		.amdhsa_next_free_sgpr 0
		.amdhsa_reserve_vcc 0
		.amdhsa_reserve_flat_scratch 0
		.amdhsa_float_round_mode_32 0
		.amdhsa_float_round_mode_16_64 0
		.amdhsa_float_denorm_mode_32 3
		.amdhsa_float_denorm_mode_16_64 3
		.amdhsa_dx10_clamp 1
		.amdhsa_ieee_mode 1
		.amdhsa_fp16_overflow 0
		.amdhsa_exception_fp_ieee_invalid_op 0
		.amdhsa_exception_fp_denorm_src 0
		.amdhsa_exception_fp_ieee_div_zero 0
		.amdhsa_exception_fp_ieee_overflow 0
		.amdhsa_exception_fp_ieee_underflow 0
		.amdhsa_exception_fp_ieee_inexact 0
		.amdhsa_exception_int_div_zero 0
	.end_amdhsa_kernel
	.section	.text._ZN7rocprim17ROCPRIM_400000_NS6detail17trampoline_kernelINS0_14default_configENS1_25partition_config_selectorILNS1_17partition_subalgoE8EyNS0_10empty_typeEbEEZZNS1_14partition_implILS5_8ELb0ES3_jN6thrust23THRUST_200600_302600_NS6detail15normal_iteratorINSA_10device_ptrIyEEEEPS6_PKS6_NS0_5tupleIJSF_S6_EEENSJ_IJSG_SG_EEENS0_18inequality_wrapperI22is_equal_div_10_uniqueIyEEEPmJS6_EEE10hipError_tPvRmT3_T4_T5_T6_T7_T9_mT8_P12ihipStream_tbDpT10_ENKUlT_T0_E_clISt17integral_constantIbLb0EES1A_EEDaS15_S16_EUlS15_E_NS1_11comp_targetILNS1_3genE8ELNS1_11target_archE1030ELNS1_3gpuE2ELNS1_3repE0EEENS1_30default_config_static_selectorELNS0_4arch9wavefront6targetE1EEEvT1_,"axG",@progbits,_ZN7rocprim17ROCPRIM_400000_NS6detail17trampoline_kernelINS0_14default_configENS1_25partition_config_selectorILNS1_17partition_subalgoE8EyNS0_10empty_typeEbEEZZNS1_14partition_implILS5_8ELb0ES3_jN6thrust23THRUST_200600_302600_NS6detail15normal_iteratorINSA_10device_ptrIyEEEEPS6_PKS6_NS0_5tupleIJSF_S6_EEENSJ_IJSG_SG_EEENS0_18inequality_wrapperI22is_equal_div_10_uniqueIyEEEPmJS6_EEE10hipError_tPvRmT3_T4_T5_T6_T7_T9_mT8_P12ihipStream_tbDpT10_ENKUlT_T0_E_clISt17integral_constantIbLb0EES1A_EEDaS15_S16_EUlS15_E_NS1_11comp_targetILNS1_3genE8ELNS1_11target_archE1030ELNS1_3gpuE2ELNS1_3repE0EEENS1_30default_config_static_selectorELNS0_4arch9wavefront6targetE1EEEvT1_,comdat
.Lfunc_end184:
	.size	_ZN7rocprim17ROCPRIM_400000_NS6detail17trampoline_kernelINS0_14default_configENS1_25partition_config_selectorILNS1_17partition_subalgoE8EyNS0_10empty_typeEbEEZZNS1_14partition_implILS5_8ELb0ES3_jN6thrust23THRUST_200600_302600_NS6detail15normal_iteratorINSA_10device_ptrIyEEEEPS6_PKS6_NS0_5tupleIJSF_S6_EEENSJ_IJSG_SG_EEENS0_18inequality_wrapperI22is_equal_div_10_uniqueIyEEEPmJS6_EEE10hipError_tPvRmT3_T4_T5_T6_T7_T9_mT8_P12ihipStream_tbDpT10_ENKUlT_T0_E_clISt17integral_constantIbLb0EES1A_EEDaS15_S16_EUlS15_E_NS1_11comp_targetILNS1_3genE8ELNS1_11target_archE1030ELNS1_3gpuE2ELNS1_3repE0EEENS1_30default_config_static_selectorELNS0_4arch9wavefront6targetE1EEEvT1_, .Lfunc_end184-_ZN7rocprim17ROCPRIM_400000_NS6detail17trampoline_kernelINS0_14default_configENS1_25partition_config_selectorILNS1_17partition_subalgoE8EyNS0_10empty_typeEbEEZZNS1_14partition_implILS5_8ELb0ES3_jN6thrust23THRUST_200600_302600_NS6detail15normal_iteratorINSA_10device_ptrIyEEEEPS6_PKS6_NS0_5tupleIJSF_S6_EEENSJ_IJSG_SG_EEENS0_18inequality_wrapperI22is_equal_div_10_uniqueIyEEEPmJS6_EEE10hipError_tPvRmT3_T4_T5_T6_T7_T9_mT8_P12ihipStream_tbDpT10_ENKUlT_T0_E_clISt17integral_constantIbLb0EES1A_EEDaS15_S16_EUlS15_E_NS1_11comp_targetILNS1_3genE8ELNS1_11target_archE1030ELNS1_3gpuE2ELNS1_3repE0EEENS1_30default_config_static_selectorELNS0_4arch9wavefront6targetE1EEEvT1_
                                        ; -- End function
	.set _ZN7rocprim17ROCPRIM_400000_NS6detail17trampoline_kernelINS0_14default_configENS1_25partition_config_selectorILNS1_17partition_subalgoE8EyNS0_10empty_typeEbEEZZNS1_14partition_implILS5_8ELb0ES3_jN6thrust23THRUST_200600_302600_NS6detail15normal_iteratorINSA_10device_ptrIyEEEEPS6_PKS6_NS0_5tupleIJSF_S6_EEENSJ_IJSG_SG_EEENS0_18inequality_wrapperI22is_equal_div_10_uniqueIyEEEPmJS6_EEE10hipError_tPvRmT3_T4_T5_T6_T7_T9_mT8_P12ihipStream_tbDpT10_ENKUlT_T0_E_clISt17integral_constantIbLb0EES1A_EEDaS15_S16_EUlS15_E_NS1_11comp_targetILNS1_3genE8ELNS1_11target_archE1030ELNS1_3gpuE2ELNS1_3repE0EEENS1_30default_config_static_selectorELNS0_4arch9wavefront6targetE1EEEvT1_.num_vgpr, 0
	.set _ZN7rocprim17ROCPRIM_400000_NS6detail17trampoline_kernelINS0_14default_configENS1_25partition_config_selectorILNS1_17partition_subalgoE8EyNS0_10empty_typeEbEEZZNS1_14partition_implILS5_8ELb0ES3_jN6thrust23THRUST_200600_302600_NS6detail15normal_iteratorINSA_10device_ptrIyEEEEPS6_PKS6_NS0_5tupleIJSF_S6_EEENSJ_IJSG_SG_EEENS0_18inequality_wrapperI22is_equal_div_10_uniqueIyEEEPmJS6_EEE10hipError_tPvRmT3_T4_T5_T6_T7_T9_mT8_P12ihipStream_tbDpT10_ENKUlT_T0_E_clISt17integral_constantIbLb0EES1A_EEDaS15_S16_EUlS15_E_NS1_11comp_targetILNS1_3genE8ELNS1_11target_archE1030ELNS1_3gpuE2ELNS1_3repE0EEENS1_30default_config_static_selectorELNS0_4arch9wavefront6targetE1EEEvT1_.num_agpr, 0
	.set _ZN7rocprim17ROCPRIM_400000_NS6detail17trampoline_kernelINS0_14default_configENS1_25partition_config_selectorILNS1_17partition_subalgoE8EyNS0_10empty_typeEbEEZZNS1_14partition_implILS5_8ELb0ES3_jN6thrust23THRUST_200600_302600_NS6detail15normal_iteratorINSA_10device_ptrIyEEEEPS6_PKS6_NS0_5tupleIJSF_S6_EEENSJ_IJSG_SG_EEENS0_18inequality_wrapperI22is_equal_div_10_uniqueIyEEEPmJS6_EEE10hipError_tPvRmT3_T4_T5_T6_T7_T9_mT8_P12ihipStream_tbDpT10_ENKUlT_T0_E_clISt17integral_constantIbLb0EES1A_EEDaS15_S16_EUlS15_E_NS1_11comp_targetILNS1_3genE8ELNS1_11target_archE1030ELNS1_3gpuE2ELNS1_3repE0EEENS1_30default_config_static_selectorELNS0_4arch9wavefront6targetE1EEEvT1_.numbered_sgpr, 0
	.set _ZN7rocprim17ROCPRIM_400000_NS6detail17trampoline_kernelINS0_14default_configENS1_25partition_config_selectorILNS1_17partition_subalgoE8EyNS0_10empty_typeEbEEZZNS1_14partition_implILS5_8ELb0ES3_jN6thrust23THRUST_200600_302600_NS6detail15normal_iteratorINSA_10device_ptrIyEEEEPS6_PKS6_NS0_5tupleIJSF_S6_EEENSJ_IJSG_SG_EEENS0_18inequality_wrapperI22is_equal_div_10_uniqueIyEEEPmJS6_EEE10hipError_tPvRmT3_T4_T5_T6_T7_T9_mT8_P12ihipStream_tbDpT10_ENKUlT_T0_E_clISt17integral_constantIbLb0EES1A_EEDaS15_S16_EUlS15_E_NS1_11comp_targetILNS1_3genE8ELNS1_11target_archE1030ELNS1_3gpuE2ELNS1_3repE0EEENS1_30default_config_static_selectorELNS0_4arch9wavefront6targetE1EEEvT1_.num_named_barrier, 0
	.set _ZN7rocprim17ROCPRIM_400000_NS6detail17trampoline_kernelINS0_14default_configENS1_25partition_config_selectorILNS1_17partition_subalgoE8EyNS0_10empty_typeEbEEZZNS1_14partition_implILS5_8ELb0ES3_jN6thrust23THRUST_200600_302600_NS6detail15normal_iteratorINSA_10device_ptrIyEEEEPS6_PKS6_NS0_5tupleIJSF_S6_EEENSJ_IJSG_SG_EEENS0_18inequality_wrapperI22is_equal_div_10_uniqueIyEEEPmJS6_EEE10hipError_tPvRmT3_T4_T5_T6_T7_T9_mT8_P12ihipStream_tbDpT10_ENKUlT_T0_E_clISt17integral_constantIbLb0EES1A_EEDaS15_S16_EUlS15_E_NS1_11comp_targetILNS1_3genE8ELNS1_11target_archE1030ELNS1_3gpuE2ELNS1_3repE0EEENS1_30default_config_static_selectorELNS0_4arch9wavefront6targetE1EEEvT1_.private_seg_size, 0
	.set _ZN7rocprim17ROCPRIM_400000_NS6detail17trampoline_kernelINS0_14default_configENS1_25partition_config_selectorILNS1_17partition_subalgoE8EyNS0_10empty_typeEbEEZZNS1_14partition_implILS5_8ELb0ES3_jN6thrust23THRUST_200600_302600_NS6detail15normal_iteratorINSA_10device_ptrIyEEEEPS6_PKS6_NS0_5tupleIJSF_S6_EEENSJ_IJSG_SG_EEENS0_18inequality_wrapperI22is_equal_div_10_uniqueIyEEEPmJS6_EEE10hipError_tPvRmT3_T4_T5_T6_T7_T9_mT8_P12ihipStream_tbDpT10_ENKUlT_T0_E_clISt17integral_constantIbLb0EES1A_EEDaS15_S16_EUlS15_E_NS1_11comp_targetILNS1_3genE8ELNS1_11target_archE1030ELNS1_3gpuE2ELNS1_3repE0EEENS1_30default_config_static_selectorELNS0_4arch9wavefront6targetE1EEEvT1_.uses_vcc, 0
	.set _ZN7rocprim17ROCPRIM_400000_NS6detail17trampoline_kernelINS0_14default_configENS1_25partition_config_selectorILNS1_17partition_subalgoE8EyNS0_10empty_typeEbEEZZNS1_14partition_implILS5_8ELb0ES3_jN6thrust23THRUST_200600_302600_NS6detail15normal_iteratorINSA_10device_ptrIyEEEEPS6_PKS6_NS0_5tupleIJSF_S6_EEENSJ_IJSG_SG_EEENS0_18inequality_wrapperI22is_equal_div_10_uniqueIyEEEPmJS6_EEE10hipError_tPvRmT3_T4_T5_T6_T7_T9_mT8_P12ihipStream_tbDpT10_ENKUlT_T0_E_clISt17integral_constantIbLb0EES1A_EEDaS15_S16_EUlS15_E_NS1_11comp_targetILNS1_3genE8ELNS1_11target_archE1030ELNS1_3gpuE2ELNS1_3repE0EEENS1_30default_config_static_selectorELNS0_4arch9wavefront6targetE1EEEvT1_.uses_flat_scratch, 0
	.set _ZN7rocprim17ROCPRIM_400000_NS6detail17trampoline_kernelINS0_14default_configENS1_25partition_config_selectorILNS1_17partition_subalgoE8EyNS0_10empty_typeEbEEZZNS1_14partition_implILS5_8ELb0ES3_jN6thrust23THRUST_200600_302600_NS6detail15normal_iteratorINSA_10device_ptrIyEEEEPS6_PKS6_NS0_5tupleIJSF_S6_EEENSJ_IJSG_SG_EEENS0_18inequality_wrapperI22is_equal_div_10_uniqueIyEEEPmJS6_EEE10hipError_tPvRmT3_T4_T5_T6_T7_T9_mT8_P12ihipStream_tbDpT10_ENKUlT_T0_E_clISt17integral_constantIbLb0EES1A_EEDaS15_S16_EUlS15_E_NS1_11comp_targetILNS1_3genE8ELNS1_11target_archE1030ELNS1_3gpuE2ELNS1_3repE0EEENS1_30default_config_static_selectorELNS0_4arch9wavefront6targetE1EEEvT1_.has_dyn_sized_stack, 0
	.set _ZN7rocprim17ROCPRIM_400000_NS6detail17trampoline_kernelINS0_14default_configENS1_25partition_config_selectorILNS1_17partition_subalgoE8EyNS0_10empty_typeEbEEZZNS1_14partition_implILS5_8ELb0ES3_jN6thrust23THRUST_200600_302600_NS6detail15normal_iteratorINSA_10device_ptrIyEEEEPS6_PKS6_NS0_5tupleIJSF_S6_EEENSJ_IJSG_SG_EEENS0_18inequality_wrapperI22is_equal_div_10_uniqueIyEEEPmJS6_EEE10hipError_tPvRmT3_T4_T5_T6_T7_T9_mT8_P12ihipStream_tbDpT10_ENKUlT_T0_E_clISt17integral_constantIbLb0EES1A_EEDaS15_S16_EUlS15_E_NS1_11comp_targetILNS1_3genE8ELNS1_11target_archE1030ELNS1_3gpuE2ELNS1_3repE0EEENS1_30default_config_static_selectorELNS0_4arch9wavefront6targetE1EEEvT1_.has_recursion, 0
	.set _ZN7rocprim17ROCPRIM_400000_NS6detail17trampoline_kernelINS0_14default_configENS1_25partition_config_selectorILNS1_17partition_subalgoE8EyNS0_10empty_typeEbEEZZNS1_14partition_implILS5_8ELb0ES3_jN6thrust23THRUST_200600_302600_NS6detail15normal_iteratorINSA_10device_ptrIyEEEEPS6_PKS6_NS0_5tupleIJSF_S6_EEENSJ_IJSG_SG_EEENS0_18inequality_wrapperI22is_equal_div_10_uniqueIyEEEPmJS6_EEE10hipError_tPvRmT3_T4_T5_T6_T7_T9_mT8_P12ihipStream_tbDpT10_ENKUlT_T0_E_clISt17integral_constantIbLb0EES1A_EEDaS15_S16_EUlS15_E_NS1_11comp_targetILNS1_3genE8ELNS1_11target_archE1030ELNS1_3gpuE2ELNS1_3repE0EEENS1_30default_config_static_selectorELNS0_4arch9wavefront6targetE1EEEvT1_.has_indirect_call, 0
	.section	.AMDGPU.csdata,"",@progbits
; Kernel info:
; codeLenInByte = 0
; TotalNumSgprs: 4
; NumVgprs: 0
; ScratchSize: 0
; MemoryBound: 0
; FloatMode: 240
; IeeeMode: 1
; LDSByteSize: 0 bytes/workgroup (compile time only)
; SGPRBlocks: 0
; VGPRBlocks: 0
; NumSGPRsForWavesPerEU: 4
; NumVGPRsForWavesPerEU: 1
; Occupancy: 10
; WaveLimiterHint : 0
; COMPUTE_PGM_RSRC2:SCRATCH_EN: 0
; COMPUTE_PGM_RSRC2:USER_SGPR: 6
; COMPUTE_PGM_RSRC2:TRAP_HANDLER: 0
; COMPUTE_PGM_RSRC2:TGID_X_EN: 1
; COMPUTE_PGM_RSRC2:TGID_Y_EN: 0
; COMPUTE_PGM_RSRC2:TGID_Z_EN: 0
; COMPUTE_PGM_RSRC2:TIDIG_COMP_CNT: 0
	.section	.text._ZN7rocprim17ROCPRIM_400000_NS6detail17trampoline_kernelINS0_14default_configENS1_25partition_config_selectorILNS1_17partition_subalgoE8EyNS0_10empty_typeEbEEZZNS1_14partition_implILS5_8ELb0ES3_jN6thrust23THRUST_200600_302600_NS6detail15normal_iteratorINSA_10device_ptrIyEEEEPS6_PKS6_NS0_5tupleIJSF_S6_EEENSJ_IJSG_SG_EEENS0_18inequality_wrapperI22is_equal_div_10_uniqueIyEEEPmJS6_EEE10hipError_tPvRmT3_T4_T5_T6_T7_T9_mT8_P12ihipStream_tbDpT10_ENKUlT_T0_E_clISt17integral_constantIbLb1EES1A_EEDaS15_S16_EUlS15_E_NS1_11comp_targetILNS1_3genE0ELNS1_11target_archE4294967295ELNS1_3gpuE0ELNS1_3repE0EEENS1_30default_config_static_selectorELNS0_4arch9wavefront6targetE1EEEvT1_,"axG",@progbits,_ZN7rocprim17ROCPRIM_400000_NS6detail17trampoline_kernelINS0_14default_configENS1_25partition_config_selectorILNS1_17partition_subalgoE8EyNS0_10empty_typeEbEEZZNS1_14partition_implILS5_8ELb0ES3_jN6thrust23THRUST_200600_302600_NS6detail15normal_iteratorINSA_10device_ptrIyEEEEPS6_PKS6_NS0_5tupleIJSF_S6_EEENSJ_IJSG_SG_EEENS0_18inequality_wrapperI22is_equal_div_10_uniqueIyEEEPmJS6_EEE10hipError_tPvRmT3_T4_T5_T6_T7_T9_mT8_P12ihipStream_tbDpT10_ENKUlT_T0_E_clISt17integral_constantIbLb1EES1A_EEDaS15_S16_EUlS15_E_NS1_11comp_targetILNS1_3genE0ELNS1_11target_archE4294967295ELNS1_3gpuE0ELNS1_3repE0EEENS1_30default_config_static_selectorELNS0_4arch9wavefront6targetE1EEEvT1_,comdat
	.protected	_ZN7rocprim17ROCPRIM_400000_NS6detail17trampoline_kernelINS0_14default_configENS1_25partition_config_selectorILNS1_17partition_subalgoE8EyNS0_10empty_typeEbEEZZNS1_14partition_implILS5_8ELb0ES3_jN6thrust23THRUST_200600_302600_NS6detail15normal_iteratorINSA_10device_ptrIyEEEEPS6_PKS6_NS0_5tupleIJSF_S6_EEENSJ_IJSG_SG_EEENS0_18inequality_wrapperI22is_equal_div_10_uniqueIyEEEPmJS6_EEE10hipError_tPvRmT3_T4_T5_T6_T7_T9_mT8_P12ihipStream_tbDpT10_ENKUlT_T0_E_clISt17integral_constantIbLb1EES1A_EEDaS15_S16_EUlS15_E_NS1_11comp_targetILNS1_3genE0ELNS1_11target_archE4294967295ELNS1_3gpuE0ELNS1_3repE0EEENS1_30default_config_static_selectorELNS0_4arch9wavefront6targetE1EEEvT1_ ; -- Begin function _ZN7rocprim17ROCPRIM_400000_NS6detail17trampoline_kernelINS0_14default_configENS1_25partition_config_selectorILNS1_17partition_subalgoE8EyNS0_10empty_typeEbEEZZNS1_14partition_implILS5_8ELb0ES3_jN6thrust23THRUST_200600_302600_NS6detail15normal_iteratorINSA_10device_ptrIyEEEEPS6_PKS6_NS0_5tupleIJSF_S6_EEENSJ_IJSG_SG_EEENS0_18inequality_wrapperI22is_equal_div_10_uniqueIyEEEPmJS6_EEE10hipError_tPvRmT3_T4_T5_T6_T7_T9_mT8_P12ihipStream_tbDpT10_ENKUlT_T0_E_clISt17integral_constantIbLb1EES1A_EEDaS15_S16_EUlS15_E_NS1_11comp_targetILNS1_3genE0ELNS1_11target_archE4294967295ELNS1_3gpuE0ELNS1_3repE0EEENS1_30default_config_static_selectorELNS0_4arch9wavefront6targetE1EEEvT1_
	.globl	_ZN7rocprim17ROCPRIM_400000_NS6detail17trampoline_kernelINS0_14default_configENS1_25partition_config_selectorILNS1_17partition_subalgoE8EyNS0_10empty_typeEbEEZZNS1_14partition_implILS5_8ELb0ES3_jN6thrust23THRUST_200600_302600_NS6detail15normal_iteratorINSA_10device_ptrIyEEEEPS6_PKS6_NS0_5tupleIJSF_S6_EEENSJ_IJSG_SG_EEENS0_18inequality_wrapperI22is_equal_div_10_uniqueIyEEEPmJS6_EEE10hipError_tPvRmT3_T4_T5_T6_T7_T9_mT8_P12ihipStream_tbDpT10_ENKUlT_T0_E_clISt17integral_constantIbLb1EES1A_EEDaS15_S16_EUlS15_E_NS1_11comp_targetILNS1_3genE0ELNS1_11target_archE4294967295ELNS1_3gpuE0ELNS1_3repE0EEENS1_30default_config_static_selectorELNS0_4arch9wavefront6targetE1EEEvT1_
	.p2align	8
	.type	_ZN7rocprim17ROCPRIM_400000_NS6detail17trampoline_kernelINS0_14default_configENS1_25partition_config_selectorILNS1_17partition_subalgoE8EyNS0_10empty_typeEbEEZZNS1_14partition_implILS5_8ELb0ES3_jN6thrust23THRUST_200600_302600_NS6detail15normal_iteratorINSA_10device_ptrIyEEEEPS6_PKS6_NS0_5tupleIJSF_S6_EEENSJ_IJSG_SG_EEENS0_18inequality_wrapperI22is_equal_div_10_uniqueIyEEEPmJS6_EEE10hipError_tPvRmT3_T4_T5_T6_T7_T9_mT8_P12ihipStream_tbDpT10_ENKUlT_T0_E_clISt17integral_constantIbLb1EES1A_EEDaS15_S16_EUlS15_E_NS1_11comp_targetILNS1_3genE0ELNS1_11target_archE4294967295ELNS1_3gpuE0ELNS1_3repE0EEENS1_30default_config_static_selectorELNS0_4arch9wavefront6targetE1EEEvT1_,@function
_ZN7rocprim17ROCPRIM_400000_NS6detail17trampoline_kernelINS0_14default_configENS1_25partition_config_selectorILNS1_17partition_subalgoE8EyNS0_10empty_typeEbEEZZNS1_14partition_implILS5_8ELb0ES3_jN6thrust23THRUST_200600_302600_NS6detail15normal_iteratorINSA_10device_ptrIyEEEEPS6_PKS6_NS0_5tupleIJSF_S6_EEENSJ_IJSG_SG_EEENS0_18inequality_wrapperI22is_equal_div_10_uniqueIyEEEPmJS6_EEE10hipError_tPvRmT3_T4_T5_T6_T7_T9_mT8_P12ihipStream_tbDpT10_ENKUlT_T0_E_clISt17integral_constantIbLb1EES1A_EEDaS15_S16_EUlS15_E_NS1_11comp_targetILNS1_3genE0ELNS1_11target_archE4294967295ELNS1_3gpuE0ELNS1_3repE0EEENS1_30default_config_static_selectorELNS0_4arch9wavefront6targetE1EEEvT1_: ; @_ZN7rocprim17ROCPRIM_400000_NS6detail17trampoline_kernelINS0_14default_configENS1_25partition_config_selectorILNS1_17partition_subalgoE8EyNS0_10empty_typeEbEEZZNS1_14partition_implILS5_8ELb0ES3_jN6thrust23THRUST_200600_302600_NS6detail15normal_iteratorINSA_10device_ptrIyEEEEPS6_PKS6_NS0_5tupleIJSF_S6_EEENSJ_IJSG_SG_EEENS0_18inequality_wrapperI22is_equal_div_10_uniqueIyEEEPmJS6_EEE10hipError_tPvRmT3_T4_T5_T6_T7_T9_mT8_P12ihipStream_tbDpT10_ENKUlT_T0_E_clISt17integral_constantIbLb1EES1A_EEDaS15_S16_EUlS15_E_NS1_11comp_targetILNS1_3genE0ELNS1_11target_archE4294967295ELNS1_3gpuE0ELNS1_3repE0EEENS1_30default_config_static_selectorELNS0_4arch9wavefront6targetE1EEEvT1_
; %bb.0:
	.section	.rodata,"a",@progbits
	.p2align	6, 0x0
	.amdhsa_kernel _ZN7rocprim17ROCPRIM_400000_NS6detail17trampoline_kernelINS0_14default_configENS1_25partition_config_selectorILNS1_17partition_subalgoE8EyNS0_10empty_typeEbEEZZNS1_14partition_implILS5_8ELb0ES3_jN6thrust23THRUST_200600_302600_NS6detail15normal_iteratorINSA_10device_ptrIyEEEEPS6_PKS6_NS0_5tupleIJSF_S6_EEENSJ_IJSG_SG_EEENS0_18inequality_wrapperI22is_equal_div_10_uniqueIyEEEPmJS6_EEE10hipError_tPvRmT3_T4_T5_T6_T7_T9_mT8_P12ihipStream_tbDpT10_ENKUlT_T0_E_clISt17integral_constantIbLb1EES1A_EEDaS15_S16_EUlS15_E_NS1_11comp_targetILNS1_3genE0ELNS1_11target_archE4294967295ELNS1_3gpuE0ELNS1_3repE0EEENS1_30default_config_static_selectorELNS0_4arch9wavefront6targetE1EEEvT1_
		.amdhsa_group_segment_fixed_size 0
		.amdhsa_private_segment_fixed_size 0
		.amdhsa_kernarg_size 128
		.amdhsa_user_sgpr_count 6
		.amdhsa_user_sgpr_private_segment_buffer 1
		.amdhsa_user_sgpr_dispatch_ptr 0
		.amdhsa_user_sgpr_queue_ptr 0
		.amdhsa_user_sgpr_kernarg_segment_ptr 1
		.amdhsa_user_sgpr_dispatch_id 0
		.amdhsa_user_sgpr_flat_scratch_init 0
		.amdhsa_user_sgpr_private_segment_size 0
		.amdhsa_uses_dynamic_stack 0
		.amdhsa_system_sgpr_private_segment_wavefront_offset 0
		.amdhsa_system_sgpr_workgroup_id_x 1
		.amdhsa_system_sgpr_workgroup_id_y 0
		.amdhsa_system_sgpr_workgroup_id_z 0
		.amdhsa_system_sgpr_workgroup_info 0
		.amdhsa_system_vgpr_workitem_id 0
		.amdhsa_next_free_vgpr 1
		.amdhsa_next_free_sgpr 0
		.amdhsa_reserve_vcc 0
		.amdhsa_reserve_flat_scratch 0
		.amdhsa_float_round_mode_32 0
		.amdhsa_float_round_mode_16_64 0
		.amdhsa_float_denorm_mode_32 3
		.amdhsa_float_denorm_mode_16_64 3
		.amdhsa_dx10_clamp 1
		.amdhsa_ieee_mode 1
		.amdhsa_fp16_overflow 0
		.amdhsa_exception_fp_ieee_invalid_op 0
		.amdhsa_exception_fp_denorm_src 0
		.amdhsa_exception_fp_ieee_div_zero 0
		.amdhsa_exception_fp_ieee_overflow 0
		.amdhsa_exception_fp_ieee_underflow 0
		.amdhsa_exception_fp_ieee_inexact 0
		.amdhsa_exception_int_div_zero 0
	.end_amdhsa_kernel
	.section	.text._ZN7rocprim17ROCPRIM_400000_NS6detail17trampoline_kernelINS0_14default_configENS1_25partition_config_selectorILNS1_17partition_subalgoE8EyNS0_10empty_typeEbEEZZNS1_14partition_implILS5_8ELb0ES3_jN6thrust23THRUST_200600_302600_NS6detail15normal_iteratorINSA_10device_ptrIyEEEEPS6_PKS6_NS0_5tupleIJSF_S6_EEENSJ_IJSG_SG_EEENS0_18inequality_wrapperI22is_equal_div_10_uniqueIyEEEPmJS6_EEE10hipError_tPvRmT3_T4_T5_T6_T7_T9_mT8_P12ihipStream_tbDpT10_ENKUlT_T0_E_clISt17integral_constantIbLb1EES1A_EEDaS15_S16_EUlS15_E_NS1_11comp_targetILNS1_3genE0ELNS1_11target_archE4294967295ELNS1_3gpuE0ELNS1_3repE0EEENS1_30default_config_static_selectorELNS0_4arch9wavefront6targetE1EEEvT1_,"axG",@progbits,_ZN7rocprim17ROCPRIM_400000_NS6detail17trampoline_kernelINS0_14default_configENS1_25partition_config_selectorILNS1_17partition_subalgoE8EyNS0_10empty_typeEbEEZZNS1_14partition_implILS5_8ELb0ES3_jN6thrust23THRUST_200600_302600_NS6detail15normal_iteratorINSA_10device_ptrIyEEEEPS6_PKS6_NS0_5tupleIJSF_S6_EEENSJ_IJSG_SG_EEENS0_18inequality_wrapperI22is_equal_div_10_uniqueIyEEEPmJS6_EEE10hipError_tPvRmT3_T4_T5_T6_T7_T9_mT8_P12ihipStream_tbDpT10_ENKUlT_T0_E_clISt17integral_constantIbLb1EES1A_EEDaS15_S16_EUlS15_E_NS1_11comp_targetILNS1_3genE0ELNS1_11target_archE4294967295ELNS1_3gpuE0ELNS1_3repE0EEENS1_30default_config_static_selectorELNS0_4arch9wavefront6targetE1EEEvT1_,comdat
.Lfunc_end185:
	.size	_ZN7rocprim17ROCPRIM_400000_NS6detail17trampoline_kernelINS0_14default_configENS1_25partition_config_selectorILNS1_17partition_subalgoE8EyNS0_10empty_typeEbEEZZNS1_14partition_implILS5_8ELb0ES3_jN6thrust23THRUST_200600_302600_NS6detail15normal_iteratorINSA_10device_ptrIyEEEEPS6_PKS6_NS0_5tupleIJSF_S6_EEENSJ_IJSG_SG_EEENS0_18inequality_wrapperI22is_equal_div_10_uniqueIyEEEPmJS6_EEE10hipError_tPvRmT3_T4_T5_T6_T7_T9_mT8_P12ihipStream_tbDpT10_ENKUlT_T0_E_clISt17integral_constantIbLb1EES1A_EEDaS15_S16_EUlS15_E_NS1_11comp_targetILNS1_3genE0ELNS1_11target_archE4294967295ELNS1_3gpuE0ELNS1_3repE0EEENS1_30default_config_static_selectorELNS0_4arch9wavefront6targetE1EEEvT1_, .Lfunc_end185-_ZN7rocprim17ROCPRIM_400000_NS6detail17trampoline_kernelINS0_14default_configENS1_25partition_config_selectorILNS1_17partition_subalgoE8EyNS0_10empty_typeEbEEZZNS1_14partition_implILS5_8ELb0ES3_jN6thrust23THRUST_200600_302600_NS6detail15normal_iteratorINSA_10device_ptrIyEEEEPS6_PKS6_NS0_5tupleIJSF_S6_EEENSJ_IJSG_SG_EEENS0_18inequality_wrapperI22is_equal_div_10_uniqueIyEEEPmJS6_EEE10hipError_tPvRmT3_T4_T5_T6_T7_T9_mT8_P12ihipStream_tbDpT10_ENKUlT_T0_E_clISt17integral_constantIbLb1EES1A_EEDaS15_S16_EUlS15_E_NS1_11comp_targetILNS1_3genE0ELNS1_11target_archE4294967295ELNS1_3gpuE0ELNS1_3repE0EEENS1_30default_config_static_selectorELNS0_4arch9wavefront6targetE1EEEvT1_
                                        ; -- End function
	.set _ZN7rocprim17ROCPRIM_400000_NS6detail17trampoline_kernelINS0_14default_configENS1_25partition_config_selectorILNS1_17partition_subalgoE8EyNS0_10empty_typeEbEEZZNS1_14partition_implILS5_8ELb0ES3_jN6thrust23THRUST_200600_302600_NS6detail15normal_iteratorINSA_10device_ptrIyEEEEPS6_PKS6_NS0_5tupleIJSF_S6_EEENSJ_IJSG_SG_EEENS0_18inequality_wrapperI22is_equal_div_10_uniqueIyEEEPmJS6_EEE10hipError_tPvRmT3_T4_T5_T6_T7_T9_mT8_P12ihipStream_tbDpT10_ENKUlT_T0_E_clISt17integral_constantIbLb1EES1A_EEDaS15_S16_EUlS15_E_NS1_11comp_targetILNS1_3genE0ELNS1_11target_archE4294967295ELNS1_3gpuE0ELNS1_3repE0EEENS1_30default_config_static_selectorELNS0_4arch9wavefront6targetE1EEEvT1_.num_vgpr, 0
	.set _ZN7rocprim17ROCPRIM_400000_NS6detail17trampoline_kernelINS0_14default_configENS1_25partition_config_selectorILNS1_17partition_subalgoE8EyNS0_10empty_typeEbEEZZNS1_14partition_implILS5_8ELb0ES3_jN6thrust23THRUST_200600_302600_NS6detail15normal_iteratorINSA_10device_ptrIyEEEEPS6_PKS6_NS0_5tupleIJSF_S6_EEENSJ_IJSG_SG_EEENS0_18inequality_wrapperI22is_equal_div_10_uniqueIyEEEPmJS6_EEE10hipError_tPvRmT3_T4_T5_T6_T7_T9_mT8_P12ihipStream_tbDpT10_ENKUlT_T0_E_clISt17integral_constantIbLb1EES1A_EEDaS15_S16_EUlS15_E_NS1_11comp_targetILNS1_3genE0ELNS1_11target_archE4294967295ELNS1_3gpuE0ELNS1_3repE0EEENS1_30default_config_static_selectorELNS0_4arch9wavefront6targetE1EEEvT1_.num_agpr, 0
	.set _ZN7rocprim17ROCPRIM_400000_NS6detail17trampoline_kernelINS0_14default_configENS1_25partition_config_selectorILNS1_17partition_subalgoE8EyNS0_10empty_typeEbEEZZNS1_14partition_implILS5_8ELb0ES3_jN6thrust23THRUST_200600_302600_NS6detail15normal_iteratorINSA_10device_ptrIyEEEEPS6_PKS6_NS0_5tupleIJSF_S6_EEENSJ_IJSG_SG_EEENS0_18inequality_wrapperI22is_equal_div_10_uniqueIyEEEPmJS6_EEE10hipError_tPvRmT3_T4_T5_T6_T7_T9_mT8_P12ihipStream_tbDpT10_ENKUlT_T0_E_clISt17integral_constantIbLb1EES1A_EEDaS15_S16_EUlS15_E_NS1_11comp_targetILNS1_3genE0ELNS1_11target_archE4294967295ELNS1_3gpuE0ELNS1_3repE0EEENS1_30default_config_static_selectorELNS0_4arch9wavefront6targetE1EEEvT1_.numbered_sgpr, 0
	.set _ZN7rocprim17ROCPRIM_400000_NS6detail17trampoline_kernelINS0_14default_configENS1_25partition_config_selectorILNS1_17partition_subalgoE8EyNS0_10empty_typeEbEEZZNS1_14partition_implILS5_8ELb0ES3_jN6thrust23THRUST_200600_302600_NS6detail15normal_iteratorINSA_10device_ptrIyEEEEPS6_PKS6_NS0_5tupleIJSF_S6_EEENSJ_IJSG_SG_EEENS0_18inequality_wrapperI22is_equal_div_10_uniqueIyEEEPmJS6_EEE10hipError_tPvRmT3_T4_T5_T6_T7_T9_mT8_P12ihipStream_tbDpT10_ENKUlT_T0_E_clISt17integral_constantIbLb1EES1A_EEDaS15_S16_EUlS15_E_NS1_11comp_targetILNS1_3genE0ELNS1_11target_archE4294967295ELNS1_3gpuE0ELNS1_3repE0EEENS1_30default_config_static_selectorELNS0_4arch9wavefront6targetE1EEEvT1_.num_named_barrier, 0
	.set _ZN7rocprim17ROCPRIM_400000_NS6detail17trampoline_kernelINS0_14default_configENS1_25partition_config_selectorILNS1_17partition_subalgoE8EyNS0_10empty_typeEbEEZZNS1_14partition_implILS5_8ELb0ES3_jN6thrust23THRUST_200600_302600_NS6detail15normal_iteratorINSA_10device_ptrIyEEEEPS6_PKS6_NS0_5tupleIJSF_S6_EEENSJ_IJSG_SG_EEENS0_18inequality_wrapperI22is_equal_div_10_uniqueIyEEEPmJS6_EEE10hipError_tPvRmT3_T4_T5_T6_T7_T9_mT8_P12ihipStream_tbDpT10_ENKUlT_T0_E_clISt17integral_constantIbLb1EES1A_EEDaS15_S16_EUlS15_E_NS1_11comp_targetILNS1_3genE0ELNS1_11target_archE4294967295ELNS1_3gpuE0ELNS1_3repE0EEENS1_30default_config_static_selectorELNS0_4arch9wavefront6targetE1EEEvT1_.private_seg_size, 0
	.set _ZN7rocprim17ROCPRIM_400000_NS6detail17trampoline_kernelINS0_14default_configENS1_25partition_config_selectorILNS1_17partition_subalgoE8EyNS0_10empty_typeEbEEZZNS1_14partition_implILS5_8ELb0ES3_jN6thrust23THRUST_200600_302600_NS6detail15normal_iteratorINSA_10device_ptrIyEEEEPS6_PKS6_NS0_5tupleIJSF_S6_EEENSJ_IJSG_SG_EEENS0_18inequality_wrapperI22is_equal_div_10_uniqueIyEEEPmJS6_EEE10hipError_tPvRmT3_T4_T5_T6_T7_T9_mT8_P12ihipStream_tbDpT10_ENKUlT_T0_E_clISt17integral_constantIbLb1EES1A_EEDaS15_S16_EUlS15_E_NS1_11comp_targetILNS1_3genE0ELNS1_11target_archE4294967295ELNS1_3gpuE0ELNS1_3repE0EEENS1_30default_config_static_selectorELNS0_4arch9wavefront6targetE1EEEvT1_.uses_vcc, 0
	.set _ZN7rocprim17ROCPRIM_400000_NS6detail17trampoline_kernelINS0_14default_configENS1_25partition_config_selectorILNS1_17partition_subalgoE8EyNS0_10empty_typeEbEEZZNS1_14partition_implILS5_8ELb0ES3_jN6thrust23THRUST_200600_302600_NS6detail15normal_iteratorINSA_10device_ptrIyEEEEPS6_PKS6_NS0_5tupleIJSF_S6_EEENSJ_IJSG_SG_EEENS0_18inequality_wrapperI22is_equal_div_10_uniqueIyEEEPmJS6_EEE10hipError_tPvRmT3_T4_T5_T6_T7_T9_mT8_P12ihipStream_tbDpT10_ENKUlT_T0_E_clISt17integral_constantIbLb1EES1A_EEDaS15_S16_EUlS15_E_NS1_11comp_targetILNS1_3genE0ELNS1_11target_archE4294967295ELNS1_3gpuE0ELNS1_3repE0EEENS1_30default_config_static_selectorELNS0_4arch9wavefront6targetE1EEEvT1_.uses_flat_scratch, 0
	.set _ZN7rocprim17ROCPRIM_400000_NS6detail17trampoline_kernelINS0_14default_configENS1_25partition_config_selectorILNS1_17partition_subalgoE8EyNS0_10empty_typeEbEEZZNS1_14partition_implILS5_8ELb0ES3_jN6thrust23THRUST_200600_302600_NS6detail15normal_iteratorINSA_10device_ptrIyEEEEPS6_PKS6_NS0_5tupleIJSF_S6_EEENSJ_IJSG_SG_EEENS0_18inequality_wrapperI22is_equal_div_10_uniqueIyEEEPmJS6_EEE10hipError_tPvRmT3_T4_T5_T6_T7_T9_mT8_P12ihipStream_tbDpT10_ENKUlT_T0_E_clISt17integral_constantIbLb1EES1A_EEDaS15_S16_EUlS15_E_NS1_11comp_targetILNS1_3genE0ELNS1_11target_archE4294967295ELNS1_3gpuE0ELNS1_3repE0EEENS1_30default_config_static_selectorELNS0_4arch9wavefront6targetE1EEEvT1_.has_dyn_sized_stack, 0
	.set _ZN7rocprim17ROCPRIM_400000_NS6detail17trampoline_kernelINS0_14default_configENS1_25partition_config_selectorILNS1_17partition_subalgoE8EyNS0_10empty_typeEbEEZZNS1_14partition_implILS5_8ELb0ES3_jN6thrust23THRUST_200600_302600_NS6detail15normal_iteratorINSA_10device_ptrIyEEEEPS6_PKS6_NS0_5tupleIJSF_S6_EEENSJ_IJSG_SG_EEENS0_18inequality_wrapperI22is_equal_div_10_uniqueIyEEEPmJS6_EEE10hipError_tPvRmT3_T4_T5_T6_T7_T9_mT8_P12ihipStream_tbDpT10_ENKUlT_T0_E_clISt17integral_constantIbLb1EES1A_EEDaS15_S16_EUlS15_E_NS1_11comp_targetILNS1_3genE0ELNS1_11target_archE4294967295ELNS1_3gpuE0ELNS1_3repE0EEENS1_30default_config_static_selectorELNS0_4arch9wavefront6targetE1EEEvT1_.has_recursion, 0
	.set _ZN7rocprim17ROCPRIM_400000_NS6detail17trampoline_kernelINS0_14default_configENS1_25partition_config_selectorILNS1_17partition_subalgoE8EyNS0_10empty_typeEbEEZZNS1_14partition_implILS5_8ELb0ES3_jN6thrust23THRUST_200600_302600_NS6detail15normal_iteratorINSA_10device_ptrIyEEEEPS6_PKS6_NS0_5tupleIJSF_S6_EEENSJ_IJSG_SG_EEENS0_18inequality_wrapperI22is_equal_div_10_uniqueIyEEEPmJS6_EEE10hipError_tPvRmT3_T4_T5_T6_T7_T9_mT8_P12ihipStream_tbDpT10_ENKUlT_T0_E_clISt17integral_constantIbLb1EES1A_EEDaS15_S16_EUlS15_E_NS1_11comp_targetILNS1_3genE0ELNS1_11target_archE4294967295ELNS1_3gpuE0ELNS1_3repE0EEENS1_30default_config_static_selectorELNS0_4arch9wavefront6targetE1EEEvT1_.has_indirect_call, 0
	.section	.AMDGPU.csdata,"",@progbits
; Kernel info:
; codeLenInByte = 0
; TotalNumSgprs: 4
; NumVgprs: 0
; ScratchSize: 0
; MemoryBound: 0
; FloatMode: 240
; IeeeMode: 1
; LDSByteSize: 0 bytes/workgroup (compile time only)
; SGPRBlocks: 0
; VGPRBlocks: 0
; NumSGPRsForWavesPerEU: 4
; NumVGPRsForWavesPerEU: 1
; Occupancy: 10
; WaveLimiterHint : 0
; COMPUTE_PGM_RSRC2:SCRATCH_EN: 0
; COMPUTE_PGM_RSRC2:USER_SGPR: 6
; COMPUTE_PGM_RSRC2:TRAP_HANDLER: 0
; COMPUTE_PGM_RSRC2:TGID_X_EN: 1
; COMPUTE_PGM_RSRC2:TGID_Y_EN: 0
; COMPUTE_PGM_RSRC2:TGID_Z_EN: 0
; COMPUTE_PGM_RSRC2:TIDIG_COMP_CNT: 0
	.section	.text._ZN7rocprim17ROCPRIM_400000_NS6detail17trampoline_kernelINS0_14default_configENS1_25partition_config_selectorILNS1_17partition_subalgoE8EyNS0_10empty_typeEbEEZZNS1_14partition_implILS5_8ELb0ES3_jN6thrust23THRUST_200600_302600_NS6detail15normal_iteratorINSA_10device_ptrIyEEEEPS6_PKS6_NS0_5tupleIJSF_S6_EEENSJ_IJSG_SG_EEENS0_18inequality_wrapperI22is_equal_div_10_uniqueIyEEEPmJS6_EEE10hipError_tPvRmT3_T4_T5_T6_T7_T9_mT8_P12ihipStream_tbDpT10_ENKUlT_T0_E_clISt17integral_constantIbLb1EES1A_EEDaS15_S16_EUlS15_E_NS1_11comp_targetILNS1_3genE5ELNS1_11target_archE942ELNS1_3gpuE9ELNS1_3repE0EEENS1_30default_config_static_selectorELNS0_4arch9wavefront6targetE1EEEvT1_,"axG",@progbits,_ZN7rocprim17ROCPRIM_400000_NS6detail17trampoline_kernelINS0_14default_configENS1_25partition_config_selectorILNS1_17partition_subalgoE8EyNS0_10empty_typeEbEEZZNS1_14partition_implILS5_8ELb0ES3_jN6thrust23THRUST_200600_302600_NS6detail15normal_iteratorINSA_10device_ptrIyEEEEPS6_PKS6_NS0_5tupleIJSF_S6_EEENSJ_IJSG_SG_EEENS0_18inequality_wrapperI22is_equal_div_10_uniqueIyEEEPmJS6_EEE10hipError_tPvRmT3_T4_T5_T6_T7_T9_mT8_P12ihipStream_tbDpT10_ENKUlT_T0_E_clISt17integral_constantIbLb1EES1A_EEDaS15_S16_EUlS15_E_NS1_11comp_targetILNS1_3genE5ELNS1_11target_archE942ELNS1_3gpuE9ELNS1_3repE0EEENS1_30default_config_static_selectorELNS0_4arch9wavefront6targetE1EEEvT1_,comdat
	.protected	_ZN7rocprim17ROCPRIM_400000_NS6detail17trampoline_kernelINS0_14default_configENS1_25partition_config_selectorILNS1_17partition_subalgoE8EyNS0_10empty_typeEbEEZZNS1_14partition_implILS5_8ELb0ES3_jN6thrust23THRUST_200600_302600_NS6detail15normal_iteratorINSA_10device_ptrIyEEEEPS6_PKS6_NS0_5tupleIJSF_S6_EEENSJ_IJSG_SG_EEENS0_18inequality_wrapperI22is_equal_div_10_uniqueIyEEEPmJS6_EEE10hipError_tPvRmT3_T4_T5_T6_T7_T9_mT8_P12ihipStream_tbDpT10_ENKUlT_T0_E_clISt17integral_constantIbLb1EES1A_EEDaS15_S16_EUlS15_E_NS1_11comp_targetILNS1_3genE5ELNS1_11target_archE942ELNS1_3gpuE9ELNS1_3repE0EEENS1_30default_config_static_selectorELNS0_4arch9wavefront6targetE1EEEvT1_ ; -- Begin function _ZN7rocprim17ROCPRIM_400000_NS6detail17trampoline_kernelINS0_14default_configENS1_25partition_config_selectorILNS1_17partition_subalgoE8EyNS0_10empty_typeEbEEZZNS1_14partition_implILS5_8ELb0ES3_jN6thrust23THRUST_200600_302600_NS6detail15normal_iteratorINSA_10device_ptrIyEEEEPS6_PKS6_NS0_5tupleIJSF_S6_EEENSJ_IJSG_SG_EEENS0_18inequality_wrapperI22is_equal_div_10_uniqueIyEEEPmJS6_EEE10hipError_tPvRmT3_T4_T5_T6_T7_T9_mT8_P12ihipStream_tbDpT10_ENKUlT_T0_E_clISt17integral_constantIbLb1EES1A_EEDaS15_S16_EUlS15_E_NS1_11comp_targetILNS1_3genE5ELNS1_11target_archE942ELNS1_3gpuE9ELNS1_3repE0EEENS1_30default_config_static_selectorELNS0_4arch9wavefront6targetE1EEEvT1_
	.globl	_ZN7rocprim17ROCPRIM_400000_NS6detail17trampoline_kernelINS0_14default_configENS1_25partition_config_selectorILNS1_17partition_subalgoE8EyNS0_10empty_typeEbEEZZNS1_14partition_implILS5_8ELb0ES3_jN6thrust23THRUST_200600_302600_NS6detail15normal_iteratorINSA_10device_ptrIyEEEEPS6_PKS6_NS0_5tupleIJSF_S6_EEENSJ_IJSG_SG_EEENS0_18inequality_wrapperI22is_equal_div_10_uniqueIyEEEPmJS6_EEE10hipError_tPvRmT3_T4_T5_T6_T7_T9_mT8_P12ihipStream_tbDpT10_ENKUlT_T0_E_clISt17integral_constantIbLb1EES1A_EEDaS15_S16_EUlS15_E_NS1_11comp_targetILNS1_3genE5ELNS1_11target_archE942ELNS1_3gpuE9ELNS1_3repE0EEENS1_30default_config_static_selectorELNS0_4arch9wavefront6targetE1EEEvT1_
	.p2align	8
	.type	_ZN7rocprim17ROCPRIM_400000_NS6detail17trampoline_kernelINS0_14default_configENS1_25partition_config_selectorILNS1_17partition_subalgoE8EyNS0_10empty_typeEbEEZZNS1_14partition_implILS5_8ELb0ES3_jN6thrust23THRUST_200600_302600_NS6detail15normal_iteratorINSA_10device_ptrIyEEEEPS6_PKS6_NS0_5tupleIJSF_S6_EEENSJ_IJSG_SG_EEENS0_18inequality_wrapperI22is_equal_div_10_uniqueIyEEEPmJS6_EEE10hipError_tPvRmT3_T4_T5_T6_T7_T9_mT8_P12ihipStream_tbDpT10_ENKUlT_T0_E_clISt17integral_constantIbLb1EES1A_EEDaS15_S16_EUlS15_E_NS1_11comp_targetILNS1_3genE5ELNS1_11target_archE942ELNS1_3gpuE9ELNS1_3repE0EEENS1_30default_config_static_selectorELNS0_4arch9wavefront6targetE1EEEvT1_,@function
_ZN7rocprim17ROCPRIM_400000_NS6detail17trampoline_kernelINS0_14default_configENS1_25partition_config_selectorILNS1_17partition_subalgoE8EyNS0_10empty_typeEbEEZZNS1_14partition_implILS5_8ELb0ES3_jN6thrust23THRUST_200600_302600_NS6detail15normal_iteratorINSA_10device_ptrIyEEEEPS6_PKS6_NS0_5tupleIJSF_S6_EEENSJ_IJSG_SG_EEENS0_18inequality_wrapperI22is_equal_div_10_uniqueIyEEEPmJS6_EEE10hipError_tPvRmT3_T4_T5_T6_T7_T9_mT8_P12ihipStream_tbDpT10_ENKUlT_T0_E_clISt17integral_constantIbLb1EES1A_EEDaS15_S16_EUlS15_E_NS1_11comp_targetILNS1_3genE5ELNS1_11target_archE942ELNS1_3gpuE9ELNS1_3repE0EEENS1_30default_config_static_selectorELNS0_4arch9wavefront6targetE1EEEvT1_: ; @_ZN7rocprim17ROCPRIM_400000_NS6detail17trampoline_kernelINS0_14default_configENS1_25partition_config_selectorILNS1_17partition_subalgoE8EyNS0_10empty_typeEbEEZZNS1_14partition_implILS5_8ELb0ES3_jN6thrust23THRUST_200600_302600_NS6detail15normal_iteratorINSA_10device_ptrIyEEEEPS6_PKS6_NS0_5tupleIJSF_S6_EEENSJ_IJSG_SG_EEENS0_18inequality_wrapperI22is_equal_div_10_uniqueIyEEEPmJS6_EEE10hipError_tPvRmT3_T4_T5_T6_T7_T9_mT8_P12ihipStream_tbDpT10_ENKUlT_T0_E_clISt17integral_constantIbLb1EES1A_EEDaS15_S16_EUlS15_E_NS1_11comp_targetILNS1_3genE5ELNS1_11target_archE942ELNS1_3gpuE9ELNS1_3repE0EEENS1_30default_config_static_selectorELNS0_4arch9wavefront6targetE1EEEvT1_
; %bb.0:
	.section	.rodata,"a",@progbits
	.p2align	6, 0x0
	.amdhsa_kernel _ZN7rocprim17ROCPRIM_400000_NS6detail17trampoline_kernelINS0_14default_configENS1_25partition_config_selectorILNS1_17partition_subalgoE8EyNS0_10empty_typeEbEEZZNS1_14partition_implILS5_8ELb0ES3_jN6thrust23THRUST_200600_302600_NS6detail15normal_iteratorINSA_10device_ptrIyEEEEPS6_PKS6_NS0_5tupleIJSF_S6_EEENSJ_IJSG_SG_EEENS0_18inequality_wrapperI22is_equal_div_10_uniqueIyEEEPmJS6_EEE10hipError_tPvRmT3_T4_T5_T6_T7_T9_mT8_P12ihipStream_tbDpT10_ENKUlT_T0_E_clISt17integral_constantIbLb1EES1A_EEDaS15_S16_EUlS15_E_NS1_11comp_targetILNS1_3genE5ELNS1_11target_archE942ELNS1_3gpuE9ELNS1_3repE0EEENS1_30default_config_static_selectorELNS0_4arch9wavefront6targetE1EEEvT1_
		.amdhsa_group_segment_fixed_size 0
		.amdhsa_private_segment_fixed_size 0
		.amdhsa_kernarg_size 128
		.amdhsa_user_sgpr_count 6
		.amdhsa_user_sgpr_private_segment_buffer 1
		.amdhsa_user_sgpr_dispatch_ptr 0
		.amdhsa_user_sgpr_queue_ptr 0
		.amdhsa_user_sgpr_kernarg_segment_ptr 1
		.amdhsa_user_sgpr_dispatch_id 0
		.amdhsa_user_sgpr_flat_scratch_init 0
		.amdhsa_user_sgpr_private_segment_size 0
		.amdhsa_uses_dynamic_stack 0
		.amdhsa_system_sgpr_private_segment_wavefront_offset 0
		.amdhsa_system_sgpr_workgroup_id_x 1
		.amdhsa_system_sgpr_workgroup_id_y 0
		.amdhsa_system_sgpr_workgroup_id_z 0
		.amdhsa_system_sgpr_workgroup_info 0
		.amdhsa_system_vgpr_workitem_id 0
		.amdhsa_next_free_vgpr 1
		.amdhsa_next_free_sgpr 0
		.amdhsa_reserve_vcc 0
		.amdhsa_reserve_flat_scratch 0
		.amdhsa_float_round_mode_32 0
		.amdhsa_float_round_mode_16_64 0
		.amdhsa_float_denorm_mode_32 3
		.amdhsa_float_denorm_mode_16_64 3
		.amdhsa_dx10_clamp 1
		.amdhsa_ieee_mode 1
		.amdhsa_fp16_overflow 0
		.amdhsa_exception_fp_ieee_invalid_op 0
		.amdhsa_exception_fp_denorm_src 0
		.amdhsa_exception_fp_ieee_div_zero 0
		.amdhsa_exception_fp_ieee_overflow 0
		.amdhsa_exception_fp_ieee_underflow 0
		.amdhsa_exception_fp_ieee_inexact 0
		.amdhsa_exception_int_div_zero 0
	.end_amdhsa_kernel
	.section	.text._ZN7rocprim17ROCPRIM_400000_NS6detail17trampoline_kernelINS0_14default_configENS1_25partition_config_selectorILNS1_17partition_subalgoE8EyNS0_10empty_typeEbEEZZNS1_14partition_implILS5_8ELb0ES3_jN6thrust23THRUST_200600_302600_NS6detail15normal_iteratorINSA_10device_ptrIyEEEEPS6_PKS6_NS0_5tupleIJSF_S6_EEENSJ_IJSG_SG_EEENS0_18inequality_wrapperI22is_equal_div_10_uniqueIyEEEPmJS6_EEE10hipError_tPvRmT3_T4_T5_T6_T7_T9_mT8_P12ihipStream_tbDpT10_ENKUlT_T0_E_clISt17integral_constantIbLb1EES1A_EEDaS15_S16_EUlS15_E_NS1_11comp_targetILNS1_3genE5ELNS1_11target_archE942ELNS1_3gpuE9ELNS1_3repE0EEENS1_30default_config_static_selectorELNS0_4arch9wavefront6targetE1EEEvT1_,"axG",@progbits,_ZN7rocprim17ROCPRIM_400000_NS6detail17trampoline_kernelINS0_14default_configENS1_25partition_config_selectorILNS1_17partition_subalgoE8EyNS0_10empty_typeEbEEZZNS1_14partition_implILS5_8ELb0ES3_jN6thrust23THRUST_200600_302600_NS6detail15normal_iteratorINSA_10device_ptrIyEEEEPS6_PKS6_NS0_5tupleIJSF_S6_EEENSJ_IJSG_SG_EEENS0_18inequality_wrapperI22is_equal_div_10_uniqueIyEEEPmJS6_EEE10hipError_tPvRmT3_T4_T5_T6_T7_T9_mT8_P12ihipStream_tbDpT10_ENKUlT_T0_E_clISt17integral_constantIbLb1EES1A_EEDaS15_S16_EUlS15_E_NS1_11comp_targetILNS1_3genE5ELNS1_11target_archE942ELNS1_3gpuE9ELNS1_3repE0EEENS1_30default_config_static_selectorELNS0_4arch9wavefront6targetE1EEEvT1_,comdat
.Lfunc_end186:
	.size	_ZN7rocprim17ROCPRIM_400000_NS6detail17trampoline_kernelINS0_14default_configENS1_25partition_config_selectorILNS1_17partition_subalgoE8EyNS0_10empty_typeEbEEZZNS1_14partition_implILS5_8ELb0ES3_jN6thrust23THRUST_200600_302600_NS6detail15normal_iteratorINSA_10device_ptrIyEEEEPS6_PKS6_NS0_5tupleIJSF_S6_EEENSJ_IJSG_SG_EEENS0_18inequality_wrapperI22is_equal_div_10_uniqueIyEEEPmJS6_EEE10hipError_tPvRmT3_T4_T5_T6_T7_T9_mT8_P12ihipStream_tbDpT10_ENKUlT_T0_E_clISt17integral_constantIbLb1EES1A_EEDaS15_S16_EUlS15_E_NS1_11comp_targetILNS1_3genE5ELNS1_11target_archE942ELNS1_3gpuE9ELNS1_3repE0EEENS1_30default_config_static_selectorELNS0_4arch9wavefront6targetE1EEEvT1_, .Lfunc_end186-_ZN7rocprim17ROCPRIM_400000_NS6detail17trampoline_kernelINS0_14default_configENS1_25partition_config_selectorILNS1_17partition_subalgoE8EyNS0_10empty_typeEbEEZZNS1_14partition_implILS5_8ELb0ES3_jN6thrust23THRUST_200600_302600_NS6detail15normal_iteratorINSA_10device_ptrIyEEEEPS6_PKS6_NS0_5tupleIJSF_S6_EEENSJ_IJSG_SG_EEENS0_18inequality_wrapperI22is_equal_div_10_uniqueIyEEEPmJS6_EEE10hipError_tPvRmT3_T4_T5_T6_T7_T9_mT8_P12ihipStream_tbDpT10_ENKUlT_T0_E_clISt17integral_constantIbLb1EES1A_EEDaS15_S16_EUlS15_E_NS1_11comp_targetILNS1_3genE5ELNS1_11target_archE942ELNS1_3gpuE9ELNS1_3repE0EEENS1_30default_config_static_selectorELNS0_4arch9wavefront6targetE1EEEvT1_
                                        ; -- End function
	.set _ZN7rocprim17ROCPRIM_400000_NS6detail17trampoline_kernelINS0_14default_configENS1_25partition_config_selectorILNS1_17partition_subalgoE8EyNS0_10empty_typeEbEEZZNS1_14partition_implILS5_8ELb0ES3_jN6thrust23THRUST_200600_302600_NS6detail15normal_iteratorINSA_10device_ptrIyEEEEPS6_PKS6_NS0_5tupleIJSF_S6_EEENSJ_IJSG_SG_EEENS0_18inequality_wrapperI22is_equal_div_10_uniqueIyEEEPmJS6_EEE10hipError_tPvRmT3_T4_T5_T6_T7_T9_mT8_P12ihipStream_tbDpT10_ENKUlT_T0_E_clISt17integral_constantIbLb1EES1A_EEDaS15_S16_EUlS15_E_NS1_11comp_targetILNS1_3genE5ELNS1_11target_archE942ELNS1_3gpuE9ELNS1_3repE0EEENS1_30default_config_static_selectorELNS0_4arch9wavefront6targetE1EEEvT1_.num_vgpr, 0
	.set _ZN7rocprim17ROCPRIM_400000_NS6detail17trampoline_kernelINS0_14default_configENS1_25partition_config_selectorILNS1_17partition_subalgoE8EyNS0_10empty_typeEbEEZZNS1_14partition_implILS5_8ELb0ES3_jN6thrust23THRUST_200600_302600_NS6detail15normal_iteratorINSA_10device_ptrIyEEEEPS6_PKS6_NS0_5tupleIJSF_S6_EEENSJ_IJSG_SG_EEENS0_18inequality_wrapperI22is_equal_div_10_uniqueIyEEEPmJS6_EEE10hipError_tPvRmT3_T4_T5_T6_T7_T9_mT8_P12ihipStream_tbDpT10_ENKUlT_T0_E_clISt17integral_constantIbLb1EES1A_EEDaS15_S16_EUlS15_E_NS1_11comp_targetILNS1_3genE5ELNS1_11target_archE942ELNS1_3gpuE9ELNS1_3repE0EEENS1_30default_config_static_selectorELNS0_4arch9wavefront6targetE1EEEvT1_.num_agpr, 0
	.set _ZN7rocprim17ROCPRIM_400000_NS6detail17trampoline_kernelINS0_14default_configENS1_25partition_config_selectorILNS1_17partition_subalgoE8EyNS0_10empty_typeEbEEZZNS1_14partition_implILS5_8ELb0ES3_jN6thrust23THRUST_200600_302600_NS6detail15normal_iteratorINSA_10device_ptrIyEEEEPS6_PKS6_NS0_5tupleIJSF_S6_EEENSJ_IJSG_SG_EEENS0_18inequality_wrapperI22is_equal_div_10_uniqueIyEEEPmJS6_EEE10hipError_tPvRmT3_T4_T5_T6_T7_T9_mT8_P12ihipStream_tbDpT10_ENKUlT_T0_E_clISt17integral_constantIbLb1EES1A_EEDaS15_S16_EUlS15_E_NS1_11comp_targetILNS1_3genE5ELNS1_11target_archE942ELNS1_3gpuE9ELNS1_3repE0EEENS1_30default_config_static_selectorELNS0_4arch9wavefront6targetE1EEEvT1_.numbered_sgpr, 0
	.set _ZN7rocprim17ROCPRIM_400000_NS6detail17trampoline_kernelINS0_14default_configENS1_25partition_config_selectorILNS1_17partition_subalgoE8EyNS0_10empty_typeEbEEZZNS1_14partition_implILS5_8ELb0ES3_jN6thrust23THRUST_200600_302600_NS6detail15normal_iteratorINSA_10device_ptrIyEEEEPS6_PKS6_NS0_5tupleIJSF_S6_EEENSJ_IJSG_SG_EEENS0_18inequality_wrapperI22is_equal_div_10_uniqueIyEEEPmJS6_EEE10hipError_tPvRmT3_T4_T5_T6_T7_T9_mT8_P12ihipStream_tbDpT10_ENKUlT_T0_E_clISt17integral_constantIbLb1EES1A_EEDaS15_S16_EUlS15_E_NS1_11comp_targetILNS1_3genE5ELNS1_11target_archE942ELNS1_3gpuE9ELNS1_3repE0EEENS1_30default_config_static_selectorELNS0_4arch9wavefront6targetE1EEEvT1_.num_named_barrier, 0
	.set _ZN7rocprim17ROCPRIM_400000_NS6detail17trampoline_kernelINS0_14default_configENS1_25partition_config_selectorILNS1_17partition_subalgoE8EyNS0_10empty_typeEbEEZZNS1_14partition_implILS5_8ELb0ES3_jN6thrust23THRUST_200600_302600_NS6detail15normal_iteratorINSA_10device_ptrIyEEEEPS6_PKS6_NS0_5tupleIJSF_S6_EEENSJ_IJSG_SG_EEENS0_18inequality_wrapperI22is_equal_div_10_uniqueIyEEEPmJS6_EEE10hipError_tPvRmT3_T4_T5_T6_T7_T9_mT8_P12ihipStream_tbDpT10_ENKUlT_T0_E_clISt17integral_constantIbLb1EES1A_EEDaS15_S16_EUlS15_E_NS1_11comp_targetILNS1_3genE5ELNS1_11target_archE942ELNS1_3gpuE9ELNS1_3repE0EEENS1_30default_config_static_selectorELNS0_4arch9wavefront6targetE1EEEvT1_.private_seg_size, 0
	.set _ZN7rocprim17ROCPRIM_400000_NS6detail17trampoline_kernelINS0_14default_configENS1_25partition_config_selectorILNS1_17partition_subalgoE8EyNS0_10empty_typeEbEEZZNS1_14partition_implILS5_8ELb0ES3_jN6thrust23THRUST_200600_302600_NS6detail15normal_iteratorINSA_10device_ptrIyEEEEPS6_PKS6_NS0_5tupleIJSF_S6_EEENSJ_IJSG_SG_EEENS0_18inequality_wrapperI22is_equal_div_10_uniqueIyEEEPmJS6_EEE10hipError_tPvRmT3_T4_T5_T6_T7_T9_mT8_P12ihipStream_tbDpT10_ENKUlT_T0_E_clISt17integral_constantIbLb1EES1A_EEDaS15_S16_EUlS15_E_NS1_11comp_targetILNS1_3genE5ELNS1_11target_archE942ELNS1_3gpuE9ELNS1_3repE0EEENS1_30default_config_static_selectorELNS0_4arch9wavefront6targetE1EEEvT1_.uses_vcc, 0
	.set _ZN7rocprim17ROCPRIM_400000_NS6detail17trampoline_kernelINS0_14default_configENS1_25partition_config_selectorILNS1_17partition_subalgoE8EyNS0_10empty_typeEbEEZZNS1_14partition_implILS5_8ELb0ES3_jN6thrust23THRUST_200600_302600_NS6detail15normal_iteratorINSA_10device_ptrIyEEEEPS6_PKS6_NS0_5tupleIJSF_S6_EEENSJ_IJSG_SG_EEENS0_18inequality_wrapperI22is_equal_div_10_uniqueIyEEEPmJS6_EEE10hipError_tPvRmT3_T4_T5_T6_T7_T9_mT8_P12ihipStream_tbDpT10_ENKUlT_T0_E_clISt17integral_constantIbLb1EES1A_EEDaS15_S16_EUlS15_E_NS1_11comp_targetILNS1_3genE5ELNS1_11target_archE942ELNS1_3gpuE9ELNS1_3repE0EEENS1_30default_config_static_selectorELNS0_4arch9wavefront6targetE1EEEvT1_.uses_flat_scratch, 0
	.set _ZN7rocprim17ROCPRIM_400000_NS6detail17trampoline_kernelINS0_14default_configENS1_25partition_config_selectorILNS1_17partition_subalgoE8EyNS0_10empty_typeEbEEZZNS1_14partition_implILS5_8ELb0ES3_jN6thrust23THRUST_200600_302600_NS6detail15normal_iteratorINSA_10device_ptrIyEEEEPS6_PKS6_NS0_5tupleIJSF_S6_EEENSJ_IJSG_SG_EEENS0_18inequality_wrapperI22is_equal_div_10_uniqueIyEEEPmJS6_EEE10hipError_tPvRmT3_T4_T5_T6_T7_T9_mT8_P12ihipStream_tbDpT10_ENKUlT_T0_E_clISt17integral_constantIbLb1EES1A_EEDaS15_S16_EUlS15_E_NS1_11comp_targetILNS1_3genE5ELNS1_11target_archE942ELNS1_3gpuE9ELNS1_3repE0EEENS1_30default_config_static_selectorELNS0_4arch9wavefront6targetE1EEEvT1_.has_dyn_sized_stack, 0
	.set _ZN7rocprim17ROCPRIM_400000_NS6detail17trampoline_kernelINS0_14default_configENS1_25partition_config_selectorILNS1_17partition_subalgoE8EyNS0_10empty_typeEbEEZZNS1_14partition_implILS5_8ELb0ES3_jN6thrust23THRUST_200600_302600_NS6detail15normal_iteratorINSA_10device_ptrIyEEEEPS6_PKS6_NS0_5tupleIJSF_S6_EEENSJ_IJSG_SG_EEENS0_18inequality_wrapperI22is_equal_div_10_uniqueIyEEEPmJS6_EEE10hipError_tPvRmT3_T4_T5_T6_T7_T9_mT8_P12ihipStream_tbDpT10_ENKUlT_T0_E_clISt17integral_constantIbLb1EES1A_EEDaS15_S16_EUlS15_E_NS1_11comp_targetILNS1_3genE5ELNS1_11target_archE942ELNS1_3gpuE9ELNS1_3repE0EEENS1_30default_config_static_selectorELNS0_4arch9wavefront6targetE1EEEvT1_.has_recursion, 0
	.set _ZN7rocprim17ROCPRIM_400000_NS6detail17trampoline_kernelINS0_14default_configENS1_25partition_config_selectorILNS1_17partition_subalgoE8EyNS0_10empty_typeEbEEZZNS1_14partition_implILS5_8ELb0ES3_jN6thrust23THRUST_200600_302600_NS6detail15normal_iteratorINSA_10device_ptrIyEEEEPS6_PKS6_NS0_5tupleIJSF_S6_EEENSJ_IJSG_SG_EEENS0_18inequality_wrapperI22is_equal_div_10_uniqueIyEEEPmJS6_EEE10hipError_tPvRmT3_T4_T5_T6_T7_T9_mT8_P12ihipStream_tbDpT10_ENKUlT_T0_E_clISt17integral_constantIbLb1EES1A_EEDaS15_S16_EUlS15_E_NS1_11comp_targetILNS1_3genE5ELNS1_11target_archE942ELNS1_3gpuE9ELNS1_3repE0EEENS1_30default_config_static_selectorELNS0_4arch9wavefront6targetE1EEEvT1_.has_indirect_call, 0
	.section	.AMDGPU.csdata,"",@progbits
; Kernel info:
; codeLenInByte = 0
; TotalNumSgprs: 4
; NumVgprs: 0
; ScratchSize: 0
; MemoryBound: 0
; FloatMode: 240
; IeeeMode: 1
; LDSByteSize: 0 bytes/workgroup (compile time only)
; SGPRBlocks: 0
; VGPRBlocks: 0
; NumSGPRsForWavesPerEU: 4
; NumVGPRsForWavesPerEU: 1
; Occupancy: 10
; WaveLimiterHint : 0
; COMPUTE_PGM_RSRC2:SCRATCH_EN: 0
; COMPUTE_PGM_RSRC2:USER_SGPR: 6
; COMPUTE_PGM_RSRC2:TRAP_HANDLER: 0
; COMPUTE_PGM_RSRC2:TGID_X_EN: 1
; COMPUTE_PGM_RSRC2:TGID_Y_EN: 0
; COMPUTE_PGM_RSRC2:TGID_Z_EN: 0
; COMPUTE_PGM_RSRC2:TIDIG_COMP_CNT: 0
	.section	.text._ZN7rocprim17ROCPRIM_400000_NS6detail17trampoline_kernelINS0_14default_configENS1_25partition_config_selectorILNS1_17partition_subalgoE8EyNS0_10empty_typeEbEEZZNS1_14partition_implILS5_8ELb0ES3_jN6thrust23THRUST_200600_302600_NS6detail15normal_iteratorINSA_10device_ptrIyEEEEPS6_PKS6_NS0_5tupleIJSF_S6_EEENSJ_IJSG_SG_EEENS0_18inequality_wrapperI22is_equal_div_10_uniqueIyEEEPmJS6_EEE10hipError_tPvRmT3_T4_T5_T6_T7_T9_mT8_P12ihipStream_tbDpT10_ENKUlT_T0_E_clISt17integral_constantIbLb1EES1A_EEDaS15_S16_EUlS15_E_NS1_11comp_targetILNS1_3genE4ELNS1_11target_archE910ELNS1_3gpuE8ELNS1_3repE0EEENS1_30default_config_static_selectorELNS0_4arch9wavefront6targetE1EEEvT1_,"axG",@progbits,_ZN7rocprim17ROCPRIM_400000_NS6detail17trampoline_kernelINS0_14default_configENS1_25partition_config_selectorILNS1_17partition_subalgoE8EyNS0_10empty_typeEbEEZZNS1_14partition_implILS5_8ELb0ES3_jN6thrust23THRUST_200600_302600_NS6detail15normal_iteratorINSA_10device_ptrIyEEEEPS6_PKS6_NS0_5tupleIJSF_S6_EEENSJ_IJSG_SG_EEENS0_18inequality_wrapperI22is_equal_div_10_uniqueIyEEEPmJS6_EEE10hipError_tPvRmT3_T4_T5_T6_T7_T9_mT8_P12ihipStream_tbDpT10_ENKUlT_T0_E_clISt17integral_constantIbLb1EES1A_EEDaS15_S16_EUlS15_E_NS1_11comp_targetILNS1_3genE4ELNS1_11target_archE910ELNS1_3gpuE8ELNS1_3repE0EEENS1_30default_config_static_selectorELNS0_4arch9wavefront6targetE1EEEvT1_,comdat
	.protected	_ZN7rocprim17ROCPRIM_400000_NS6detail17trampoline_kernelINS0_14default_configENS1_25partition_config_selectorILNS1_17partition_subalgoE8EyNS0_10empty_typeEbEEZZNS1_14partition_implILS5_8ELb0ES3_jN6thrust23THRUST_200600_302600_NS6detail15normal_iteratorINSA_10device_ptrIyEEEEPS6_PKS6_NS0_5tupleIJSF_S6_EEENSJ_IJSG_SG_EEENS0_18inequality_wrapperI22is_equal_div_10_uniqueIyEEEPmJS6_EEE10hipError_tPvRmT3_T4_T5_T6_T7_T9_mT8_P12ihipStream_tbDpT10_ENKUlT_T0_E_clISt17integral_constantIbLb1EES1A_EEDaS15_S16_EUlS15_E_NS1_11comp_targetILNS1_3genE4ELNS1_11target_archE910ELNS1_3gpuE8ELNS1_3repE0EEENS1_30default_config_static_selectorELNS0_4arch9wavefront6targetE1EEEvT1_ ; -- Begin function _ZN7rocprim17ROCPRIM_400000_NS6detail17trampoline_kernelINS0_14default_configENS1_25partition_config_selectorILNS1_17partition_subalgoE8EyNS0_10empty_typeEbEEZZNS1_14partition_implILS5_8ELb0ES3_jN6thrust23THRUST_200600_302600_NS6detail15normal_iteratorINSA_10device_ptrIyEEEEPS6_PKS6_NS0_5tupleIJSF_S6_EEENSJ_IJSG_SG_EEENS0_18inequality_wrapperI22is_equal_div_10_uniqueIyEEEPmJS6_EEE10hipError_tPvRmT3_T4_T5_T6_T7_T9_mT8_P12ihipStream_tbDpT10_ENKUlT_T0_E_clISt17integral_constantIbLb1EES1A_EEDaS15_S16_EUlS15_E_NS1_11comp_targetILNS1_3genE4ELNS1_11target_archE910ELNS1_3gpuE8ELNS1_3repE0EEENS1_30default_config_static_selectorELNS0_4arch9wavefront6targetE1EEEvT1_
	.globl	_ZN7rocprim17ROCPRIM_400000_NS6detail17trampoline_kernelINS0_14default_configENS1_25partition_config_selectorILNS1_17partition_subalgoE8EyNS0_10empty_typeEbEEZZNS1_14partition_implILS5_8ELb0ES3_jN6thrust23THRUST_200600_302600_NS6detail15normal_iteratorINSA_10device_ptrIyEEEEPS6_PKS6_NS0_5tupleIJSF_S6_EEENSJ_IJSG_SG_EEENS0_18inequality_wrapperI22is_equal_div_10_uniqueIyEEEPmJS6_EEE10hipError_tPvRmT3_T4_T5_T6_T7_T9_mT8_P12ihipStream_tbDpT10_ENKUlT_T0_E_clISt17integral_constantIbLb1EES1A_EEDaS15_S16_EUlS15_E_NS1_11comp_targetILNS1_3genE4ELNS1_11target_archE910ELNS1_3gpuE8ELNS1_3repE0EEENS1_30default_config_static_selectorELNS0_4arch9wavefront6targetE1EEEvT1_
	.p2align	8
	.type	_ZN7rocprim17ROCPRIM_400000_NS6detail17trampoline_kernelINS0_14default_configENS1_25partition_config_selectorILNS1_17partition_subalgoE8EyNS0_10empty_typeEbEEZZNS1_14partition_implILS5_8ELb0ES3_jN6thrust23THRUST_200600_302600_NS6detail15normal_iteratorINSA_10device_ptrIyEEEEPS6_PKS6_NS0_5tupleIJSF_S6_EEENSJ_IJSG_SG_EEENS0_18inequality_wrapperI22is_equal_div_10_uniqueIyEEEPmJS6_EEE10hipError_tPvRmT3_T4_T5_T6_T7_T9_mT8_P12ihipStream_tbDpT10_ENKUlT_T0_E_clISt17integral_constantIbLb1EES1A_EEDaS15_S16_EUlS15_E_NS1_11comp_targetILNS1_3genE4ELNS1_11target_archE910ELNS1_3gpuE8ELNS1_3repE0EEENS1_30default_config_static_selectorELNS0_4arch9wavefront6targetE1EEEvT1_,@function
_ZN7rocprim17ROCPRIM_400000_NS6detail17trampoline_kernelINS0_14default_configENS1_25partition_config_selectorILNS1_17partition_subalgoE8EyNS0_10empty_typeEbEEZZNS1_14partition_implILS5_8ELb0ES3_jN6thrust23THRUST_200600_302600_NS6detail15normal_iteratorINSA_10device_ptrIyEEEEPS6_PKS6_NS0_5tupleIJSF_S6_EEENSJ_IJSG_SG_EEENS0_18inequality_wrapperI22is_equal_div_10_uniqueIyEEEPmJS6_EEE10hipError_tPvRmT3_T4_T5_T6_T7_T9_mT8_P12ihipStream_tbDpT10_ENKUlT_T0_E_clISt17integral_constantIbLb1EES1A_EEDaS15_S16_EUlS15_E_NS1_11comp_targetILNS1_3genE4ELNS1_11target_archE910ELNS1_3gpuE8ELNS1_3repE0EEENS1_30default_config_static_selectorELNS0_4arch9wavefront6targetE1EEEvT1_: ; @_ZN7rocprim17ROCPRIM_400000_NS6detail17trampoline_kernelINS0_14default_configENS1_25partition_config_selectorILNS1_17partition_subalgoE8EyNS0_10empty_typeEbEEZZNS1_14partition_implILS5_8ELb0ES3_jN6thrust23THRUST_200600_302600_NS6detail15normal_iteratorINSA_10device_ptrIyEEEEPS6_PKS6_NS0_5tupleIJSF_S6_EEENSJ_IJSG_SG_EEENS0_18inequality_wrapperI22is_equal_div_10_uniqueIyEEEPmJS6_EEE10hipError_tPvRmT3_T4_T5_T6_T7_T9_mT8_P12ihipStream_tbDpT10_ENKUlT_T0_E_clISt17integral_constantIbLb1EES1A_EEDaS15_S16_EUlS15_E_NS1_11comp_targetILNS1_3genE4ELNS1_11target_archE910ELNS1_3gpuE8ELNS1_3repE0EEENS1_30default_config_static_selectorELNS0_4arch9wavefront6targetE1EEEvT1_
; %bb.0:
	.section	.rodata,"a",@progbits
	.p2align	6, 0x0
	.amdhsa_kernel _ZN7rocprim17ROCPRIM_400000_NS6detail17trampoline_kernelINS0_14default_configENS1_25partition_config_selectorILNS1_17partition_subalgoE8EyNS0_10empty_typeEbEEZZNS1_14partition_implILS5_8ELb0ES3_jN6thrust23THRUST_200600_302600_NS6detail15normal_iteratorINSA_10device_ptrIyEEEEPS6_PKS6_NS0_5tupleIJSF_S6_EEENSJ_IJSG_SG_EEENS0_18inequality_wrapperI22is_equal_div_10_uniqueIyEEEPmJS6_EEE10hipError_tPvRmT3_T4_T5_T6_T7_T9_mT8_P12ihipStream_tbDpT10_ENKUlT_T0_E_clISt17integral_constantIbLb1EES1A_EEDaS15_S16_EUlS15_E_NS1_11comp_targetILNS1_3genE4ELNS1_11target_archE910ELNS1_3gpuE8ELNS1_3repE0EEENS1_30default_config_static_selectorELNS0_4arch9wavefront6targetE1EEEvT1_
		.amdhsa_group_segment_fixed_size 0
		.amdhsa_private_segment_fixed_size 0
		.amdhsa_kernarg_size 128
		.amdhsa_user_sgpr_count 6
		.amdhsa_user_sgpr_private_segment_buffer 1
		.amdhsa_user_sgpr_dispatch_ptr 0
		.amdhsa_user_sgpr_queue_ptr 0
		.amdhsa_user_sgpr_kernarg_segment_ptr 1
		.amdhsa_user_sgpr_dispatch_id 0
		.amdhsa_user_sgpr_flat_scratch_init 0
		.amdhsa_user_sgpr_private_segment_size 0
		.amdhsa_uses_dynamic_stack 0
		.amdhsa_system_sgpr_private_segment_wavefront_offset 0
		.amdhsa_system_sgpr_workgroup_id_x 1
		.amdhsa_system_sgpr_workgroup_id_y 0
		.amdhsa_system_sgpr_workgroup_id_z 0
		.amdhsa_system_sgpr_workgroup_info 0
		.amdhsa_system_vgpr_workitem_id 0
		.amdhsa_next_free_vgpr 1
		.amdhsa_next_free_sgpr 0
		.amdhsa_reserve_vcc 0
		.amdhsa_reserve_flat_scratch 0
		.amdhsa_float_round_mode_32 0
		.amdhsa_float_round_mode_16_64 0
		.amdhsa_float_denorm_mode_32 3
		.amdhsa_float_denorm_mode_16_64 3
		.amdhsa_dx10_clamp 1
		.amdhsa_ieee_mode 1
		.amdhsa_fp16_overflow 0
		.amdhsa_exception_fp_ieee_invalid_op 0
		.amdhsa_exception_fp_denorm_src 0
		.amdhsa_exception_fp_ieee_div_zero 0
		.amdhsa_exception_fp_ieee_overflow 0
		.amdhsa_exception_fp_ieee_underflow 0
		.amdhsa_exception_fp_ieee_inexact 0
		.amdhsa_exception_int_div_zero 0
	.end_amdhsa_kernel
	.section	.text._ZN7rocprim17ROCPRIM_400000_NS6detail17trampoline_kernelINS0_14default_configENS1_25partition_config_selectorILNS1_17partition_subalgoE8EyNS0_10empty_typeEbEEZZNS1_14partition_implILS5_8ELb0ES3_jN6thrust23THRUST_200600_302600_NS6detail15normal_iteratorINSA_10device_ptrIyEEEEPS6_PKS6_NS0_5tupleIJSF_S6_EEENSJ_IJSG_SG_EEENS0_18inequality_wrapperI22is_equal_div_10_uniqueIyEEEPmJS6_EEE10hipError_tPvRmT3_T4_T5_T6_T7_T9_mT8_P12ihipStream_tbDpT10_ENKUlT_T0_E_clISt17integral_constantIbLb1EES1A_EEDaS15_S16_EUlS15_E_NS1_11comp_targetILNS1_3genE4ELNS1_11target_archE910ELNS1_3gpuE8ELNS1_3repE0EEENS1_30default_config_static_selectorELNS0_4arch9wavefront6targetE1EEEvT1_,"axG",@progbits,_ZN7rocprim17ROCPRIM_400000_NS6detail17trampoline_kernelINS0_14default_configENS1_25partition_config_selectorILNS1_17partition_subalgoE8EyNS0_10empty_typeEbEEZZNS1_14partition_implILS5_8ELb0ES3_jN6thrust23THRUST_200600_302600_NS6detail15normal_iteratorINSA_10device_ptrIyEEEEPS6_PKS6_NS0_5tupleIJSF_S6_EEENSJ_IJSG_SG_EEENS0_18inequality_wrapperI22is_equal_div_10_uniqueIyEEEPmJS6_EEE10hipError_tPvRmT3_T4_T5_T6_T7_T9_mT8_P12ihipStream_tbDpT10_ENKUlT_T0_E_clISt17integral_constantIbLb1EES1A_EEDaS15_S16_EUlS15_E_NS1_11comp_targetILNS1_3genE4ELNS1_11target_archE910ELNS1_3gpuE8ELNS1_3repE0EEENS1_30default_config_static_selectorELNS0_4arch9wavefront6targetE1EEEvT1_,comdat
.Lfunc_end187:
	.size	_ZN7rocprim17ROCPRIM_400000_NS6detail17trampoline_kernelINS0_14default_configENS1_25partition_config_selectorILNS1_17partition_subalgoE8EyNS0_10empty_typeEbEEZZNS1_14partition_implILS5_8ELb0ES3_jN6thrust23THRUST_200600_302600_NS6detail15normal_iteratorINSA_10device_ptrIyEEEEPS6_PKS6_NS0_5tupleIJSF_S6_EEENSJ_IJSG_SG_EEENS0_18inequality_wrapperI22is_equal_div_10_uniqueIyEEEPmJS6_EEE10hipError_tPvRmT3_T4_T5_T6_T7_T9_mT8_P12ihipStream_tbDpT10_ENKUlT_T0_E_clISt17integral_constantIbLb1EES1A_EEDaS15_S16_EUlS15_E_NS1_11comp_targetILNS1_3genE4ELNS1_11target_archE910ELNS1_3gpuE8ELNS1_3repE0EEENS1_30default_config_static_selectorELNS0_4arch9wavefront6targetE1EEEvT1_, .Lfunc_end187-_ZN7rocprim17ROCPRIM_400000_NS6detail17trampoline_kernelINS0_14default_configENS1_25partition_config_selectorILNS1_17partition_subalgoE8EyNS0_10empty_typeEbEEZZNS1_14partition_implILS5_8ELb0ES3_jN6thrust23THRUST_200600_302600_NS6detail15normal_iteratorINSA_10device_ptrIyEEEEPS6_PKS6_NS0_5tupleIJSF_S6_EEENSJ_IJSG_SG_EEENS0_18inequality_wrapperI22is_equal_div_10_uniqueIyEEEPmJS6_EEE10hipError_tPvRmT3_T4_T5_T6_T7_T9_mT8_P12ihipStream_tbDpT10_ENKUlT_T0_E_clISt17integral_constantIbLb1EES1A_EEDaS15_S16_EUlS15_E_NS1_11comp_targetILNS1_3genE4ELNS1_11target_archE910ELNS1_3gpuE8ELNS1_3repE0EEENS1_30default_config_static_selectorELNS0_4arch9wavefront6targetE1EEEvT1_
                                        ; -- End function
	.set _ZN7rocprim17ROCPRIM_400000_NS6detail17trampoline_kernelINS0_14default_configENS1_25partition_config_selectorILNS1_17partition_subalgoE8EyNS0_10empty_typeEbEEZZNS1_14partition_implILS5_8ELb0ES3_jN6thrust23THRUST_200600_302600_NS6detail15normal_iteratorINSA_10device_ptrIyEEEEPS6_PKS6_NS0_5tupleIJSF_S6_EEENSJ_IJSG_SG_EEENS0_18inequality_wrapperI22is_equal_div_10_uniqueIyEEEPmJS6_EEE10hipError_tPvRmT3_T4_T5_T6_T7_T9_mT8_P12ihipStream_tbDpT10_ENKUlT_T0_E_clISt17integral_constantIbLb1EES1A_EEDaS15_S16_EUlS15_E_NS1_11comp_targetILNS1_3genE4ELNS1_11target_archE910ELNS1_3gpuE8ELNS1_3repE0EEENS1_30default_config_static_selectorELNS0_4arch9wavefront6targetE1EEEvT1_.num_vgpr, 0
	.set _ZN7rocprim17ROCPRIM_400000_NS6detail17trampoline_kernelINS0_14default_configENS1_25partition_config_selectorILNS1_17partition_subalgoE8EyNS0_10empty_typeEbEEZZNS1_14partition_implILS5_8ELb0ES3_jN6thrust23THRUST_200600_302600_NS6detail15normal_iteratorINSA_10device_ptrIyEEEEPS6_PKS6_NS0_5tupleIJSF_S6_EEENSJ_IJSG_SG_EEENS0_18inequality_wrapperI22is_equal_div_10_uniqueIyEEEPmJS6_EEE10hipError_tPvRmT3_T4_T5_T6_T7_T9_mT8_P12ihipStream_tbDpT10_ENKUlT_T0_E_clISt17integral_constantIbLb1EES1A_EEDaS15_S16_EUlS15_E_NS1_11comp_targetILNS1_3genE4ELNS1_11target_archE910ELNS1_3gpuE8ELNS1_3repE0EEENS1_30default_config_static_selectorELNS0_4arch9wavefront6targetE1EEEvT1_.num_agpr, 0
	.set _ZN7rocprim17ROCPRIM_400000_NS6detail17trampoline_kernelINS0_14default_configENS1_25partition_config_selectorILNS1_17partition_subalgoE8EyNS0_10empty_typeEbEEZZNS1_14partition_implILS5_8ELb0ES3_jN6thrust23THRUST_200600_302600_NS6detail15normal_iteratorINSA_10device_ptrIyEEEEPS6_PKS6_NS0_5tupleIJSF_S6_EEENSJ_IJSG_SG_EEENS0_18inequality_wrapperI22is_equal_div_10_uniqueIyEEEPmJS6_EEE10hipError_tPvRmT3_T4_T5_T6_T7_T9_mT8_P12ihipStream_tbDpT10_ENKUlT_T0_E_clISt17integral_constantIbLb1EES1A_EEDaS15_S16_EUlS15_E_NS1_11comp_targetILNS1_3genE4ELNS1_11target_archE910ELNS1_3gpuE8ELNS1_3repE0EEENS1_30default_config_static_selectorELNS0_4arch9wavefront6targetE1EEEvT1_.numbered_sgpr, 0
	.set _ZN7rocprim17ROCPRIM_400000_NS6detail17trampoline_kernelINS0_14default_configENS1_25partition_config_selectorILNS1_17partition_subalgoE8EyNS0_10empty_typeEbEEZZNS1_14partition_implILS5_8ELb0ES3_jN6thrust23THRUST_200600_302600_NS6detail15normal_iteratorINSA_10device_ptrIyEEEEPS6_PKS6_NS0_5tupleIJSF_S6_EEENSJ_IJSG_SG_EEENS0_18inequality_wrapperI22is_equal_div_10_uniqueIyEEEPmJS6_EEE10hipError_tPvRmT3_T4_T5_T6_T7_T9_mT8_P12ihipStream_tbDpT10_ENKUlT_T0_E_clISt17integral_constantIbLb1EES1A_EEDaS15_S16_EUlS15_E_NS1_11comp_targetILNS1_3genE4ELNS1_11target_archE910ELNS1_3gpuE8ELNS1_3repE0EEENS1_30default_config_static_selectorELNS0_4arch9wavefront6targetE1EEEvT1_.num_named_barrier, 0
	.set _ZN7rocprim17ROCPRIM_400000_NS6detail17trampoline_kernelINS0_14default_configENS1_25partition_config_selectorILNS1_17partition_subalgoE8EyNS0_10empty_typeEbEEZZNS1_14partition_implILS5_8ELb0ES3_jN6thrust23THRUST_200600_302600_NS6detail15normal_iteratorINSA_10device_ptrIyEEEEPS6_PKS6_NS0_5tupleIJSF_S6_EEENSJ_IJSG_SG_EEENS0_18inequality_wrapperI22is_equal_div_10_uniqueIyEEEPmJS6_EEE10hipError_tPvRmT3_T4_T5_T6_T7_T9_mT8_P12ihipStream_tbDpT10_ENKUlT_T0_E_clISt17integral_constantIbLb1EES1A_EEDaS15_S16_EUlS15_E_NS1_11comp_targetILNS1_3genE4ELNS1_11target_archE910ELNS1_3gpuE8ELNS1_3repE0EEENS1_30default_config_static_selectorELNS0_4arch9wavefront6targetE1EEEvT1_.private_seg_size, 0
	.set _ZN7rocprim17ROCPRIM_400000_NS6detail17trampoline_kernelINS0_14default_configENS1_25partition_config_selectorILNS1_17partition_subalgoE8EyNS0_10empty_typeEbEEZZNS1_14partition_implILS5_8ELb0ES3_jN6thrust23THRUST_200600_302600_NS6detail15normal_iteratorINSA_10device_ptrIyEEEEPS6_PKS6_NS0_5tupleIJSF_S6_EEENSJ_IJSG_SG_EEENS0_18inequality_wrapperI22is_equal_div_10_uniqueIyEEEPmJS6_EEE10hipError_tPvRmT3_T4_T5_T6_T7_T9_mT8_P12ihipStream_tbDpT10_ENKUlT_T0_E_clISt17integral_constantIbLb1EES1A_EEDaS15_S16_EUlS15_E_NS1_11comp_targetILNS1_3genE4ELNS1_11target_archE910ELNS1_3gpuE8ELNS1_3repE0EEENS1_30default_config_static_selectorELNS0_4arch9wavefront6targetE1EEEvT1_.uses_vcc, 0
	.set _ZN7rocprim17ROCPRIM_400000_NS6detail17trampoline_kernelINS0_14default_configENS1_25partition_config_selectorILNS1_17partition_subalgoE8EyNS0_10empty_typeEbEEZZNS1_14partition_implILS5_8ELb0ES3_jN6thrust23THRUST_200600_302600_NS6detail15normal_iteratorINSA_10device_ptrIyEEEEPS6_PKS6_NS0_5tupleIJSF_S6_EEENSJ_IJSG_SG_EEENS0_18inequality_wrapperI22is_equal_div_10_uniqueIyEEEPmJS6_EEE10hipError_tPvRmT3_T4_T5_T6_T7_T9_mT8_P12ihipStream_tbDpT10_ENKUlT_T0_E_clISt17integral_constantIbLb1EES1A_EEDaS15_S16_EUlS15_E_NS1_11comp_targetILNS1_3genE4ELNS1_11target_archE910ELNS1_3gpuE8ELNS1_3repE0EEENS1_30default_config_static_selectorELNS0_4arch9wavefront6targetE1EEEvT1_.uses_flat_scratch, 0
	.set _ZN7rocprim17ROCPRIM_400000_NS6detail17trampoline_kernelINS0_14default_configENS1_25partition_config_selectorILNS1_17partition_subalgoE8EyNS0_10empty_typeEbEEZZNS1_14partition_implILS5_8ELb0ES3_jN6thrust23THRUST_200600_302600_NS6detail15normal_iteratorINSA_10device_ptrIyEEEEPS6_PKS6_NS0_5tupleIJSF_S6_EEENSJ_IJSG_SG_EEENS0_18inequality_wrapperI22is_equal_div_10_uniqueIyEEEPmJS6_EEE10hipError_tPvRmT3_T4_T5_T6_T7_T9_mT8_P12ihipStream_tbDpT10_ENKUlT_T0_E_clISt17integral_constantIbLb1EES1A_EEDaS15_S16_EUlS15_E_NS1_11comp_targetILNS1_3genE4ELNS1_11target_archE910ELNS1_3gpuE8ELNS1_3repE0EEENS1_30default_config_static_selectorELNS0_4arch9wavefront6targetE1EEEvT1_.has_dyn_sized_stack, 0
	.set _ZN7rocprim17ROCPRIM_400000_NS6detail17trampoline_kernelINS0_14default_configENS1_25partition_config_selectorILNS1_17partition_subalgoE8EyNS0_10empty_typeEbEEZZNS1_14partition_implILS5_8ELb0ES3_jN6thrust23THRUST_200600_302600_NS6detail15normal_iteratorINSA_10device_ptrIyEEEEPS6_PKS6_NS0_5tupleIJSF_S6_EEENSJ_IJSG_SG_EEENS0_18inequality_wrapperI22is_equal_div_10_uniqueIyEEEPmJS6_EEE10hipError_tPvRmT3_T4_T5_T6_T7_T9_mT8_P12ihipStream_tbDpT10_ENKUlT_T0_E_clISt17integral_constantIbLb1EES1A_EEDaS15_S16_EUlS15_E_NS1_11comp_targetILNS1_3genE4ELNS1_11target_archE910ELNS1_3gpuE8ELNS1_3repE0EEENS1_30default_config_static_selectorELNS0_4arch9wavefront6targetE1EEEvT1_.has_recursion, 0
	.set _ZN7rocprim17ROCPRIM_400000_NS6detail17trampoline_kernelINS0_14default_configENS1_25partition_config_selectorILNS1_17partition_subalgoE8EyNS0_10empty_typeEbEEZZNS1_14partition_implILS5_8ELb0ES3_jN6thrust23THRUST_200600_302600_NS6detail15normal_iteratorINSA_10device_ptrIyEEEEPS6_PKS6_NS0_5tupleIJSF_S6_EEENSJ_IJSG_SG_EEENS0_18inequality_wrapperI22is_equal_div_10_uniqueIyEEEPmJS6_EEE10hipError_tPvRmT3_T4_T5_T6_T7_T9_mT8_P12ihipStream_tbDpT10_ENKUlT_T0_E_clISt17integral_constantIbLb1EES1A_EEDaS15_S16_EUlS15_E_NS1_11comp_targetILNS1_3genE4ELNS1_11target_archE910ELNS1_3gpuE8ELNS1_3repE0EEENS1_30default_config_static_selectorELNS0_4arch9wavefront6targetE1EEEvT1_.has_indirect_call, 0
	.section	.AMDGPU.csdata,"",@progbits
; Kernel info:
; codeLenInByte = 0
; TotalNumSgprs: 4
; NumVgprs: 0
; ScratchSize: 0
; MemoryBound: 0
; FloatMode: 240
; IeeeMode: 1
; LDSByteSize: 0 bytes/workgroup (compile time only)
; SGPRBlocks: 0
; VGPRBlocks: 0
; NumSGPRsForWavesPerEU: 4
; NumVGPRsForWavesPerEU: 1
; Occupancy: 10
; WaveLimiterHint : 0
; COMPUTE_PGM_RSRC2:SCRATCH_EN: 0
; COMPUTE_PGM_RSRC2:USER_SGPR: 6
; COMPUTE_PGM_RSRC2:TRAP_HANDLER: 0
; COMPUTE_PGM_RSRC2:TGID_X_EN: 1
; COMPUTE_PGM_RSRC2:TGID_Y_EN: 0
; COMPUTE_PGM_RSRC2:TGID_Z_EN: 0
; COMPUTE_PGM_RSRC2:TIDIG_COMP_CNT: 0
	.section	.text._ZN7rocprim17ROCPRIM_400000_NS6detail17trampoline_kernelINS0_14default_configENS1_25partition_config_selectorILNS1_17partition_subalgoE8EyNS0_10empty_typeEbEEZZNS1_14partition_implILS5_8ELb0ES3_jN6thrust23THRUST_200600_302600_NS6detail15normal_iteratorINSA_10device_ptrIyEEEEPS6_PKS6_NS0_5tupleIJSF_S6_EEENSJ_IJSG_SG_EEENS0_18inequality_wrapperI22is_equal_div_10_uniqueIyEEEPmJS6_EEE10hipError_tPvRmT3_T4_T5_T6_T7_T9_mT8_P12ihipStream_tbDpT10_ENKUlT_T0_E_clISt17integral_constantIbLb1EES1A_EEDaS15_S16_EUlS15_E_NS1_11comp_targetILNS1_3genE3ELNS1_11target_archE908ELNS1_3gpuE7ELNS1_3repE0EEENS1_30default_config_static_selectorELNS0_4arch9wavefront6targetE1EEEvT1_,"axG",@progbits,_ZN7rocprim17ROCPRIM_400000_NS6detail17trampoline_kernelINS0_14default_configENS1_25partition_config_selectorILNS1_17partition_subalgoE8EyNS0_10empty_typeEbEEZZNS1_14partition_implILS5_8ELb0ES3_jN6thrust23THRUST_200600_302600_NS6detail15normal_iteratorINSA_10device_ptrIyEEEEPS6_PKS6_NS0_5tupleIJSF_S6_EEENSJ_IJSG_SG_EEENS0_18inequality_wrapperI22is_equal_div_10_uniqueIyEEEPmJS6_EEE10hipError_tPvRmT3_T4_T5_T6_T7_T9_mT8_P12ihipStream_tbDpT10_ENKUlT_T0_E_clISt17integral_constantIbLb1EES1A_EEDaS15_S16_EUlS15_E_NS1_11comp_targetILNS1_3genE3ELNS1_11target_archE908ELNS1_3gpuE7ELNS1_3repE0EEENS1_30default_config_static_selectorELNS0_4arch9wavefront6targetE1EEEvT1_,comdat
	.protected	_ZN7rocprim17ROCPRIM_400000_NS6detail17trampoline_kernelINS0_14default_configENS1_25partition_config_selectorILNS1_17partition_subalgoE8EyNS0_10empty_typeEbEEZZNS1_14partition_implILS5_8ELb0ES3_jN6thrust23THRUST_200600_302600_NS6detail15normal_iteratorINSA_10device_ptrIyEEEEPS6_PKS6_NS0_5tupleIJSF_S6_EEENSJ_IJSG_SG_EEENS0_18inequality_wrapperI22is_equal_div_10_uniqueIyEEEPmJS6_EEE10hipError_tPvRmT3_T4_T5_T6_T7_T9_mT8_P12ihipStream_tbDpT10_ENKUlT_T0_E_clISt17integral_constantIbLb1EES1A_EEDaS15_S16_EUlS15_E_NS1_11comp_targetILNS1_3genE3ELNS1_11target_archE908ELNS1_3gpuE7ELNS1_3repE0EEENS1_30default_config_static_selectorELNS0_4arch9wavefront6targetE1EEEvT1_ ; -- Begin function _ZN7rocprim17ROCPRIM_400000_NS6detail17trampoline_kernelINS0_14default_configENS1_25partition_config_selectorILNS1_17partition_subalgoE8EyNS0_10empty_typeEbEEZZNS1_14partition_implILS5_8ELb0ES3_jN6thrust23THRUST_200600_302600_NS6detail15normal_iteratorINSA_10device_ptrIyEEEEPS6_PKS6_NS0_5tupleIJSF_S6_EEENSJ_IJSG_SG_EEENS0_18inequality_wrapperI22is_equal_div_10_uniqueIyEEEPmJS6_EEE10hipError_tPvRmT3_T4_T5_T6_T7_T9_mT8_P12ihipStream_tbDpT10_ENKUlT_T0_E_clISt17integral_constantIbLb1EES1A_EEDaS15_S16_EUlS15_E_NS1_11comp_targetILNS1_3genE3ELNS1_11target_archE908ELNS1_3gpuE7ELNS1_3repE0EEENS1_30default_config_static_selectorELNS0_4arch9wavefront6targetE1EEEvT1_
	.globl	_ZN7rocprim17ROCPRIM_400000_NS6detail17trampoline_kernelINS0_14default_configENS1_25partition_config_selectorILNS1_17partition_subalgoE8EyNS0_10empty_typeEbEEZZNS1_14partition_implILS5_8ELb0ES3_jN6thrust23THRUST_200600_302600_NS6detail15normal_iteratorINSA_10device_ptrIyEEEEPS6_PKS6_NS0_5tupleIJSF_S6_EEENSJ_IJSG_SG_EEENS0_18inequality_wrapperI22is_equal_div_10_uniqueIyEEEPmJS6_EEE10hipError_tPvRmT3_T4_T5_T6_T7_T9_mT8_P12ihipStream_tbDpT10_ENKUlT_T0_E_clISt17integral_constantIbLb1EES1A_EEDaS15_S16_EUlS15_E_NS1_11comp_targetILNS1_3genE3ELNS1_11target_archE908ELNS1_3gpuE7ELNS1_3repE0EEENS1_30default_config_static_selectorELNS0_4arch9wavefront6targetE1EEEvT1_
	.p2align	8
	.type	_ZN7rocprim17ROCPRIM_400000_NS6detail17trampoline_kernelINS0_14default_configENS1_25partition_config_selectorILNS1_17partition_subalgoE8EyNS0_10empty_typeEbEEZZNS1_14partition_implILS5_8ELb0ES3_jN6thrust23THRUST_200600_302600_NS6detail15normal_iteratorINSA_10device_ptrIyEEEEPS6_PKS6_NS0_5tupleIJSF_S6_EEENSJ_IJSG_SG_EEENS0_18inequality_wrapperI22is_equal_div_10_uniqueIyEEEPmJS6_EEE10hipError_tPvRmT3_T4_T5_T6_T7_T9_mT8_P12ihipStream_tbDpT10_ENKUlT_T0_E_clISt17integral_constantIbLb1EES1A_EEDaS15_S16_EUlS15_E_NS1_11comp_targetILNS1_3genE3ELNS1_11target_archE908ELNS1_3gpuE7ELNS1_3repE0EEENS1_30default_config_static_selectorELNS0_4arch9wavefront6targetE1EEEvT1_,@function
_ZN7rocprim17ROCPRIM_400000_NS6detail17trampoline_kernelINS0_14default_configENS1_25partition_config_selectorILNS1_17partition_subalgoE8EyNS0_10empty_typeEbEEZZNS1_14partition_implILS5_8ELb0ES3_jN6thrust23THRUST_200600_302600_NS6detail15normal_iteratorINSA_10device_ptrIyEEEEPS6_PKS6_NS0_5tupleIJSF_S6_EEENSJ_IJSG_SG_EEENS0_18inequality_wrapperI22is_equal_div_10_uniqueIyEEEPmJS6_EEE10hipError_tPvRmT3_T4_T5_T6_T7_T9_mT8_P12ihipStream_tbDpT10_ENKUlT_T0_E_clISt17integral_constantIbLb1EES1A_EEDaS15_S16_EUlS15_E_NS1_11comp_targetILNS1_3genE3ELNS1_11target_archE908ELNS1_3gpuE7ELNS1_3repE0EEENS1_30default_config_static_selectorELNS0_4arch9wavefront6targetE1EEEvT1_: ; @_ZN7rocprim17ROCPRIM_400000_NS6detail17trampoline_kernelINS0_14default_configENS1_25partition_config_selectorILNS1_17partition_subalgoE8EyNS0_10empty_typeEbEEZZNS1_14partition_implILS5_8ELb0ES3_jN6thrust23THRUST_200600_302600_NS6detail15normal_iteratorINSA_10device_ptrIyEEEEPS6_PKS6_NS0_5tupleIJSF_S6_EEENSJ_IJSG_SG_EEENS0_18inequality_wrapperI22is_equal_div_10_uniqueIyEEEPmJS6_EEE10hipError_tPvRmT3_T4_T5_T6_T7_T9_mT8_P12ihipStream_tbDpT10_ENKUlT_T0_E_clISt17integral_constantIbLb1EES1A_EEDaS15_S16_EUlS15_E_NS1_11comp_targetILNS1_3genE3ELNS1_11target_archE908ELNS1_3gpuE7ELNS1_3repE0EEENS1_30default_config_static_selectorELNS0_4arch9wavefront6targetE1EEEvT1_
; %bb.0:
	.section	.rodata,"a",@progbits
	.p2align	6, 0x0
	.amdhsa_kernel _ZN7rocprim17ROCPRIM_400000_NS6detail17trampoline_kernelINS0_14default_configENS1_25partition_config_selectorILNS1_17partition_subalgoE8EyNS0_10empty_typeEbEEZZNS1_14partition_implILS5_8ELb0ES3_jN6thrust23THRUST_200600_302600_NS6detail15normal_iteratorINSA_10device_ptrIyEEEEPS6_PKS6_NS0_5tupleIJSF_S6_EEENSJ_IJSG_SG_EEENS0_18inequality_wrapperI22is_equal_div_10_uniqueIyEEEPmJS6_EEE10hipError_tPvRmT3_T4_T5_T6_T7_T9_mT8_P12ihipStream_tbDpT10_ENKUlT_T0_E_clISt17integral_constantIbLb1EES1A_EEDaS15_S16_EUlS15_E_NS1_11comp_targetILNS1_3genE3ELNS1_11target_archE908ELNS1_3gpuE7ELNS1_3repE0EEENS1_30default_config_static_selectorELNS0_4arch9wavefront6targetE1EEEvT1_
		.amdhsa_group_segment_fixed_size 0
		.amdhsa_private_segment_fixed_size 0
		.amdhsa_kernarg_size 128
		.amdhsa_user_sgpr_count 6
		.amdhsa_user_sgpr_private_segment_buffer 1
		.amdhsa_user_sgpr_dispatch_ptr 0
		.amdhsa_user_sgpr_queue_ptr 0
		.amdhsa_user_sgpr_kernarg_segment_ptr 1
		.amdhsa_user_sgpr_dispatch_id 0
		.amdhsa_user_sgpr_flat_scratch_init 0
		.amdhsa_user_sgpr_private_segment_size 0
		.amdhsa_uses_dynamic_stack 0
		.amdhsa_system_sgpr_private_segment_wavefront_offset 0
		.amdhsa_system_sgpr_workgroup_id_x 1
		.amdhsa_system_sgpr_workgroup_id_y 0
		.amdhsa_system_sgpr_workgroup_id_z 0
		.amdhsa_system_sgpr_workgroup_info 0
		.amdhsa_system_vgpr_workitem_id 0
		.amdhsa_next_free_vgpr 1
		.amdhsa_next_free_sgpr 0
		.amdhsa_reserve_vcc 0
		.amdhsa_reserve_flat_scratch 0
		.amdhsa_float_round_mode_32 0
		.amdhsa_float_round_mode_16_64 0
		.amdhsa_float_denorm_mode_32 3
		.amdhsa_float_denorm_mode_16_64 3
		.amdhsa_dx10_clamp 1
		.amdhsa_ieee_mode 1
		.amdhsa_fp16_overflow 0
		.amdhsa_exception_fp_ieee_invalid_op 0
		.amdhsa_exception_fp_denorm_src 0
		.amdhsa_exception_fp_ieee_div_zero 0
		.amdhsa_exception_fp_ieee_overflow 0
		.amdhsa_exception_fp_ieee_underflow 0
		.amdhsa_exception_fp_ieee_inexact 0
		.amdhsa_exception_int_div_zero 0
	.end_amdhsa_kernel
	.section	.text._ZN7rocprim17ROCPRIM_400000_NS6detail17trampoline_kernelINS0_14default_configENS1_25partition_config_selectorILNS1_17partition_subalgoE8EyNS0_10empty_typeEbEEZZNS1_14partition_implILS5_8ELb0ES3_jN6thrust23THRUST_200600_302600_NS6detail15normal_iteratorINSA_10device_ptrIyEEEEPS6_PKS6_NS0_5tupleIJSF_S6_EEENSJ_IJSG_SG_EEENS0_18inequality_wrapperI22is_equal_div_10_uniqueIyEEEPmJS6_EEE10hipError_tPvRmT3_T4_T5_T6_T7_T9_mT8_P12ihipStream_tbDpT10_ENKUlT_T0_E_clISt17integral_constantIbLb1EES1A_EEDaS15_S16_EUlS15_E_NS1_11comp_targetILNS1_3genE3ELNS1_11target_archE908ELNS1_3gpuE7ELNS1_3repE0EEENS1_30default_config_static_selectorELNS0_4arch9wavefront6targetE1EEEvT1_,"axG",@progbits,_ZN7rocprim17ROCPRIM_400000_NS6detail17trampoline_kernelINS0_14default_configENS1_25partition_config_selectorILNS1_17partition_subalgoE8EyNS0_10empty_typeEbEEZZNS1_14partition_implILS5_8ELb0ES3_jN6thrust23THRUST_200600_302600_NS6detail15normal_iteratorINSA_10device_ptrIyEEEEPS6_PKS6_NS0_5tupleIJSF_S6_EEENSJ_IJSG_SG_EEENS0_18inequality_wrapperI22is_equal_div_10_uniqueIyEEEPmJS6_EEE10hipError_tPvRmT3_T4_T5_T6_T7_T9_mT8_P12ihipStream_tbDpT10_ENKUlT_T0_E_clISt17integral_constantIbLb1EES1A_EEDaS15_S16_EUlS15_E_NS1_11comp_targetILNS1_3genE3ELNS1_11target_archE908ELNS1_3gpuE7ELNS1_3repE0EEENS1_30default_config_static_selectorELNS0_4arch9wavefront6targetE1EEEvT1_,comdat
.Lfunc_end188:
	.size	_ZN7rocprim17ROCPRIM_400000_NS6detail17trampoline_kernelINS0_14default_configENS1_25partition_config_selectorILNS1_17partition_subalgoE8EyNS0_10empty_typeEbEEZZNS1_14partition_implILS5_8ELb0ES3_jN6thrust23THRUST_200600_302600_NS6detail15normal_iteratorINSA_10device_ptrIyEEEEPS6_PKS6_NS0_5tupleIJSF_S6_EEENSJ_IJSG_SG_EEENS0_18inequality_wrapperI22is_equal_div_10_uniqueIyEEEPmJS6_EEE10hipError_tPvRmT3_T4_T5_T6_T7_T9_mT8_P12ihipStream_tbDpT10_ENKUlT_T0_E_clISt17integral_constantIbLb1EES1A_EEDaS15_S16_EUlS15_E_NS1_11comp_targetILNS1_3genE3ELNS1_11target_archE908ELNS1_3gpuE7ELNS1_3repE0EEENS1_30default_config_static_selectorELNS0_4arch9wavefront6targetE1EEEvT1_, .Lfunc_end188-_ZN7rocprim17ROCPRIM_400000_NS6detail17trampoline_kernelINS0_14default_configENS1_25partition_config_selectorILNS1_17partition_subalgoE8EyNS0_10empty_typeEbEEZZNS1_14partition_implILS5_8ELb0ES3_jN6thrust23THRUST_200600_302600_NS6detail15normal_iteratorINSA_10device_ptrIyEEEEPS6_PKS6_NS0_5tupleIJSF_S6_EEENSJ_IJSG_SG_EEENS0_18inequality_wrapperI22is_equal_div_10_uniqueIyEEEPmJS6_EEE10hipError_tPvRmT3_T4_T5_T6_T7_T9_mT8_P12ihipStream_tbDpT10_ENKUlT_T0_E_clISt17integral_constantIbLb1EES1A_EEDaS15_S16_EUlS15_E_NS1_11comp_targetILNS1_3genE3ELNS1_11target_archE908ELNS1_3gpuE7ELNS1_3repE0EEENS1_30default_config_static_selectorELNS0_4arch9wavefront6targetE1EEEvT1_
                                        ; -- End function
	.set _ZN7rocprim17ROCPRIM_400000_NS6detail17trampoline_kernelINS0_14default_configENS1_25partition_config_selectorILNS1_17partition_subalgoE8EyNS0_10empty_typeEbEEZZNS1_14partition_implILS5_8ELb0ES3_jN6thrust23THRUST_200600_302600_NS6detail15normal_iteratorINSA_10device_ptrIyEEEEPS6_PKS6_NS0_5tupleIJSF_S6_EEENSJ_IJSG_SG_EEENS0_18inequality_wrapperI22is_equal_div_10_uniqueIyEEEPmJS6_EEE10hipError_tPvRmT3_T4_T5_T6_T7_T9_mT8_P12ihipStream_tbDpT10_ENKUlT_T0_E_clISt17integral_constantIbLb1EES1A_EEDaS15_S16_EUlS15_E_NS1_11comp_targetILNS1_3genE3ELNS1_11target_archE908ELNS1_3gpuE7ELNS1_3repE0EEENS1_30default_config_static_selectorELNS0_4arch9wavefront6targetE1EEEvT1_.num_vgpr, 0
	.set _ZN7rocprim17ROCPRIM_400000_NS6detail17trampoline_kernelINS0_14default_configENS1_25partition_config_selectorILNS1_17partition_subalgoE8EyNS0_10empty_typeEbEEZZNS1_14partition_implILS5_8ELb0ES3_jN6thrust23THRUST_200600_302600_NS6detail15normal_iteratorINSA_10device_ptrIyEEEEPS6_PKS6_NS0_5tupleIJSF_S6_EEENSJ_IJSG_SG_EEENS0_18inequality_wrapperI22is_equal_div_10_uniqueIyEEEPmJS6_EEE10hipError_tPvRmT3_T4_T5_T6_T7_T9_mT8_P12ihipStream_tbDpT10_ENKUlT_T0_E_clISt17integral_constantIbLb1EES1A_EEDaS15_S16_EUlS15_E_NS1_11comp_targetILNS1_3genE3ELNS1_11target_archE908ELNS1_3gpuE7ELNS1_3repE0EEENS1_30default_config_static_selectorELNS0_4arch9wavefront6targetE1EEEvT1_.num_agpr, 0
	.set _ZN7rocprim17ROCPRIM_400000_NS6detail17trampoline_kernelINS0_14default_configENS1_25partition_config_selectorILNS1_17partition_subalgoE8EyNS0_10empty_typeEbEEZZNS1_14partition_implILS5_8ELb0ES3_jN6thrust23THRUST_200600_302600_NS6detail15normal_iteratorINSA_10device_ptrIyEEEEPS6_PKS6_NS0_5tupleIJSF_S6_EEENSJ_IJSG_SG_EEENS0_18inequality_wrapperI22is_equal_div_10_uniqueIyEEEPmJS6_EEE10hipError_tPvRmT3_T4_T5_T6_T7_T9_mT8_P12ihipStream_tbDpT10_ENKUlT_T0_E_clISt17integral_constantIbLb1EES1A_EEDaS15_S16_EUlS15_E_NS1_11comp_targetILNS1_3genE3ELNS1_11target_archE908ELNS1_3gpuE7ELNS1_3repE0EEENS1_30default_config_static_selectorELNS0_4arch9wavefront6targetE1EEEvT1_.numbered_sgpr, 0
	.set _ZN7rocprim17ROCPRIM_400000_NS6detail17trampoline_kernelINS0_14default_configENS1_25partition_config_selectorILNS1_17partition_subalgoE8EyNS0_10empty_typeEbEEZZNS1_14partition_implILS5_8ELb0ES3_jN6thrust23THRUST_200600_302600_NS6detail15normal_iteratorINSA_10device_ptrIyEEEEPS6_PKS6_NS0_5tupleIJSF_S6_EEENSJ_IJSG_SG_EEENS0_18inequality_wrapperI22is_equal_div_10_uniqueIyEEEPmJS6_EEE10hipError_tPvRmT3_T4_T5_T6_T7_T9_mT8_P12ihipStream_tbDpT10_ENKUlT_T0_E_clISt17integral_constantIbLb1EES1A_EEDaS15_S16_EUlS15_E_NS1_11comp_targetILNS1_3genE3ELNS1_11target_archE908ELNS1_3gpuE7ELNS1_3repE0EEENS1_30default_config_static_selectorELNS0_4arch9wavefront6targetE1EEEvT1_.num_named_barrier, 0
	.set _ZN7rocprim17ROCPRIM_400000_NS6detail17trampoline_kernelINS0_14default_configENS1_25partition_config_selectorILNS1_17partition_subalgoE8EyNS0_10empty_typeEbEEZZNS1_14partition_implILS5_8ELb0ES3_jN6thrust23THRUST_200600_302600_NS6detail15normal_iteratorINSA_10device_ptrIyEEEEPS6_PKS6_NS0_5tupleIJSF_S6_EEENSJ_IJSG_SG_EEENS0_18inequality_wrapperI22is_equal_div_10_uniqueIyEEEPmJS6_EEE10hipError_tPvRmT3_T4_T5_T6_T7_T9_mT8_P12ihipStream_tbDpT10_ENKUlT_T0_E_clISt17integral_constantIbLb1EES1A_EEDaS15_S16_EUlS15_E_NS1_11comp_targetILNS1_3genE3ELNS1_11target_archE908ELNS1_3gpuE7ELNS1_3repE0EEENS1_30default_config_static_selectorELNS0_4arch9wavefront6targetE1EEEvT1_.private_seg_size, 0
	.set _ZN7rocprim17ROCPRIM_400000_NS6detail17trampoline_kernelINS0_14default_configENS1_25partition_config_selectorILNS1_17partition_subalgoE8EyNS0_10empty_typeEbEEZZNS1_14partition_implILS5_8ELb0ES3_jN6thrust23THRUST_200600_302600_NS6detail15normal_iteratorINSA_10device_ptrIyEEEEPS6_PKS6_NS0_5tupleIJSF_S6_EEENSJ_IJSG_SG_EEENS0_18inequality_wrapperI22is_equal_div_10_uniqueIyEEEPmJS6_EEE10hipError_tPvRmT3_T4_T5_T6_T7_T9_mT8_P12ihipStream_tbDpT10_ENKUlT_T0_E_clISt17integral_constantIbLb1EES1A_EEDaS15_S16_EUlS15_E_NS1_11comp_targetILNS1_3genE3ELNS1_11target_archE908ELNS1_3gpuE7ELNS1_3repE0EEENS1_30default_config_static_selectorELNS0_4arch9wavefront6targetE1EEEvT1_.uses_vcc, 0
	.set _ZN7rocprim17ROCPRIM_400000_NS6detail17trampoline_kernelINS0_14default_configENS1_25partition_config_selectorILNS1_17partition_subalgoE8EyNS0_10empty_typeEbEEZZNS1_14partition_implILS5_8ELb0ES3_jN6thrust23THRUST_200600_302600_NS6detail15normal_iteratorINSA_10device_ptrIyEEEEPS6_PKS6_NS0_5tupleIJSF_S6_EEENSJ_IJSG_SG_EEENS0_18inequality_wrapperI22is_equal_div_10_uniqueIyEEEPmJS6_EEE10hipError_tPvRmT3_T4_T5_T6_T7_T9_mT8_P12ihipStream_tbDpT10_ENKUlT_T0_E_clISt17integral_constantIbLb1EES1A_EEDaS15_S16_EUlS15_E_NS1_11comp_targetILNS1_3genE3ELNS1_11target_archE908ELNS1_3gpuE7ELNS1_3repE0EEENS1_30default_config_static_selectorELNS0_4arch9wavefront6targetE1EEEvT1_.uses_flat_scratch, 0
	.set _ZN7rocprim17ROCPRIM_400000_NS6detail17trampoline_kernelINS0_14default_configENS1_25partition_config_selectorILNS1_17partition_subalgoE8EyNS0_10empty_typeEbEEZZNS1_14partition_implILS5_8ELb0ES3_jN6thrust23THRUST_200600_302600_NS6detail15normal_iteratorINSA_10device_ptrIyEEEEPS6_PKS6_NS0_5tupleIJSF_S6_EEENSJ_IJSG_SG_EEENS0_18inequality_wrapperI22is_equal_div_10_uniqueIyEEEPmJS6_EEE10hipError_tPvRmT3_T4_T5_T6_T7_T9_mT8_P12ihipStream_tbDpT10_ENKUlT_T0_E_clISt17integral_constantIbLb1EES1A_EEDaS15_S16_EUlS15_E_NS1_11comp_targetILNS1_3genE3ELNS1_11target_archE908ELNS1_3gpuE7ELNS1_3repE0EEENS1_30default_config_static_selectorELNS0_4arch9wavefront6targetE1EEEvT1_.has_dyn_sized_stack, 0
	.set _ZN7rocprim17ROCPRIM_400000_NS6detail17trampoline_kernelINS0_14default_configENS1_25partition_config_selectorILNS1_17partition_subalgoE8EyNS0_10empty_typeEbEEZZNS1_14partition_implILS5_8ELb0ES3_jN6thrust23THRUST_200600_302600_NS6detail15normal_iteratorINSA_10device_ptrIyEEEEPS6_PKS6_NS0_5tupleIJSF_S6_EEENSJ_IJSG_SG_EEENS0_18inequality_wrapperI22is_equal_div_10_uniqueIyEEEPmJS6_EEE10hipError_tPvRmT3_T4_T5_T6_T7_T9_mT8_P12ihipStream_tbDpT10_ENKUlT_T0_E_clISt17integral_constantIbLb1EES1A_EEDaS15_S16_EUlS15_E_NS1_11comp_targetILNS1_3genE3ELNS1_11target_archE908ELNS1_3gpuE7ELNS1_3repE0EEENS1_30default_config_static_selectorELNS0_4arch9wavefront6targetE1EEEvT1_.has_recursion, 0
	.set _ZN7rocprim17ROCPRIM_400000_NS6detail17trampoline_kernelINS0_14default_configENS1_25partition_config_selectorILNS1_17partition_subalgoE8EyNS0_10empty_typeEbEEZZNS1_14partition_implILS5_8ELb0ES3_jN6thrust23THRUST_200600_302600_NS6detail15normal_iteratorINSA_10device_ptrIyEEEEPS6_PKS6_NS0_5tupleIJSF_S6_EEENSJ_IJSG_SG_EEENS0_18inequality_wrapperI22is_equal_div_10_uniqueIyEEEPmJS6_EEE10hipError_tPvRmT3_T4_T5_T6_T7_T9_mT8_P12ihipStream_tbDpT10_ENKUlT_T0_E_clISt17integral_constantIbLb1EES1A_EEDaS15_S16_EUlS15_E_NS1_11comp_targetILNS1_3genE3ELNS1_11target_archE908ELNS1_3gpuE7ELNS1_3repE0EEENS1_30default_config_static_selectorELNS0_4arch9wavefront6targetE1EEEvT1_.has_indirect_call, 0
	.section	.AMDGPU.csdata,"",@progbits
; Kernel info:
; codeLenInByte = 0
; TotalNumSgprs: 4
; NumVgprs: 0
; ScratchSize: 0
; MemoryBound: 0
; FloatMode: 240
; IeeeMode: 1
; LDSByteSize: 0 bytes/workgroup (compile time only)
; SGPRBlocks: 0
; VGPRBlocks: 0
; NumSGPRsForWavesPerEU: 4
; NumVGPRsForWavesPerEU: 1
; Occupancy: 10
; WaveLimiterHint : 0
; COMPUTE_PGM_RSRC2:SCRATCH_EN: 0
; COMPUTE_PGM_RSRC2:USER_SGPR: 6
; COMPUTE_PGM_RSRC2:TRAP_HANDLER: 0
; COMPUTE_PGM_RSRC2:TGID_X_EN: 1
; COMPUTE_PGM_RSRC2:TGID_Y_EN: 0
; COMPUTE_PGM_RSRC2:TGID_Z_EN: 0
; COMPUTE_PGM_RSRC2:TIDIG_COMP_CNT: 0
	.section	.text._ZN7rocprim17ROCPRIM_400000_NS6detail17trampoline_kernelINS0_14default_configENS1_25partition_config_selectorILNS1_17partition_subalgoE8EyNS0_10empty_typeEbEEZZNS1_14partition_implILS5_8ELb0ES3_jN6thrust23THRUST_200600_302600_NS6detail15normal_iteratorINSA_10device_ptrIyEEEEPS6_PKS6_NS0_5tupleIJSF_S6_EEENSJ_IJSG_SG_EEENS0_18inequality_wrapperI22is_equal_div_10_uniqueIyEEEPmJS6_EEE10hipError_tPvRmT3_T4_T5_T6_T7_T9_mT8_P12ihipStream_tbDpT10_ENKUlT_T0_E_clISt17integral_constantIbLb1EES1A_EEDaS15_S16_EUlS15_E_NS1_11comp_targetILNS1_3genE2ELNS1_11target_archE906ELNS1_3gpuE6ELNS1_3repE0EEENS1_30default_config_static_selectorELNS0_4arch9wavefront6targetE1EEEvT1_,"axG",@progbits,_ZN7rocprim17ROCPRIM_400000_NS6detail17trampoline_kernelINS0_14default_configENS1_25partition_config_selectorILNS1_17partition_subalgoE8EyNS0_10empty_typeEbEEZZNS1_14partition_implILS5_8ELb0ES3_jN6thrust23THRUST_200600_302600_NS6detail15normal_iteratorINSA_10device_ptrIyEEEEPS6_PKS6_NS0_5tupleIJSF_S6_EEENSJ_IJSG_SG_EEENS0_18inequality_wrapperI22is_equal_div_10_uniqueIyEEEPmJS6_EEE10hipError_tPvRmT3_T4_T5_T6_T7_T9_mT8_P12ihipStream_tbDpT10_ENKUlT_T0_E_clISt17integral_constantIbLb1EES1A_EEDaS15_S16_EUlS15_E_NS1_11comp_targetILNS1_3genE2ELNS1_11target_archE906ELNS1_3gpuE6ELNS1_3repE0EEENS1_30default_config_static_selectorELNS0_4arch9wavefront6targetE1EEEvT1_,comdat
	.protected	_ZN7rocprim17ROCPRIM_400000_NS6detail17trampoline_kernelINS0_14default_configENS1_25partition_config_selectorILNS1_17partition_subalgoE8EyNS0_10empty_typeEbEEZZNS1_14partition_implILS5_8ELb0ES3_jN6thrust23THRUST_200600_302600_NS6detail15normal_iteratorINSA_10device_ptrIyEEEEPS6_PKS6_NS0_5tupleIJSF_S6_EEENSJ_IJSG_SG_EEENS0_18inequality_wrapperI22is_equal_div_10_uniqueIyEEEPmJS6_EEE10hipError_tPvRmT3_T4_T5_T6_T7_T9_mT8_P12ihipStream_tbDpT10_ENKUlT_T0_E_clISt17integral_constantIbLb1EES1A_EEDaS15_S16_EUlS15_E_NS1_11comp_targetILNS1_3genE2ELNS1_11target_archE906ELNS1_3gpuE6ELNS1_3repE0EEENS1_30default_config_static_selectorELNS0_4arch9wavefront6targetE1EEEvT1_ ; -- Begin function _ZN7rocprim17ROCPRIM_400000_NS6detail17trampoline_kernelINS0_14default_configENS1_25partition_config_selectorILNS1_17partition_subalgoE8EyNS0_10empty_typeEbEEZZNS1_14partition_implILS5_8ELb0ES3_jN6thrust23THRUST_200600_302600_NS6detail15normal_iteratorINSA_10device_ptrIyEEEEPS6_PKS6_NS0_5tupleIJSF_S6_EEENSJ_IJSG_SG_EEENS0_18inequality_wrapperI22is_equal_div_10_uniqueIyEEEPmJS6_EEE10hipError_tPvRmT3_T4_T5_T6_T7_T9_mT8_P12ihipStream_tbDpT10_ENKUlT_T0_E_clISt17integral_constantIbLb1EES1A_EEDaS15_S16_EUlS15_E_NS1_11comp_targetILNS1_3genE2ELNS1_11target_archE906ELNS1_3gpuE6ELNS1_3repE0EEENS1_30default_config_static_selectorELNS0_4arch9wavefront6targetE1EEEvT1_
	.globl	_ZN7rocprim17ROCPRIM_400000_NS6detail17trampoline_kernelINS0_14default_configENS1_25partition_config_selectorILNS1_17partition_subalgoE8EyNS0_10empty_typeEbEEZZNS1_14partition_implILS5_8ELb0ES3_jN6thrust23THRUST_200600_302600_NS6detail15normal_iteratorINSA_10device_ptrIyEEEEPS6_PKS6_NS0_5tupleIJSF_S6_EEENSJ_IJSG_SG_EEENS0_18inequality_wrapperI22is_equal_div_10_uniqueIyEEEPmJS6_EEE10hipError_tPvRmT3_T4_T5_T6_T7_T9_mT8_P12ihipStream_tbDpT10_ENKUlT_T0_E_clISt17integral_constantIbLb1EES1A_EEDaS15_S16_EUlS15_E_NS1_11comp_targetILNS1_3genE2ELNS1_11target_archE906ELNS1_3gpuE6ELNS1_3repE0EEENS1_30default_config_static_selectorELNS0_4arch9wavefront6targetE1EEEvT1_
	.p2align	8
	.type	_ZN7rocprim17ROCPRIM_400000_NS6detail17trampoline_kernelINS0_14default_configENS1_25partition_config_selectorILNS1_17partition_subalgoE8EyNS0_10empty_typeEbEEZZNS1_14partition_implILS5_8ELb0ES3_jN6thrust23THRUST_200600_302600_NS6detail15normal_iteratorINSA_10device_ptrIyEEEEPS6_PKS6_NS0_5tupleIJSF_S6_EEENSJ_IJSG_SG_EEENS0_18inequality_wrapperI22is_equal_div_10_uniqueIyEEEPmJS6_EEE10hipError_tPvRmT3_T4_T5_T6_T7_T9_mT8_P12ihipStream_tbDpT10_ENKUlT_T0_E_clISt17integral_constantIbLb1EES1A_EEDaS15_S16_EUlS15_E_NS1_11comp_targetILNS1_3genE2ELNS1_11target_archE906ELNS1_3gpuE6ELNS1_3repE0EEENS1_30default_config_static_selectorELNS0_4arch9wavefront6targetE1EEEvT1_,@function
_ZN7rocprim17ROCPRIM_400000_NS6detail17trampoline_kernelINS0_14default_configENS1_25partition_config_selectorILNS1_17partition_subalgoE8EyNS0_10empty_typeEbEEZZNS1_14partition_implILS5_8ELb0ES3_jN6thrust23THRUST_200600_302600_NS6detail15normal_iteratorINSA_10device_ptrIyEEEEPS6_PKS6_NS0_5tupleIJSF_S6_EEENSJ_IJSG_SG_EEENS0_18inequality_wrapperI22is_equal_div_10_uniqueIyEEEPmJS6_EEE10hipError_tPvRmT3_T4_T5_T6_T7_T9_mT8_P12ihipStream_tbDpT10_ENKUlT_T0_E_clISt17integral_constantIbLb1EES1A_EEDaS15_S16_EUlS15_E_NS1_11comp_targetILNS1_3genE2ELNS1_11target_archE906ELNS1_3gpuE6ELNS1_3repE0EEENS1_30default_config_static_selectorELNS0_4arch9wavefront6targetE1EEEvT1_: ; @_ZN7rocprim17ROCPRIM_400000_NS6detail17trampoline_kernelINS0_14default_configENS1_25partition_config_selectorILNS1_17partition_subalgoE8EyNS0_10empty_typeEbEEZZNS1_14partition_implILS5_8ELb0ES3_jN6thrust23THRUST_200600_302600_NS6detail15normal_iteratorINSA_10device_ptrIyEEEEPS6_PKS6_NS0_5tupleIJSF_S6_EEENSJ_IJSG_SG_EEENS0_18inequality_wrapperI22is_equal_div_10_uniqueIyEEEPmJS6_EEE10hipError_tPvRmT3_T4_T5_T6_T7_T9_mT8_P12ihipStream_tbDpT10_ENKUlT_T0_E_clISt17integral_constantIbLb1EES1A_EEDaS15_S16_EUlS15_E_NS1_11comp_targetILNS1_3genE2ELNS1_11target_archE906ELNS1_3gpuE6ELNS1_3repE0EEENS1_30default_config_static_selectorELNS0_4arch9wavefront6targetE1EEEvT1_
; %bb.0:
	s_endpgm
	.section	.rodata,"a",@progbits
	.p2align	6, 0x0
	.amdhsa_kernel _ZN7rocprim17ROCPRIM_400000_NS6detail17trampoline_kernelINS0_14default_configENS1_25partition_config_selectorILNS1_17partition_subalgoE8EyNS0_10empty_typeEbEEZZNS1_14partition_implILS5_8ELb0ES3_jN6thrust23THRUST_200600_302600_NS6detail15normal_iteratorINSA_10device_ptrIyEEEEPS6_PKS6_NS0_5tupleIJSF_S6_EEENSJ_IJSG_SG_EEENS0_18inequality_wrapperI22is_equal_div_10_uniqueIyEEEPmJS6_EEE10hipError_tPvRmT3_T4_T5_T6_T7_T9_mT8_P12ihipStream_tbDpT10_ENKUlT_T0_E_clISt17integral_constantIbLb1EES1A_EEDaS15_S16_EUlS15_E_NS1_11comp_targetILNS1_3genE2ELNS1_11target_archE906ELNS1_3gpuE6ELNS1_3repE0EEENS1_30default_config_static_selectorELNS0_4arch9wavefront6targetE1EEEvT1_
		.amdhsa_group_segment_fixed_size 0
		.amdhsa_private_segment_fixed_size 0
		.amdhsa_kernarg_size 128
		.amdhsa_user_sgpr_count 6
		.amdhsa_user_sgpr_private_segment_buffer 1
		.amdhsa_user_sgpr_dispatch_ptr 0
		.amdhsa_user_sgpr_queue_ptr 0
		.amdhsa_user_sgpr_kernarg_segment_ptr 1
		.amdhsa_user_sgpr_dispatch_id 0
		.amdhsa_user_sgpr_flat_scratch_init 0
		.amdhsa_user_sgpr_private_segment_size 0
		.amdhsa_uses_dynamic_stack 0
		.amdhsa_system_sgpr_private_segment_wavefront_offset 0
		.amdhsa_system_sgpr_workgroup_id_x 1
		.amdhsa_system_sgpr_workgroup_id_y 0
		.amdhsa_system_sgpr_workgroup_id_z 0
		.amdhsa_system_sgpr_workgroup_info 0
		.amdhsa_system_vgpr_workitem_id 0
		.amdhsa_next_free_vgpr 1
		.amdhsa_next_free_sgpr 0
		.amdhsa_reserve_vcc 0
		.amdhsa_reserve_flat_scratch 0
		.amdhsa_float_round_mode_32 0
		.amdhsa_float_round_mode_16_64 0
		.amdhsa_float_denorm_mode_32 3
		.amdhsa_float_denorm_mode_16_64 3
		.amdhsa_dx10_clamp 1
		.amdhsa_ieee_mode 1
		.amdhsa_fp16_overflow 0
		.amdhsa_exception_fp_ieee_invalid_op 0
		.amdhsa_exception_fp_denorm_src 0
		.amdhsa_exception_fp_ieee_div_zero 0
		.amdhsa_exception_fp_ieee_overflow 0
		.amdhsa_exception_fp_ieee_underflow 0
		.amdhsa_exception_fp_ieee_inexact 0
		.amdhsa_exception_int_div_zero 0
	.end_amdhsa_kernel
	.section	.text._ZN7rocprim17ROCPRIM_400000_NS6detail17trampoline_kernelINS0_14default_configENS1_25partition_config_selectorILNS1_17partition_subalgoE8EyNS0_10empty_typeEbEEZZNS1_14partition_implILS5_8ELb0ES3_jN6thrust23THRUST_200600_302600_NS6detail15normal_iteratorINSA_10device_ptrIyEEEEPS6_PKS6_NS0_5tupleIJSF_S6_EEENSJ_IJSG_SG_EEENS0_18inequality_wrapperI22is_equal_div_10_uniqueIyEEEPmJS6_EEE10hipError_tPvRmT3_T4_T5_T6_T7_T9_mT8_P12ihipStream_tbDpT10_ENKUlT_T0_E_clISt17integral_constantIbLb1EES1A_EEDaS15_S16_EUlS15_E_NS1_11comp_targetILNS1_3genE2ELNS1_11target_archE906ELNS1_3gpuE6ELNS1_3repE0EEENS1_30default_config_static_selectorELNS0_4arch9wavefront6targetE1EEEvT1_,"axG",@progbits,_ZN7rocprim17ROCPRIM_400000_NS6detail17trampoline_kernelINS0_14default_configENS1_25partition_config_selectorILNS1_17partition_subalgoE8EyNS0_10empty_typeEbEEZZNS1_14partition_implILS5_8ELb0ES3_jN6thrust23THRUST_200600_302600_NS6detail15normal_iteratorINSA_10device_ptrIyEEEEPS6_PKS6_NS0_5tupleIJSF_S6_EEENSJ_IJSG_SG_EEENS0_18inequality_wrapperI22is_equal_div_10_uniqueIyEEEPmJS6_EEE10hipError_tPvRmT3_T4_T5_T6_T7_T9_mT8_P12ihipStream_tbDpT10_ENKUlT_T0_E_clISt17integral_constantIbLb1EES1A_EEDaS15_S16_EUlS15_E_NS1_11comp_targetILNS1_3genE2ELNS1_11target_archE906ELNS1_3gpuE6ELNS1_3repE0EEENS1_30default_config_static_selectorELNS0_4arch9wavefront6targetE1EEEvT1_,comdat
.Lfunc_end189:
	.size	_ZN7rocprim17ROCPRIM_400000_NS6detail17trampoline_kernelINS0_14default_configENS1_25partition_config_selectorILNS1_17partition_subalgoE8EyNS0_10empty_typeEbEEZZNS1_14partition_implILS5_8ELb0ES3_jN6thrust23THRUST_200600_302600_NS6detail15normal_iteratorINSA_10device_ptrIyEEEEPS6_PKS6_NS0_5tupleIJSF_S6_EEENSJ_IJSG_SG_EEENS0_18inequality_wrapperI22is_equal_div_10_uniqueIyEEEPmJS6_EEE10hipError_tPvRmT3_T4_T5_T6_T7_T9_mT8_P12ihipStream_tbDpT10_ENKUlT_T0_E_clISt17integral_constantIbLb1EES1A_EEDaS15_S16_EUlS15_E_NS1_11comp_targetILNS1_3genE2ELNS1_11target_archE906ELNS1_3gpuE6ELNS1_3repE0EEENS1_30default_config_static_selectorELNS0_4arch9wavefront6targetE1EEEvT1_, .Lfunc_end189-_ZN7rocprim17ROCPRIM_400000_NS6detail17trampoline_kernelINS0_14default_configENS1_25partition_config_selectorILNS1_17partition_subalgoE8EyNS0_10empty_typeEbEEZZNS1_14partition_implILS5_8ELb0ES3_jN6thrust23THRUST_200600_302600_NS6detail15normal_iteratorINSA_10device_ptrIyEEEEPS6_PKS6_NS0_5tupleIJSF_S6_EEENSJ_IJSG_SG_EEENS0_18inequality_wrapperI22is_equal_div_10_uniqueIyEEEPmJS6_EEE10hipError_tPvRmT3_T4_T5_T6_T7_T9_mT8_P12ihipStream_tbDpT10_ENKUlT_T0_E_clISt17integral_constantIbLb1EES1A_EEDaS15_S16_EUlS15_E_NS1_11comp_targetILNS1_3genE2ELNS1_11target_archE906ELNS1_3gpuE6ELNS1_3repE0EEENS1_30default_config_static_selectorELNS0_4arch9wavefront6targetE1EEEvT1_
                                        ; -- End function
	.set _ZN7rocprim17ROCPRIM_400000_NS6detail17trampoline_kernelINS0_14default_configENS1_25partition_config_selectorILNS1_17partition_subalgoE8EyNS0_10empty_typeEbEEZZNS1_14partition_implILS5_8ELb0ES3_jN6thrust23THRUST_200600_302600_NS6detail15normal_iteratorINSA_10device_ptrIyEEEEPS6_PKS6_NS0_5tupleIJSF_S6_EEENSJ_IJSG_SG_EEENS0_18inequality_wrapperI22is_equal_div_10_uniqueIyEEEPmJS6_EEE10hipError_tPvRmT3_T4_T5_T6_T7_T9_mT8_P12ihipStream_tbDpT10_ENKUlT_T0_E_clISt17integral_constantIbLb1EES1A_EEDaS15_S16_EUlS15_E_NS1_11comp_targetILNS1_3genE2ELNS1_11target_archE906ELNS1_3gpuE6ELNS1_3repE0EEENS1_30default_config_static_selectorELNS0_4arch9wavefront6targetE1EEEvT1_.num_vgpr, 0
	.set _ZN7rocprim17ROCPRIM_400000_NS6detail17trampoline_kernelINS0_14default_configENS1_25partition_config_selectorILNS1_17partition_subalgoE8EyNS0_10empty_typeEbEEZZNS1_14partition_implILS5_8ELb0ES3_jN6thrust23THRUST_200600_302600_NS6detail15normal_iteratorINSA_10device_ptrIyEEEEPS6_PKS6_NS0_5tupleIJSF_S6_EEENSJ_IJSG_SG_EEENS0_18inequality_wrapperI22is_equal_div_10_uniqueIyEEEPmJS6_EEE10hipError_tPvRmT3_T4_T5_T6_T7_T9_mT8_P12ihipStream_tbDpT10_ENKUlT_T0_E_clISt17integral_constantIbLb1EES1A_EEDaS15_S16_EUlS15_E_NS1_11comp_targetILNS1_3genE2ELNS1_11target_archE906ELNS1_3gpuE6ELNS1_3repE0EEENS1_30default_config_static_selectorELNS0_4arch9wavefront6targetE1EEEvT1_.num_agpr, 0
	.set _ZN7rocprim17ROCPRIM_400000_NS6detail17trampoline_kernelINS0_14default_configENS1_25partition_config_selectorILNS1_17partition_subalgoE8EyNS0_10empty_typeEbEEZZNS1_14partition_implILS5_8ELb0ES3_jN6thrust23THRUST_200600_302600_NS6detail15normal_iteratorINSA_10device_ptrIyEEEEPS6_PKS6_NS0_5tupleIJSF_S6_EEENSJ_IJSG_SG_EEENS0_18inequality_wrapperI22is_equal_div_10_uniqueIyEEEPmJS6_EEE10hipError_tPvRmT3_T4_T5_T6_T7_T9_mT8_P12ihipStream_tbDpT10_ENKUlT_T0_E_clISt17integral_constantIbLb1EES1A_EEDaS15_S16_EUlS15_E_NS1_11comp_targetILNS1_3genE2ELNS1_11target_archE906ELNS1_3gpuE6ELNS1_3repE0EEENS1_30default_config_static_selectorELNS0_4arch9wavefront6targetE1EEEvT1_.numbered_sgpr, 0
	.set _ZN7rocprim17ROCPRIM_400000_NS6detail17trampoline_kernelINS0_14default_configENS1_25partition_config_selectorILNS1_17partition_subalgoE8EyNS0_10empty_typeEbEEZZNS1_14partition_implILS5_8ELb0ES3_jN6thrust23THRUST_200600_302600_NS6detail15normal_iteratorINSA_10device_ptrIyEEEEPS6_PKS6_NS0_5tupleIJSF_S6_EEENSJ_IJSG_SG_EEENS0_18inequality_wrapperI22is_equal_div_10_uniqueIyEEEPmJS6_EEE10hipError_tPvRmT3_T4_T5_T6_T7_T9_mT8_P12ihipStream_tbDpT10_ENKUlT_T0_E_clISt17integral_constantIbLb1EES1A_EEDaS15_S16_EUlS15_E_NS1_11comp_targetILNS1_3genE2ELNS1_11target_archE906ELNS1_3gpuE6ELNS1_3repE0EEENS1_30default_config_static_selectorELNS0_4arch9wavefront6targetE1EEEvT1_.num_named_barrier, 0
	.set _ZN7rocprim17ROCPRIM_400000_NS6detail17trampoline_kernelINS0_14default_configENS1_25partition_config_selectorILNS1_17partition_subalgoE8EyNS0_10empty_typeEbEEZZNS1_14partition_implILS5_8ELb0ES3_jN6thrust23THRUST_200600_302600_NS6detail15normal_iteratorINSA_10device_ptrIyEEEEPS6_PKS6_NS0_5tupleIJSF_S6_EEENSJ_IJSG_SG_EEENS0_18inequality_wrapperI22is_equal_div_10_uniqueIyEEEPmJS6_EEE10hipError_tPvRmT3_T4_T5_T6_T7_T9_mT8_P12ihipStream_tbDpT10_ENKUlT_T0_E_clISt17integral_constantIbLb1EES1A_EEDaS15_S16_EUlS15_E_NS1_11comp_targetILNS1_3genE2ELNS1_11target_archE906ELNS1_3gpuE6ELNS1_3repE0EEENS1_30default_config_static_selectorELNS0_4arch9wavefront6targetE1EEEvT1_.private_seg_size, 0
	.set _ZN7rocprim17ROCPRIM_400000_NS6detail17trampoline_kernelINS0_14default_configENS1_25partition_config_selectorILNS1_17partition_subalgoE8EyNS0_10empty_typeEbEEZZNS1_14partition_implILS5_8ELb0ES3_jN6thrust23THRUST_200600_302600_NS6detail15normal_iteratorINSA_10device_ptrIyEEEEPS6_PKS6_NS0_5tupleIJSF_S6_EEENSJ_IJSG_SG_EEENS0_18inequality_wrapperI22is_equal_div_10_uniqueIyEEEPmJS6_EEE10hipError_tPvRmT3_T4_T5_T6_T7_T9_mT8_P12ihipStream_tbDpT10_ENKUlT_T0_E_clISt17integral_constantIbLb1EES1A_EEDaS15_S16_EUlS15_E_NS1_11comp_targetILNS1_3genE2ELNS1_11target_archE906ELNS1_3gpuE6ELNS1_3repE0EEENS1_30default_config_static_selectorELNS0_4arch9wavefront6targetE1EEEvT1_.uses_vcc, 0
	.set _ZN7rocprim17ROCPRIM_400000_NS6detail17trampoline_kernelINS0_14default_configENS1_25partition_config_selectorILNS1_17partition_subalgoE8EyNS0_10empty_typeEbEEZZNS1_14partition_implILS5_8ELb0ES3_jN6thrust23THRUST_200600_302600_NS6detail15normal_iteratorINSA_10device_ptrIyEEEEPS6_PKS6_NS0_5tupleIJSF_S6_EEENSJ_IJSG_SG_EEENS0_18inequality_wrapperI22is_equal_div_10_uniqueIyEEEPmJS6_EEE10hipError_tPvRmT3_T4_T5_T6_T7_T9_mT8_P12ihipStream_tbDpT10_ENKUlT_T0_E_clISt17integral_constantIbLb1EES1A_EEDaS15_S16_EUlS15_E_NS1_11comp_targetILNS1_3genE2ELNS1_11target_archE906ELNS1_3gpuE6ELNS1_3repE0EEENS1_30default_config_static_selectorELNS0_4arch9wavefront6targetE1EEEvT1_.uses_flat_scratch, 0
	.set _ZN7rocprim17ROCPRIM_400000_NS6detail17trampoline_kernelINS0_14default_configENS1_25partition_config_selectorILNS1_17partition_subalgoE8EyNS0_10empty_typeEbEEZZNS1_14partition_implILS5_8ELb0ES3_jN6thrust23THRUST_200600_302600_NS6detail15normal_iteratorINSA_10device_ptrIyEEEEPS6_PKS6_NS0_5tupleIJSF_S6_EEENSJ_IJSG_SG_EEENS0_18inequality_wrapperI22is_equal_div_10_uniqueIyEEEPmJS6_EEE10hipError_tPvRmT3_T4_T5_T6_T7_T9_mT8_P12ihipStream_tbDpT10_ENKUlT_T0_E_clISt17integral_constantIbLb1EES1A_EEDaS15_S16_EUlS15_E_NS1_11comp_targetILNS1_3genE2ELNS1_11target_archE906ELNS1_3gpuE6ELNS1_3repE0EEENS1_30default_config_static_selectorELNS0_4arch9wavefront6targetE1EEEvT1_.has_dyn_sized_stack, 0
	.set _ZN7rocprim17ROCPRIM_400000_NS6detail17trampoline_kernelINS0_14default_configENS1_25partition_config_selectorILNS1_17partition_subalgoE8EyNS0_10empty_typeEbEEZZNS1_14partition_implILS5_8ELb0ES3_jN6thrust23THRUST_200600_302600_NS6detail15normal_iteratorINSA_10device_ptrIyEEEEPS6_PKS6_NS0_5tupleIJSF_S6_EEENSJ_IJSG_SG_EEENS0_18inequality_wrapperI22is_equal_div_10_uniqueIyEEEPmJS6_EEE10hipError_tPvRmT3_T4_T5_T6_T7_T9_mT8_P12ihipStream_tbDpT10_ENKUlT_T0_E_clISt17integral_constantIbLb1EES1A_EEDaS15_S16_EUlS15_E_NS1_11comp_targetILNS1_3genE2ELNS1_11target_archE906ELNS1_3gpuE6ELNS1_3repE0EEENS1_30default_config_static_selectorELNS0_4arch9wavefront6targetE1EEEvT1_.has_recursion, 0
	.set _ZN7rocprim17ROCPRIM_400000_NS6detail17trampoline_kernelINS0_14default_configENS1_25partition_config_selectorILNS1_17partition_subalgoE8EyNS0_10empty_typeEbEEZZNS1_14partition_implILS5_8ELb0ES3_jN6thrust23THRUST_200600_302600_NS6detail15normal_iteratorINSA_10device_ptrIyEEEEPS6_PKS6_NS0_5tupleIJSF_S6_EEENSJ_IJSG_SG_EEENS0_18inequality_wrapperI22is_equal_div_10_uniqueIyEEEPmJS6_EEE10hipError_tPvRmT3_T4_T5_T6_T7_T9_mT8_P12ihipStream_tbDpT10_ENKUlT_T0_E_clISt17integral_constantIbLb1EES1A_EEDaS15_S16_EUlS15_E_NS1_11comp_targetILNS1_3genE2ELNS1_11target_archE906ELNS1_3gpuE6ELNS1_3repE0EEENS1_30default_config_static_selectorELNS0_4arch9wavefront6targetE1EEEvT1_.has_indirect_call, 0
	.section	.AMDGPU.csdata,"",@progbits
; Kernel info:
; codeLenInByte = 4
; TotalNumSgprs: 4
; NumVgprs: 0
; ScratchSize: 0
; MemoryBound: 0
; FloatMode: 240
; IeeeMode: 1
; LDSByteSize: 0 bytes/workgroup (compile time only)
; SGPRBlocks: 0
; VGPRBlocks: 0
; NumSGPRsForWavesPerEU: 4
; NumVGPRsForWavesPerEU: 1
; Occupancy: 10
; WaveLimiterHint : 0
; COMPUTE_PGM_RSRC2:SCRATCH_EN: 0
; COMPUTE_PGM_RSRC2:USER_SGPR: 6
; COMPUTE_PGM_RSRC2:TRAP_HANDLER: 0
; COMPUTE_PGM_RSRC2:TGID_X_EN: 1
; COMPUTE_PGM_RSRC2:TGID_Y_EN: 0
; COMPUTE_PGM_RSRC2:TGID_Z_EN: 0
; COMPUTE_PGM_RSRC2:TIDIG_COMP_CNT: 0
	.section	.text._ZN7rocprim17ROCPRIM_400000_NS6detail17trampoline_kernelINS0_14default_configENS1_25partition_config_selectorILNS1_17partition_subalgoE8EyNS0_10empty_typeEbEEZZNS1_14partition_implILS5_8ELb0ES3_jN6thrust23THRUST_200600_302600_NS6detail15normal_iteratorINSA_10device_ptrIyEEEEPS6_PKS6_NS0_5tupleIJSF_S6_EEENSJ_IJSG_SG_EEENS0_18inequality_wrapperI22is_equal_div_10_uniqueIyEEEPmJS6_EEE10hipError_tPvRmT3_T4_T5_T6_T7_T9_mT8_P12ihipStream_tbDpT10_ENKUlT_T0_E_clISt17integral_constantIbLb1EES1A_EEDaS15_S16_EUlS15_E_NS1_11comp_targetILNS1_3genE10ELNS1_11target_archE1200ELNS1_3gpuE4ELNS1_3repE0EEENS1_30default_config_static_selectorELNS0_4arch9wavefront6targetE1EEEvT1_,"axG",@progbits,_ZN7rocprim17ROCPRIM_400000_NS6detail17trampoline_kernelINS0_14default_configENS1_25partition_config_selectorILNS1_17partition_subalgoE8EyNS0_10empty_typeEbEEZZNS1_14partition_implILS5_8ELb0ES3_jN6thrust23THRUST_200600_302600_NS6detail15normal_iteratorINSA_10device_ptrIyEEEEPS6_PKS6_NS0_5tupleIJSF_S6_EEENSJ_IJSG_SG_EEENS0_18inequality_wrapperI22is_equal_div_10_uniqueIyEEEPmJS6_EEE10hipError_tPvRmT3_T4_T5_T6_T7_T9_mT8_P12ihipStream_tbDpT10_ENKUlT_T0_E_clISt17integral_constantIbLb1EES1A_EEDaS15_S16_EUlS15_E_NS1_11comp_targetILNS1_3genE10ELNS1_11target_archE1200ELNS1_3gpuE4ELNS1_3repE0EEENS1_30default_config_static_selectorELNS0_4arch9wavefront6targetE1EEEvT1_,comdat
	.protected	_ZN7rocprim17ROCPRIM_400000_NS6detail17trampoline_kernelINS0_14default_configENS1_25partition_config_selectorILNS1_17partition_subalgoE8EyNS0_10empty_typeEbEEZZNS1_14partition_implILS5_8ELb0ES3_jN6thrust23THRUST_200600_302600_NS6detail15normal_iteratorINSA_10device_ptrIyEEEEPS6_PKS6_NS0_5tupleIJSF_S6_EEENSJ_IJSG_SG_EEENS0_18inequality_wrapperI22is_equal_div_10_uniqueIyEEEPmJS6_EEE10hipError_tPvRmT3_T4_T5_T6_T7_T9_mT8_P12ihipStream_tbDpT10_ENKUlT_T0_E_clISt17integral_constantIbLb1EES1A_EEDaS15_S16_EUlS15_E_NS1_11comp_targetILNS1_3genE10ELNS1_11target_archE1200ELNS1_3gpuE4ELNS1_3repE0EEENS1_30default_config_static_selectorELNS0_4arch9wavefront6targetE1EEEvT1_ ; -- Begin function _ZN7rocprim17ROCPRIM_400000_NS6detail17trampoline_kernelINS0_14default_configENS1_25partition_config_selectorILNS1_17partition_subalgoE8EyNS0_10empty_typeEbEEZZNS1_14partition_implILS5_8ELb0ES3_jN6thrust23THRUST_200600_302600_NS6detail15normal_iteratorINSA_10device_ptrIyEEEEPS6_PKS6_NS0_5tupleIJSF_S6_EEENSJ_IJSG_SG_EEENS0_18inequality_wrapperI22is_equal_div_10_uniqueIyEEEPmJS6_EEE10hipError_tPvRmT3_T4_T5_T6_T7_T9_mT8_P12ihipStream_tbDpT10_ENKUlT_T0_E_clISt17integral_constantIbLb1EES1A_EEDaS15_S16_EUlS15_E_NS1_11comp_targetILNS1_3genE10ELNS1_11target_archE1200ELNS1_3gpuE4ELNS1_3repE0EEENS1_30default_config_static_selectorELNS0_4arch9wavefront6targetE1EEEvT1_
	.globl	_ZN7rocprim17ROCPRIM_400000_NS6detail17trampoline_kernelINS0_14default_configENS1_25partition_config_selectorILNS1_17partition_subalgoE8EyNS0_10empty_typeEbEEZZNS1_14partition_implILS5_8ELb0ES3_jN6thrust23THRUST_200600_302600_NS6detail15normal_iteratorINSA_10device_ptrIyEEEEPS6_PKS6_NS0_5tupleIJSF_S6_EEENSJ_IJSG_SG_EEENS0_18inequality_wrapperI22is_equal_div_10_uniqueIyEEEPmJS6_EEE10hipError_tPvRmT3_T4_T5_T6_T7_T9_mT8_P12ihipStream_tbDpT10_ENKUlT_T0_E_clISt17integral_constantIbLb1EES1A_EEDaS15_S16_EUlS15_E_NS1_11comp_targetILNS1_3genE10ELNS1_11target_archE1200ELNS1_3gpuE4ELNS1_3repE0EEENS1_30default_config_static_selectorELNS0_4arch9wavefront6targetE1EEEvT1_
	.p2align	8
	.type	_ZN7rocprim17ROCPRIM_400000_NS6detail17trampoline_kernelINS0_14default_configENS1_25partition_config_selectorILNS1_17partition_subalgoE8EyNS0_10empty_typeEbEEZZNS1_14partition_implILS5_8ELb0ES3_jN6thrust23THRUST_200600_302600_NS6detail15normal_iteratorINSA_10device_ptrIyEEEEPS6_PKS6_NS0_5tupleIJSF_S6_EEENSJ_IJSG_SG_EEENS0_18inequality_wrapperI22is_equal_div_10_uniqueIyEEEPmJS6_EEE10hipError_tPvRmT3_T4_T5_T6_T7_T9_mT8_P12ihipStream_tbDpT10_ENKUlT_T0_E_clISt17integral_constantIbLb1EES1A_EEDaS15_S16_EUlS15_E_NS1_11comp_targetILNS1_3genE10ELNS1_11target_archE1200ELNS1_3gpuE4ELNS1_3repE0EEENS1_30default_config_static_selectorELNS0_4arch9wavefront6targetE1EEEvT1_,@function
_ZN7rocprim17ROCPRIM_400000_NS6detail17trampoline_kernelINS0_14default_configENS1_25partition_config_selectorILNS1_17partition_subalgoE8EyNS0_10empty_typeEbEEZZNS1_14partition_implILS5_8ELb0ES3_jN6thrust23THRUST_200600_302600_NS6detail15normal_iteratorINSA_10device_ptrIyEEEEPS6_PKS6_NS0_5tupleIJSF_S6_EEENSJ_IJSG_SG_EEENS0_18inequality_wrapperI22is_equal_div_10_uniqueIyEEEPmJS6_EEE10hipError_tPvRmT3_T4_T5_T6_T7_T9_mT8_P12ihipStream_tbDpT10_ENKUlT_T0_E_clISt17integral_constantIbLb1EES1A_EEDaS15_S16_EUlS15_E_NS1_11comp_targetILNS1_3genE10ELNS1_11target_archE1200ELNS1_3gpuE4ELNS1_3repE0EEENS1_30default_config_static_selectorELNS0_4arch9wavefront6targetE1EEEvT1_: ; @_ZN7rocprim17ROCPRIM_400000_NS6detail17trampoline_kernelINS0_14default_configENS1_25partition_config_selectorILNS1_17partition_subalgoE8EyNS0_10empty_typeEbEEZZNS1_14partition_implILS5_8ELb0ES3_jN6thrust23THRUST_200600_302600_NS6detail15normal_iteratorINSA_10device_ptrIyEEEEPS6_PKS6_NS0_5tupleIJSF_S6_EEENSJ_IJSG_SG_EEENS0_18inequality_wrapperI22is_equal_div_10_uniqueIyEEEPmJS6_EEE10hipError_tPvRmT3_T4_T5_T6_T7_T9_mT8_P12ihipStream_tbDpT10_ENKUlT_T0_E_clISt17integral_constantIbLb1EES1A_EEDaS15_S16_EUlS15_E_NS1_11comp_targetILNS1_3genE10ELNS1_11target_archE1200ELNS1_3gpuE4ELNS1_3repE0EEENS1_30default_config_static_selectorELNS0_4arch9wavefront6targetE1EEEvT1_
; %bb.0:
	.section	.rodata,"a",@progbits
	.p2align	6, 0x0
	.amdhsa_kernel _ZN7rocprim17ROCPRIM_400000_NS6detail17trampoline_kernelINS0_14default_configENS1_25partition_config_selectorILNS1_17partition_subalgoE8EyNS0_10empty_typeEbEEZZNS1_14partition_implILS5_8ELb0ES3_jN6thrust23THRUST_200600_302600_NS6detail15normal_iteratorINSA_10device_ptrIyEEEEPS6_PKS6_NS0_5tupleIJSF_S6_EEENSJ_IJSG_SG_EEENS0_18inequality_wrapperI22is_equal_div_10_uniqueIyEEEPmJS6_EEE10hipError_tPvRmT3_T4_T5_T6_T7_T9_mT8_P12ihipStream_tbDpT10_ENKUlT_T0_E_clISt17integral_constantIbLb1EES1A_EEDaS15_S16_EUlS15_E_NS1_11comp_targetILNS1_3genE10ELNS1_11target_archE1200ELNS1_3gpuE4ELNS1_3repE0EEENS1_30default_config_static_selectorELNS0_4arch9wavefront6targetE1EEEvT1_
		.amdhsa_group_segment_fixed_size 0
		.amdhsa_private_segment_fixed_size 0
		.amdhsa_kernarg_size 128
		.amdhsa_user_sgpr_count 6
		.amdhsa_user_sgpr_private_segment_buffer 1
		.amdhsa_user_sgpr_dispatch_ptr 0
		.amdhsa_user_sgpr_queue_ptr 0
		.amdhsa_user_sgpr_kernarg_segment_ptr 1
		.amdhsa_user_sgpr_dispatch_id 0
		.amdhsa_user_sgpr_flat_scratch_init 0
		.amdhsa_user_sgpr_private_segment_size 0
		.amdhsa_uses_dynamic_stack 0
		.amdhsa_system_sgpr_private_segment_wavefront_offset 0
		.amdhsa_system_sgpr_workgroup_id_x 1
		.amdhsa_system_sgpr_workgroup_id_y 0
		.amdhsa_system_sgpr_workgroup_id_z 0
		.amdhsa_system_sgpr_workgroup_info 0
		.amdhsa_system_vgpr_workitem_id 0
		.amdhsa_next_free_vgpr 1
		.amdhsa_next_free_sgpr 0
		.amdhsa_reserve_vcc 0
		.amdhsa_reserve_flat_scratch 0
		.amdhsa_float_round_mode_32 0
		.amdhsa_float_round_mode_16_64 0
		.amdhsa_float_denorm_mode_32 3
		.amdhsa_float_denorm_mode_16_64 3
		.amdhsa_dx10_clamp 1
		.amdhsa_ieee_mode 1
		.amdhsa_fp16_overflow 0
		.amdhsa_exception_fp_ieee_invalid_op 0
		.amdhsa_exception_fp_denorm_src 0
		.amdhsa_exception_fp_ieee_div_zero 0
		.amdhsa_exception_fp_ieee_overflow 0
		.amdhsa_exception_fp_ieee_underflow 0
		.amdhsa_exception_fp_ieee_inexact 0
		.amdhsa_exception_int_div_zero 0
	.end_amdhsa_kernel
	.section	.text._ZN7rocprim17ROCPRIM_400000_NS6detail17trampoline_kernelINS0_14default_configENS1_25partition_config_selectorILNS1_17partition_subalgoE8EyNS0_10empty_typeEbEEZZNS1_14partition_implILS5_8ELb0ES3_jN6thrust23THRUST_200600_302600_NS6detail15normal_iteratorINSA_10device_ptrIyEEEEPS6_PKS6_NS0_5tupleIJSF_S6_EEENSJ_IJSG_SG_EEENS0_18inequality_wrapperI22is_equal_div_10_uniqueIyEEEPmJS6_EEE10hipError_tPvRmT3_T4_T5_T6_T7_T9_mT8_P12ihipStream_tbDpT10_ENKUlT_T0_E_clISt17integral_constantIbLb1EES1A_EEDaS15_S16_EUlS15_E_NS1_11comp_targetILNS1_3genE10ELNS1_11target_archE1200ELNS1_3gpuE4ELNS1_3repE0EEENS1_30default_config_static_selectorELNS0_4arch9wavefront6targetE1EEEvT1_,"axG",@progbits,_ZN7rocprim17ROCPRIM_400000_NS6detail17trampoline_kernelINS0_14default_configENS1_25partition_config_selectorILNS1_17partition_subalgoE8EyNS0_10empty_typeEbEEZZNS1_14partition_implILS5_8ELb0ES3_jN6thrust23THRUST_200600_302600_NS6detail15normal_iteratorINSA_10device_ptrIyEEEEPS6_PKS6_NS0_5tupleIJSF_S6_EEENSJ_IJSG_SG_EEENS0_18inequality_wrapperI22is_equal_div_10_uniqueIyEEEPmJS6_EEE10hipError_tPvRmT3_T4_T5_T6_T7_T9_mT8_P12ihipStream_tbDpT10_ENKUlT_T0_E_clISt17integral_constantIbLb1EES1A_EEDaS15_S16_EUlS15_E_NS1_11comp_targetILNS1_3genE10ELNS1_11target_archE1200ELNS1_3gpuE4ELNS1_3repE0EEENS1_30default_config_static_selectorELNS0_4arch9wavefront6targetE1EEEvT1_,comdat
.Lfunc_end190:
	.size	_ZN7rocprim17ROCPRIM_400000_NS6detail17trampoline_kernelINS0_14default_configENS1_25partition_config_selectorILNS1_17partition_subalgoE8EyNS0_10empty_typeEbEEZZNS1_14partition_implILS5_8ELb0ES3_jN6thrust23THRUST_200600_302600_NS6detail15normal_iteratorINSA_10device_ptrIyEEEEPS6_PKS6_NS0_5tupleIJSF_S6_EEENSJ_IJSG_SG_EEENS0_18inequality_wrapperI22is_equal_div_10_uniqueIyEEEPmJS6_EEE10hipError_tPvRmT3_T4_T5_T6_T7_T9_mT8_P12ihipStream_tbDpT10_ENKUlT_T0_E_clISt17integral_constantIbLb1EES1A_EEDaS15_S16_EUlS15_E_NS1_11comp_targetILNS1_3genE10ELNS1_11target_archE1200ELNS1_3gpuE4ELNS1_3repE0EEENS1_30default_config_static_selectorELNS0_4arch9wavefront6targetE1EEEvT1_, .Lfunc_end190-_ZN7rocprim17ROCPRIM_400000_NS6detail17trampoline_kernelINS0_14default_configENS1_25partition_config_selectorILNS1_17partition_subalgoE8EyNS0_10empty_typeEbEEZZNS1_14partition_implILS5_8ELb0ES3_jN6thrust23THRUST_200600_302600_NS6detail15normal_iteratorINSA_10device_ptrIyEEEEPS6_PKS6_NS0_5tupleIJSF_S6_EEENSJ_IJSG_SG_EEENS0_18inequality_wrapperI22is_equal_div_10_uniqueIyEEEPmJS6_EEE10hipError_tPvRmT3_T4_T5_T6_T7_T9_mT8_P12ihipStream_tbDpT10_ENKUlT_T0_E_clISt17integral_constantIbLb1EES1A_EEDaS15_S16_EUlS15_E_NS1_11comp_targetILNS1_3genE10ELNS1_11target_archE1200ELNS1_3gpuE4ELNS1_3repE0EEENS1_30default_config_static_selectorELNS0_4arch9wavefront6targetE1EEEvT1_
                                        ; -- End function
	.set _ZN7rocprim17ROCPRIM_400000_NS6detail17trampoline_kernelINS0_14default_configENS1_25partition_config_selectorILNS1_17partition_subalgoE8EyNS0_10empty_typeEbEEZZNS1_14partition_implILS5_8ELb0ES3_jN6thrust23THRUST_200600_302600_NS6detail15normal_iteratorINSA_10device_ptrIyEEEEPS6_PKS6_NS0_5tupleIJSF_S6_EEENSJ_IJSG_SG_EEENS0_18inequality_wrapperI22is_equal_div_10_uniqueIyEEEPmJS6_EEE10hipError_tPvRmT3_T4_T5_T6_T7_T9_mT8_P12ihipStream_tbDpT10_ENKUlT_T0_E_clISt17integral_constantIbLb1EES1A_EEDaS15_S16_EUlS15_E_NS1_11comp_targetILNS1_3genE10ELNS1_11target_archE1200ELNS1_3gpuE4ELNS1_3repE0EEENS1_30default_config_static_selectorELNS0_4arch9wavefront6targetE1EEEvT1_.num_vgpr, 0
	.set _ZN7rocprim17ROCPRIM_400000_NS6detail17trampoline_kernelINS0_14default_configENS1_25partition_config_selectorILNS1_17partition_subalgoE8EyNS0_10empty_typeEbEEZZNS1_14partition_implILS5_8ELb0ES3_jN6thrust23THRUST_200600_302600_NS6detail15normal_iteratorINSA_10device_ptrIyEEEEPS6_PKS6_NS0_5tupleIJSF_S6_EEENSJ_IJSG_SG_EEENS0_18inequality_wrapperI22is_equal_div_10_uniqueIyEEEPmJS6_EEE10hipError_tPvRmT3_T4_T5_T6_T7_T9_mT8_P12ihipStream_tbDpT10_ENKUlT_T0_E_clISt17integral_constantIbLb1EES1A_EEDaS15_S16_EUlS15_E_NS1_11comp_targetILNS1_3genE10ELNS1_11target_archE1200ELNS1_3gpuE4ELNS1_3repE0EEENS1_30default_config_static_selectorELNS0_4arch9wavefront6targetE1EEEvT1_.num_agpr, 0
	.set _ZN7rocprim17ROCPRIM_400000_NS6detail17trampoline_kernelINS0_14default_configENS1_25partition_config_selectorILNS1_17partition_subalgoE8EyNS0_10empty_typeEbEEZZNS1_14partition_implILS5_8ELb0ES3_jN6thrust23THRUST_200600_302600_NS6detail15normal_iteratorINSA_10device_ptrIyEEEEPS6_PKS6_NS0_5tupleIJSF_S6_EEENSJ_IJSG_SG_EEENS0_18inequality_wrapperI22is_equal_div_10_uniqueIyEEEPmJS6_EEE10hipError_tPvRmT3_T4_T5_T6_T7_T9_mT8_P12ihipStream_tbDpT10_ENKUlT_T0_E_clISt17integral_constantIbLb1EES1A_EEDaS15_S16_EUlS15_E_NS1_11comp_targetILNS1_3genE10ELNS1_11target_archE1200ELNS1_3gpuE4ELNS1_3repE0EEENS1_30default_config_static_selectorELNS0_4arch9wavefront6targetE1EEEvT1_.numbered_sgpr, 0
	.set _ZN7rocprim17ROCPRIM_400000_NS6detail17trampoline_kernelINS0_14default_configENS1_25partition_config_selectorILNS1_17partition_subalgoE8EyNS0_10empty_typeEbEEZZNS1_14partition_implILS5_8ELb0ES3_jN6thrust23THRUST_200600_302600_NS6detail15normal_iteratorINSA_10device_ptrIyEEEEPS6_PKS6_NS0_5tupleIJSF_S6_EEENSJ_IJSG_SG_EEENS0_18inequality_wrapperI22is_equal_div_10_uniqueIyEEEPmJS6_EEE10hipError_tPvRmT3_T4_T5_T6_T7_T9_mT8_P12ihipStream_tbDpT10_ENKUlT_T0_E_clISt17integral_constantIbLb1EES1A_EEDaS15_S16_EUlS15_E_NS1_11comp_targetILNS1_3genE10ELNS1_11target_archE1200ELNS1_3gpuE4ELNS1_3repE0EEENS1_30default_config_static_selectorELNS0_4arch9wavefront6targetE1EEEvT1_.num_named_barrier, 0
	.set _ZN7rocprim17ROCPRIM_400000_NS6detail17trampoline_kernelINS0_14default_configENS1_25partition_config_selectorILNS1_17partition_subalgoE8EyNS0_10empty_typeEbEEZZNS1_14partition_implILS5_8ELb0ES3_jN6thrust23THRUST_200600_302600_NS6detail15normal_iteratorINSA_10device_ptrIyEEEEPS6_PKS6_NS0_5tupleIJSF_S6_EEENSJ_IJSG_SG_EEENS0_18inequality_wrapperI22is_equal_div_10_uniqueIyEEEPmJS6_EEE10hipError_tPvRmT3_T4_T5_T6_T7_T9_mT8_P12ihipStream_tbDpT10_ENKUlT_T0_E_clISt17integral_constantIbLb1EES1A_EEDaS15_S16_EUlS15_E_NS1_11comp_targetILNS1_3genE10ELNS1_11target_archE1200ELNS1_3gpuE4ELNS1_3repE0EEENS1_30default_config_static_selectorELNS0_4arch9wavefront6targetE1EEEvT1_.private_seg_size, 0
	.set _ZN7rocprim17ROCPRIM_400000_NS6detail17trampoline_kernelINS0_14default_configENS1_25partition_config_selectorILNS1_17partition_subalgoE8EyNS0_10empty_typeEbEEZZNS1_14partition_implILS5_8ELb0ES3_jN6thrust23THRUST_200600_302600_NS6detail15normal_iteratorINSA_10device_ptrIyEEEEPS6_PKS6_NS0_5tupleIJSF_S6_EEENSJ_IJSG_SG_EEENS0_18inequality_wrapperI22is_equal_div_10_uniqueIyEEEPmJS6_EEE10hipError_tPvRmT3_T4_T5_T6_T7_T9_mT8_P12ihipStream_tbDpT10_ENKUlT_T0_E_clISt17integral_constantIbLb1EES1A_EEDaS15_S16_EUlS15_E_NS1_11comp_targetILNS1_3genE10ELNS1_11target_archE1200ELNS1_3gpuE4ELNS1_3repE0EEENS1_30default_config_static_selectorELNS0_4arch9wavefront6targetE1EEEvT1_.uses_vcc, 0
	.set _ZN7rocprim17ROCPRIM_400000_NS6detail17trampoline_kernelINS0_14default_configENS1_25partition_config_selectorILNS1_17partition_subalgoE8EyNS0_10empty_typeEbEEZZNS1_14partition_implILS5_8ELb0ES3_jN6thrust23THRUST_200600_302600_NS6detail15normal_iteratorINSA_10device_ptrIyEEEEPS6_PKS6_NS0_5tupleIJSF_S6_EEENSJ_IJSG_SG_EEENS0_18inequality_wrapperI22is_equal_div_10_uniqueIyEEEPmJS6_EEE10hipError_tPvRmT3_T4_T5_T6_T7_T9_mT8_P12ihipStream_tbDpT10_ENKUlT_T0_E_clISt17integral_constantIbLb1EES1A_EEDaS15_S16_EUlS15_E_NS1_11comp_targetILNS1_3genE10ELNS1_11target_archE1200ELNS1_3gpuE4ELNS1_3repE0EEENS1_30default_config_static_selectorELNS0_4arch9wavefront6targetE1EEEvT1_.uses_flat_scratch, 0
	.set _ZN7rocprim17ROCPRIM_400000_NS6detail17trampoline_kernelINS0_14default_configENS1_25partition_config_selectorILNS1_17partition_subalgoE8EyNS0_10empty_typeEbEEZZNS1_14partition_implILS5_8ELb0ES3_jN6thrust23THRUST_200600_302600_NS6detail15normal_iteratorINSA_10device_ptrIyEEEEPS6_PKS6_NS0_5tupleIJSF_S6_EEENSJ_IJSG_SG_EEENS0_18inequality_wrapperI22is_equal_div_10_uniqueIyEEEPmJS6_EEE10hipError_tPvRmT3_T4_T5_T6_T7_T9_mT8_P12ihipStream_tbDpT10_ENKUlT_T0_E_clISt17integral_constantIbLb1EES1A_EEDaS15_S16_EUlS15_E_NS1_11comp_targetILNS1_3genE10ELNS1_11target_archE1200ELNS1_3gpuE4ELNS1_3repE0EEENS1_30default_config_static_selectorELNS0_4arch9wavefront6targetE1EEEvT1_.has_dyn_sized_stack, 0
	.set _ZN7rocprim17ROCPRIM_400000_NS6detail17trampoline_kernelINS0_14default_configENS1_25partition_config_selectorILNS1_17partition_subalgoE8EyNS0_10empty_typeEbEEZZNS1_14partition_implILS5_8ELb0ES3_jN6thrust23THRUST_200600_302600_NS6detail15normal_iteratorINSA_10device_ptrIyEEEEPS6_PKS6_NS0_5tupleIJSF_S6_EEENSJ_IJSG_SG_EEENS0_18inequality_wrapperI22is_equal_div_10_uniqueIyEEEPmJS6_EEE10hipError_tPvRmT3_T4_T5_T6_T7_T9_mT8_P12ihipStream_tbDpT10_ENKUlT_T0_E_clISt17integral_constantIbLb1EES1A_EEDaS15_S16_EUlS15_E_NS1_11comp_targetILNS1_3genE10ELNS1_11target_archE1200ELNS1_3gpuE4ELNS1_3repE0EEENS1_30default_config_static_selectorELNS0_4arch9wavefront6targetE1EEEvT1_.has_recursion, 0
	.set _ZN7rocprim17ROCPRIM_400000_NS6detail17trampoline_kernelINS0_14default_configENS1_25partition_config_selectorILNS1_17partition_subalgoE8EyNS0_10empty_typeEbEEZZNS1_14partition_implILS5_8ELb0ES3_jN6thrust23THRUST_200600_302600_NS6detail15normal_iteratorINSA_10device_ptrIyEEEEPS6_PKS6_NS0_5tupleIJSF_S6_EEENSJ_IJSG_SG_EEENS0_18inequality_wrapperI22is_equal_div_10_uniqueIyEEEPmJS6_EEE10hipError_tPvRmT3_T4_T5_T6_T7_T9_mT8_P12ihipStream_tbDpT10_ENKUlT_T0_E_clISt17integral_constantIbLb1EES1A_EEDaS15_S16_EUlS15_E_NS1_11comp_targetILNS1_3genE10ELNS1_11target_archE1200ELNS1_3gpuE4ELNS1_3repE0EEENS1_30default_config_static_selectorELNS0_4arch9wavefront6targetE1EEEvT1_.has_indirect_call, 0
	.section	.AMDGPU.csdata,"",@progbits
; Kernel info:
; codeLenInByte = 0
; TotalNumSgprs: 4
; NumVgprs: 0
; ScratchSize: 0
; MemoryBound: 0
; FloatMode: 240
; IeeeMode: 1
; LDSByteSize: 0 bytes/workgroup (compile time only)
; SGPRBlocks: 0
; VGPRBlocks: 0
; NumSGPRsForWavesPerEU: 4
; NumVGPRsForWavesPerEU: 1
; Occupancy: 10
; WaveLimiterHint : 0
; COMPUTE_PGM_RSRC2:SCRATCH_EN: 0
; COMPUTE_PGM_RSRC2:USER_SGPR: 6
; COMPUTE_PGM_RSRC2:TRAP_HANDLER: 0
; COMPUTE_PGM_RSRC2:TGID_X_EN: 1
; COMPUTE_PGM_RSRC2:TGID_Y_EN: 0
; COMPUTE_PGM_RSRC2:TGID_Z_EN: 0
; COMPUTE_PGM_RSRC2:TIDIG_COMP_CNT: 0
	.section	.text._ZN7rocprim17ROCPRIM_400000_NS6detail17trampoline_kernelINS0_14default_configENS1_25partition_config_selectorILNS1_17partition_subalgoE8EyNS0_10empty_typeEbEEZZNS1_14partition_implILS5_8ELb0ES3_jN6thrust23THRUST_200600_302600_NS6detail15normal_iteratorINSA_10device_ptrIyEEEEPS6_PKS6_NS0_5tupleIJSF_S6_EEENSJ_IJSG_SG_EEENS0_18inequality_wrapperI22is_equal_div_10_uniqueIyEEEPmJS6_EEE10hipError_tPvRmT3_T4_T5_T6_T7_T9_mT8_P12ihipStream_tbDpT10_ENKUlT_T0_E_clISt17integral_constantIbLb1EES1A_EEDaS15_S16_EUlS15_E_NS1_11comp_targetILNS1_3genE9ELNS1_11target_archE1100ELNS1_3gpuE3ELNS1_3repE0EEENS1_30default_config_static_selectorELNS0_4arch9wavefront6targetE1EEEvT1_,"axG",@progbits,_ZN7rocprim17ROCPRIM_400000_NS6detail17trampoline_kernelINS0_14default_configENS1_25partition_config_selectorILNS1_17partition_subalgoE8EyNS0_10empty_typeEbEEZZNS1_14partition_implILS5_8ELb0ES3_jN6thrust23THRUST_200600_302600_NS6detail15normal_iteratorINSA_10device_ptrIyEEEEPS6_PKS6_NS0_5tupleIJSF_S6_EEENSJ_IJSG_SG_EEENS0_18inequality_wrapperI22is_equal_div_10_uniqueIyEEEPmJS6_EEE10hipError_tPvRmT3_T4_T5_T6_T7_T9_mT8_P12ihipStream_tbDpT10_ENKUlT_T0_E_clISt17integral_constantIbLb1EES1A_EEDaS15_S16_EUlS15_E_NS1_11comp_targetILNS1_3genE9ELNS1_11target_archE1100ELNS1_3gpuE3ELNS1_3repE0EEENS1_30default_config_static_selectorELNS0_4arch9wavefront6targetE1EEEvT1_,comdat
	.protected	_ZN7rocprim17ROCPRIM_400000_NS6detail17trampoline_kernelINS0_14default_configENS1_25partition_config_selectorILNS1_17partition_subalgoE8EyNS0_10empty_typeEbEEZZNS1_14partition_implILS5_8ELb0ES3_jN6thrust23THRUST_200600_302600_NS6detail15normal_iteratorINSA_10device_ptrIyEEEEPS6_PKS6_NS0_5tupleIJSF_S6_EEENSJ_IJSG_SG_EEENS0_18inequality_wrapperI22is_equal_div_10_uniqueIyEEEPmJS6_EEE10hipError_tPvRmT3_T4_T5_T6_T7_T9_mT8_P12ihipStream_tbDpT10_ENKUlT_T0_E_clISt17integral_constantIbLb1EES1A_EEDaS15_S16_EUlS15_E_NS1_11comp_targetILNS1_3genE9ELNS1_11target_archE1100ELNS1_3gpuE3ELNS1_3repE0EEENS1_30default_config_static_selectorELNS0_4arch9wavefront6targetE1EEEvT1_ ; -- Begin function _ZN7rocprim17ROCPRIM_400000_NS6detail17trampoline_kernelINS0_14default_configENS1_25partition_config_selectorILNS1_17partition_subalgoE8EyNS0_10empty_typeEbEEZZNS1_14partition_implILS5_8ELb0ES3_jN6thrust23THRUST_200600_302600_NS6detail15normal_iteratorINSA_10device_ptrIyEEEEPS6_PKS6_NS0_5tupleIJSF_S6_EEENSJ_IJSG_SG_EEENS0_18inequality_wrapperI22is_equal_div_10_uniqueIyEEEPmJS6_EEE10hipError_tPvRmT3_T4_T5_T6_T7_T9_mT8_P12ihipStream_tbDpT10_ENKUlT_T0_E_clISt17integral_constantIbLb1EES1A_EEDaS15_S16_EUlS15_E_NS1_11comp_targetILNS1_3genE9ELNS1_11target_archE1100ELNS1_3gpuE3ELNS1_3repE0EEENS1_30default_config_static_selectorELNS0_4arch9wavefront6targetE1EEEvT1_
	.globl	_ZN7rocprim17ROCPRIM_400000_NS6detail17trampoline_kernelINS0_14default_configENS1_25partition_config_selectorILNS1_17partition_subalgoE8EyNS0_10empty_typeEbEEZZNS1_14partition_implILS5_8ELb0ES3_jN6thrust23THRUST_200600_302600_NS6detail15normal_iteratorINSA_10device_ptrIyEEEEPS6_PKS6_NS0_5tupleIJSF_S6_EEENSJ_IJSG_SG_EEENS0_18inequality_wrapperI22is_equal_div_10_uniqueIyEEEPmJS6_EEE10hipError_tPvRmT3_T4_T5_T6_T7_T9_mT8_P12ihipStream_tbDpT10_ENKUlT_T0_E_clISt17integral_constantIbLb1EES1A_EEDaS15_S16_EUlS15_E_NS1_11comp_targetILNS1_3genE9ELNS1_11target_archE1100ELNS1_3gpuE3ELNS1_3repE0EEENS1_30default_config_static_selectorELNS0_4arch9wavefront6targetE1EEEvT1_
	.p2align	8
	.type	_ZN7rocprim17ROCPRIM_400000_NS6detail17trampoline_kernelINS0_14default_configENS1_25partition_config_selectorILNS1_17partition_subalgoE8EyNS0_10empty_typeEbEEZZNS1_14partition_implILS5_8ELb0ES3_jN6thrust23THRUST_200600_302600_NS6detail15normal_iteratorINSA_10device_ptrIyEEEEPS6_PKS6_NS0_5tupleIJSF_S6_EEENSJ_IJSG_SG_EEENS0_18inequality_wrapperI22is_equal_div_10_uniqueIyEEEPmJS6_EEE10hipError_tPvRmT3_T4_T5_T6_T7_T9_mT8_P12ihipStream_tbDpT10_ENKUlT_T0_E_clISt17integral_constantIbLb1EES1A_EEDaS15_S16_EUlS15_E_NS1_11comp_targetILNS1_3genE9ELNS1_11target_archE1100ELNS1_3gpuE3ELNS1_3repE0EEENS1_30default_config_static_selectorELNS0_4arch9wavefront6targetE1EEEvT1_,@function
_ZN7rocprim17ROCPRIM_400000_NS6detail17trampoline_kernelINS0_14default_configENS1_25partition_config_selectorILNS1_17partition_subalgoE8EyNS0_10empty_typeEbEEZZNS1_14partition_implILS5_8ELb0ES3_jN6thrust23THRUST_200600_302600_NS6detail15normal_iteratorINSA_10device_ptrIyEEEEPS6_PKS6_NS0_5tupleIJSF_S6_EEENSJ_IJSG_SG_EEENS0_18inequality_wrapperI22is_equal_div_10_uniqueIyEEEPmJS6_EEE10hipError_tPvRmT3_T4_T5_T6_T7_T9_mT8_P12ihipStream_tbDpT10_ENKUlT_T0_E_clISt17integral_constantIbLb1EES1A_EEDaS15_S16_EUlS15_E_NS1_11comp_targetILNS1_3genE9ELNS1_11target_archE1100ELNS1_3gpuE3ELNS1_3repE0EEENS1_30default_config_static_selectorELNS0_4arch9wavefront6targetE1EEEvT1_: ; @_ZN7rocprim17ROCPRIM_400000_NS6detail17trampoline_kernelINS0_14default_configENS1_25partition_config_selectorILNS1_17partition_subalgoE8EyNS0_10empty_typeEbEEZZNS1_14partition_implILS5_8ELb0ES3_jN6thrust23THRUST_200600_302600_NS6detail15normal_iteratorINSA_10device_ptrIyEEEEPS6_PKS6_NS0_5tupleIJSF_S6_EEENSJ_IJSG_SG_EEENS0_18inequality_wrapperI22is_equal_div_10_uniqueIyEEEPmJS6_EEE10hipError_tPvRmT3_T4_T5_T6_T7_T9_mT8_P12ihipStream_tbDpT10_ENKUlT_T0_E_clISt17integral_constantIbLb1EES1A_EEDaS15_S16_EUlS15_E_NS1_11comp_targetILNS1_3genE9ELNS1_11target_archE1100ELNS1_3gpuE3ELNS1_3repE0EEENS1_30default_config_static_selectorELNS0_4arch9wavefront6targetE1EEEvT1_
; %bb.0:
	.section	.rodata,"a",@progbits
	.p2align	6, 0x0
	.amdhsa_kernel _ZN7rocprim17ROCPRIM_400000_NS6detail17trampoline_kernelINS0_14default_configENS1_25partition_config_selectorILNS1_17partition_subalgoE8EyNS0_10empty_typeEbEEZZNS1_14partition_implILS5_8ELb0ES3_jN6thrust23THRUST_200600_302600_NS6detail15normal_iteratorINSA_10device_ptrIyEEEEPS6_PKS6_NS0_5tupleIJSF_S6_EEENSJ_IJSG_SG_EEENS0_18inequality_wrapperI22is_equal_div_10_uniqueIyEEEPmJS6_EEE10hipError_tPvRmT3_T4_T5_T6_T7_T9_mT8_P12ihipStream_tbDpT10_ENKUlT_T0_E_clISt17integral_constantIbLb1EES1A_EEDaS15_S16_EUlS15_E_NS1_11comp_targetILNS1_3genE9ELNS1_11target_archE1100ELNS1_3gpuE3ELNS1_3repE0EEENS1_30default_config_static_selectorELNS0_4arch9wavefront6targetE1EEEvT1_
		.amdhsa_group_segment_fixed_size 0
		.amdhsa_private_segment_fixed_size 0
		.amdhsa_kernarg_size 128
		.amdhsa_user_sgpr_count 6
		.amdhsa_user_sgpr_private_segment_buffer 1
		.amdhsa_user_sgpr_dispatch_ptr 0
		.amdhsa_user_sgpr_queue_ptr 0
		.amdhsa_user_sgpr_kernarg_segment_ptr 1
		.amdhsa_user_sgpr_dispatch_id 0
		.amdhsa_user_sgpr_flat_scratch_init 0
		.amdhsa_user_sgpr_private_segment_size 0
		.amdhsa_uses_dynamic_stack 0
		.amdhsa_system_sgpr_private_segment_wavefront_offset 0
		.amdhsa_system_sgpr_workgroup_id_x 1
		.amdhsa_system_sgpr_workgroup_id_y 0
		.amdhsa_system_sgpr_workgroup_id_z 0
		.amdhsa_system_sgpr_workgroup_info 0
		.amdhsa_system_vgpr_workitem_id 0
		.amdhsa_next_free_vgpr 1
		.amdhsa_next_free_sgpr 0
		.amdhsa_reserve_vcc 0
		.amdhsa_reserve_flat_scratch 0
		.amdhsa_float_round_mode_32 0
		.amdhsa_float_round_mode_16_64 0
		.amdhsa_float_denorm_mode_32 3
		.amdhsa_float_denorm_mode_16_64 3
		.amdhsa_dx10_clamp 1
		.amdhsa_ieee_mode 1
		.amdhsa_fp16_overflow 0
		.amdhsa_exception_fp_ieee_invalid_op 0
		.amdhsa_exception_fp_denorm_src 0
		.amdhsa_exception_fp_ieee_div_zero 0
		.amdhsa_exception_fp_ieee_overflow 0
		.amdhsa_exception_fp_ieee_underflow 0
		.amdhsa_exception_fp_ieee_inexact 0
		.amdhsa_exception_int_div_zero 0
	.end_amdhsa_kernel
	.section	.text._ZN7rocprim17ROCPRIM_400000_NS6detail17trampoline_kernelINS0_14default_configENS1_25partition_config_selectorILNS1_17partition_subalgoE8EyNS0_10empty_typeEbEEZZNS1_14partition_implILS5_8ELb0ES3_jN6thrust23THRUST_200600_302600_NS6detail15normal_iteratorINSA_10device_ptrIyEEEEPS6_PKS6_NS0_5tupleIJSF_S6_EEENSJ_IJSG_SG_EEENS0_18inequality_wrapperI22is_equal_div_10_uniqueIyEEEPmJS6_EEE10hipError_tPvRmT3_T4_T5_T6_T7_T9_mT8_P12ihipStream_tbDpT10_ENKUlT_T0_E_clISt17integral_constantIbLb1EES1A_EEDaS15_S16_EUlS15_E_NS1_11comp_targetILNS1_3genE9ELNS1_11target_archE1100ELNS1_3gpuE3ELNS1_3repE0EEENS1_30default_config_static_selectorELNS0_4arch9wavefront6targetE1EEEvT1_,"axG",@progbits,_ZN7rocprim17ROCPRIM_400000_NS6detail17trampoline_kernelINS0_14default_configENS1_25partition_config_selectorILNS1_17partition_subalgoE8EyNS0_10empty_typeEbEEZZNS1_14partition_implILS5_8ELb0ES3_jN6thrust23THRUST_200600_302600_NS6detail15normal_iteratorINSA_10device_ptrIyEEEEPS6_PKS6_NS0_5tupleIJSF_S6_EEENSJ_IJSG_SG_EEENS0_18inequality_wrapperI22is_equal_div_10_uniqueIyEEEPmJS6_EEE10hipError_tPvRmT3_T4_T5_T6_T7_T9_mT8_P12ihipStream_tbDpT10_ENKUlT_T0_E_clISt17integral_constantIbLb1EES1A_EEDaS15_S16_EUlS15_E_NS1_11comp_targetILNS1_3genE9ELNS1_11target_archE1100ELNS1_3gpuE3ELNS1_3repE0EEENS1_30default_config_static_selectorELNS0_4arch9wavefront6targetE1EEEvT1_,comdat
.Lfunc_end191:
	.size	_ZN7rocprim17ROCPRIM_400000_NS6detail17trampoline_kernelINS0_14default_configENS1_25partition_config_selectorILNS1_17partition_subalgoE8EyNS0_10empty_typeEbEEZZNS1_14partition_implILS5_8ELb0ES3_jN6thrust23THRUST_200600_302600_NS6detail15normal_iteratorINSA_10device_ptrIyEEEEPS6_PKS6_NS0_5tupleIJSF_S6_EEENSJ_IJSG_SG_EEENS0_18inequality_wrapperI22is_equal_div_10_uniqueIyEEEPmJS6_EEE10hipError_tPvRmT3_T4_T5_T6_T7_T9_mT8_P12ihipStream_tbDpT10_ENKUlT_T0_E_clISt17integral_constantIbLb1EES1A_EEDaS15_S16_EUlS15_E_NS1_11comp_targetILNS1_3genE9ELNS1_11target_archE1100ELNS1_3gpuE3ELNS1_3repE0EEENS1_30default_config_static_selectorELNS0_4arch9wavefront6targetE1EEEvT1_, .Lfunc_end191-_ZN7rocprim17ROCPRIM_400000_NS6detail17trampoline_kernelINS0_14default_configENS1_25partition_config_selectorILNS1_17partition_subalgoE8EyNS0_10empty_typeEbEEZZNS1_14partition_implILS5_8ELb0ES3_jN6thrust23THRUST_200600_302600_NS6detail15normal_iteratorINSA_10device_ptrIyEEEEPS6_PKS6_NS0_5tupleIJSF_S6_EEENSJ_IJSG_SG_EEENS0_18inequality_wrapperI22is_equal_div_10_uniqueIyEEEPmJS6_EEE10hipError_tPvRmT3_T4_T5_T6_T7_T9_mT8_P12ihipStream_tbDpT10_ENKUlT_T0_E_clISt17integral_constantIbLb1EES1A_EEDaS15_S16_EUlS15_E_NS1_11comp_targetILNS1_3genE9ELNS1_11target_archE1100ELNS1_3gpuE3ELNS1_3repE0EEENS1_30default_config_static_selectorELNS0_4arch9wavefront6targetE1EEEvT1_
                                        ; -- End function
	.set _ZN7rocprim17ROCPRIM_400000_NS6detail17trampoline_kernelINS0_14default_configENS1_25partition_config_selectorILNS1_17partition_subalgoE8EyNS0_10empty_typeEbEEZZNS1_14partition_implILS5_8ELb0ES3_jN6thrust23THRUST_200600_302600_NS6detail15normal_iteratorINSA_10device_ptrIyEEEEPS6_PKS6_NS0_5tupleIJSF_S6_EEENSJ_IJSG_SG_EEENS0_18inequality_wrapperI22is_equal_div_10_uniqueIyEEEPmJS6_EEE10hipError_tPvRmT3_T4_T5_T6_T7_T9_mT8_P12ihipStream_tbDpT10_ENKUlT_T0_E_clISt17integral_constantIbLb1EES1A_EEDaS15_S16_EUlS15_E_NS1_11comp_targetILNS1_3genE9ELNS1_11target_archE1100ELNS1_3gpuE3ELNS1_3repE0EEENS1_30default_config_static_selectorELNS0_4arch9wavefront6targetE1EEEvT1_.num_vgpr, 0
	.set _ZN7rocprim17ROCPRIM_400000_NS6detail17trampoline_kernelINS0_14default_configENS1_25partition_config_selectorILNS1_17partition_subalgoE8EyNS0_10empty_typeEbEEZZNS1_14partition_implILS5_8ELb0ES3_jN6thrust23THRUST_200600_302600_NS6detail15normal_iteratorINSA_10device_ptrIyEEEEPS6_PKS6_NS0_5tupleIJSF_S6_EEENSJ_IJSG_SG_EEENS0_18inequality_wrapperI22is_equal_div_10_uniqueIyEEEPmJS6_EEE10hipError_tPvRmT3_T4_T5_T6_T7_T9_mT8_P12ihipStream_tbDpT10_ENKUlT_T0_E_clISt17integral_constantIbLb1EES1A_EEDaS15_S16_EUlS15_E_NS1_11comp_targetILNS1_3genE9ELNS1_11target_archE1100ELNS1_3gpuE3ELNS1_3repE0EEENS1_30default_config_static_selectorELNS0_4arch9wavefront6targetE1EEEvT1_.num_agpr, 0
	.set _ZN7rocprim17ROCPRIM_400000_NS6detail17trampoline_kernelINS0_14default_configENS1_25partition_config_selectorILNS1_17partition_subalgoE8EyNS0_10empty_typeEbEEZZNS1_14partition_implILS5_8ELb0ES3_jN6thrust23THRUST_200600_302600_NS6detail15normal_iteratorINSA_10device_ptrIyEEEEPS6_PKS6_NS0_5tupleIJSF_S6_EEENSJ_IJSG_SG_EEENS0_18inequality_wrapperI22is_equal_div_10_uniqueIyEEEPmJS6_EEE10hipError_tPvRmT3_T4_T5_T6_T7_T9_mT8_P12ihipStream_tbDpT10_ENKUlT_T0_E_clISt17integral_constantIbLb1EES1A_EEDaS15_S16_EUlS15_E_NS1_11comp_targetILNS1_3genE9ELNS1_11target_archE1100ELNS1_3gpuE3ELNS1_3repE0EEENS1_30default_config_static_selectorELNS0_4arch9wavefront6targetE1EEEvT1_.numbered_sgpr, 0
	.set _ZN7rocprim17ROCPRIM_400000_NS6detail17trampoline_kernelINS0_14default_configENS1_25partition_config_selectorILNS1_17partition_subalgoE8EyNS0_10empty_typeEbEEZZNS1_14partition_implILS5_8ELb0ES3_jN6thrust23THRUST_200600_302600_NS6detail15normal_iteratorINSA_10device_ptrIyEEEEPS6_PKS6_NS0_5tupleIJSF_S6_EEENSJ_IJSG_SG_EEENS0_18inequality_wrapperI22is_equal_div_10_uniqueIyEEEPmJS6_EEE10hipError_tPvRmT3_T4_T5_T6_T7_T9_mT8_P12ihipStream_tbDpT10_ENKUlT_T0_E_clISt17integral_constantIbLb1EES1A_EEDaS15_S16_EUlS15_E_NS1_11comp_targetILNS1_3genE9ELNS1_11target_archE1100ELNS1_3gpuE3ELNS1_3repE0EEENS1_30default_config_static_selectorELNS0_4arch9wavefront6targetE1EEEvT1_.num_named_barrier, 0
	.set _ZN7rocprim17ROCPRIM_400000_NS6detail17trampoline_kernelINS0_14default_configENS1_25partition_config_selectorILNS1_17partition_subalgoE8EyNS0_10empty_typeEbEEZZNS1_14partition_implILS5_8ELb0ES3_jN6thrust23THRUST_200600_302600_NS6detail15normal_iteratorINSA_10device_ptrIyEEEEPS6_PKS6_NS0_5tupleIJSF_S6_EEENSJ_IJSG_SG_EEENS0_18inequality_wrapperI22is_equal_div_10_uniqueIyEEEPmJS6_EEE10hipError_tPvRmT3_T4_T5_T6_T7_T9_mT8_P12ihipStream_tbDpT10_ENKUlT_T0_E_clISt17integral_constantIbLb1EES1A_EEDaS15_S16_EUlS15_E_NS1_11comp_targetILNS1_3genE9ELNS1_11target_archE1100ELNS1_3gpuE3ELNS1_3repE0EEENS1_30default_config_static_selectorELNS0_4arch9wavefront6targetE1EEEvT1_.private_seg_size, 0
	.set _ZN7rocprim17ROCPRIM_400000_NS6detail17trampoline_kernelINS0_14default_configENS1_25partition_config_selectorILNS1_17partition_subalgoE8EyNS0_10empty_typeEbEEZZNS1_14partition_implILS5_8ELb0ES3_jN6thrust23THRUST_200600_302600_NS6detail15normal_iteratorINSA_10device_ptrIyEEEEPS6_PKS6_NS0_5tupleIJSF_S6_EEENSJ_IJSG_SG_EEENS0_18inequality_wrapperI22is_equal_div_10_uniqueIyEEEPmJS6_EEE10hipError_tPvRmT3_T4_T5_T6_T7_T9_mT8_P12ihipStream_tbDpT10_ENKUlT_T0_E_clISt17integral_constantIbLb1EES1A_EEDaS15_S16_EUlS15_E_NS1_11comp_targetILNS1_3genE9ELNS1_11target_archE1100ELNS1_3gpuE3ELNS1_3repE0EEENS1_30default_config_static_selectorELNS0_4arch9wavefront6targetE1EEEvT1_.uses_vcc, 0
	.set _ZN7rocprim17ROCPRIM_400000_NS6detail17trampoline_kernelINS0_14default_configENS1_25partition_config_selectorILNS1_17partition_subalgoE8EyNS0_10empty_typeEbEEZZNS1_14partition_implILS5_8ELb0ES3_jN6thrust23THRUST_200600_302600_NS6detail15normal_iteratorINSA_10device_ptrIyEEEEPS6_PKS6_NS0_5tupleIJSF_S6_EEENSJ_IJSG_SG_EEENS0_18inequality_wrapperI22is_equal_div_10_uniqueIyEEEPmJS6_EEE10hipError_tPvRmT3_T4_T5_T6_T7_T9_mT8_P12ihipStream_tbDpT10_ENKUlT_T0_E_clISt17integral_constantIbLb1EES1A_EEDaS15_S16_EUlS15_E_NS1_11comp_targetILNS1_3genE9ELNS1_11target_archE1100ELNS1_3gpuE3ELNS1_3repE0EEENS1_30default_config_static_selectorELNS0_4arch9wavefront6targetE1EEEvT1_.uses_flat_scratch, 0
	.set _ZN7rocprim17ROCPRIM_400000_NS6detail17trampoline_kernelINS0_14default_configENS1_25partition_config_selectorILNS1_17partition_subalgoE8EyNS0_10empty_typeEbEEZZNS1_14partition_implILS5_8ELb0ES3_jN6thrust23THRUST_200600_302600_NS6detail15normal_iteratorINSA_10device_ptrIyEEEEPS6_PKS6_NS0_5tupleIJSF_S6_EEENSJ_IJSG_SG_EEENS0_18inequality_wrapperI22is_equal_div_10_uniqueIyEEEPmJS6_EEE10hipError_tPvRmT3_T4_T5_T6_T7_T9_mT8_P12ihipStream_tbDpT10_ENKUlT_T0_E_clISt17integral_constantIbLb1EES1A_EEDaS15_S16_EUlS15_E_NS1_11comp_targetILNS1_3genE9ELNS1_11target_archE1100ELNS1_3gpuE3ELNS1_3repE0EEENS1_30default_config_static_selectorELNS0_4arch9wavefront6targetE1EEEvT1_.has_dyn_sized_stack, 0
	.set _ZN7rocprim17ROCPRIM_400000_NS6detail17trampoline_kernelINS0_14default_configENS1_25partition_config_selectorILNS1_17partition_subalgoE8EyNS0_10empty_typeEbEEZZNS1_14partition_implILS5_8ELb0ES3_jN6thrust23THRUST_200600_302600_NS6detail15normal_iteratorINSA_10device_ptrIyEEEEPS6_PKS6_NS0_5tupleIJSF_S6_EEENSJ_IJSG_SG_EEENS0_18inequality_wrapperI22is_equal_div_10_uniqueIyEEEPmJS6_EEE10hipError_tPvRmT3_T4_T5_T6_T7_T9_mT8_P12ihipStream_tbDpT10_ENKUlT_T0_E_clISt17integral_constantIbLb1EES1A_EEDaS15_S16_EUlS15_E_NS1_11comp_targetILNS1_3genE9ELNS1_11target_archE1100ELNS1_3gpuE3ELNS1_3repE0EEENS1_30default_config_static_selectorELNS0_4arch9wavefront6targetE1EEEvT1_.has_recursion, 0
	.set _ZN7rocprim17ROCPRIM_400000_NS6detail17trampoline_kernelINS0_14default_configENS1_25partition_config_selectorILNS1_17partition_subalgoE8EyNS0_10empty_typeEbEEZZNS1_14partition_implILS5_8ELb0ES3_jN6thrust23THRUST_200600_302600_NS6detail15normal_iteratorINSA_10device_ptrIyEEEEPS6_PKS6_NS0_5tupleIJSF_S6_EEENSJ_IJSG_SG_EEENS0_18inequality_wrapperI22is_equal_div_10_uniqueIyEEEPmJS6_EEE10hipError_tPvRmT3_T4_T5_T6_T7_T9_mT8_P12ihipStream_tbDpT10_ENKUlT_T0_E_clISt17integral_constantIbLb1EES1A_EEDaS15_S16_EUlS15_E_NS1_11comp_targetILNS1_3genE9ELNS1_11target_archE1100ELNS1_3gpuE3ELNS1_3repE0EEENS1_30default_config_static_selectorELNS0_4arch9wavefront6targetE1EEEvT1_.has_indirect_call, 0
	.section	.AMDGPU.csdata,"",@progbits
; Kernel info:
; codeLenInByte = 0
; TotalNumSgprs: 4
; NumVgprs: 0
; ScratchSize: 0
; MemoryBound: 0
; FloatMode: 240
; IeeeMode: 1
; LDSByteSize: 0 bytes/workgroup (compile time only)
; SGPRBlocks: 0
; VGPRBlocks: 0
; NumSGPRsForWavesPerEU: 4
; NumVGPRsForWavesPerEU: 1
; Occupancy: 10
; WaveLimiterHint : 0
; COMPUTE_PGM_RSRC2:SCRATCH_EN: 0
; COMPUTE_PGM_RSRC2:USER_SGPR: 6
; COMPUTE_PGM_RSRC2:TRAP_HANDLER: 0
; COMPUTE_PGM_RSRC2:TGID_X_EN: 1
; COMPUTE_PGM_RSRC2:TGID_Y_EN: 0
; COMPUTE_PGM_RSRC2:TGID_Z_EN: 0
; COMPUTE_PGM_RSRC2:TIDIG_COMP_CNT: 0
	.section	.text._ZN7rocprim17ROCPRIM_400000_NS6detail17trampoline_kernelINS0_14default_configENS1_25partition_config_selectorILNS1_17partition_subalgoE8EyNS0_10empty_typeEbEEZZNS1_14partition_implILS5_8ELb0ES3_jN6thrust23THRUST_200600_302600_NS6detail15normal_iteratorINSA_10device_ptrIyEEEEPS6_PKS6_NS0_5tupleIJSF_S6_EEENSJ_IJSG_SG_EEENS0_18inequality_wrapperI22is_equal_div_10_uniqueIyEEEPmJS6_EEE10hipError_tPvRmT3_T4_T5_T6_T7_T9_mT8_P12ihipStream_tbDpT10_ENKUlT_T0_E_clISt17integral_constantIbLb1EES1A_EEDaS15_S16_EUlS15_E_NS1_11comp_targetILNS1_3genE8ELNS1_11target_archE1030ELNS1_3gpuE2ELNS1_3repE0EEENS1_30default_config_static_selectorELNS0_4arch9wavefront6targetE1EEEvT1_,"axG",@progbits,_ZN7rocprim17ROCPRIM_400000_NS6detail17trampoline_kernelINS0_14default_configENS1_25partition_config_selectorILNS1_17partition_subalgoE8EyNS0_10empty_typeEbEEZZNS1_14partition_implILS5_8ELb0ES3_jN6thrust23THRUST_200600_302600_NS6detail15normal_iteratorINSA_10device_ptrIyEEEEPS6_PKS6_NS0_5tupleIJSF_S6_EEENSJ_IJSG_SG_EEENS0_18inequality_wrapperI22is_equal_div_10_uniqueIyEEEPmJS6_EEE10hipError_tPvRmT3_T4_T5_T6_T7_T9_mT8_P12ihipStream_tbDpT10_ENKUlT_T0_E_clISt17integral_constantIbLb1EES1A_EEDaS15_S16_EUlS15_E_NS1_11comp_targetILNS1_3genE8ELNS1_11target_archE1030ELNS1_3gpuE2ELNS1_3repE0EEENS1_30default_config_static_selectorELNS0_4arch9wavefront6targetE1EEEvT1_,comdat
	.protected	_ZN7rocprim17ROCPRIM_400000_NS6detail17trampoline_kernelINS0_14default_configENS1_25partition_config_selectorILNS1_17partition_subalgoE8EyNS0_10empty_typeEbEEZZNS1_14partition_implILS5_8ELb0ES3_jN6thrust23THRUST_200600_302600_NS6detail15normal_iteratorINSA_10device_ptrIyEEEEPS6_PKS6_NS0_5tupleIJSF_S6_EEENSJ_IJSG_SG_EEENS0_18inequality_wrapperI22is_equal_div_10_uniqueIyEEEPmJS6_EEE10hipError_tPvRmT3_T4_T5_T6_T7_T9_mT8_P12ihipStream_tbDpT10_ENKUlT_T0_E_clISt17integral_constantIbLb1EES1A_EEDaS15_S16_EUlS15_E_NS1_11comp_targetILNS1_3genE8ELNS1_11target_archE1030ELNS1_3gpuE2ELNS1_3repE0EEENS1_30default_config_static_selectorELNS0_4arch9wavefront6targetE1EEEvT1_ ; -- Begin function _ZN7rocprim17ROCPRIM_400000_NS6detail17trampoline_kernelINS0_14default_configENS1_25partition_config_selectorILNS1_17partition_subalgoE8EyNS0_10empty_typeEbEEZZNS1_14partition_implILS5_8ELb0ES3_jN6thrust23THRUST_200600_302600_NS6detail15normal_iteratorINSA_10device_ptrIyEEEEPS6_PKS6_NS0_5tupleIJSF_S6_EEENSJ_IJSG_SG_EEENS0_18inequality_wrapperI22is_equal_div_10_uniqueIyEEEPmJS6_EEE10hipError_tPvRmT3_T4_T5_T6_T7_T9_mT8_P12ihipStream_tbDpT10_ENKUlT_T0_E_clISt17integral_constantIbLb1EES1A_EEDaS15_S16_EUlS15_E_NS1_11comp_targetILNS1_3genE8ELNS1_11target_archE1030ELNS1_3gpuE2ELNS1_3repE0EEENS1_30default_config_static_selectorELNS0_4arch9wavefront6targetE1EEEvT1_
	.globl	_ZN7rocprim17ROCPRIM_400000_NS6detail17trampoline_kernelINS0_14default_configENS1_25partition_config_selectorILNS1_17partition_subalgoE8EyNS0_10empty_typeEbEEZZNS1_14partition_implILS5_8ELb0ES3_jN6thrust23THRUST_200600_302600_NS6detail15normal_iteratorINSA_10device_ptrIyEEEEPS6_PKS6_NS0_5tupleIJSF_S6_EEENSJ_IJSG_SG_EEENS0_18inequality_wrapperI22is_equal_div_10_uniqueIyEEEPmJS6_EEE10hipError_tPvRmT3_T4_T5_T6_T7_T9_mT8_P12ihipStream_tbDpT10_ENKUlT_T0_E_clISt17integral_constantIbLb1EES1A_EEDaS15_S16_EUlS15_E_NS1_11comp_targetILNS1_3genE8ELNS1_11target_archE1030ELNS1_3gpuE2ELNS1_3repE0EEENS1_30default_config_static_selectorELNS0_4arch9wavefront6targetE1EEEvT1_
	.p2align	8
	.type	_ZN7rocprim17ROCPRIM_400000_NS6detail17trampoline_kernelINS0_14default_configENS1_25partition_config_selectorILNS1_17partition_subalgoE8EyNS0_10empty_typeEbEEZZNS1_14partition_implILS5_8ELb0ES3_jN6thrust23THRUST_200600_302600_NS6detail15normal_iteratorINSA_10device_ptrIyEEEEPS6_PKS6_NS0_5tupleIJSF_S6_EEENSJ_IJSG_SG_EEENS0_18inequality_wrapperI22is_equal_div_10_uniqueIyEEEPmJS6_EEE10hipError_tPvRmT3_T4_T5_T6_T7_T9_mT8_P12ihipStream_tbDpT10_ENKUlT_T0_E_clISt17integral_constantIbLb1EES1A_EEDaS15_S16_EUlS15_E_NS1_11comp_targetILNS1_3genE8ELNS1_11target_archE1030ELNS1_3gpuE2ELNS1_3repE0EEENS1_30default_config_static_selectorELNS0_4arch9wavefront6targetE1EEEvT1_,@function
_ZN7rocprim17ROCPRIM_400000_NS6detail17trampoline_kernelINS0_14default_configENS1_25partition_config_selectorILNS1_17partition_subalgoE8EyNS0_10empty_typeEbEEZZNS1_14partition_implILS5_8ELb0ES3_jN6thrust23THRUST_200600_302600_NS6detail15normal_iteratorINSA_10device_ptrIyEEEEPS6_PKS6_NS0_5tupleIJSF_S6_EEENSJ_IJSG_SG_EEENS0_18inequality_wrapperI22is_equal_div_10_uniqueIyEEEPmJS6_EEE10hipError_tPvRmT3_T4_T5_T6_T7_T9_mT8_P12ihipStream_tbDpT10_ENKUlT_T0_E_clISt17integral_constantIbLb1EES1A_EEDaS15_S16_EUlS15_E_NS1_11comp_targetILNS1_3genE8ELNS1_11target_archE1030ELNS1_3gpuE2ELNS1_3repE0EEENS1_30default_config_static_selectorELNS0_4arch9wavefront6targetE1EEEvT1_: ; @_ZN7rocprim17ROCPRIM_400000_NS6detail17trampoline_kernelINS0_14default_configENS1_25partition_config_selectorILNS1_17partition_subalgoE8EyNS0_10empty_typeEbEEZZNS1_14partition_implILS5_8ELb0ES3_jN6thrust23THRUST_200600_302600_NS6detail15normal_iteratorINSA_10device_ptrIyEEEEPS6_PKS6_NS0_5tupleIJSF_S6_EEENSJ_IJSG_SG_EEENS0_18inequality_wrapperI22is_equal_div_10_uniqueIyEEEPmJS6_EEE10hipError_tPvRmT3_T4_T5_T6_T7_T9_mT8_P12ihipStream_tbDpT10_ENKUlT_T0_E_clISt17integral_constantIbLb1EES1A_EEDaS15_S16_EUlS15_E_NS1_11comp_targetILNS1_3genE8ELNS1_11target_archE1030ELNS1_3gpuE2ELNS1_3repE0EEENS1_30default_config_static_selectorELNS0_4arch9wavefront6targetE1EEEvT1_
; %bb.0:
	.section	.rodata,"a",@progbits
	.p2align	6, 0x0
	.amdhsa_kernel _ZN7rocprim17ROCPRIM_400000_NS6detail17trampoline_kernelINS0_14default_configENS1_25partition_config_selectorILNS1_17partition_subalgoE8EyNS0_10empty_typeEbEEZZNS1_14partition_implILS5_8ELb0ES3_jN6thrust23THRUST_200600_302600_NS6detail15normal_iteratorINSA_10device_ptrIyEEEEPS6_PKS6_NS0_5tupleIJSF_S6_EEENSJ_IJSG_SG_EEENS0_18inequality_wrapperI22is_equal_div_10_uniqueIyEEEPmJS6_EEE10hipError_tPvRmT3_T4_T5_T6_T7_T9_mT8_P12ihipStream_tbDpT10_ENKUlT_T0_E_clISt17integral_constantIbLb1EES1A_EEDaS15_S16_EUlS15_E_NS1_11comp_targetILNS1_3genE8ELNS1_11target_archE1030ELNS1_3gpuE2ELNS1_3repE0EEENS1_30default_config_static_selectorELNS0_4arch9wavefront6targetE1EEEvT1_
		.amdhsa_group_segment_fixed_size 0
		.amdhsa_private_segment_fixed_size 0
		.amdhsa_kernarg_size 128
		.amdhsa_user_sgpr_count 6
		.amdhsa_user_sgpr_private_segment_buffer 1
		.amdhsa_user_sgpr_dispatch_ptr 0
		.amdhsa_user_sgpr_queue_ptr 0
		.amdhsa_user_sgpr_kernarg_segment_ptr 1
		.amdhsa_user_sgpr_dispatch_id 0
		.amdhsa_user_sgpr_flat_scratch_init 0
		.amdhsa_user_sgpr_private_segment_size 0
		.amdhsa_uses_dynamic_stack 0
		.amdhsa_system_sgpr_private_segment_wavefront_offset 0
		.amdhsa_system_sgpr_workgroup_id_x 1
		.amdhsa_system_sgpr_workgroup_id_y 0
		.amdhsa_system_sgpr_workgroup_id_z 0
		.amdhsa_system_sgpr_workgroup_info 0
		.amdhsa_system_vgpr_workitem_id 0
		.amdhsa_next_free_vgpr 1
		.amdhsa_next_free_sgpr 0
		.amdhsa_reserve_vcc 0
		.amdhsa_reserve_flat_scratch 0
		.amdhsa_float_round_mode_32 0
		.amdhsa_float_round_mode_16_64 0
		.amdhsa_float_denorm_mode_32 3
		.amdhsa_float_denorm_mode_16_64 3
		.amdhsa_dx10_clamp 1
		.amdhsa_ieee_mode 1
		.amdhsa_fp16_overflow 0
		.amdhsa_exception_fp_ieee_invalid_op 0
		.amdhsa_exception_fp_denorm_src 0
		.amdhsa_exception_fp_ieee_div_zero 0
		.amdhsa_exception_fp_ieee_overflow 0
		.amdhsa_exception_fp_ieee_underflow 0
		.amdhsa_exception_fp_ieee_inexact 0
		.amdhsa_exception_int_div_zero 0
	.end_amdhsa_kernel
	.section	.text._ZN7rocprim17ROCPRIM_400000_NS6detail17trampoline_kernelINS0_14default_configENS1_25partition_config_selectorILNS1_17partition_subalgoE8EyNS0_10empty_typeEbEEZZNS1_14partition_implILS5_8ELb0ES3_jN6thrust23THRUST_200600_302600_NS6detail15normal_iteratorINSA_10device_ptrIyEEEEPS6_PKS6_NS0_5tupleIJSF_S6_EEENSJ_IJSG_SG_EEENS0_18inequality_wrapperI22is_equal_div_10_uniqueIyEEEPmJS6_EEE10hipError_tPvRmT3_T4_T5_T6_T7_T9_mT8_P12ihipStream_tbDpT10_ENKUlT_T0_E_clISt17integral_constantIbLb1EES1A_EEDaS15_S16_EUlS15_E_NS1_11comp_targetILNS1_3genE8ELNS1_11target_archE1030ELNS1_3gpuE2ELNS1_3repE0EEENS1_30default_config_static_selectorELNS0_4arch9wavefront6targetE1EEEvT1_,"axG",@progbits,_ZN7rocprim17ROCPRIM_400000_NS6detail17trampoline_kernelINS0_14default_configENS1_25partition_config_selectorILNS1_17partition_subalgoE8EyNS0_10empty_typeEbEEZZNS1_14partition_implILS5_8ELb0ES3_jN6thrust23THRUST_200600_302600_NS6detail15normal_iteratorINSA_10device_ptrIyEEEEPS6_PKS6_NS0_5tupleIJSF_S6_EEENSJ_IJSG_SG_EEENS0_18inequality_wrapperI22is_equal_div_10_uniqueIyEEEPmJS6_EEE10hipError_tPvRmT3_T4_T5_T6_T7_T9_mT8_P12ihipStream_tbDpT10_ENKUlT_T0_E_clISt17integral_constantIbLb1EES1A_EEDaS15_S16_EUlS15_E_NS1_11comp_targetILNS1_3genE8ELNS1_11target_archE1030ELNS1_3gpuE2ELNS1_3repE0EEENS1_30default_config_static_selectorELNS0_4arch9wavefront6targetE1EEEvT1_,comdat
.Lfunc_end192:
	.size	_ZN7rocprim17ROCPRIM_400000_NS6detail17trampoline_kernelINS0_14default_configENS1_25partition_config_selectorILNS1_17partition_subalgoE8EyNS0_10empty_typeEbEEZZNS1_14partition_implILS5_8ELb0ES3_jN6thrust23THRUST_200600_302600_NS6detail15normal_iteratorINSA_10device_ptrIyEEEEPS6_PKS6_NS0_5tupleIJSF_S6_EEENSJ_IJSG_SG_EEENS0_18inequality_wrapperI22is_equal_div_10_uniqueIyEEEPmJS6_EEE10hipError_tPvRmT3_T4_T5_T6_T7_T9_mT8_P12ihipStream_tbDpT10_ENKUlT_T0_E_clISt17integral_constantIbLb1EES1A_EEDaS15_S16_EUlS15_E_NS1_11comp_targetILNS1_3genE8ELNS1_11target_archE1030ELNS1_3gpuE2ELNS1_3repE0EEENS1_30default_config_static_selectorELNS0_4arch9wavefront6targetE1EEEvT1_, .Lfunc_end192-_ZN7rocprim17ROCPRIM_400000_NS6detail17trampoline_kernelINS0_14default_configENS1_25partition_config_selectorILNS1_17partition_subalgoE8EyNS0_10empty_typeEbEEZZNS1_14partition_implILS5_8ELb0ES3_jN6thrust23THRUST_200600_302600_NS6detail15normal_iteratorINSA_10device_ptrIyEEEEPS6_PKS6_NS0_5tupleIJSF_S6_EEENSJ_IJSG_SG_EEENS0_18inequality_wrapperI22is_equal_div_10_uniqueIyEEEPmJS6_EEE10hipError_tPvRmT3_T4_T5_T6_T7_T9_mT8_P12ihipStream_tbDpT10_ENKUlT_T0_E_clISt17integral_constantIbLb1EES1A_EEDaS15_S16_EUlS15_E_NS1_11comp_targetILNS1_3genE8ELNS1_11target_archE1030ELNS1_3gpuE2ELNS1_3repE0EEENS1_30default_config_static_selectorELNS0_4arch9wavefront6targetE1EEEvT1_
                                        ; -- End function
	.set _ZN7rocprim17ROCPRIM_400000_NS6detail17trampoline_kernelINS0_14default_configENS1_25partition_config_selectorILNS1_17partition_subalgoE8EyNS0_10empty_typeEbEEZZNS1_14partition_implILS5_8ELb0ES3_jN6thrust23THRUST_200600_302600_NS6detail15normal_iteratorINSA_10device_ptrIyEEEEPS6_PKS6_NS0_5tupleIJSF_S6_EEENSJ_IJSG_SG_EEENS0_18inequality_wrapperI22is_equal_div_10_uniqueIyEEEPmJS6_EEE10hipError_tPvRmT3_T4_T5_T6_T7_T9_mT8_P12ihipStream_tbDpT10_ENKUlT_T0_E_clISt17integral_constantIbLb1EES1A_EEDaS15_S16_EUlS15_E_NS1_11comp_targetILNS1_3genE8ELNS1_11target_archE1030ELNS1_3gpuE2ELNS1_3repE0EEENS1_30default_config_static_selectorELNS0_4arch9wavefront6targetE1EEEvT1_.num_vgpr, 0
	.set _ZN7rocprim17ROCPRIM_400000_NS6detail17trampoline_kernelINS0_14default_configENS1_25partition_config_selectorILNS1_17partition_subalgoE8EyNS0_10empty_typeEbEEZZNS1_14partition_implILS5_8ELb0ES3_jN6thrust23THRUST_200600_302600_NS6detail15normal_iteratorINSA_10device_ptrIyEEEEPS6_PKS6_NS0_5tupleIJSF_S6_EEENSJ_IJSG_SG_EEENS0_18inequality_wrapperI22is_equal_div_10_uniqueIyEEEPmJS6_EEE10hipError_tPvRmT3_T4_T5_T6_T7_T9_mT8_P12ihipStream_tbDpT10_ENKUlT_T0_E_clISt17integral_constantIbLb1EES1A_EEDaS15_S16_EUlS15_E_NS1_11comp_targetILNS1_3genE8ELNS1_11target_archE1030ELNS1_3gpuE2ELNS1_3repE0EEENS1_30default_config_static_selectorELNS0_4arch9wavefront6targetE1EEEvT1_.num_agpr, 0
	.set _ZN7rocprim17ROCPRIM_400000_NS6detail17trampoline_kernelINS0_14default_configENS1_25partition_config_selectorILNS1_17partition_subalgoE8EyNS0_10empty_typeEbEEZZNS1_14partition_implILS5_8ELb0ES3_jN6thrust23THRUST_200600_302600_NS6detail15normal_iteratorINSA_10device_ptrIyEEEEPS6_PKS6_NS0_5tupleIJSF_S6_EEENSJ_IJSG_SG_EEENS0_18inequality_wrapperI22is_equal_div_10_uniqueIyEEEPmJS6_EEE10hipError_tPvRmT3_T4_T5_T6_T7_T9_mT8_P12ihipStream_tbDpT10_ENKUlT_T0_E_clISt17integral_constantIbLb1EES1A_EEDaS15_S16_EUlS15_E_NS1_11comp_targetILNS1_3genE8ELNS1_11target_archE1030ELNS1_3gpuE2ELNS1_3repE0EEENS1_30default_config_static_selectorELNS0_4arch9wavefront6targetE1EEEvT1_.numbered_sgpr, 0
	.set _ZN7rocprim17ROCPRIM_400000_NS6detail17trampoline_kernelINS0_14default_configENS1_25partition_config_selectorILNS1_17partition_subalgoE8EyNS0_10empty_typeEbEEZZNS1_14partition_implILS5_8ELb0ES3_jN6thrust23THRUST_200600_302600_NS6detail15normal_iteratorINSA_10device_ptrIyEEEEPS6_PKS6_NS0_5tupleIJSF_S6_EEENSJ_IJSG_SG_EEENS0_18inequality_wrapperI22is_equal_div_10_uniqueIyEEEPmJS6_EEE10hipError_tPvRmT3_T4_T5_T6_T7_T9_mT8_P12ihipStream_tbDpT10_ENKUlT_T0_E_clISt17integral_constantIbLb1EES1A_EEDaS15_S16_EUlS15_E_NS1_11comp_targetILNS1_3genE8ELNS1_11target_archE1030ELNS1_3gpuE2ELNS1_3repE0EEENS1_30default_config_static_selectorELNS0_4arch9wavefront6targetE1EEEvT1_.num_named_barrier, 0
	.set _ZN7rocprim17ROCPRIM_400000_NS6detail17trampoline_kernelINS0_14default_configENS1_25partition_config_selectorILNS1_17partition_subalgoE8EyNS0_10empty_typeEbEEZZNS1_14partition_implILS5_8ELb0ES3_jN6thrust23THRUST_200600_302600_NS6detail15normal_iteratorINSA_10device_ptrIyEEEEPS6_PKS6_NS0_5tupleIJSF_S6_EEENSJ_IJSG_SG_EEENS0_18inequality_wrapperI22is_equal_div_10_uniqueIyEEEPmJS6_EEE10hipError_tPvRmT3_T4_T5_T6_T7_T9_mT8_P12ihipStream_tbDpT10_ENKUlT_T0_E_clISt17integral_constantIbLb1EES1A_EEDaS15_S16_EUlS15_E_NS1_11comp_targetILNS1_3genE8ELNS1_11target_archE1030ELNS1_3gpuE2ELNS1_3repE0EEENS1_30default_config_static_selectorELNS0_4arch9wavefront6targetE1EEEvT1_.private_seg_size, 0
	.set _ZN7rocprim17ROCPRIM_400000_NS6detail17trampoline_kernelINS0_14default_configENS1_25partition_config_selectorILNS1_17partition_subalgoE8EyNS0_10empty_typeEbEEZZNS1_14partition_implILS5_8ELb0ES3_jN6thrust23THRUST_200600_302600_NS6detail15normal_iteratorINSA_10device_ptrIyEEEEPS6_PKS6_NS0_5tupleIJSF_S6_EEENSJ_IJSG_SG_EEENS0_18inequality_wrapperI22is_equal_div_10_uniqueIyEEEPmJS6_EEE10hipError_tPvRmT3_T4_T5_T6_T7_T9_mT8_P12ihipStream_tbDpT10_ENKUlT_T0_E_clISt17integral_constantIbLb1EES1A_EEDaS15_S16_EUlS15_E_NS1_11comp_targetILNS1_3genE8ELNS1_11target_archE1030ELNS1_3gpuE2ELNS1_3repE0EEENS1_30default_config_static_selectorELNS0_4arch9wavefront6targetE1EEEvT1_.uses_vcc, 0
	.set _ZN7rocprim17ROCPRIM_400000_NS6detail17trampoline_kernelINS0_14default_configENS1_25partition_config_selectorILNS1_17partition_subalgoE8EyNS0_10empty_typeEbEEZZNS1_14partition_implILS5_8ELb0ES3_jN6thrust23THRUST_200600_302600_NS6detail15normal_iteratorINSA_10device_ptrIyEEEEPS6_PKS6_NS0_5tupleIJSF_S6_EEENSJ_IJSG_SG_EEENS0_18inequality_wrapperI22is_equal_div_10_uniqueIyEEEPmJS6_EEE10hipError_tPvRmT3_T4_T5_T6_T7_T9_mT8_P12ihipStream_tbDpT10_ENKUlT_T0_E_clISt17integral_constantIbLb1EES1A_EEDaS15_S16_EUlS15_E_NS1_11comp_targetILNS1_3genE8ELNS1_11target_archE1030ELNS1_3gpuE2ELNS1_3repE0EEENS1_30default_config_static_selectorELNS0_4arch9wavefront6targetE1EEEvT1_.uses_flat_scratch, 0
	.set _ZN7rocprim17ROCPRIM_400000_NS6detail17trampoline_kernelINS0_14default_configENS1_25partition_config_selectorILNS1_17partition_subalgoE8EyNS0_10empty_typeEbEEZZNS1_14partition_implILS5_8ELb0ES3_jN6thrust23THRUST_200600_302600_NS6detail15normal_iteratorINSA_10device_ptrIyEEEEPS6_PKS6_NS0_5tupleIJSF_S6_EEENSJ_IJSG_SG_EEENS0_18inequality_wrapperI22is_equal_div_10_uniqueIyEEEPmJS6_EEE10hipError_tPvRmT3_T4_T5_T6_T7_T9_mT8_P12ihipStream_tbDpT10_ENKUlT_T0_E_clISt17integral_constantIbLb1EES1A_EEDaS15_S16_EUlS15_E_NS1_11comp_targetILNS1_3genE8ELNS1_11target_archE1030ELNS1_3gpuE2ELNS1_3repE0EEENS1_30default_config_static_selectorELNS0_4arch9wavefront6targetE1EEEvT1_.has_dyn_sized_stack, 0
	.set _ZN7rocprim17ROCPRIM_400000_NS6detail17trampoline_kernelINS0_14default_configENS1_25partition_config_selectorILNS1_17partition_subalgoE8EyNS0_10empty_typeEbEEZZNS1_14partition_implILS5_8ELb0ES3_jN6thrust23THRUST_200600_302600_NS6detail15normal_iteratorINSA_10device_ptrIyEEEEPS6_PKS6_NS0_5tupleIJSF_S6_EEENSJ_IJSG_SG_EEENS0_18inequality_wrapperI22is_equal_div_10_uniqueIyEEEPmJS6_EEE10hipError_tPvRmT3_T4_T5_T6_T7_T9_mT8_P12ihipStream_tbDpT10_ENKUlT_T0_E_clISt17integral_constantIbLb1EES1A_EEDaS15_S16_EUlS15_E_NS1_11comp_targetILNS1_3genE8ELNS1_11target_archE1030ELNS1_3gpuE2ELNS1_3repE0EEENS1_30default_config_static_selectorELNS0_4arch9wavefront6targetE1EEEvT1_.has_recursion, 0
	.set _ZN7rocprim17ROCPRIM_400000_NS6detail17trampoline_kernelINS0_14default_configENS1_25partition_config_selectorILNS1_17partition_subalgoE8EyNS0_10empty_typeEbEEZZNS1_14partition_implILS5_8ELb0ES3_jN6thrust23THRUST_200600_302600_NS6detail15normal_iteratorINSA_10device_ptrIyEEEEPS6_PKS6_NS0_5tupleIJSF_S6_EEENSJ_IJSG_SG_EEENS0_18inequality_wrapperI22is_equal_div_10_uniqueIyEEEPmJS6_EEE10hipError_tPvRmT3_T4_T5_T6_T7_T9_mT8_P12ihipStream_tbDpT10_ENKUlT_T0_E_clISt17integral_constantIbLb1EES1A_EEDaS15_S16_EUlS15_E_NS1_11comp_targetILNS1_3genE8ELNS1_11target_archE1030ELNS1_3gpuE2ELNS1_3repE0EEENS1_30default_config_static_selectorELNS0_4arch9wavefront6targetE1EEEvT1_.has_indirect_call, 0
	.section	.AMDGPU.csdata,"",@progbits
; Kernel info:
; codeLenInByte = 0
; TotalNumSgprs: 4
; NumVgprs: 0
; ScratchSize: 0
; MemoryBound: 0
; FloatMode: 240
; IeeeMode: 1
; LDSByteSize: 0 bytes/workgroup (compile time only)
; SGPRBlocks: 0
; VGPRBlocks: 0
; NumSGPRsForWavesPerEU: 4
; NumVGPRsForWavesPerEU: 1
; Occupancy: 10
; WaveLimiterHint : 0
; COMPUTE_PGM_RSRC2:SCRATCH_EN: 0
; COMPUTE_PGM_RSRC2:USER_SGPR: 6
; COMPUTE_PGM_RSRC2:TRAP_HANDLER: 0
; COMPUTE_PGM_RSRC2:TGID_X_EN: 1
; COMPUTE_PGM_RSRC2:TGID_Y_EN: 0
; COMPUTE_PGM_RSRC2:TGID_Z_EN: 0
; COMPUTE_PGM_RSRC2:TIDIG_COMP_CNT: 0
	.section	.text._ZN7rocprim17ROCPRIM_400000_NS6detail17trampoline_kernelINS0_14default_configENS1_25partition_config_selectorILNS1_17partition_subalgoE8EyNS0_10empty_typeEbEEZZNS1_14partition_implILS5_8ELb0ES3_jN6thrust23THRUST_200600_302600_NS6detail15normal_iteratorINSA_10device_ptrIyEEEEPS6_PKS6_NS0_5tupleIJSF_S6_EEENSJ_IJSG_SG_EEENS0_18inequality_wrapperI22is_equal_div_10_uniqueIyEEEPmJS6_EEE10hipError_tPvRmT3_T4_T5_T6_T7_T9_mT8_P12ihipStream_tbDpT10_ENKUlT_T0_E_clISt17integral_constantIbLb1EES19_IbLb0EEEEDaS15_S16_EUlS15_E_NS1_11comp_targetILNS1_3genE0ELNS1_11target_archE4294967295ELNS1_3gpuE0ELNS1_3repE0EEENS1_30default_config_static_selectorELNS0_4arch9wavefront6targetE1EEEvT1_,"axG",@progbits,_ZN7rocprim17ROCPRIM_400000_NS6detail17trampoline_kernelINS0_14default_configENS1_25partition_config_selectorILNS1_17partition_subalgoE8EyNS0_10empty_typeEbEEZZNS1_14partition_implILS5_8ELb0ES3_jN6thrust23THRUST_200600_302600_NS6detail15normal_iteratorINSA_10device_ptrIyEEEEPS6_PKS6_NS0_5tupleIJSF_S6_EEENSJ_IJSG_SG_EEENS0_18inequality_wrapperI22is_equal_div_10_uniqueIyEEEPmJS6_EEE10hipError_tPvRmT3_T4_T5_T6_T7_T9_mT8_P12ihipStream_tbDpT10_ENKUlT_T0_E_clISt17integral_constantIbLb1EES19_IbLb0EEEEDaS15_S16_EUlS15_E_NS1_11comp_targetILNS1_3genE0ELNS1_11target_archE4294967295ELNS1_3gpuE0ELNS1_3repE0EEENS1_30default_config_static_selectorELNS0_4arch9wavefront6targetE1EEEvT1_,comdat
	.protected	_ZN7rocprim17ROCPRIM_400000_NS6detail17trampoline_kernelINS0_14default_configENS1_25partition_config_selectorILNS1_17partition_subalgoE8EyNS0_10empty_typeEbEEZZNS1_14partition_implILS5_8ELb0ES3_jN6thrust23THRUST_200600_302600_NS6detail15normal_iteratorINSA_10device_ptrIyEEEEPS6_PKS6_NS0_5tupleIJSF_S6_EEENSJ_IJSG_SG_EEENS0_18inequality_wrapperI22is_equal_div_10_uniqueIyEEEPmJS6_EEE10hipError_tPvRmT3_T4_T5_T6_T7_T9_mT8_P12ihipStream_tbDpT10_ENKUlT_T0_E_clISt17integral_constantIbLb1EES19_IbLb0EEEEDaS15_S16_EUlS15_E_NS1_11comp_targetILNS1_3genE0ELNS1_11target_archE4294967295ELNS1_3gpuE0ELNS1_3repE0EEENS1_30default_config_static_selectorELNS0_4arch9wavefront6targetE1EEEvT1_ ; -- Begin function _ZN7rocprim17ROCPRIM_400000_NS6detail17trampoline_kernelINS0_14default_configENS1_25partition_config_selectorILNS1_17partition_subalgoE8EyNS0_10empty_typeEbEEZZNS1_14partition_implILS5_8ELb0ES3_jN6thrust23THRUST_200600_302600_NS6detail15normal_iteratorINSA_10device_ptrIyEEEEPS6_PKS6_NS0_5tupleIJSF_S6_EEENSJ_IJSG_SG_EEENS0_18inequality_wrapperI22is_equal_div_10_uniqueIyEEEPmJS6_EEE10hipError_tPvRmT3_T4_T5_T6_T7_T9_mT8_P12ihipStream_tbDpT10_ENKUlT_T0_E_clISt17integral_constantIbLb1EES19_IbLb0EEEEDaS15_S16_EUlS15_E_NS1_11comp_targetILNS1_3genE0ELNS1_11target_archE4294967295ELNS1_3gpuE0ELNS1_3repE0EEENS1_30default_config_static_selectorELNS0_4arch9wavefront6targetE1EEEvT1_
	.globl	_ZN7rocprim17ROCPRIM_400000_NS6detail17trampoline_kernelINS0_14default_configENS1_25partition_config_selectorILNS1_17partition_subalgoE8EyNS0_10empty_typeEbEEZZNS1_14partition_implILS5_8ELb0ES3_jN6thrust23THRUST_200600_302600_NS6detail15normal_iteratorINSA_10device_ptrIyEEEEPS6_PKS6_NS0_5tupleIJSF_S6_EEENSJ_IJSG_SG_EEENS0_18inequality_wrapperI22is_equal_div_10_uniqueIyEEEPmJS6_EEE10hipError_tPvRmT3_T4_T5_T6_T7_T9_mT8_P12ihipStream_tbDpT10_ENKUlT_T0_E_clISt17integral_constantIbLb1EES19_IbLb0EEEEDaS15_S16_EUlS15_E_NS1_11comp_targetILNS1_3genE0ELNS1_11target_archE4294967295ELNS1_3gpuE0ELNS1_3repE0EEENS1_30default_config_static_selectorELNS0_4arch9wavefront6targetE1EEEvT1_
	.p2align	8
	.type	_ZN7rocprim17ROCPRIM_400000_NS6detail17trampoline_kernelINS0_14default_configENS1_25partition_config_selectorILNS1_17partition_subalgoE8EyNS0_10empty_typeEbEEZZNS1_14partition_implILS5_8ELb0ES3_jN6thrust23THRUST_200600_302600_NS6detail15normal_iteratorINSA_10device_ptrIyEEEEPS6_PKS6_NS0_5tupleIJSF_S6_EEENSJ_IJSG_SG_EEENS0_18inequality_wrapperI22is_equal_div_10_uniqueIyEEEPmJS6_EEE10hipError_tPvRmT3_T4_T5_T6_T7_T9_mT8_P12ihipStream_tbDpT10_ENKUlT_T0_E_clISt17integral_constantIbLb1EES19_IbLb0EEEEDaS15_S16_EUlS15_E_NS1_11comp_targetILNS1_3genE0ELNS1_11target_archE4294967295ELNS1_3gpuE0ELNS1_3repE0EEENS1_30default_config_static_selectorELNS0_4arch9wavefront6targetE1EEEvT1_,@function
_ZN7rocprim17ROCPRIM_400000_NS6detail17trampoline_kernelINS0_14default_configENS1_25partition_config_selectorILNS1_17partition_subalgoE8EyNS0_10empty_typeEbEEZZNS1_14partition_implILS5_8ELb0ES3_jN6thrust23THRUST_200600_302600_NS6detail15normal_iteratorINSA_10device_ptrIyEEEEPS6_PKS6_NS0_5tupleIJSF_S6_EEENSJ_IJSG_SG_EEENS0_18inequality_wrapperI22is_equal_div_10_uniqueIyEEEPmJS6_EEE10hipError_tPvRmT3_T4_T5_T6_T7_T9_mT8_P12ihipStream_tbDpT10_ENKUlT_T0_E_clISt17integral_constantIbLb1EES19_IbLb0EEEEDaS15_S16_EUlS15_E_NS1_11comp_targetILNS1_3genE0ELNS1_11target_archE4294967295ELNS1_3gpuE0ELNS1_3repE0EEENS1_30default_config_static_selectorELNS0_4arch9wavefront6targetE1EEEvT1_: ; @_ZN7rocprim17ROCPRIM_400000_NS6detail17trampoline_kernelINS0_14default_configENS1_25partition_config_selectorILNS1_17partition_subalgoE8EyNS0_10empty_typeEbEEZZNS1_14partition_implILS5_8ELb0ES3_jN6thrust23THRUST_200600_302600_NS6detail15normal_iteratorINSA_10device_ptrIyEEEEPS6_PKS6_NS0_5tupleIJSF_S6_EEENSJ_IJSG_SG_EEENS0_18inequality_wrapperI22is_equal_div_10_uniqueIyEEEPmJS6_EEE10hipError_tPvRmT3_T4_T5_T6_T7_T9_mT8_P12ihipStream_tbDpT10_ENKUlT_T0_E_clISt17integral_constantIbLb1EES19_IbLb0EEEEDaS15_S16_EUlS15_E_NS1_11comp_targetILNS1_3genE0ELNS1_11target_archE4294967295ELNS1_3gpuE0ELNS1_3repE0EEENS1_30default_config_static_selectorELNS0_4arch9wavefront6targetE1EEEvT1_
; %bb.0:
	.section	.rodata,"a",@progbits
	.p2align	6, 0x0
	.amdhsa_kernel _ZN7rocprim17ROCPRIM_400000_NS6detail17trampoline_kernelINS0_14default_configENS1_25partition_config_selectorILNS1_17partition_subalgoE8EyNS0_10empty_typeEbEEZZNS1_14partition_implILS5_8ELb0ES3_jN6thrust23THRUST_200600_302600_NS6detail15normal_iteratorINSA_10device_ptrIyEEEEPS6_PKS6_NS0_5tupleIJSF_S6_EEENSJ_IJSG_SG_EEENS0_18inequality_wrapperI22is_equal_div_10_uniqueIyEEEPmJS6_EEE10hipError_tPvRmT3_T4_T5_T6_T7_T9_mT8_P12ihipStream_tbDpT10_ENKUlT_T0_E_clISt17integral_constantIbLb1EES19_IbLb0EEEEDaS15_S16_EUlS15_E_NS1_11comp_targetILNS1_3genE0ELNS1_11target_archE4294967295ELNS1_3gpuE0ELNS1_3repE0EEENS1_30default_config_static_selectorELNS0_4arch9wavefront6targetE1EEEvT1_
		.amdhsa_group_segment_fixed_size 0
		.amdhsa_private_segment_fixed_size 0
		.amdhsa_kernarg_size 112
		.amdhsa_user_sgpr_count 6
		.amdhsa_user_sgpr_private_segment_buffer 1
		.amdhsa_user_sgpr_dispatch_ptr 0
		.amdhsa_user_sgpr_queue_ptr 0
		.amdhsa_user_sgpr_kernarg_segment_ptr 1
		.amdhsa_user_sgpr_dispatch_id 0
		.amdhsa_user_sgpr_flat_scratch_init 0
		.amdhsa_user_sgpr_private_segment_size 0
		.amdhsa_uses_dynamic_stack 0
		.amdhsa_system_sgpr_private_segment_wavefront_offset 0
		.amdhsa_system_sgpr_workgroup_id_x 1
		.amdhsa_system_sgpr_workgroup_id_y 0
		.amdhsa_system_sgpr_workgroup_id_z 0
		.amdhsa_system_sgpr_workgroup_info 0
		.amdhsa_system_vgpr_workitem_id 0
		.amdhsa_next_free_vgpr 1
		.amdhsa_next_free_sgpr 0
		.amdhsa_reserve_vcc 0
		.amdhsa_reserve_flat_scratch 0
		.amdhsa_float_round_mode_32 0
		.amdhsa_float_round_mode_16_64 0
		.amdhsa_float_denorm_mode_32 3
		.amdhsa_float_denorm_mode_16_64 3
		.amdhsa_dx10_clamp 1
		.amdhsa_ieee_mode 1
		.amdhsa_fp16_overflow 0
		.amdhsa_exception_fp_ieee_invalid_op 0
		.amdhsa_exception_fp_denorm_src 0
		.amdhsa_exception_fp_ieee_div_zero 0
		.amdhsa_exception_fp_ieee_overflow 0
		.amdhsa_exception_fp_ieee_underflow 0
		.amdhsa_exception_fp_ieee_inexact 0
		.amdhsa_exception_int_div_zero 0
	.end_amdhsa_kernel
	.section	.text._ZN7rocprim17ROCPRIM_400000_NS6detail17trampoline_kernelINS0_14default_configENS1_25partition_config_selectorILNS1_17partition_subalgoE8EyNS0_10empty_typeEbEEZZNS1_14partition_implILS5_8ELb0ES3_jN6thrust23THRUST_200600_302600_NS6detail15normal_iteratorINSA_10device_ptrIyEEEEPS6_PKS6_NS0_5tupleIJSF_S6_EEENSJ_IJSG_SG_EEENS0_18inequality_wrapperI22is_equal_div_10_uniqueIyEEEPmJS6_EEE10hipError_tPvRmT3_T4_T5_T6_T7_T9_mT8_P12ihipStream_tbDpT10_ENKUlT_T0_E_clISt17integral_constantIbLb1EES19_IbLb0EEEEDaS15_S16_EUlS15_E_NS1_11comp_targetILNS1_3genE0ELNS1_11target_archE4294967295ELNS1_3gpuE0ELNS1_3repE0EEENS1_30default_config_static_selectorELNS0_4arch9wavefront6targetE1EEEvT1_,"axG",@progbits,_ZN7rocprim17ROCPRIM_400000_NS6detail17trampoline_kernelINS0_14default_configENS1_25partition_config_selectorILNS1_17partition_subalgoE8EyNS0_10empty_typeEbEEZZNS1_14partition_implILS5_8ELb0ES3_jN6thrust23THRUST_200600_302600_NS6detail15normal_iteratorINSA_10device_ptrIyEEEEPS6_PKS6_NS0_5tupleIJSF_S6_EEENSJ_IJSG_SG_EEENS0_18inequality_wrapperI22is_equal_div_10_uniqueIyEEEPmJS6_EEE10hipError_tPvRmT3_T4_T5_T6_T7_T9_mT8_P12ihipStream_tbDpT10_ENKUlT_T0_E_clISt17integral_constantIbLb1EES19_IbLb0EEEEDaS15_S16_EUlS15_E_NS1_11comp_targetILNS1_3genE0ELNS1_11target_archE4294967295ELNS1_3gpuE0ELNS1_3repE0EEENS1_30default_config_static_selectorELNS0_4arch9wavefront6targetE1EEEvT1_,comdat
.Lfunc_end193:
	.size	_ZN7rocprim17ROCPRIM_400000_NS6detail17trampoline_kernelINS0_14default_configENS1_25partition_config_selectorILNS1_17partition_subalgoE8EyNS0_10empty_typeEbEEZZNS1_14partition_implILS5_8ELb0ES3_jN6thrust23THRUST_200600_302600_NS6detail15normal_iteratorINSA_10device_ptrIyEEEEPS6_PKS6_NS0_5tupleIJSF_S6_EEENSJ_IJSG_SG_EEENS0_18inequality_wrapperI22is_equal_div_10_uniqueIyEEEPmJS6_EEE10hipError_tPvRmT3_T4_T5_T6_T7_T9_mT8_P12ihipStream_tbDpT10_ENKUlT_T0_E_clISt17integral_constantIbLb1EES19_IbLb0EEEEDaS15_S16_EUlS15_E_NS1_11comp_targetILNS1_3genE0ELNS1_11target_archE4294967295ELNS1_3gpuE0ELNS1_3repE0EEENS1_30default_config_static_selectorELNS0_4arch9wavefront6targetE1EEEvT1_, .Lfunc_end193-_ZN7rocprim17ROCPRIM_400000_NS6detail17trampoline_kernelINS0_14default_configENS1_25partition_config_selectorILNS1_17partition_subalgoE8EyNS0_10empty_typeEbEEZZNS1_14partition_implILS5_8ELb0ES3_jN6thrust23THRUST_200600_302600_NS6detail15normal_iteratorINSA_10device_ptrIyEEEEPS6_PKS6_NS0_5tupleIJSF_S6_EEENSJ_IJSG_SG_EEENS0_18inequality_wrapperI22is_equal_div_10_uniqueIyEEEPmJS6_EEE10hipError_tPvRmT3_T4_T5_T6_T7_T9_mT8_P12ihipStream_tbDpT10_ENKUlT_T0_E_clISt17integral_constantIbLb1EES19_IbLb0EEEEDaS15_S16_EUlS15_E_NS1_11comp_targetILNS1_3genE0ELNS1_11target_archE4294967295ELNS1_3gpuE0ELNS1_3repE0EEENS1_30default_config_static_selectorELNS0_4arch9wavefront6targetE1EEEvT1_
                                        ; -- End function
	.set _ZN7rocprim17ROCPRIM_400000_NS6detail17trampoline_kernelINS0_14default_configENS1_25partition_config_selectorILNS1_17partition_subalgoE8EyNS0_10empty_typeEbEEZZNS1_14partition_implILS5_8ELb0ES3_jN6thrust23THRUST_200600_302600_NS6detail15normal_iteratorINSA_10device_ptrIyEEEEPS6_PKS6_NS0_5tupleIJSF_S6_EEENSJ_IJSG_SG_EEENS0_18inequality_wrapperI22is_equal_div_10_uniqueIyEEEPmJS6_EEE10hipError_tPvRmT3_T4_T5_T6_T7_T9_mT8_P12ihipStream_tbDpT10_ENKUlT_T0_E_clISt17integral_constantIbLb1EES19_IbLb0EEEEDaS15_S16_EUlS15_E_NS1_11comp_targetILNS1_3genE0ELNS1_11target_archE4294967295ELNS1_3gpuE0ELNS1_3repE0EEENS1_30default_config_static_selectorELNS0_4arch9wavefront6targetE1EEEvT1_.num_vgpr, 0
	.set _ZN7rocprim17ROCPRIM_400000_NS6detail17trampoline_kernelINS0_14default_configENS1_25partition_config_selectorILNS1_17partition_subalgoE8EyNS0_10empty_typeEbEEZZNS1_14partition_implILS5_8ELb0ES3_jN6thrust23THRUST_200600_302600_NS6detail15normal_iteratorINSA_10device_ptrIyEEEEPS6_PKS6_NS0_5tupleIJSF_S6_EEENSJ_IJSG_SG_EEENS0_18inequality_wrapperI22is_equal_div_10_uniqueIyEEEPmJS6_EEE10hipError_tPvRmT3_T4_T5_T6_T7_T9_mT8_P12ihipStream_tbDpT10_ENKUlT_T0_E_clISt17integral_constantIbLb1EES19_IbLb0EEEEDaS15_S16_EUlS15_E_NS1_11comp_targetILNS1_3genE0ELNS1_11target_archE4294967295ELNS1_3gpuE0ELNS1_3repE0EEENS1_30default_config_static_selectorELNS0_4arch9wavefront6targetE1EEEvT1_.num_agpr, 0
	.set _ZN7rocprim17ROCPRIM_400000_NS6detail17trampoline_kernelINS0_14default_configENS1_25partition_config_selectorILNS1_17partition_subalgoE8EyNS0_10empty_typeEbEEZZNS1_14partition_implILS5_8ELb0ES3_jN6thrust23THRUST_200600_302600_NS6detail15normal_iteratorINSA_10device_ptrIyEEEEPS6_PKS6_NS0_5tupleIJSF_S6_EEENSJ_IJSG_SG_EEENS0_18inequality_wrapperI22is_equal_div_10_uniqueIyEEEPmJS6_EEE10hipError_tPvRmT3_T4_T5_T6_T7_T9_mT8_P12ihipStream_tbDpT10_ENKUlT_T0_E_clISt17integral_constantIbLb1EES19_IbLb0EEEEDaS15_S16_EUlS15_E_NS1_11comp_targetILNS1_3genE0ELNS1_11target_archE4294967295ELNS1_3gpuE0ELNS1_3repE0EEENS1_30default_config_static_selectorELNS0_4arch9wavefront6targetE1EEEvT1_.numbered_sgpr, 0
	.set _ZN7rocprim17ROCPRIM_400000_NS6detail17trampoline_kernelINS0_14default_configENS1_25partition_config_selectorILNS1_17partition_subalgoE8EyNS0_10empty_typeEbEEZZNS1_14partition_implILS5_8ELb0ES3_jN6thrust23THRUST_200600_302600_NS6detail15normal_iteratorINSA_10device_ptrIyEEEEPS6_PKS6_NS0_5tupleIJSF_S6_EEENSJ_IJSG_SG_EEENS0_18inequality_wrapperI22is_equal_div_10_uniqueIyEEEPmJS6_EEE10hipError_tPvRmT3_T4_T5_T6_T7_T9_mT8_P12ihipStream_tbDpT10_ENKUlT_T0_E_clISt17integral_constantIbLb1EES19_IbLb0EEEEDaS15_S16_EUlS15_E_NS1_11comp_targetILNS1_3genE0ELNS1_11target_archE4294967295ELNS1_3gpuE0ELNS1_3repE0EEENS1_30default_config_static_selectorELNS0_4arch9wavefront6targetE1EEEvT1_.num_named_barrier, 0
	.set _ZN7rocprim17ROCPRIM_400000_NS6detail17trampoline_kernelINS0_14default_configENS1_25partition_config_selectorILNS1_17partition_subalgoE8EyNS0_10empty_typeEbEEZZNS1_14partition_implILS5_8ELb0ES3_jN6thrust23THRUST_200600_302600_NS6detail15normal_iteratorINSA_10device_ptrIyEEEEPS6_PKS6_NS0_5tupleIJSF_S6_EEENSJ_IJSG_SG_EEENS0_18inequality_wrapperI22is_equal_div_10_uniqueIyEEEPmJS6_EEE10hipError_tPvRmT3_T4_T5_T6_T7_T9_mT8_P12ihipStream_tbDpT10_ENKUlT_T0_E_clISt17integral_constantIbLb1EES19_IbLb0EEEEDaS15_S16_EUlS15_E_NS1_11comp_targetILNS1_3genE0ELNS1_11target_archE4294967295ELNS1_3gpuE0ELNS1_3repE0EEENS1_30default_config_static_selectorELNS0_4arch9wavefront6targetE1EEEvT1_.private_seg_size, 0
	.set _ZN7rocprim17ROCPRIM_400000_NS6detail17trampoline_kernelINS0_14default_configENS1_25partition_config_selectorILNS1_17partition_subalgoE8EyNS0_10empty_typeEbEEZZNS1_14partition_implILS5_8ELb0ES3_jN6thrust23THRUST_200600_302600_NS6detail15normal_iteratorINSA_10device_ptrIyEEEEPS6_PKS6_NS0_5tupleIJSF_S6_EEENSJ_IJSG_SG_EEENS0_18inequality_wrapperI22is_equal_div_10_uniqueIyEEEPmJS6_EEE10hipError_tPvRmT3_T4_T5_T6_T7_T9_mT8_P12ihipStream_tbDpT10_ENKUlT_T0_E_clISt17integral_constantIbLb1EES19_IbLb0EEEEDaS15_S16_EUlS15_E_NS1_11comp_targetILNS1_3genE0ELNS1_11target_archE4294967295ELNS1_3gpuE0ELNS1_3repE0EEENS1_30default_config_static_selectorELNS0_4arch9wavefront6targetE1EEEvT1_.uses_vcc, 0
	.set _ZN7rocprim17ROCPRIM_400000_NS6detail17trampoline_kernelINS0_14default_configENS1_25partition_config_selectorILNS1_17partition_subalgoE8EyNS0_10empty_typeEbEEZZNS1_14partition_implILS5_8ELb0ES3_jN6thrust23THRUST_200600_302600_NS6detail15normal_iteratorINSA_10device_ptrIyEEEEPS6_PKS6_NS0_5tupleIJSF_S6_EEENSJ_IJSG_SG_EEENS0_18inequality_wrapperI22is_equal_div_10_uniqueIyEEEPmJS6_EEE10hipError_tPvRmT3_T4_T5_T6_T7_T9_mT8_P12ihipStream_tbDpT10_ENKUlT_T0_E_clISt17integral_constantIbLb1EES19_IbLb0EEEEDaS15_S16_EUlS15_E_NS1_11comp_targetILNS1_3genE0ELNS1_11target_archE4294967295ELNS1_3gpuE0ELNS1_3repE0EEENS1_30default_config_static_selectorELNS0_4arch9wavefront6targetE1EEEvT1_.uses_flat_scratch, 0
	.set _ZN7rocprim17ROCPRIM_400000_NS6detail17trampoline_kernelINS0_14default_configENS1_25partition_config_selectorILNS1_17partition_subalgoE8EyNS0_10empty_typeEbEEZZNS1_14partition_implILS5_8ELb0ES3_jN6thrust23THRUST_200600_302600_NS6detail15normal_iteratorINSA_10device_ptrIyEEEEPS6_PKS6_NS0_5tupleIJSF_S6_EEENSJ_IJSG_SG_EEENS0_18inequality_wrapperI22is_equal_div_10_uniqueIyEEEPmJS6_EEE10hipError_tPvRmT3_T4_T5_T6_T7_T9_mT8_P12ihipStream_tbDpT10_ENKUlT_T0_E_clISt17integral_constantIbLb1EES19_IbLb0EEEEDaS15_S16_EUlS15_E_NS1_11comp_targetILNS1_3genE0ELNS1_11target_archE4294967295ELNS1_3gpuE0ELNS1_3repE0EEENS1_30default_config_static_selectorELNS0_4arch9wavefront6targetE1EEEvT1_.has_dyn_sized_stack, 0
	.set _ZN7rocprim17ROCPRIM_400000_NS6detail17trampoline_kernelINS0_14default_configENS1_25partition_config_selectorILNS1_17partition_subalgoE8EyNS0_10empty_typeEbEEZZNS1_14partition_implILS5_8ELb0ES3_jN6thrust23THRUST_200600_302600_NS6detail15normal_iteratorINSA_10device_ptrIyEEEEPS6_PKS6_NS0_5tupleIJSF_S6_EEENSJ_IJSG_SG_EEENS0_18inequality_wrapperI22is_equal_div_10_uniqueIyEEEPmJS6_EEE10hipError_tPvRmT3_T4_T5_T6_T7_T9_mT8_P12ihipStream_tbDpT10_ENKUlT_T0_E_clISt17integral_constantIbLb1EES19_IbLb0EEEEDaS15_S16_EUlS15_E_NS1_11comp_targetILNS1_3genE0ELNS1_11target_archE4294967295ELNS1_3gpuE0ELNS1_3repE0EEENS1_30default_config_static_selectorELNS0_4arch9wavefront6targetE1EEEvT1_.has_recursion, 0
	.set _ZN7rocprim17ROCPRIM_400000_NS6detail17trampoline_kernelINS0_14default_configENS1_25partition_config_selectorILNS1_17partition_subalgoE8EyNS0_10empty_typeEbEEZZNS1_14partition_implILS5_8ELb0ES3_jN6thrust23THRUST_200600_302600_NS6detail15normal_iteratorINSA_10device_ptrIyEEEEPS6_PKS6_NS0_5tupleIJSF_S6_EEENSJ_IJSG_SG_EEENS0_18inequality_wrapperI22is_equal_div_10_uniqueIyEEEPmJS6_EEE10hipError_tPvRmT3_T4_T5_T6_T7_T9_mT8_P12ihipStream_tbDpT10_ENKUlT_T0_E_clISt17integral_constantIbLb1EES19_IbLb0EEEEDaS15_S16_EUlS15_E_NS1_11comp_targetILNS1_3genE0ELNS1_11target_archE4294967295ELNS1_3gpuE0ELNS1_3repE0EEENS1_30default_config_static_selectorELNS0_4arch9wavefront6targetE1EEEvT1_.has_indirect_call, 0
	.section	.AMDGPU.csdata,"",@progbits
; Kernel info:
; codeLenInByte = 0
; TotalNumSgprs: 4
; NumVgprs: 0
; ScratchSize: 0
; MemoryBound: 0
; FloatMode: 240
; IeeeMode: 1
; LDSByteSize: 0 bytes/workgroup (compile time only)
; SGPRBlocks: 0
; VGPRBlocks: 0
; NumSGPRsForWavesPerEU: 4
; NumVGPRsForWavesPerEU: 1
; Occupancy: 10
; WaveLimiterHint : 0
; COMPUTE_PGM_RSRC2:SCRATCH_EN: 0
; COMPUTE_PGM_RSRC2:USER_SGPR: 6
; COMPUTE_PGM_RSRC2:TRAP_HANDLER: 0
; COMPUTE_PGM_RSRC2:TGID_X_EN: 1
; COMPUTE_PGM_RSRC2:TGID_Y_EN: 0
; COMPUTE_PGM_RSRC2:TGID_Z_EN: 0
; COMPUTE_PGM_RSRC2:TIDIG_COMP_CNT: 0
	.section	.text._ZN7rocprim17ROCPRIM_400000_NS6detail17trampoline_kernelINS0_14default_configENS1_25partition_config_selectorILNS1_17partition_subalgoE8EyNS0_10empty_typeEbEEZZNS1_14partition_implILS5_8ELb0ES3_jN6thrust23THRUST_200600_302600_NS6detail15normal_iteratorINSA_10device_ptrIyEEEEPS6_PKS6_NS0_5tupleIJSF_S6_EEENSJ_IJSG_SG_EEENS0_18inequality_wrapperI22is_equal_div_10_uniqueIyEEEPmJS6_EEE10hipError_tPvRmT3_T4_T5_T6_T7_T9_mT8_P12ihipStream_tbDpT10_ENKUlT_T0_E_clISt17integral_constantIbLb1EES19_IbLb0EEEEDaS15_S16_EUlS15_E_NS1_11comp_targetILNS1_3genE5ELNS1_11target_archE942ELNS1_3gpuE9ELNS1_3repE0EEENS1_30default_config_static_selectorELNS0_4arch9wavefront6targetE1EEEvT1_,"axG",@progbits,_ZN7rocprim17ROCPRIM_400000_NS6detail17trampoline_kernelINS0_14default_configENS1_25partition_config_selectorILNS1_17partition_subalgoE8EyNS0_10empty_typeEbEEZZNS1_14partition_implILS5_8ELb0ES3_jN6thrust23THRUST_200600_302600_NS6detail15normal_iteratorINSA_10device_ptrIyEEEEPS6_PKS6_NS0_5tupleIJSF_S6_EEENSJ_IJSG_SG_EEENS0_18inequality_wrapperI22is_equal_div_10_uniqueIyEEEPmJS6_EEE10hipError_tPvRmT3_T4_T5_T6_T7_T9_mT8_P12ihipStream_tbDpT10_ENKUlT_T0_E_clISt17integral_constantIbLb1EES19_IbLb0EEEEDaS15_S16_EUlS15_E_NS1_11comp_targetILNS1_3genE5ELNS1_11target_archE942ELNS1_3gpuE9ELNS1_3repE0EEENS1_30default_config_static_selectorELNS0_4arch9wavefront6targetE1EEEvT1_,comdat
	.protected	_ZN7rocprim17ROCPRIM_400000_NS6detail17trampoline_kernelINS0_14default_configENS1_25partition_config_selectorILNS1_17partition_subalgoE8EyNS0_10empty_typeEbEEZZNS1_14partition_implILS5_8ELb0ES3_jN6thrust23THRUST_200600_302600_NS6detail15normal_iteratorINSA_10device_ptrIyEEEEPS6_PKS6_NS0_5tupleIJSF_S6_EEENSJ_IJSG_SG_EEENS0_18inequality_wrapperI22is_equal_div_10_uniqueIyEEEPmJS6_EEE10hipError_tPvRmT3_T4_T5_T6_T7_T9_mT8_P12ihipStream_tbDpT10_ENKUlT_T0_E_clISt17integral_constantIbLb1EES19_IbLb0EEEEDaS15_S16_EUlS15_E_NS1_11comp_targetILNS1_3genE5ELNS1_11target_archE942ELNS1_3gpuE9ELNS1_3repE0EEENS1_30default_config_static_selectorELNS0_4arch9wavefront6targetE1EEEvT1_ ; -- Begin function _ZN7rocprim17ROCPRIM_400000_NS6detail17trampoline_kernelINS0_14default_configENS1_25partition_config_selectorILNS1_17partition_subalgoE8EyNS0_10empty_typeEbEEZZNS1_14partition_implILS5_8ELb0ES3_jN6thrust23THRUST_200600_302600_NS6detail15normal_iteratorINSA_10device_ptrIyEEEEPS6_PKS6_NS0_5tupleIJSF_S6_EEENSJ_IJSG_SG_EEENS0_18inequality_wrapperI22is_equal_div_10_uniqueIyEEEPmJS6_EEE10hipError_tPvRmT3_T4_T5_T6_T7_T9_mT8_P12ihipStream_tbDpT10_ENKUlT_T0_E_clISt17integral_constantIbLb1EES19_IbLb0EEEEDaS15_S16_EUlS15_E_NS1_11comp_targetILNS1_3genE5ELNS1_11target_archE942ELNS1_3gpuE9ELNS1_3repE0EEENS1_30default_config_static_selectorELNS0_4arch9wavefront6targetE1EEEvT1_
	.globl	_ZN7rocprim17ROCPRIM_400000_NS6detail17trampoline_kernelINS0_14default_configENS1_25partition_config_selectorILNS1_17partition_subalgoE8EyNS0_10empty_typeEbEEZZNS1_14partition_implILS5_8ELb0ES3_jN6thrust23THRUST_200600_302600_NS6detail15normal_iteratorINSA_10device_ptrIyEEEEPS6_PKS6_NS0_5tupleIJSF_S6_EEENSJ_IJSG_SG_EEENS0_18inequality_wrapperI22is_equal_div_10_uniqueIyEEEPmJS6_EEE10hipError_tPvRmT3_T4_T5_T6_T7_T9_mT8_P12ihipStream_tbDpT10_ENKUlT_T0_E_clISt17integral_constantIbLb1EES19_IbLb0EEEEDaS15_S16_EUlS15_E_NS1_11comp_targetILNS1_3genE5ELNS1_11target_archE942ELNS1_3gpuE9ELNS1_3repE0EEENS1_30default_config_static_selectorELNS0_4arch9wavefront6targetE1EEEvT1_
	.p2align	8
	.type	_ZN7rocprim17ROCPRIM_400000_NS6detail17trampoline_kernelINS0_14default_configENS1_25partition_config_selectorILNS1_17partition_subalgoE8EyNS0_10empty_typeEbEEZZNS1_14partition_implILS5_8ELb0ES3_jN6thrust23THRUST_200600_302600_NS6detail15normal_iteratorINSA_10device_ptrIyEEEEPS6_PKS6_NS0_5tupleIJSF_S6_EEENSJ_IJSG_SG_EEENS0_18inequality_wrapperI22is_equal_div_10_uniqueIyEEEPmJS6_EEE10hipError_tPvRmT3_T4_T5_T6_T7_T9_mT8_P12ihipStream_tbDpT10_ENKUlT_T0_E_clISt17integral_constantIbLb1EES19_IbLb0EEEEDaS15_S16_EUlS15_E_NS1_11comp_targetILNS1_3genE5ELNS1_11target_archE942ELNS1_3gpuE9ELNS1_3repE0EEENS1_30default_config_static_selectorELNS0_4arch9wavefront6targetE1EEEvT1_,@function
_ZN7rocprim17ROCPRIM_400000_NS6detail17trampoline_kernelINS0_14default_configENS1_25partition_config_selectorILNS1_17partition_subalgoE8EyNS0_10empty_typeEbEEZZNS1_14partition_implILS5_8ELb0ES3_jN6thrust23THRUST_200600_302600_NS6detail15normal_iteratorINSA_10device_ptrIyEEEEPS6_PKS6_NS0_5tupleIJSF_S6_EEENSJ_IJSG_SG_EEENS0_18inequality_wrapperI22is_equal_div_10_uniqueIyEEEPmJS6_EEE10hipError_tPvRmT3_T4_T5_T6_T7_T9_mT8_P12ihipStream_tbDpT10_ENKUlT_T0_E_clISt17integral_constantIbLb1EES19_IbLb0EEEEDaS15_S16_EUlS15_E_NS1_11comp_targetILNS1_3genE5ELNS1_11target_archE942ELNS1_3gpuE9ELNS1_3repE0EEENS1_30default_config_static_selectorELNS0_4arch9wavefront6targetE1EEEvT1_: ; @_ZN7rocprim17ROCPRIM_400000_NS6detail17trampoline_kernelINS0_14default_configENS1_25partition_config_selectorILNS1_17partition_subalgoE8EyNS0_10empty_typeEbEEZZNS1_14partition_implILS5_8ELb0ES3_jN6thrust23THRUST_200600_302600_NS6detail15normal_iteratorINSA_10device_ptrIyEEEEPS6_PKS6_NS0_5tupleIJSF_S6_EEENSJ_IJSG_SG_EEENS0_18inequality_wrapperI22is_equal_div_10_uniqueIyEEEPmJS6_EEE10hipError_tPvRmT3_T4_T5_T6_T7_T9_mT8_P12ihipStream_tbDpT10_ENKUlT_T0_E_clISt17integral_constantIbLb1EES19_IbLb0EEEEDaS15_S16_EUlS15_E_NS1_11comp_targetILNS1_3genE5ELNS1_11target_archE942ELNS1_3gpuE9ELNS1_3repE0EEENS1_30default_config_static_selectorELNS0_4arch9wavefront6targetE1EEEvT1_
; %bb.0:
	.section	.rodata,"a",@progbits
	.p2align	6, 0x0
	.amdhsa_kernel _ZN7rocprim17ROCPRIM_400000_NS6detail17trampoline_kernelINS0_14default_configENS1_25partition_config_selectorILNS1_17partition_subalgoE8EyNS0_10empty_typeEbEEZZNS1_14partition_implILS5_8ELb0ES3_jN6thrust23THRUST_200600_302600_NS6detail15normal_iteratorINSA_10device_ptrIyEEEEPS6_PKS6_NS0_5tupleIJSF_S6_EEENSJ_IJSG_SG_EEENS0_18inequality_wrapperI22is_equal_div_10_uniqueIyEEEPmJS6_EEE10hipError_tPvRmT3_T4_T5_T6_T7_T9_mT8_P12ihipStream_tbDpT10_ENKUlT_T0_E_clISt17integral_constantIbLb1EES19_IbLb0EEEEDaS15_S16_EUlS15_E_NS1_11comp_targetILNS1_3genE5ELNS1_11target_archE942ELNS1_3gpuE9ELNS1_3repE0EEENS1_30default_config_static_selectorELNS0_4arch9wavefront6targetE1EEEvT1_
		.amdhsa_group_segment_fixed_size 0
		.amdhsa_private_segment_fixed_size 0
		.amdhsa_kernarg_size 112
		.amdhsa_user_sgpr_count 6
		.amdhsa_user_sgpr_private_segment_buffer 1
		.amdhsa_user_sgpr_dispatch_ptr 0
		.amdhsa_user_sgpr_queue_ptr 0
		.amdhsa_user_sgpr_kernarg_segment_ptr 1
		.amdhsa_user_sgpr_dispatch_id 0
		.amdhsa_user_sgpr_flat_scratch_init 0
		.amdhsa_user_sgpr_private_segment_size 0
		.amdhsa_uses_dynamic_stack 0
		.amdhsa_system_sgpr_private_segment_wavefront_offset 0
		.amdhsa_system_sgpr_workgroup_id_x 1
		.amdhsa_system_sgpr_workgroup_id_y 0
		.amdhsa_system_sgpr_workgroup_id_z 0
		.amdhsa_system_sgpr_workgroup_info 0
		.amdhsa_system_vgpr_workitem_id 0
		.amdhsa_next_free_vgpr 1
		.amdhsa_next_free_sgpr 0
		.amdhsa_reserve_vcc 0
		.amdhsa_reserve_flat_scratch 0
		.amdhsa_float_round_mode_32 0
		.amdhsa_float_round_mode_16_64 0
		.amdhsa_float_denorm_mode_32 3
		.amdhsa_float_denorm_mode_16_64 3
		.amdhsa_dx10_clamp 1
		.amdhsa_ieee_mode 1
		.amdhsa_fp16_overflow 0
		.amdhsa_exception_fp_ieee_invalid_op 0
		.amdhsa_exception_fp_denorm_src 0
		.amdhsa_exception_fp_ieee_div_zero 0
		.amdhsa_exception_fp_ieee_overflow 0
		.amdhsa_exception_fp_ieee_underflow 0
		.amdhsa_exception_fp_ieee_inexact 0
		.amdhsa_exception_int_div_zero 0
	.end_amdhsa_kernel
	.section	.text._ZN7rocprim17ROCPRIM_400000_NS6detail17trampoline_kernelINS0_14default_configENS1_25partition_config_selectorILNS1_17partition_subalgoE8EyNS0_10empty_typeEbEEZZNS1_14partition_implILS5_8ELb0ES3_jN6thrust23THRUST_200600_302600_NS6detail15normal_iteratorINSA_10device_ptrIyEEEEPS6_PKS6_NS0_5tupleIJSF_S6_EEENSJ_IJSG_SG_EEENS0_18inequality_wrapperI22is_equal_div_10_uniqueIyEEEPmJS6_EEE10hipError_tPvRmT3_T4_T5_T6_T7_T9_mT8_P12ihipStream_tbDpT10_ENKUlT_T0_E_clISt17integral_constantIbLb1EES19_IbLb0EEEEDaS15_S16_EUlS15_E_NS1_11comp_targetILNS1_3genE5ELNS1_11target_archE942ELNS1_3gpuE9ELNS1_3repE0EEENS1_30default_config_static_selectorELNS0_4arch9wavefront6targetE1EEEvT1_,"axG",@progbits,_ZN7rocprim17ROCPRIM_400000_NS6detail17trampoline_kernelINS0_14default_configENS1_25partition_config_selectorILNS1_17partition_subalgoE8EyNS0_10empty_typeEbEEZZNS1_14partition_implILS5_8ELb0ES3_jN6thrust23THRUST_200600_302600_NS6detail15normal_iteratorINSA_10device_ptrIyEEEEPS6_PKS6_NS0_5tupleIJSF_S6_EEENSJ_IJSG_SG_EEENS0_18inequality_wrapperI22is_equal_div_10_uniqueIyEEEPmJS6_EEE10hipError_tPvRmT3_T4_T5_T6_T7_T9_mT8_P12ihipStream_tbDpT10_ENKUlT_T0_E_clISt17integral_constantIbLb1EES19_IbLb0EEEEDaS15_S16_EUlS15_E_NS1_11comp_targetILNS1_3genE5ELNS1_11target_archE942ELNS1_3gpuE9ELNS1_3repE0EEENS1_30default_config_static_selectorELNS0_4arch9wavefront6targetE1EEEvT1_,comdat
.Lfunc_end194:
	.size	_ZN7rocprim17ROCPRIM_400000_NS6detail17trampoline_kernelINS0_14default_configENS1_25partition_config_selectorILNS1_17partition_subalgoE8EyNS0_10empty_typeEbEEZZNS1_14partition_implILS5_8ELb0ES3_jN6thrust23THRUST_200600_302600_NS6detail15normal_iteratorINSA_10device_ptrIyEEEEPS6_PKS6_NS0_5tupleIJSF_S6_EEENSJ_IJSG_SG_EEENS0_18inequality_wrapperI22is_equal_div_10_uniqueIyEEEPmJS6_EEE10hipError_tPvRmT3_T4_T5_T6_T7_T9_mT8_P12ihipStream_tbDpT10_ENKUlT_T0_E_clISt17integral_constantIbLb1EES19_IbLb0EEEEDaS15_S16_EUlS15_E_NS1_11comp_targetILNS1_3genE5ELNS1_11target_archE942ELNS1_3gpuE9ELNS1_3repE0EEENS1_30default_config_static_selectorELNS0_4arch9wavefront6targetE1EEEvT1_, .Lfunc_end194-_ZN7rocprim17ROCPRIM_400000_NS6detail17trampoline_kernelINS0_14default_configENS1_25partition_config_selectorILNS1_17partition_subalgoE8EyNS0_10empty_typeEbEEZZNS1_14partition_implILS5_8ELb0ES3_jN6thrust23THRUST_200600_302600_NS6detail15normal_iteratorINSA_10device_ptrIyEEEEPS6_PKS6_NS0_5tupleIJSF_S6_EEENSJ_IJSG_SG_EEENS0_18inequality_wrapperI22is_equal_div_10_uniqueIyEEEPmJS6_EEE10hipError_tPvRmT3_T4_T5_T6_T7_T9_mT8_P12ihipStream_tbDpT10_ENKUlT_T0_E_clISt17integral_constantIbLb1EES19_IbLb0EEEEDaS15_S16_EUlS15_E_NS1_11comp_targetILNS1_3genE5ELNS1_11target_archE942ELNS1_3gpuE9ELNS1_3repE0EEENS1_30default_config_static_selectorELNS0_4arch9wavefront6targetE1EEEvT1_
                                        ; -- End function
	.set _ZN7rocprim17ROCPRIM_400000_NS6detail17trampoline_kernelINS0_14default_configENS1_25partition_config_selectorILNS1_17partition_subalgoE8EyNS0_10empty_typeEbEEZZNS1_14partition_implILS5_8ELb0ES3_jN6thrust23THRUST_200600_302600_NS6detail15normal_iteratorINSA_10device_ptrIyEEEEPS6_PKS6_NS0_5tupleIJSF_S6_EEENSJ_IJSG_SG_EEENS0_18inequality_wrapperI22is_equal_div_10_uniqueIyEEEPmJS6_EEE10hipError_tPvRmT3_T4_T5_T6_T7_T9_mT8_P12ihipStream_tbDpT10_ENKUlT_T0_E_clISt17integral_constantIbLb1EES19_IbLb0EEEEDaS15_S16_EUlS15_E_NS1_11comp_targetILNS1_3genE5ELNS1_11target_archE942ELNS1_3gpuE9ELNS1_3repE0EEENS1_30default_config_static_selectorELNS0_4arch9wavefront6targetE1EEEvT1_.num_vgpr, 0
	.set _ZN7rocprim17ROCPRIM_400000_NS6detail17trampoline_kernelINS0_14default_configENS1_25partition_config_selectorILNS1_17partition_subalgoE8EyNS0_10empty_typeEbEEZZNS1_14partition_implILS5_8ELb0ES3_jN6thrust23THRUST_200600_302600_NS6detail15normal_iteratorINSA_10device_ptrIyEEEEPS6_PKS6_NS0_5tupleIJSF_S6_EEENSJ_IJSG_SG_EEENS0_18inequality_wrapperI22is_equal_div_10_uniqueIyEEEPmJS6_EEE10hipError_tPvRmT3_T4_T5_T6_T7_T9_mT8_P12ihipStream_tbDpT10_ENKUlT_T0_E_clISt17integral_constantIbLb1EES19_IbLb0EEEEDaS15_S16_EUlS15_E_NS1_11comp_targetILNS1_3genE5ELNS1_11target_archE942ELNS1_3gpuE9ELNS1_3repE0EEENS1_30default_config_static_selectorELNS0_4arch9wavefront6targetE1EEEvT1_.num_agpr, 0
	.set _ZN7rocprim17ROCPRIM_400000_NS6detail17trampoline_kernelINS0_14default_configENS1_25partition_config_selectorILNS1_17partition_subalgoE8EyNS0_10empty_typeEbEEZZNS1_14partition_implILS5_8ELb0ES3_jN6thrust23THRUST_200600_302600_NS6detail15normal_iteratorINSA_10device_ptrIyEEEEPS6_PKS6_NS0_5tupleIJSF_S6_EEENSJ_IJSG_SG_EEENS0_18inequality_wrapperI22is_equal_div_10_uniqueIyEEEPmJS6_EEE10hipError_tPvRmT3_T4_T5_T6_T7_T9_mT8_P12ihipStream_tbDpT10_ENKUlT_T0_E_clISt17integral_constantIbLb1EES19_IbLb0EEEEDaS15_S16_EUlS15_E_NS1_11comp_targetILNS1_3genE5ELNS1_11target_archE942ELNS1_3gpuE9ELNS1_3repE0EEENS1_30default_config_static_selectorELNS0_4arch9wavefront6targetE1EEEvT1_.numbered_sgpr, 0
	.set _ZN7rocprim17ROCPRIM_400000_NS6detail17trampoline_kernelINS0_14default_configENS1_25partition_config_selectorILNS1_17partition_subalgoE8EyNS0_10empty_typeEbEEZZNS1_14partition_implILS5_8ELb0ES3_jN6thrust23THRUST_200600_302600_NS6detail15normal_iteratorINSA_10device_ptrIyEEEEPS6_PKS6_NS0_5tupleIJSF_S6_EEENSJ_IJSG_SG_EEENS0_18inequality_wrapperI22is_equal_div_10_uniqueIyEEEPmJS6_EEE10hipError_tPvRmT3_T4_T5_T6_T7_T9_mT8_P12ihipStream_tbDpT10_ENKUlT_T0_E_clISt17integral_constantIbLb1EES19_IbLb0EEEEDaS15_S16_EUlS15_E_NS1_11comp_targetILNS1_3genE5ELNS1_11target_archE942ELNS1_3gpuE9ELNS1_3repE0EEENS1_30default_config_static_selectorELNS0_4arch9wavefront6targetE1EEEvT1_.num_named_barrier, 0
	.set _ZN7rocprim17ROCPRIM_400000_NS6detail17trampoline_kernelINS0_14default_configENS1_25partition_config_selectorILNS1_17partition_subalgoE8EyNS0_10empty_typeEbEEZZNS1_14partition_implILS5_8ELb0ES3_jN6thrust23THRUST_200600_302600_NS6detail15normal_iteratorINSA_10device_ptrIyEEEEPS6_PKS6_NS0_5tupleIJSF_S6_EEENSJ_IJSG_SG_EEENS0_18inequality_wrapperI22is_equal_div_10_uniqueIyEEEPmJS6_EEE10hipError_tPvRmT3_T4_T5_T6_T7_T9_mT8_P12ihipStream_tbDpT10_ENKUlT_T0_E_clISt17integral_constantIbLb1EES19_IbLb0EEEEDaS15_S16_EUlS15_E_NS1_11comp_targetILNS1_3genE5ELNS1_11target_archE942ELNS1_3gpuE9ELNS1_3repE0EEENS1_30default_config_static_selectorELNS0_4arch9wavefront6targetE1EEEvT1_.private_seg_size, 0
	.set _ZN7rocprim17ROCPRIM_400000_NS6detail17trampoline_kernelINS0_14default_configENS1_25partition_config_selectorILNS1_17partition_subalgoE8EyNS0_10empty_typeEbEEZZNS1_14partition_implILS5_8ELb0ES3_jN6thrust23THRUST_200600_302600_NS6detail15normal_iteratorINSA_10device_ptrIyEEEEPS6_PKS6_NS0_5tupleIJSF_S6_EEENSJ_IJSG_SG_EEENS0_18inequality_wrapperI22is_equal_div_10_uniqueIyEEEPmJS6_EEE10hipError_tPvRmT3_T4_T5_T6_T7_T9_mT8_P12ihipStream_tbDpT10_ENKUlT_T0_E_clISt17integral_constantIbLb1EES19_IbLb0EEEEDaS15_S16_EUlS15_E_NS1_11comp_targetILNS1_3genE5ELNS1_11target_archE942ELNS1_3gpuE9ELNS1_3repE0EEENS1_30default_config_static_selectorELNS0_4arch9wavefront6targetE1EEEvT1_.uses_vcc, 0
	.set _ZN7rocprim17ROCPRIM_400000_NS6detail17trampoline_kernelINS0_14default_configENS1_25partition_config_selectorILNS1_17partition_subalgoE8EyNS0_10empty_typeEbEEZZNS1_14partition_implILS5_8ELb0ES3_jN6thrust23THRUST_200600_302600_NS6detail15normal_iteratorINSA_10device_ptrIyEEEEPS6_PKS6_NS0_5tupleIJSF_S6_EEENSJ_IJSG_SG_EEENS0_18inequality_wrapperI22is_equal_div_10_uniqueIyEEEPmJS6_EEE10hipError_tPvRmT3_T4_T5_T6_T7_T9_mT8_P12ihipStream_tbDpT10_ENKUlT_T0_E_clISt17integral_constantIbLb1EES19_IbLb0EEEEDaS15_S16_EUlS15_E_NS1_11comp_targetILNS1_3genE5ELNS1_11target_archE942ELNS1_3gpuE9ELNS1_3repE0EEENS1_30default_config_static_selectorELNS0_4arch9wavefront6targetE1EEEvT1_.uses_flat_scratch, 0
	.set _ZN7rocprim17ROCPRIM_400000_NS6detail17trampoline_kernelINS0_14default_configENS1_25partition_config_selectorILNS1_17partition_subalgoE8EyNS0_10empty_typeEbEEZZNS1_14partition_implILS5_8ELb0ES3_jN6thrust23THRUST_200600_302600_NS6detail15normal_iteratorINSA_10device_ptrIyEEEEPS6_PKS6_NS0_5tupleIJSF_S6_EEENSJ_IJSG_SG_EEENS0_18inequality_wrapperI22is_equal_div_10_uniqueIyEEEPmJS6_EEE10hipError_tPvRmT3_T4_T5_T6_T7_T9_mT8_P12ihipStream_tbDpT10_ENKUlT_T0_E_clISt17integral_constantIbLb1EES19_IbLb0EEEEDaS15_S16_EUlS15_E_NS1_11comp_targetILNS1_3genE5ELNS1_11target_archE942ELNS1_3gpuE9ELNS1_3repE0EEENS1_30default_config_static_selectorELNS0_4arch9wavefront6targetE1EEEvT1_.has_dyn_sized_stack, 0
	.set _ZN7rocprim17ROCPRIM_400000_NS6detail17trampoline_kernelINS0_14default_configENS1_25partition_config_selectorILNS1_17partition_subalgoE8EyNS0_10empty_typeEbEEZZNS1_14partition_implILS5_8ELb0ES3_jN6thrust23THRUST_200600_302600_NS6detail15normal_iteratorINSA_10device_ptrIyEEEEPS6_PKS6_NS0_5tupleIJSF_S6_EEENSJ_IJSG_SG_EEENS0_18inequality_wrapperI22is_equal_div_10_uniqueIyEEEPmJS6_EEE10hipError_tPvRmT3_T4_T5_T6_T7_T9_mT8_P12ihipStream_tbDpT10_ENKUlT_T0_E_clISt17integral_constantIbLb1EES19_IbLb0EEEEDaS15_S16_EUlS15_E_NS1_11comp_targetILNS1_3genE5ELNS1_11target_archE942ELNS1_3gpuE9ELNS1_3repE0EEENS1_30default_config_static_selectorELNS0_4arch9wavefront6targetE1EEEvT1_.has_recursion, 0
	.set _ZN7rocprim17ROCPRIM_400000_NS6detail17trampoline_kernelINS0_14default_configENS1_25partition_config_selectorILNS1_17partition_subalgoE8EyNS0_10empty_typeEbEEZZNS1_14partition_implILS5_8ELb0ES3_jN6thrust23THRUST_200600_302600_NS6detail15normal_iteratorINSA_10device_ptrIyEEEEPS6_PKS6_NS0_5tupleIJSF_S6_EEENSJ_IJSG_SG_EEENS0_18inequality_wrapperI22is_equal_div_10_uniqueIyEEEPmJS6_EEE10hipError_tPvRmT3_T4_T5_T6_T7_T9_mT8_P12ihipStream_tbDpT10_ENKUlT_T0_E_clISt17integral_constantIbLb1EES19_IbLb0EEEEDaS15_S16_EUlS15_E_NS1_11comp_targetILNS1_3genE5ELNS1_11target_archE942ELNS1_3gpuE9ELNS1_3repE0EEENS1_30default_config_static_selectorELNS0_4arch9wavefront6targetE1EEEvT1_.has_indirect_call, 0
	.section	.AMDGPU.csdata,"",@progbits
; Kernel info:
; codeLenInByte = 0
; TotalNumSgprs: 4
; NumVgprs: 0
; ScratchSize: 0
; MemoryBound: 0
; FloatMode: 240
; IeeeMode: 1
; LDSByteSize: 0 bytes/workgroup (compile time only)
; SGPRBlocks: 0
; VGPRBlocks: 0
; NumSGPRsForWavesPerEU: 4
; NumVGPRsForWavesPerEU: 1
; Occupancy: 10
; WaveLimiterHint : 0
; COMPUTE_PGM_RSRC2:SCRATCH_EN: 0
; COMPUTE_PGM_RSRC2:USER_SGPR: 6
; COMPUTE_PGM_RSRC2:TRAP_HANDLER: 0
; COMPUTE_PGM_RSRC2:TGID_X_EN: 1
; COMPUTE_PGM_RSRC2:TGID_Y_EN: 0
; COMPUTE_PGM_RSRC2:TGID_Z_EN: 0
; COMPUTE_PGM_RSRC2:TIDIG_COMP_CNT: 0
	.section	.text._ZN7rocprim17ROCPRIM_400000_NS6detail17trampoline_kernelINS0_14default_configENS1_25partition_config_selectorILNS1_17partition_subalgoE8EyNS0_10empty_typeEbEEZZNS1_14partition_implILS5_8ELb0ES3_jN6thrust23THRUST_200600_302600_NS6detail15normal_iteratorINSA_10device_ptrIyEEEEPS6_PKS6_NS0_5tupleIJSF_S6_EEENSJ_IJSG_SG_EEENS0_18inequality_wrapperI22is_equal_div_10_uniqueIyEEEPmJS6_EEE10hipError_tPvRmT3_T4_T5_T6_T7_T9_mT8_P12ihipStream_tbDpT10_ENKUlT_T0_E_clISt17integral_constantIbLb1EES19_IbLb0EEEEDaS15_S16_EUlS15_E_NS1_11comp_targetILNS1_3genE4ELNS1_11target_archE910ELNS1_3gpuE8ELNS1_3repE0EEENS1_30default_config_static_selectorELNS0_4arch9wavefront6targetE1EEEvT1_,"axG",@progbits,_ZN7rocprim17ROCPRIM_400000_NS6detail17trampoline_kernelINS0_14default_configENS1_25partition_config_selectorILNS1_17partition_subalgoE8EyNS0_10empty_typeEbEEZZNS1_14partition_implILS5_8ELb0ES3_jN6thrust23THRUST_200600_302600_NS6detail15normal_iteratorINSA_10device_ptrIyEEEEPS6_PKS6_NS0_5tupleIJSF_S6_EEENSJ_IJSG_SG_EEENS0_18inequality_wrapperI22is_equal_div_10_uniqueIyEEEPmJS6_EEE10hipError_tPvRmT3_T4_T5_T6_T7_T9_mT8_P12ihipStream_tbDpT10_ENKUlT_T0_E_clISt17integral_constantIbLb1EES19_IbLb0EEEEDaS15_S16_EUlS15_E_NS1_11comp_targetILNS1_3genE4ELNS1_11target_archE910ELNS1_3gpuE8ELNS1_3repE0EEENS1_30default_config_static_selectorELNS0_4arch9wavefront6targetE1EEEvT1_,comdat
	.protected	_ZN7rocprim17ROCPRIM_400000_NS6detail17trampoline_kernelINS0_14default_configENS1_25partition_config_selectorILNS1_17partition_subalgoE8EyNS0_10empty_typeEbEEZZNS1_14partition_implILS5_8ELb0ES3_jN6thrust23THRUST_200600_302600_NS6detail15normal_iteratorINSA_10device_ptrIyEEEEPS6_PKS6_NS0_5tupleIJSF_S6_EEENSJ_IJSG_SG_EEENS0_18inequality_wrapperI22is_equal_div_10_uniqueIyEEEPmJS6_EEE10hipError_tPvRmT3_T4_T5_T6_T7_T9_mT8_P12ihipStream_tbDpT10_ENKUlT_T0_E_clISt17integral_constantIbLb1EES19_IbLb0EEEEDaS15_S16_EUlS15_E_NS1_11comp_targetILNS1_3genE4ELNS1_11target_archE910ELNS1_3gpuE8ELNS1_3repE0EEENS1_30default_config_static_selectorELNS0_4arch9wavefront6targetE1EEEvT1_ ; -- Begin function _ZN7rocprim17ROCPRIM_400000_NS6detail17trampoline_kernelINS0_14default_configENS1_25partition_config_selectorILNS1_17partition_subalgoE8EyNS0_10empty_typeEbEEZZNS1_14partition_implILS5_8ELb0ES3_jN6thrust23THRUST_200600_302600_NS6detail15normal_iteratorINSA_10device_ptrIyEEEEPS6_PKS6_NS0_5tupleIJSF_S6_EEENSJ_IJSG_SG_EEENS0_18inequality_wrapperI22is_equal_div_10_uniqueIyEEEPmJS6_EEE10hipError_tPvRmT3_T4_T5_T6_T7_T9_mT8_P12ihipStream_tbDpT10_ENKUlT_T0_E_clISt17integral_constantIbLb1EES19_IbLb0EEEEDaS15_S16_EUlS15_E_NS1_11comp_targetILNS1_3genE4ELNS1_11target_archE910ELNS1_3gpuE8ELNS1_3repE0EEENS1_30default_config_static_selectorELNS0_4arch9wavefront6targetE1EEEvT1_
	.globl	_ZN7rocprim17ROCPRIM_400000_NS6detail17trampoline_kernelINS0_14default_configENS1_25partition_config_selectorILNS1_17partition_subalgoE8EyNS0_10empty_typeEbEEZZNS1_14partition_implILS5_8ELb0ES3_jN6thrust23THRUST_200600_302600_NS6detail15normal_iteratorINSA_10device_ptrIyEEEEPS6_PKS6_NS0_5tupleIJSF_S6_EEENSJ_IJSG_SG_EEENS0_18inequality_wrapperI22is_equal_div_10_uniqueIyEEEPmJS6_EEE10hipError_tPvRmT3_T4_T5_T6_T7_T9_mT8_P12ihipStream_tbDpT10_ENKUlT_T0_E_clISt17integral_constantIbLb1EES19_IbLb0EEEEDaS15_S16_EUlS15_E_NS1_11comp_targetILNS1_3genE4ELNS1_11target_archE910ELNS1_3gpuE8ELNS1_3repE0EEENS1_30default_config_static_selectorELNS0_4arch9wavefront6targetE1EEEvT1_
	.p2align	8
	.type	_ZN7rocprim17ROCPRIM_400000_NS6detail17trampoline_kernelINS0_14default_configENS1_25partition_config_selectorILNS1_17partition_subalgoE8EyNS0_10empty_typeEbEEZZNS1_14partition_implILS5_8ELb0ES3_jN6thrust23THRUST_200600_302600_NS6detail15normal_iteratorINSA_10device_ptrIyEEEEPS6_PKS6_NS0_5tupleIJSF_S6_EEENSJ_IJSG_SG_EEENS0_18inequality_wrapperI22is_equal_div_10_uniqueIyEEEPmJS6_EEE10hipError_tPvRmT3_T4_T5_T6_T7_T9_mT8_P12ihipStream_tbDpT10_ENKUlT_T0_E_clISt17integral_constantIbLb1EES19_IbLb0EEEEDaS15_S16_EUlS15_E_NS1_11comp_targetILNS1_3genE4ELNS1_11target_archE910ELNS1_3gpuE8ELNS1_3repE0EEENS1_30default_config_static_selectorELNS0_4arch9wavefront6targetE1EEEvT1_,@function
_ZN7rocprim17ROCPRIM_400000_NS6detail17trampoline_kernelINS0_14default_configENS1_25partition_config_selectorILNS1_17partition_subalgoE8EyNS0_10empty_typeEbEEZZNS1_14partition_implILS5_8ELb0ES3_jN6thrust23THRUST_200600_302600_NS6detail15normal_iteratorINSA_10device_ptrIyEEEEPS6_PKS6_NS0_5tupleIJSF_S6_EEENSJ_IJSG_SG_EEENS0_18inequality_wrapperI22is_equal_div_10_uniqueIyEEEPmJS6_EEE10hipError_tPvRmT3_T4_T5_T6_T7_T9_mT8_P12ihipStream_tbDpT10_ENKUlT_T0_E_clISt17integral_constantIbLb1EES19_IbLb0EEEEDaS15_S16_EUlS15_E_NS1_11comp_targetILNS1_3genE4ELNS1_11target_archE910ELNS1_3gpuE8ELNS1_3repE0EEENS1_30default_config_static_selectorELNS0_4arch9wavefront6targetE1EEEvT1_: ; @_ZN7rocprim17ROCPRIM_400000_NS6detail17trampoline_kernelINS0_14default_configENS1_25partition_config_selectorILNS1_17partition_subalgoE8EyNS0_10empty_typeEbEEZZNS1_14partition_implILS5_8ELb0ES3_jN6thrust23THRUST_200600_302600_NS6detail15normal_iteratorINSA_10device_ptrIyEEEEPS6_PKS6_NS0_5tupleIJSF_S6_EEENSJ_IJSG_SG_EEENS0_18inequality_wrapperI22is_equal_div_10_uniqueIyEEEPmJS6_EEE10hipError_tPvRmT3_T4_T5_T6_T7_T9_mT8_P12ihipStream_tbDpT10_ENKUlT_T0_E_clISt17integral_constantIbLb1EES19_IbLb0EEEEDaS15_S16_EUlS15_E_NS1_11comp_targetILNS1_3genE4ELNS1_11target_archE910ELNS1_3gpuE8ELNS1_3repE0EEENS1_30default_config_static_selectorELNS0_4arch9wavefront6targetE1EEEvT1_
; %bb.0:
	.section	.rodata,"a",@progbits
	.p2align	6, 0x0
	.amdhsa_kernel _ZN7rocprim17ROCPRIM_400000_NS6detail17trampoline_kernelINS0_14default_configENS1_25partition_config_selectorILNS1_17partition_subalgoE8EyNS0_10empty_typeEbEEZZNS1_14partition_implILS5_8ELb0ES3_jN6thrust23THRUST_200600_302600_NS6detail15normal_iteratorINSA_10device_ptrIyEEEEPS6_PKS6_NS0_5tupleIJSF_S6_EEENSJ_IJSG_SG_EEENS0_18inequality_wrapperI22is_equal_div_10_uniqueIyEEEPmJS6_EEE10hipError_tPvRmT3_T4_T5_T6_T7_T9_mT8_P12ihipStream_tbDpT10_ENKUlT_T0_E_clISt17integral_constantIbLb1EES19_IbLb0EEEEDaS15_S16_EUlS15_E_NS1_11comp_targetILNS1_3genE4ELNS1_11target_archE910ELNS1_3gpuE8ELNS1_3repE0EEENS1_30default_config_static_selectorELNS0_4arch9wavefront6targetE1EEEvT1_
		.amdhsa_group_segment_fixed_size 0
		.amdhsa_private_segment_fixed_size 0
		.amdhsa_kernarg_size 112
		.amdhsa_user_sgpr_count 6
		.amdhsa_user_sgpr_private_segment_buffer 1
		.amdhsa_user_sgpr_dispatch_ptr 0
		.amdhsa_user_sgpr_queue_ptr 0
		.amdhsa_user_sgpr_kernarg_segment_ptr 1
		.amdhsa_user_sgpr_dispatch_id 0
		.amdhsa_user_sgpr_flat_scratch_init 0
		.amdhsa_user_sgpr_private_segment_size 0
		.amdhsa_uses_dynamic_stack 0
		.amdhsa_system_sgpr_private_segment_wavefront_offset 0
		.amdhsa_system_sgpr_workgroup_id_x 1
		.amdhsa_system_sgpr_workgroup_id_y 0
		.amdhsa_system_sgpr_workgroup_id_z 0
		.amdhsa_system_sgpr_workgroup_info 0
		.amdhsa_system_vgpr_workitem_id 0
		.amdhsa_next_free_vgpr 1
		.amdhsa_next_free_sgpr 0
		.amdhsa_reserve_vcc 0
		.amdhsa_reserve_flat_scratch 0
		.amdhsa_float_round_mode_32 0
		.amdhsa_float_round_mode_16_64 0
		.amdhsa_float_denorm_mode_32 3
		.amdhsa_float_denorm_mode_16_64 3
		.amdhsa_dx10_clamp 1
		.amdhsa_ieee_mode 1
		.amdhsa_fp16_overflow 0
		.amdhsa_exception_fp_ieee_invalid_op 0
		.amdhsa_exception_fp_denorm_src 0
		.amdhsa_exception_fp_ieee_div_zero 0
		.amdhsa_exception_fp_ieee_overflow 0
		.amdhsa_exception_fp_ieee_underflow 0
		.amdhsa_exception_fp_ieee_inexact 0
		.amdhsa_exception_int_div_zero 0
	.end_amdhsa_kernel
	.section	.text._ZN7rocprim17ROCPRIM_400000_NS6detail17trampoline_kernelINS0_14default_configENS1_25partition_config_selectorILNS1_17partition_subalgoE8EyNS0_10empty_typeEbEEZZNS1_14partition_implILS5_8ELb0ES3_jN6thrust23THRUST_200600_302600_NS6detail15normal_iteratorINSA_10device_ptrIyEEEEPS6_PKS6_NS0_5tupleIJSF_S6_EEENSJ_IJSG_SG_EEENS0_18inequality_wrapperI22is_equal_div_10_uniqueIyEEEPmJS6_EEE10hipError_tPvRmT3_T4_T5_T6_T7_T9_mT8_P12ihipStream_tbDpT10_ENKUlT_T0_E_clISt17integral_constantIbLb1EES19_IbLb0EEEEDaS15_S16_EUlS15_E_NS1_11comp_targetILNS1_3genE4ELNS1_11target_archE910ELNS1_3gpuE8ELNS1_3repE0EEENS1_30default_config_static_selectorELNS0_4arch9wavefront6targetE1EEEvT1_,"axG",@progbits,_ZN7rocprim17ROCPRIM_400000_NS6detail17trampoline_kernelINS0_14default_configENS1_25partition_config_selectorILNS1_17partition_subalgoE8EyNS0_10empty_typeEbEEZZNS1_14partition_implILS5_8ELb0ES3_jN6thrust23THRUST_200600_302600_NS6detail15normal_iteratorINSA_10device_ptrIyEEEEPS6_PKS6_NS0_5tupleIJSF_S6_EEENSJ_IJSG_SG_EEENS0_18inequality_wrapperI22is_equal_div_10_uniqueIyEEEPmJS6_EEE10hipError_tPvRmT3_T4_T5_T6_T7_T9_mT8_P12ihipStream_tbDpT10_ENKUlT_T0_E_clISt17integral_constantIbLb1EES19_IbLb0EEEEDaS15_S16_EUlS15_E_NS1_11comp_targetILNS1_3genE4ELNS1_11target_archE910ELNS1_3gpuE8ELNS1_3repE0EEENS1_30default_config_static_selectorELNS0_4arch9wavefront6targetE1EEEvT1_,comdat
.Lfunc_end195:
	.size	_ZN7rocprim17ROCPRIM_400000_NS6detail17trampoline_kernelINS0_14default_configENS1_25partition_config_selectorILNS1_17partition_subalgoE8EyNS0_10empty_typeEbEEZZNS1_14partition_implILS5_8ELb0ES3_jN6thrust23THRUST_200600_302600_NS6detail15normal_iteratorINSA_10device_ptrIyEEEEPS6_PKS6_NS0_5tupleIJSF_S6_EEENSJ_IJSG_SG_EEENS0_18inequality_wrapperI22is_equal_div_10_uniqueIyEEEPmJS6_EEE10hipError_tPvRmT3_T4_T5_T6_T7_T9_mT8_P12ihipStream_tbDpT10_ENKUlT_T0_E_clISt17integral_constantIbLb1EES19_IbLb0EEEEDaS15_S16_EUlS15_E_NS1_11comp_targetILNS1_3genE4ELNS1_11target_archE910ELNS1_3gpuE8ELNS1_3repE0EEENS1_30default_config_static_selectorELNS0_4arch9wavefront6targetE1EEEvT1_, .Lfunc_end195-_ZN7rocprim17ROCPRIM_400000_NS6detail17trampoline_kernelINS0_14default_configENS1_25partition_config_selectorILNS1_17partition_subalgoE8EyNS0_10empty_typeEbEEZZNS1_14partition_implILS5_8ELb0ES3_jN6thrust23THRUST_200600_302600_NS6detail15normal_iteratorINSA_10device_ptrIyEEEEPS6_PKS6_NS0_5tupleIJSF_S6_EEENSJ_IJSG_SG_EEENS0_18inequality_wrapperI22is_equal_div_10_uniqueIyEEEPmJS6_EEE10hipError_tPvRmT3_T4_T5_T6_T7_T9_mT8_P12ihipStream_tbDpT10_ENKUlT_T0_E_clISt17integral_constantIbLb1EES19_IbLb0EEEEDaS15_S16_EUlS15_E_NS1_11comp_targetILNS1_3genE4ELNS1_11target_archE910ELNS1_3gpuE8ELNS1_3repE0EEENS1_30default_config_static_selectorELNS0_4arch9wavefront6targetE1EEEvT1_
                                        ; -- End function
	.set _ZN7rocprim17ROCPRIM_400000_NS6detail17trampoline_kernelINS0_14default_configENS1_25partition_config_selectorILNS1_17partition_subalgoE8EyNS0_10empty_typeEbEEZZNS1_14partition_implILS5_8ELb0ES3_jN6thrust23THRUST_200600_302600_NS6detail15normal_iteratorINSA_10device_ptrIyEEEEPS6_PKS6_NS0_5tupleIJSF_S6_EEENSJ_IJSG_SG_EEENS0_18inequality_wrapperI22is_equal_div_10_uniqueIyEEEPmJS6_EEE10hipError_tPvRmT3_T4_T5_T6_T7_T9_mT8_P12ihipStream_tbDpT10_ENKUlT_T0_E_clISt17integral_constantIbLb1EES19_IbLb0EEEEDaS15_S16_EUlS15_E_NS1_11comp_targetILNS1_3genE4ELNS1_11target_archE910ELNS1_3gpuE8ELNS1_3repE0EEENS1_30default_config_static_selectorELNS0_4arch9wavefront6targetE1EEEvT1_.num_vgpr, 0
	.set _ZN7rocprim17ROCPRIM_400000_NS6detail17trampoline_kernelINS0_14default_configENS1_25partition_config_selectorILNS1_17partition_subalgoE8EyNS0_10empty_typeEbEEZZNS1_14partition_implILS5_8ELb0ES3_jN6thrust23THRUST_200600_302600_NS6detail15normal_iteratorINSA_10device_ptrIyEEEEPS6_PKS6_NS0_5tupleIJSF_S6_EEENSJ_IJSG_SG_EEENS0_18inequality_wrapperI22is_equal_div_10_uniqueIyEEEPmJS6_EEE10hipError_tPvRmT3_T4_T5_T6_T7_T9_mT8_P12ihipStream_tbDpT10_ENKUlT_T0_E_clISt17integral_constantIbLb1EES19_IbLb0EEEEDaS15_S16_EUlS15_E_NS1_11comp_targetILNS1_3genE4ELNS1_11target_archE910ELNS1_3gpuE8ELNS1_3repE0EEENS1_30default_config_static_selectorELNS0_4arch9wavefront6targetE1EEEvT1_.num_agpr, 0
	.set _ZN7rocprim17ROCPRIM_400000_NS6detail17trampoline_kernelINS0_14default_configENS1_25partition_config_selectorILNS1_17partition_subalgoE8EyNS0_10empty_typeEbEEZZNS1_14partition_implILS5_8ELb0ES3_jN6thrust23THRUST_200600_302600_NS6detail15normal_iteratorINSA_10device_ptrIyEEEEPS6_PKS6_NS0_5tupleIJSF_S6_EEENSJ_IJSG_SG_EEENS0_18inequality_wrapperI22is_equal_div_10_uniqueIyEEEPmJS6_EEE10hipError_tPvRmT3_T4_T5_T6_T7_T9_mT8_P12ihipStream_tbDpT10_ENKUlT_T0_E_clISt17integral_constantIbLb1EES19_IbLb0EEEEDaS15_S16_EUlS15_E_NS1_11comp_targetILNS1_3genE4ELNS1_11target_archE910ELNS1_3gpuE8ELNS1_3repE0EEENS1_30default_config_static_selectorELNS0_4arch9wavefront6targetE1EEEvT1_.numbered_sgpr, 0
	.set _ZN7rocprim17ROCPRIM_400000_NS6detail17trampoline_kernelINS0_14default_configENS1_25partition_config_selectorILNS1_17partition_subalgoE8EyNS0_10empty_typeEbEEZZNS1_14partition_implILS5_8ELb0ES3_jN6thrust23THRUST_200600_302600_NS6detail15normal_iteratorINSA_10device_ptrIyEEEEPS6_PKS6_NS0_5tupleIJSF_S6_EEENSJ_IJSG_SG_EEENS0_18inequality_wrapperI22is_equal_div_10_uniqueIyEEEPmJS6_EEE10hipError_tPvRmT3_T4_T5_T6_T7_T9_mT8_P12ihipStream_tbDpT10_ENKUlT_T0_E_clISt17integral_constantIbLb1EES19_IbLb0EEEEDaS15_S16_EUlS15_E_NS1_11comp_targetILNS1_3genE4ELNS1_11target_archE910ELNS1_3gpuE8ELNS1_3repE0EEENS1_30default_config_static_selectorELNS0_4arch9wavefront6targetE1EEEvT1_.num_named_barrier, 0
	.set _ZN7rocprim17ROCPRIM_400000_NS6detail17trampoline_kernelINS0_14default_configENS1_25partition_config_selectorILNS1_17partition_subalgoE8EyNS0_10empty_typeEbEEZZNS1_14partition_implILS5_8ELb0ES3_jN6thrust23THRUST_200600_302600_NS6detail15normal_iteratorINSA_10device_ptrIyEEEEPS6_PKS6_NS0_5tupleIJSF_S6_EEENSJ_IJSG_SG_EEENS0_18inequality_wrapperI22is_equal_div_10_uniqueIyEEEPmJS6_EEE10hipError_tPvRmT3_T4_T5_T6_T7_T9_mT8_P12ihipStream_tbDpT10_ENKUlT_T0_E_clISt17integral_constantIbLb1EES19_IbLb0EEEEDaS15_S16_EUlS15_E_NS1_11comp_targetILNS1_3genE4ELNS1_11target_archE910ELNS1_3gpuE8ELNS1_3repE0EEENS1_30default_config_static_selectorELNS0_4arch9wavefront6targetE1EEEvT1_.private_seg_size, 0
	.set _ZN7rocprim17ROCPRIM_400000_NS6detail17trampoline_kernelINS0_14default_configENS1_25partition_config_selectorILNS1_17partition_subalgoE8EyNS0_10empty_typeEbEEZZNS1_14partition_implILS5_8ELb0ES3_jN6thrust23THRUST_200600_302600_NS6detail15normal_iteratorINSA_10device_ptrIyEEEEPS6_PKS6_NS0_5tupleIJSF_S6_EEENSJ_IJSG_SG_EEENS0_18inequality_wrapperI22is_equal_div_10_uniqueIyEEEPmJS6_EEE10hipError_tPvRmT3_T4_T5_T6_T7_T9_mT8_P12ihipStream_tbDpT10_ENKUlT_T0_E_clISt17integral_constantIbLb1EES19_IbLb0EEEEDaS15_S16_EUlS15_E_NS1_11comp_targetILNS1_3genE4ELNS1_11target_archE910ELNS1_3gpuE8ELNS1_3repE0EEENS1_30default_config_static_selectorELNS0_4arch9wavefront6targetE1EEEvT1_.uses_vcc, 0
	.set _ZN7rocprim17ROCPRIM_400000_NS6detail17trampoline_kernelINS0_14default_configENS1_25partition_config_selectorILNS1_17partition_subalgoE8EyNS0_10empty_typeEbEEZZNS1_14partition_implILS5_8ELb0ES3_jN6thrust23THRUST_200600_302600_NS6detail15normal_iteratorINSA_10device_ptrIyEEEEPS6_PKS6_NS0_5tupleIJSF_S6_EEENSJ_IJSG_SG_EEENS0_18inequality_wrapperI22is_equal_div_10_uniqueIyEEEPmJS6_EEE10hipError_tPvRmT3_T4_T5_T6_T7_T9_mT8_P12ihipStream_tbDpT10_ENKUlT_T0_E_clISt17integral_constantIbLb1EES19_IbLb0EEEEDaS15_S16_EUlS15_E_NS1_11comp_targetILNS1_3genE4ELNS1_11target_archE910ELNS1_3gpuE8ELNS1_3repE0EEENS1_30default_config_static_selectorELNS0_4arch9wavefront6targetE1EEEvT1_.uses_flat_scratch, 0
	.set _ZN7rocprim17ROCPRIM_400000_NS6detail17trampoline_kernelINS0_14default_configENS1_25partition_config_selectorILNS1_17partition_subalgoE8EyNS0_10empty_typeEbEEZZNS1_14partition_implILS5_8ELb0ES3_jN6thrust23THRUST_200600_302600_NS6detail15normal_iteratorINSA_10device_ptrIyEEEEPS6_PKS6_NS0_5tupleIJSF_S6_EEENSJ_IJSG_SG_EEENS0_18inequality_wrapperI22is_equal_div_10_uniqueIyEEEPmJS6_EEE10hipError_tPvRmT3_T4_T5_T6_T7_T9_mT8_P12ihipStream_tbDpT10_ENKUlT_T0_E_clISt17integral_constantIbLb1EES19_IbLb0EEEEDaS15_S16_EUlS15_E_NS1_11comp_targetILNS1_3genE4ELNS1_11target_archE910ELNS1_3gpuE8ELNS1_3repE0EEENS1_30default_config_static_selectorELNS0_4arch9wavefront6targetE1EEEvT1_.has_dyn_sized_stack, 0
	.set _ZN7rocprim17ROCPRIM_400000_NS6detail17trampoline_kernelINS0_14default_configENS1_25partition_config_selectorILNS1_17partition_subalgoE8EyNS0_10empty_typeEbEEZZNS1_14partition_implILS5_8ELb0ES3_jN6thrust23THRUST_200600_302600_NS6detail15normal_iteratorINSA_10device_ptrIyEEEEPS6_PKS6_NS0_5tupleIJSF_S6_EEENSJ_IJSG_SG_EEENS0_18inequality_wrapperI22is_equal_div_10_uniqueIyEEEPmJS6_EEE10hipError_tPvRmT3_T4_T5_T6_T7_T9_mT8_P12ihipStream_tbDpT10_ENKUlT_T0_E_clISt17integral_constantIbLb1EES19_IbLb0EEEEDaS15_S16_EUlS15_E_NS1_11comp_targetILNS1_3genE4ELNS1_11target_archE910ELNS1_3gpuE8ELNS1_3repE0EEENS1_30default_config_static_selectorELNS0_4arch9wavefront6targetE1EEEvT1_.has_recursion, 0
	.set _ZN7rocprim17ROCPRIM_400000_NS6detail17trampoline_kernelINS0_14default_configENS1_25partition_config_selectorILNS1_17partition_subalgoE8EyNS0_10empty_typeEbEEZZNS1_14partition_implILS5_8ELb0ES3_jN6thrust23THRUST_200600_302600_NS6detail15normal_iteratorINSA_10device_ptrIyEEEEPS6_PKS6_NS0_5tupleIJSF_S6_EEENSJ_IJSG_SG_EEENS0_18inequality_wrapperI22is_equal_div_10_uniqueIyEEEPmJS6_EEE10hipError_tPvRmT3_T4_T5_T6_T7_T9_mT8_P12ihipStream_tbDpT10_ENKUlT_T0_E_clISt17integral_constantIbLb1EES19_IbLb0EEEEDaS15_S16_EUlS15_E_NS1_11comp_targetILNS1_3genE4ELNS1_11target_archE910ELNS1_3gpuE8ELNS1_3repE0EEENS1_30default_config_static_selectorELNS0_4arch9wavefront6targetE1EEEvT1_.has_indirect_call, 0
	.section	.AMDGPU.csdata,"",@progbits
; Kernel info:
; codeLenInByte = 0
; TotalNumSgprs: 4
; NumVgprs: 0
; ScratchSize: 0
; MemoryBound: 0
; FloatMode: 240
; IeeeMode: 1
; LDSByteSize: 0 bytes/workgroup (compile time only)
; SGPRBlocks: 0
; VGPRBlocks: 0
; NumSGPRsForWavesPerEU: 4
; NumVGPRsForWavesPerEU: 1
; Occupancy: 10
; WaveLimiterHint : 0
; COMPUTE_PGM_RSRC2:SCRATCH_EN: 0
; COMPUTE_PGM_RSRC2:USER_SGPR: 6
; COMPUTE_PGM_RSRC2:TRAP_HANDLER: 0
; COMPUTE_PGM_RSRC2:TGID_X_EN: 1
; COMPUTE_PGM_RSRC2:TGID_Y_EN: 0
; COMPUTE_PGM_RSRC2:TGID_Z_EN: 0
; COMPUTE_PGM_RSRC2:TIDIG_COMP_CNT: 0
	.section	.text._ZN7rocprim17ROCPRIM_400000_NS6detail17trampoline_kernelINS0_14default_configENS1_25partition_config_selectorILNS1_17partition_subalgoE8EyNS0_10empty_typeEbEEZZNS1_14partition_implILS5_8ELb0ES3_jN6thrust23THRUST_200600_302600_NS6detail15normal_iteratorINSA_10device_ptrIyEEEEPS6_PKS6_NS0_5tupleIJSF_S6_EEENSJ_IJSG_SG_EEENS0_18inequality_wrapperI22is_equal_div_10_uniqueIyEEEPmJS6_EEE10hipError_tPvRmT3_T4_T5_T6_T7_T9_mT8_P12ihipStream_tbDpT10_ENKUlT_T0_E_clISt17integral_constantIbLb1EES19_IbLb0EEEEDaS15_S16_EUlS15_E_NS1_11comp_targetILNS1_3genE3ELNS1_11target_archE908ELNS1_3gpuE7ELNS1_3repE0EEENS1_30default_config_static_selectorELNS0_4arch9wavefront6targetE1EEEvT1_,"axG",@progbits,_ZN7rocprim17ROCPRIM_400000_NS6detail17trampoline_kernelINS0_14default_configENS1_25partition_config_selectorILNS1_17partition_subalgoE8EyNS0_10empty_typeEbEEZZNS1_14partition_implILS5_8ELb0ES3_jN6thrust23THRUST_200600_302600_NS6detail15normal_iteratorINSA_10device_ptrIyEEEEPS6_PKS6_NS0_5tupleIJSF_S6_EEENSJ_IJSG_SG_EEENS0_18inequality_wrapperI22is_equal_div_10_uniqueIyEEEPmJS6_EEE10hipError_tPvRmT3_T4_T5_T6_T7_T9_mT8_P12ihipStream_tbDpT10_ENKUlT_T0_E_clISt17integral_constantIbLb1EES19_IbLb0EEEEDaS15_S16_EUlS15_E_NS1_11comp_targetILNS1_3genE3ELNS1_11target_archE908ELNS1_3gpuE7ELNS1_3repE0EEENS1_30default_config_static_selectorELNS0_4arch9wavefront6targetE1EEEvT1_,comdat
	.protected	_ZN7rocprim17ROCPRIM_400000_NS6detail17trampoline_kernelINS0_14default_configENS1_25partition_config_selectorILNS1_17partition_subalgoE8EyNS0_10empty_typeEbEEZZNS1_14partition_implILS5_8ELb0ES3_jN6thrust23THRUST_200600_302600_NS6detail15normal_iteratorINSA_10device_ptrIyEEEEPS6_PKS6_NS0_5tupleIJSF_S6_EEENSJ_IJSG_SG_EEENS0_18inequality_wrapperI22is_equal_div_10_uniqueIyEEEPmJS6_EEE10hipError_tPvRmT3_T4_T5_T6_T7_T9_mT8_P12ihipStream_tbDpT10_ENKUlT_T0_E_clISt17integral_constantIbLb1EES19_IbLb0EEEEDaS15_S16_EUlS15_E_NS1_11comp_targetILNS1_3genE3ELNS1_11target_archE908ELNS1_3gpuE7ELNS1_3repE0EEENS1_30default_config_static_selectorELNS0_4arch9wavefront6targetE1EEEvT1_ ; -- Begin function _ZN7rocprim17ROCPRIM_400000_NS6detail17trampoline_kernelINS0_14default_configENS1_25partition_config_selectorILNS1_17partition_subalgoE8EyNS0_10empty_typeEbEEZZNS1_14partition_implILS5_8ELb0ES3_jN6thrust23THRUST_200600_302600_NS6detail15normal_iteratorINSA_10device_ptrIyEEEEPS6_PKS6_NS0_5tupleIJSF_S6_EEENSJ_IJSG_SG_EEENS0_18inequality_wrapperI22is_equal_div_10_uniqueIyEEEPmJS6_EEE10hipError_tPvRmT3_T4_T5_T6_T7_T9_mT8_P12ihipStream_tbDpT10_ENKUlT_T0_E_clISt17integral_constantIbLb1EES19_IbLb0EEEEDaS15_S16_EUlS15_E_NS1_11comp_targetILNS1_3genE3ELNS1_11target_archE908ELNS1_3gpuE7ELNS1_3repE0EEENS1_30default_config_static_selectorELNS0_4arch9wavefront6targetE1EEEvT1_
	.globl	_ZN7rocprim17ROCPRIM_400000_NS6detail17trampoline_kernelINS0_14default_configENS1_25partition_config_selectorILNS1_17partition_subalgoE8EyNS0_10empty_typeEbEEZZNS1_14partition_implILS5_8ELb0ES3_jN6thrust23THRUST_200600_302600_NS6detail15normal_iteratorINSA_10device_ptrIyEEEEPS6_PKS6_NS0_5tupleIJSF_S6_EEENSJ_IJSG_SG_EEENS0_18inequality_wrapperI22is_equal_div_10_uniqueIyEEEPmJS6_EEE10hipError_tPvRmT3_T4_T5_T6_T7_T9_mT8_P12ihipStream_tbDpT10_ENKUlT_T0_E_clISt17integral_constantIbLb1EES19_IbLb0EEEEDaS15_S16_EUlS15_E_NS1_11comp_targetILNS1_3genE3ELNS1_11target_archE908ELNS1_3gpuE7ELNS1_3repE0EEENS1_30default_config_static_selectorELNS0_4arch9wavefront6targetE1EEEvT1_
	.p2align	8
	.type	_ZN7rocprim17ROCPRIM_400000_NS6detail17trampoline_kernelINS0_14default_configENS1_25partition_config_selectorILNS1_17partition_subalgoE8EyNS0_10empty_typeEbEEZZNS1_14partition_implILS5_8ELb0ES3_jN6thrust23THRUST_200600_302600_NS6detail15normal_iteratorINSA_10device_ptrIyEEEEPS6_PKS6_NS0_5tupleIJSF_S6_EEENSJ_IJSG_SG_EEENS0_18inequality_wrapperI22is_equal_div_10_uniqueIyEEEPmJS6_EEE10hipError_tPvRmT3_T4_T5_T6_T7_T9_mT8_P12ihipStream_tbDpT10_ENKUlT_T0_E_clISt17integral_constantIbLb1EES19_IbLb0EEEEDaS15_S16_EUlS15_E_NS1_11comp_targetILNS1_3genE3ELNS1_11target_archE908ELNS1_3gpuE7ELNS1_3repE0EEENS1_30default_config_static_selectorELNS0_4arch9wavefront6targetE1EEEvT1_,@function
_ZN7rocprim17ROCPRIM_400000_NS6detail17trampoline_kernelINS0_14default_configENS1_25partition_config_selectorILNS1_17partition_subalgoE8EyNS0_10empty_typeEbEEZZNS1_14partition_implILS5_8ELb0ES3_jN6thrust23THRUST_200600_302600_NS6detail15normal_iteratorINSA_10device_ptrIyEEEEPS6_PKS6_NS0_5tupleIJSF_S6_EEENSJ_IJSG_SG_EEENS0_18inequality_wrapperI22is_equal_div_10_uniqueIyEEEPmJS6_EEE10hipError_tPvRmT3_T4_T5_T6_T7_T9_mT8_P12ihipStream_tbDpT10_ENKUlT_T0_E_clISt17integral_constantIbLb1EES19_IbLb0EEEEDaS15_S16_EUlS15_E_NS1_11comp_targetILNS1_3genE3ELNS1_11target_archE908ELNS1_3gpuE7ELNS1_3repE0EEENS1_30default_config_static_selectorELNS0_4arch9wavefront6targetE1EEEvT1_: ; @_ZN7rocprim17ROCPRIM_400000_NS6detail17trampoline_kernelINS0_14default_configENS1_25partition_config_selectorILNS1_17partition_subalgoE8EyNS0_10empty_typeEbEEZZNS1_14partition_implILS5_8ELb0ES3_jN6thrust23THRUST_200600_302600_NS6detail15normal_iteratorINSA_10device_ptrIyEEEEPS6_PKS6_NS0_5tupleIJSF_S6_EEENSJ_IJSG_SG_EEENS0_18inequality_wrapperI22is_equal_div_10_uniqueIyEEEPmJS6_EEE10hipError_tPvRmT3_T4_T5_T6_T7_T9_mT8_P12ihipStream_tbDpT10_ENKUlT_T0_E_clISt17integral_constantIbLb1EES19_IbLb0EEEEDaS15_S16_EUlS15_E_NS1_11comp_targetILNS1_3genE3ELNS1_11target_archE908ELNS1_3gpuE7ELNS1_3repE0EEENS1_30default_config_static_selectorELNS0_4arch9wavefront6targetE1EEEvT1_
; %bb.0:
	.section	.rodata,"a",@progbits
	.p2align	6, 0x0
	.amdhsa_kernel _ZN7rocprim17ROCPRIM_400000_NS6detail17trampoline_kernelINS0_14default_configENS1_25partition_config_selectorILNS1_17partition_subalgoE8EyNS0_10empty_typeEbEEZZNS1_14partition_implILS5_8ELb0ES3_jN6thrust23THRUST_200600_302600_NS6detail15normal_iteratorINSA_10device_ptrIyEEEEPS6_PKS6_NS0_5tupleIJSF_S6_EEENSJ_IJSG_SG_EEENS0_18inequality_wrapperI22is_equal_div_10_uniqueIyEEEPmJS6_EEE10hipError_tPvRmT3_T4_T5_T6_T7_T9_mT8_P12ihipStream_tbDpT10_ENKUlT_T0_E_clISt17integral_constantIbLb1EES19_IbLb0EEEEDaS15_S16_EUlS15_E_NS1_11comp_targetILNS1_3genE3ELNS1_11target_archE908ELNS1_3gpuE7ELNS1_3repE0EEENS1_30default_config_static_selectorELNS0_4arch9wavefront6targetE1EEEvT1_
		.amdhsa_group_segment_fixed_size 0
		.amdhsa_private_segment_fixed_size 0
		.amdhsa_kernarg_size 112
		.amdhsa_user_sgpr_count 6
		.amdhsa_user_sgpr_private_segment_buffer 1
		.amdhsa_user_sgpr_dispatch_ptr 0
		.amdhsa_user_sgpr_queue_ptr 0
		.amdhsa_user_sgpr_kernarg_segment_ptr 1
		.amdhsa_user_sgpr_dispatch_id 0
		.amdhsa_user_sgpr_flat_scratch_init 0
		.amdhsa_user_sgpr_private_segment_size 0
		.amdhsa_uses_dynamic_stack 0
		.amdhsa_system_sgpr_private_segment_wavefront_offset 0
		.amdhsa_system_sgpr_workgroup_id_x 1
		.amdhsa_system_sgpr_workgroup_id_y 0
		.amdhsa_system_sgpr_workgroup_id_z 0
		.amdhsa_system_sgpr_workgroup_info 0
		.amdhsa_system_vgpr_workitem_id 0
		.amdhsa_next_free_vgpr 1
		.amdhsa_next_free_sgpr 0
		.amdhsa_reserve_vcc 0
		.amdhsa_reserve_flat_scratch 0
		.amdhsa_float_round_mode_32 0
		.amdhsa_float_round_mode_16_64 0
		.amdhsa_float_denorm_mode_32 3
		.amdhsa_float_denorm_mode_16_64 3
		.amdhsa_dx10_clamp 1
		.amdhsa_ieee_mode 1
		.amdhsa_fp16_overflow 0
		.amdhsa_exception_fp_ieee_invalid_op 0
		.amdhsa_exception_fp_denorm_src 0
		.amdhsa_exception_fp_ieee_div_zero 0
		.amdhsa_exception_fp_ieee_overflow 0
		.amdhsa_exception_fp_ieee_underflow 0
		.amdhsa_exception_fp_ieee_inexact 0
		.amdhsa_exception_int_div_zero 0
	.end_amdhsa_kernel
	.section	.text._ZN7rocprim17ROCPRIM_400000_NS6detail17trampoline_kernelINS0_14default_configENS1_25partition_config_selectorILNS1_17partition_subalgoE8EyNS0_10empty_typeEbEEZZNS1_14partition_implILS5_8ELb0ES3_jN6thrust23THRUST_200600_302600_NS6detail15normal_iteratorINSA_10device_ptrIyEEEEPS6_PKS6_NS0_5tupleIJSF_S6_EEENSJ_IJSG_SG_EEENS0_18inequality_wrapperI22is_equal_div_10_uniqueIyEEEPmJS6_EEE10hipError_tPvRmT3_T4_T5_T6_T7_T9_mT8_P12ihipStream_tbDpT10_ENKUlT_T0_E_clISt17integral_constantIbLb1EES19_IbLb0EEEEDaS15_S16_EUlS15_E_NS1_11comp_targetILNS1_3genE3ELNS1_11target_archE908ELNS1_3gpuE7ELNS1_3repE0EEENS1_30default_config_static_selectorELNS0_4arch9wavefront6targetE1EEEvT1_,"axG",@progbits,_ZN7rocprim17ROCPRIM_400000_NS6detail17trampoline_kernelINS0_14default_configENS1_25partition_config_selectorILNS1_17partition_subalgoE8EyNS0_10empty_typeEbEEZZNS1_14partition_implILS5_8ELb0ES3_jN6thrust23THRUST_200600_302600_NS6detail15normal_iteratorINSA_10device_ptrIyEEEEPS6_PKS6_NS0_5tupleIJSF_S6_EEENSJ_IJSG_SG_EEENS0_18inequality_wrapperI22is_equal_div_10_uniqueIyEEEPmJS6_EEE10hipError_tPvRmT3_T4_T5_T6_T7_T9_mT8_P12ihipStream_tbDpT10_ENKUlT_T0_E_clISt17integral_constantIbLb1EES19_IbLb0EEEEDaS15_S16_EUlS15_E_NS1_11comp_targetILNS1_3genE3ELNS1_11target_archE908ELNS1_3gpuE7ELNS1_3repE0EEENS1_30default_config_static_selectorELNS0_4arch9wavefront6targetE1EEEvT1_,comdat
.Lfunc_end196:
	.size	_ZN7rocprim17ROCPRIM_400000_NS6detail17trampoline_kernelINS0_14default_configENS1_25partition_config_selectorILNS1_17partition_subalgoE8EyNS0_10empty_typeEbEEZZNS1_14partition_implILS5_8ELb0ES3_jN6thrust23THRUST_200600_302600_NS6detail15normal_iteratorINSA_10device_ptrIyEEEEPS6_PKS6_NS0_5tupleIJSF_S6_EEENSJ_IJSG_SG_EEENS0_18inequality_wrapperI22is_equal_div_10_uniqueIyEEEPmJS6_EEE10hipError_tPvRmT3_T4_T5_T6_T7_T9_mT8_P12ihipStream_tbDpT10_ENKUlT_T0_E_clISt17integral_constantIbLb1EES19_IbLb0EEEEDaS15_S16_EUlS15_E_NS1_11comp_targetILNS1_3genE3ELNS1_11target_archE908ELNS1_3gpuE7ELNS1_3repE0EEENS1_30default_config_static_selectorELNS0_4arch9wavefront6targetE1EEEvT1_, .Lfunc_end196-_ZN7rocprim17ROCPRIM_400000_NS6detail17trampoline_kernelINS0_14default_configENS1_25partition_config_selectorILNS1_17partition_subalgoE8EyNS0_10empty_typeEbEEZZNS1_14partition_implILS5_8ELb0ES3_jN6thrust23THRUST_200600_302600_NS6detail15normal_iteratorINSA_10device_ptrIyEEEEPS6_PKS6_NS0_5tupleIJSF_S6_EEENSJ_IJSG_SG_EEENS0_18inequality_wrapperI22is_equal_div_10_uniqueIyEEEPmJS6_EEE10hipError_tPvRmT3_T4_T5_T6_T7_T9_mT8_P12ihipStream_tbDpT10_ENKUlT_T0_E_clISt17integral_constantIbLb1EES19_IbLb0EEEEDaS15_S16_EUlS15_E_NS1_11comp_targetILNS1_3genE3ELNS1_11target_archE908ELNS1_3gpuE7ELNS1_3repE0EEENS1_30default_config_static_selectorELNS0_4arch9wavefront6targetE1EEEvT1_
                                        ; -- End function
	.set _ZN7rocprim17ROCPRIM_400000_NS6detail17trampoline_kernelINS0_14default_configENS1_25partition_config_selectorILNS1_17partition_subalgoE8EyNS0_10empty_typeEbEEZZNS1_14partition_implILS5_8ELb0ES3_jN6thrust23THRUST_200600_302600_NS6detail15normal_iteratorINSA_10device_ptrIyEEEEPS6_PKS6_NS0_5tupleIJSF_S6_EEENSJ_IJSG_SG_EEENS0_18inequality_wrapperI22is_equal_div_10_uniqueIyEEEPmJS6_EEE10hipError_tPvRmT3_T4_T5_T6_T7_T9_mT8_P12ihipStream_tbDpT10_ENKUlT_T0_E_clISt17integral_constantIbLb1EES19_IbLb0EEEEDaS15_S16_EUlS15_E_NS1_11comp_targetILNS1_3genE3ELNS1_11target_archE908ELNS1_3gpuE7ELNS1_3repE0EEENS1_30default_config_static_selectorELNS0_4arch9wavefront6targetE1EEEvT1_.num_vgpr, 0
	.set _ZN7rocprim17ROCPRIM_400000_NS6detail17trampoline_kernelINS0_14default_configENS1_25partition_config_selectorILNS1_17partition_subalgoE8EyNS0_10empty_typeEbEEZZNS1_14partition_implILS5_8ELb0ES3_jN6thrust23THRUST_200600_302600_NS6detail15normal_iteratorINSA_10device_ptrIyEEEEPS6_PKS6_NS0_5tupleIJSF_S6_EEENSJ_IJSG_SG_EEENS0_18inequality_wrapperI22is_equal_div_10_uniqueIyEEEPmJS6_EEE10hipError_tPvRmT3_T4_T5_T6_T7_T9_mT8_P12ihipStream_tbDpT10_ENKUlT_T0_E_clISt17integral_constantIbLb1EES19_IbLb0EEEEDaS15_S16_EUlS15_E_NS1_11comp_targetILNS1_3genE3ELNS1_11target_archE908ELNS1_3gpuE7ELNS1_3repE0EEENS1_30default_config_static_selectorELNS0_4arch9wavefront6targetE1EEEvT1_.num_agpr, 0
	.set _ZN7rocprim17ROCPRIM_400000_NS6detail17trampoline_kernelINS0_14default_configENS1_25partition_config_selectorILNS1_17partition_subalgoE8EyNS0_10empty_typeEbEEZZNS1_14partition_implILS5_8ELb0ES3_jN6thrust23THRUST_200600_302600_NS6detail15normal_iteratorINSA_10device_ptrIyEEEEPS6_PKS6_NS0_5tupleIJSF_S6_EEENSJ_IJSG_SG_EEENS0_18inequality_wrapperI22is_equal_div_10_uniqueIyEEEPmJS6_EEE10hipError_tPvRmT3_T4_T5_T6_T7_T9_mT8_P12ihipStream_tbDpT10_ENKUlT_T0_E_clISt17integral_constantIbLb1EES19_IbLb0EEEEDaS15_S16_EUlS15_E_NS1_11comp_targetILNS1_3genE3ELNS1_11target_archE908ELNS1_3gpuE7ELNS1_3repE0EEENS1_30default_config_static_selectorELNS0_4arch9wavefront6targetE1EEEvT1_.numbered_sgpr, 0
	.set _ZN7rocprim17ROCPRIM_400000_NS6detail17trampoline_kernelINS0_14default_configENS1_25partition_config_selectorILNS1_17partition_subalgoE8EyNS0_10empty_typeEbEEZZNS1_14partition_implILS5_8ELb0ES3_jN6thrust23THRUST_200600_302600_NS6detail15normal_iteratorINSA_10device_ptrIyEEEEPS6_PKS6_NS0_5tupleIJSF_S6_EEENSJ_IJSG_SG_EEENS0_18inequality_wrapperI22is_equal_div_10_uniqueIyEEEPmJS6_EEE10hipError_tPvRmT3_T4_T5_T6_T7_T9_mT8_P12ihipStream_tbDpT10_ENKUlT_T0_E_clISt17integral_constantIbLb1EES19_IbLb0EEEEDaS15_S16_EUlS15_E_NS1_11comp_targetILNS1_3genE3ELNS1_11target_archE908ELNS1_3gpuE7ELNS1_3repE0EEENS1_30default_config_static_selectorELNS0_4arch9wavefront6targetE1EEEvT1_.num_named_barrier, 0
	.set _ZN7rocprim17ROCPRIM_400000_NS6detail17trampoline_kernelINS0_14default_configENS1_25partition_config_selectorILNS1_17partition_subalgoE8EyNS0_10empty_typeEbEEZZNS1_14partition_implILS5_8ELb0ES3_jN6thrust23THRUST_200600_302600_NS6detail15normal_iteratorINSA_10device_ptrIyEEEEPS6_PKS6_NS0_5tupleIJSF_S6_EEENSJ_IJSG_SG_EEENS0_18inequality_wrapperI22is_equal_div_10_uniqueIyEEEPmJS6_EEE10hipError_tPvRmT3_T4_T5_T6_T7_T9_mT8_P12ihipStream_tbDpT10_ENKUlT_T0_E_clISt17integral_constantIbLb1EES19_IbLb0EEEEDaS15_S16_EUlS15_E_NS1_11comp_targetILNS1_3genE3ELNS1_11target_archE908ELNS1_3gpuE7ELNS1_3repE0EEENS1_30default_config_static_selectorELNS0_4arch9wavefront6targetE1EEEvT1_.private_seg_size, 0
	.set _ZN7rocprim17ROCPRIM_400000_NS6detail17trampoline_kernelINS0_14default_configENS1_25partition_config_selectorILNS1_17partition_subalgoE8EyNS0_10empty_typeEbEEZZNS1_14partition_implILS5_8ELb0ES3_jN6thrust23THRUST_200600_302600_NS6detail15normal_iteratorINSA_10device_ptrIyEEEEPS6_PKS6_NS0_5tupleIJSF_S6_EEENSJ_IJSG_SG_EEENS0_18inequality_wrapperI22is_equal_div_10_uniqueIyEEEPmJS6_EEE10hipError_tPvRmT3_T4_T5_T6_T7_T9_mT8_P12ihipStream_tbDpT10_ENKUlT_T0_E_clISt17integral_constantIbLb1EES19_IbLb0EEEEDaS15_S16_EUlS15_E_NS1_11comp_targetILNS1_3genE3ELNS1_11target_archE908ELNS1_3gpuE7ELNS1_3repE0EEENS1_30default_config_static_selectorELNS0_4arch9wavefront6targetE1EEEvT1_.uses_vcc, 0
	.set _ZN7rocprim17ROCPRIM_400000_NS6detail17trampoline_kernelINS0_14default_configENS1_25partition_config_selectorILNS1_17partition_subalgoE8EyNS0_10empty_typeEbEEZZNS1_14partition_implILS5_8ELb0ES3_jN6thrust23THRUST_200600_302600_NS6detail15normal_iteratorINSA_10device_ptrIyEEEEPS6_PKS6_NS0_5tupleIJSF_S6_EEENSJ_IJSG_SG_EEENS0_18inequality_wrapperI22is_equal_div_10_uniqueIyEEEPmJS6_EEE10hipError_tPvRmT3_T4_T5_T6_T7_T9_mT8_P12ihipStream_tbDpT10_ENKUlT_T0_E_clISt17integral_constantIbLb1EES19_IbLb0EEEEDaS15_S16_EUlS15_E_NS1_11comp_targetILNS1_3genE3ELNS1_11target_archE908ELNS1_3gpuE7ELNS1_3repE0EEENS1_30default_config_static_selectorELNS0_4arch9wavefront6targetE1EEEvT1_.uses_flat_scratch, 0
	.set _ZN7rocprim17ROCPRIM_400000_NS6detail17trampoline_kernelINS0_14default_configENS1_25partition_config_selectorILNS1_17partition_subalgoE8EyNS0_10empty_typeEbEEZZNS1_14partition_implILS5_8ELb0ES3_jN6thrust23THRUST_200600_302600_NS6detail15normal_iteratorINSA_10device_ptrIyEEEEPS6_PKS6_NS0_5tupleIJSF_S6_EEENSJ_IJSG_SG_EEENS0_18inequality_wrapperI22is_equal_div_10_uniqueIyEEEPmJS6_EEE10hipError_tPvRmT3_T4_T5_T6_T7_T9_mT8_P12ihipStream_tbDpT10_ENKUlT_T0_E_clISt17integral_constantIbLb1EES19_IbLb0EEEEDaS15_S16_EUlS15_E_NS1_11comp_targetILNS1_3genE3ELNS1_11target_archE908ELNS1_3gpuE7ELNS1_3repE0EEENS1_30default_config_static_selectorELNS0_4arch9wavefront6targetE1EEEvT1_.has_dyn_sized_stack, 0
	.set _ZN7rocprim17ROCPRIM_400000_NS6detail17trampoline_kernelINS0_14default_configENS1_25partition_config_selectorILNS1_17partition_subalgoE8EyNS0_10empty_typeEbEEZZNS1_14partition_implILS5_8ELb0ES3_jN6thrust23THRUST_200600_302600_NS6detail15normal_iteratorINSA_10device_ptrIyEEEEPS6_PKS6_NS0_5tupleIJSF_S6_EEENSJ_IJSG_SG_EEENS0_18inequality_wrapperI22is_equal_div_10_uniqueIyEEEPmJS6_EEE10hipError_tPvRmT3_T4_T5_T6_T7_T9_mT8_P12ihipStream_tbDpT10_ENKUlT_T0_E_clISt17integral_constantIbLb1EES19_IbLb0EEEEDaS15_S16_EUlS15_E_NS1_11comp_targetILNS1_3genE3ELNS1_11target_archE908ELNS1_3gpuE7ELNS1_3repE0EEENS1_30default_config_static_selectorELNS0_4arch9wavefront6targetE1EEEvT1_.has_recursion, 0
	.set _ZN7rocprim17ROCPRIM_400000_NS6detail17trampoline_kernelINS0_14default_configENS1_25partition_config_selectorILNS1_17partition_subalgoE8EyNS0_10empty_typeEbEEZZNS1_14partition_implILS5_8ELb0ES3_jN6thrust23THRUST_200600_302600_NS6detail15normal_iteratorINSA_10device_ptrIyEEEEPS6_PKS6_NS0_5tupleIJSF_S6_EEENSJ_IJSG_SG_EEENS0_18inequality_wrapperI22is_equal_div_10_uniqueIyEEEPmJS6_EEE10hipError_tPvRmT3_T4_T5_T6_T7_T9_mT8_P12ihipStream_tbDpT10_ENKUlT_T0_E_clISt17integral_constantIbLb1EES19_IbLb0EEEEDaS15_S16_EUlS15_E_NS1_11comp_targetILNS1_3genE3ELNS1_11target_archE908ELNS1_3gpuE7ELNS1_3repE0EEENS1_30default_config_static_selectorELNS0_4arch9wavefront6targetE1EEEvT1_.has_indirect_call, 0
	.section	.AMDGPU.csdata,"",@progbits
; Kernel info:
; codeLenInByte = 0
; TotalNumSgprs: 4
; NumVgprs: 0
; ScratchSize: 0
; MemoryBound: 0
; FloatMode: 240
; IeeeMode: 1
; LDSByteSize: 0 bytes/workgroup (compile time only)
; SGPRBlocks: 0
; VGPRBlocks: 0
; NumSGPRsForWavesPerEU: 4
; NumVGPRsForWavesPerEU: 1
; Occupancy: 10
; WaveLimiterHint : 0
; COMPUTE_PGM_RSRC2:SCRATCH_EN: 0
; COMPUTE_PGM_RSRC2:USER_SGPR: 6
; COMPUTE_PGM_RSRC2:TRAP_HANDLER: 0
; COMPUTE_PGM_RSRC2:TGID_X_EN: 1
; COMPUTE_PGM_RSRC2:TGID_Y_EN: 0
; COMPUTE_PGM_RSRC2:TGID_Z_EN: 0
; COMPUTE_PGM_RSRC2:TIDIG_COMP_CNT: 0
	.section	.text._ZN7rocprim17ROCPRIM_400000_NS6detail17trampoline_kernelINS0_14default_configENS1_25partition_config_selectorILNS1_17partition_subalgoE8EyNS0_10empty_typeEbEEZZNS1_14partition_implILS5_8ELb0ES3_jN6thrust23THRUST_200600_302600_NS6detail15normal_iteratorINSA_10device_ptrIyEEEEPS6_PKS6_NS0_5tupleIJSF_S6_EEENSJ_IJSG_SG_EEENS0_18inequality_wrapperI22is_equal_div_10_uniqueIyEEEPmJS6_EEE10hipError_tPvRmT3_T4_T5_T6_T7_T9_mT8_P12ihipStream_tbDpT10_ENKUlT_T0_E_clISt17integral_constantIbLb1EES19_IbLb0EEEEDaS15_S16_EUlS15_E_NS1_11comp_targetILNS1_3genE2ELNS1_11target_archE906ELNS1_3gpuE6ELNS1_3repE0EEENS1_30default_config_static_selectorELNS0_4arch9wavefront6targetE1EEEvT1_,"axG",@progbits,_ZN7rocprim17ROCPRIM_400000_NS6detail17trampoline_kernelINS0_14default_configENS1_25partition_config_selectorILNS1_17partition_subalgoE8EyNS0_10empty_typeEbEEZZNS1_14partition_implILS5_8ELb0ES3_jN6thrust23THRUST_200600_302600_NS6detail15normal_iteratorINSA_10device_ptrIyEEEEPS6_PKS6_NS0_5tupleIJSF_S6_EEENSJ_IJSG_SG_EEENS0_18inequality_wrapperI22is_equal_div_10_uniqueIyEEEPmJS6_EEE10hipError_tPvRmT3_T4_T5_T6_T7_T9_mT8_P12ihipStream_tbDpT10_ENKUlT_T0_E_clISt17integral_constantIbLb1EES19_IbLb0EEEEDaS15_S16_EUlS15_E_NS1_11comp_targetILNS1_3genE2ELNS1_11target_archE906ELNS1_3gpuE6ELNS1_3repE0EEENS1_30default_config_static_selectorELNS0_4arch9wavefront6targetE1EEEvT1_,comdat
	.protected	_ZN7rocprim17ROCPRIM_400000_NS6detail17trampoline_kernelINS0_14default_configENS1_25partition_config_selectorILNS1_17partition_subalgoE8EyNS0_10empty_typeEbEEZZNS1_14partition_implILS5_8ELb0ES3_jN6thrust23THRUST_200600_302600_NS6detail15normal_iteratorINSA_10device_ptrIyEEEEPS6_PKS6_NS0_5tupleIJSF_S6_EEENSJ_IJSG_SG_EEENS0_18inequality_wrapperI22is_equal_div_10_uniqueIyEEEPmJS6_EEE10hipError_tPvRmT3_T4_T5_T6_T7_T9_mT8_P12ihipStream_tbDpT10_ENKUlT_T0_E_clISt17integral_constantIbLb1EES19_IbLb0EEEEDaS15_S16_EUlS15_E_NS1_11comp_targetILNS1_3genE2ELNS1_11target_archE906ELNS1_3gpuE6ELNS1_3repE0EEENS1_30default_config_static_selectorELNS0_4arch9wavefront6targetE1EEEvT1_ ; -- Begin function _ZN7rocprim17ROCPRIM_400000_NS6detail17trampoline_kernelINS0_14default_configENS1_25partition_config_selectorILNS1_17partition_subalgoE8EyNS0_10empty_typeEbEEZZNS1_14partition_implILS5_8ELb0ES3_jN6thrust23THRUST_200600_302600_NS6detail15normal_iteratorINSA_10device_ptrIyEEEEPS6_PKS6_NS0_5tupleIJSF_S6_EEENSJ_IJSG_SG_EEENS0_18inequality_wrapperI22is_equal_div_10_uniqueIyEEEPmJS6_EEE10hipError_tPvRmT3_T4_T5_T6_T7_T9_mT8_P12ihipStream_tbDpT10_ENKUlT_T0_E_clISt17integral_constantIbLb1EES19_IbLb0EEEEDaS15_S16_EUlS15_E_NS1_11comp_targetILNS1_3genE2ELNS1_11target_archE906ELNS1_3gpuE6ELNS1_3repE0EEENS1_30default_config_static_selectorELNS0_4arch9wavefront6targetE1EEEvT1_
	.globl	_ZN7rocprim17ROCPRIM_400000_NS6detail17trampoline_kernelINS0_14default_configENS1_25partition_config_selectorILNS1_17partition_subalgoE8EyNS0_10empty_typeEbEEZZNS1_14partition_implILS5_8ELb0ES3_jN6thrust23THRUST_200600_302600_NS6detail15normal_iteratorINSA_10device_ptrIyEEEEPS6_PKS6_NS0_5tupleIJSF_S6_EEENSJ_IJSG_SG_EEENS0_18inequality_wrapperI22is_equal_div_10_uniqueIyEEEPmJS6_EEE10hipError_tPvRmT3_T4_T5_T6_T7_T9_mT8_P12ihipStream_tbDpT10_ENKUlT_T0_E_clISt17integral_constantIbLb1EES19_IbLb0EEEEDaS15_S16_EUlS15_E_NS1_11comp_targetILNS1_3genE2ELNS1_11target_archE906ELNS1_3gpuE6ELNS1_3repE0EEENS1_30default_config_static_selectorELNS0_4arch9wavefront6targetE1EEEvT1_
	.p2align	8
	.type	_ZN7rocprim17ROCPRIM_400000_NS6detail17trampoline_kernelINS0_14default_configENS1_25partition_config_selectorILNS1_17partition_subalgoE8EyNS0_10empty_typeEbEEZZNS1_14partition_implILS5_8ELb0ES3_jN6thrust23THRUST_200600_302600_NS6detail15normal_iteratorINSA_10device_ptrIyEEEEPS6_PKS6_NS0_5tupleIJSF_S6_EEENSJ_IJSG_SG_EEENS0_18inequality_wrapperI22is_equal_div_10_uniqueIyEEEPmJS6_EEE10hipError_tPvRmT3_T4_T5_T6_T7_T9_mT8_P12ihipStream_tbDpT10_ENKUlT_T0_E_clISt17integral_constantIbLb1EES19_IbLb0EEEEDaS15_S16_EUlS15_E_NS1_11comp_targetILNS1_3genE2ELNS1_11target_archE906ELNS1_3gpuE6ELNS1_3repE0EEENS1_30default_config_static_selectorELNS0_4arch9wavefront6targetE1EEEvT1_,@function
_ZN7rocprim17ROCPRIM_400000_NS6detail17trampoline_kernelINS0_14default_configENS1_25partition_config_selectorILNS1_17partition_subalgoE8EyNS0_10empty_typeEbEEZZNS1_14partition_implILS5_8ELb0ES3_jN6thrust23THRUST_200600_302600_NS6detail15normal_iteratorINSA_10device_ptrIyEEEEPS6_PKS6_NS0_5tupleIJSF_S6_EEENSJ_IJSG_SG_EEENS0_18inequality_wrapperI22is_equal_div_10_uniqueIyEEEPmJS6_EEE10hipError_tPvRmT3_T4_T5_T6_T7_T9_mT8_P12ihipStream_tbDpT10_ENKUlT_T0_E_clISt17integral_constantIbLb1EES19_IbLb0EEEEDaS15_S16_EUlS15_E_NS1_11comp_targetILNS1_3genE2ELNS1_11target_archE906ELNS1_3gpuE6ELNS1_3repE0EEENS1_30default_config_static_selectorELNS0_4arch9wavefront6targetE1EEEvT1_: ; @_ZN7rocprim17ROCPRIM_400000_NS6detail17trampoline_kernelINS0_14default_configENS1_25partition_config_selectorILNS1_17partition_subalgoE8EyNS0_10empty_typeEbEEZZNS1_14partition_implILS5_8ELb0ES3_jN6thrust23THRUST_200600_302600_NS6detail15normal_iteratorINSA_10device_ptrIyEEEEPS6_PKS6_NS0_5tupleIJSF_S6_EEENSJ_IJSG_SG_EEENS0_18inequality_wrapperI22is_equal_div_10_uniqueIyEEEPmJS6_EEE10hipError_tPvRmT3_T4_T5_T6_T7_T9_mT8_P12ihipStream_tbDpT10_ENKUlT_T0_E_clISt17integral_constantIbLb1EES19_IbLb0EEEEDaS15_S16_EUlS15_E_NS1_11comp_targetILNS1_3genE2ELNS1_11target_archE906ELNS1_3gpuE6ELNS1_3repE0EEENS1_30default_config_static_selectorELNS0_4arch9wavefront6targetE1EEEvT1_
; %bb.0:
	s_endpgm
	.section	.rodata,"a",@progbits
	.p2align	6, 0x0
	.amdhsa_kernel _ZN7rocprim17ROCPRIM_400000_NS6detail17trampoline_kernelINS0_14default_configENS1_25partition_config_selectorILNS1_17partition_subalgoE8EyNS0_10empty_typeEbEEZZNS1_14partition_implILS5_8ELb0ES3_jN6thrust23THRUST_200600_302600_NS6detail15normal_iteratorINSA_10device_ptrIyEEEEPS6_PKS6_NS0_5tupleIJSF_S6_EEENSJ_IJSG_SG_EEENS0_18inequality_wrapperI22is_equal_div_10_uniqueIyEEEPmJS6_EEE10hipError_tPvRmT3_T4_T5_T6_T7_T9_mT8_P12ihipStream_tbDpT10_ENKUlT_T0_E_clISt17integral_constantIbLb1EES19_IbLb0EEEEDaS15_S16_EUlS15_E_NS1_11comp_targetILNS1_3genE2ELNS1_11target_archE906ELNS1_3gpuE6ELNS1_3repE0EEENS1_30default_config_static_selectorELNS0_4arch9wavefront6targetE1EEEvT1_
		.amdhsa_group_segment_fixed_size 0
		.amdhsa_private_segment_fixed_size 0
		.amdhsa_kernarg_size 112
		.amdhsa_user_sgpr_count 6
		.amdhsa_user_sgpr_private_segment_buffer 1
		.amdhsa_user_sgpr_dispatch_ptr 0
		.amdhsa_user_sgpr_queue_ptr 0
		.amdhsa_user_sgpr_kernarg_segment_ptr 1
		.amdhsa_user_sgpr_dispatch_id 0
		.amdhsa_user_sgpr_flat_scratch_init 0
		.amdhsa_user_sgpr_private_segment_size 0
		.amdhsa_uses_dynamic_stack 0
		.amdhsa_system_sgpr_private_segment_wavefront_offset 0
		.amdhsa_system_sgpr_workgroup_id_x 1
		.amdhsa_system_sgpr_workgroup_id_y 0
		.amdhsa_system_sgpr_workgroup_id_z 0
		.amdhsa_system_sgpr_workgroup_info 0
		.amdhsa_system_vgpr_workitem_id 0
		.amdhsa_next_free_vgpr 1
		.amdhsa_next_free_sgpr 0
		.amdhsa_reserve_vcc 0
		.amdhsa_reserve_flat_scratch 0
		.amdhsa_float_round_mode_32 0
		.amdhsa_float_round_mode_16_64 0
		.amdhsa_float_denorm_mode_32 3
		.amdhsa_float_denorm_mode_16_64 3
		.amdhsa_dx10_clamp 1
		.amdhsa_ieee_mode 1
		.amdhsa_fp16_overflow 0
		.amdhsa_exception_fp_ieee_invalid_op 0
		.amdhsa_exception_fp_denorm_src 0
		.amdhsa_exception_fp_ieee_div_zero 0
		.amdhsa_exception_fp_ieee_overflow 0
		.amdhsa_exception_fp_ieee_underflow 0
		.amdhsa_exception_fp_ieee_inexact 0
		.amdhsa_exception_int_div_zero 0
	.end_amdhsa_kernel
	.section	.text._ZN7rocprim17ROCPRIM_400000_NS6detail17trampoline_kernelINS0_14default_configENS1_25partition_config_selectorILNS1_17partition_subalgoE8EyNS0_10empty_typeEbEEZZNS1_14partition_implILS5_8ELb0ES3_jN6thrust23THRUST_200600_302600_NS6detail15normal_iteratorINSA_10device_ptrIyEEEEPS6_PKS6_NS0_5tupleIJSF_S6_EEENSJ_IJSG_SG_EEENS0_18inequality_wrapperI22is_equal_div_10_uniqueIyEEEPmJS6_EEE10hipError_tPvRmT3_T4_T5_T6_T7_T9_mT8_P12ihipStream_tbDpT10_ENKUlT_T0_E_clISt17integral_constantIbLb1EES19_IbLb0EEEEDaS15_S16_EUlS15_E_NS1_11comp_targetILNS1_3genE2ELNS1_11target_archE906ELNS1_3gpuE6ELNS1_3repE0EEENS1_30default_config_static_selectorELNS0_4arch9wavefront6targetE1EEEvT1_,"axG",@progbits,_ZN7rocprim17ROCPRIM_400000_NS6detail17trampoline_kernelINS0_14default_configENS1_25partition_config_selectorILNS1_17partition_subalgoE8EyNS0_10empty_typeEbEEZZNS1_14partition_implILS5_8ELb0ES3_jN6thrust23THRUST_200600_302600_NS6detail15normal_iteratorINSA_10device_ptrIyEEEEPS6_PKS6_NS0_5tupleIJSF_S6_EEENSJ_IJSG_SG_EEENS0_18inequality_wrapperI22is_equal_div_10_uniqueIyEEEPmJS6_EEE10hipError_tPvRmT3_T4_T5_T6_T7_T9_mT8_P12ihipStream_tbDpT10_ENKUlT_T0_E_clISt17integral_constantIbLb1EES19_IbLb0EEEEDaS15_S16_EUlS15_E_NS1_11comp_targetILNS1_3genE2ELNS1_11target_archE906ELNS1_3gpuE6ELNS1_3repE0EEENS1_30default_config_static_selectorELNS0_4arch9wavefront6targetE1EEEvT1_,comdat
.Lfunc_end197:
	.size	_ZN7rocprim17ROCPRIM_400000_NS6detail17trampoline_kernelINS0_14default_configENS1_25partition_config_selectorILNS1_17partition_subalgoE8EyNS0_10empty_typeEbEEZZNS1_14partition_implILS5_8ELb0ES3_jN6thrust23THRUST_200600_302600_NS6detail15normal_iteratorINSA_10device_ptrIyEEEEPS6_PKS6_NS0_5tupleIJSF_S6_EEENSJ_IJSG_SG_EEENS0_18inequality_wrapperI22is_equal_div_10_uniqueIyEEEPmJS6_EEE10hipError_tPvRmT3_T4_T5_T6_T7_T9_mT8_P12ihipStream_tbDpT10_ENKUlT_T0_E_clISt17integral_constantIbLb1EES19_IbLb0EEEEDaS15_S16_EUlS15_E_NS1_11comp_targetILNS1_3genE2ELNS1_11target_archE906ELNS1_3gpuE6ELNS1_3repE0EEENS1_30default_config_static_selectorELNS0_4arch9wavefront6targetE1EEEvT1_, .Lfunc_end197-_ZN7rocprim17ROCPRIM_400000_NS6detail17trampoline_kernelINS0_14default_configENS1_25partition_config_selectorILNS1_17partition_subalgoE8EyNS0_10empty_typeEbEEZZNS1_14partition_implILS5_8ELb0ES3_jN6thrust23THRUST_200600_302600_NS6detail15normal_iteratorINSA_10device_ptrIyEEEEPS6_PKS6_NS0_5tupleIJSF_S6_EEENSJ_IJSG_SG_EEENS0_18inequality_wrapperI22is_equal_div_10_uniqueIyEEEPmJS6_EEE10hipError_tPvRmT3_T4_T5_T6_T7_T9_mT8_P12ihipStream_tbDpT10_ENKUlT_T0_E_clISt17integral_constantIbLb1EES19_IbLb0EEEEDaS15_S16_EUlS15_E_NS1_11comp_targetILNS1_3genE2ELNS1_11target_archE906ELNS1_3gpuE6ELNS1_3repE0EEENS1_30default_config_static_selectorELNS0_4arch9wavefront6targetE1EEEvT1_
                                        ; -- End function
	.set _ZN7rocprim17ROCPRIM_400000_NS6detail17trampoline_kernelINS0_14default_configENS1_25partition_config_selectorILNS1_17partition_subalgoE8EyNS0_10empty_typeEbEEZZNS1_14partition_implILS5_8ELb0ES3_jN6thrust23THRUST_200600_302600_NS6detail15normal_iteratorINSA_10device_ptrIyEEEEPS6_PKS6_NS0_5tupleIJSF_S6_EEENSJ_IJSG_SG_EEENS0_18inequality_wrapperI22is_equal_div_10_uniqueIyEEEPmJS6_EEE10hipError_tPvRmT3_T4_T5_T6_T7_T9_mT8_P12ihipStream_tbDpT10_ENKUlT_T0_E_clISt17integral_constantIbLb1EES19_IbLb0EEEEDaS15_S16_EUlS15_E_NS1_11comp_targetILNS1_3genE2ELNS1_11target_archE906ELNS1_3gpuE6ELNS1_3repE0EEENS1_30default_config_static_selectorELNS0_4arch9wavefront6targetE1EEEvT1_.num_vgpr, 0
	.set _ZN7rocprim17ROCPRIM_400000_NS6detail17trampoline_kernelINS0_14default_configENS1_25partition_config_selectorILNS1_17partition_subalgoE8EyNS0_10empty_typeEbEEZZNS1_14partition_implILS5_8ELb0ES3_jN6thrust23THRUST_200600_302600_NS6detail15normal_iteratorINSA_10device_ptrIyEEEEPS6_PKS6_NS0_5tupleIJSF_S6_EEENSJ_IJSG_SG_EEENS0_18inequality_wrapperI22is_equal_div_10_uniqueIyEEEPmJS6_EEE10hipError_tPvRmT3_T4_T5_T6_T7_T9_mT8_P12ihipStream_tbDpT10_ENKUlT_T0_E_clISt17integral_constantIbLb1EES19_IbLb0EEEEDaS15_S16_EUlS15_E_NS1_11comp_targetILNS1_3genE2ELNS1_11target_archE906ELNS1_3gpuE6ELNS1_3repE0EEENS1_30default_config_static_selectorELNS0_4arch9wavefront6targetE1EEEvT1_.num_agpr, 0
	.set _ZN7rocprim17ROCPRIM_400000_NS6detail17trampoline_kernelINS0_14default_configENS1_25partition_config_selectorILNS1_17partition_subalgoE8EyNS0_10empty_typeEbEEZZNS1_14partition_implILS5_8ELb0ES3_jN6thrust23THRUST_200600_302600_NS6detail15normal_iteratorINSA_10device_ptrIyEEEEPS6_PKS6_NS0_5tupleIJSF_S6_EEENSJ_IJSG_SG_EEENS0_18inequality_wrapperI22is_equal_div_10_uniqueIyEEEPmJS6_EEE10hipError_tPvRmT3_T4_T5_T6_T7_T9_mT8_P12ihipStream_tbDpT10_ENKUlT_T0_E_clISt17integral_constantIbLb1EES19_IbLb0EEEEDaS15_S16_EUlS15_E_NS1_11comp_targetILNS1_3genE2ELNS1_11target_archE906ELNS1_3gpuE6ELNS1_3repE0EEENS1_30default_config_static_selectorELNS0_4arch9wavefront6targetE1EEEvT1_.numbered_sgpr, 0
	.set _ZN7rocprim17ROCPRIM_400000_NS6detail17trampoline_kernelINS0_14default_configENS1_25partition_config_selectorILNS1_17partition_subalgoE8EyNS0_10empty_typeEbEEZZNS1_14partition_implILS5_8ELb0ES3_jN6thrust23THRUST_200600_302600_NS6detail15normal_iteratorINSA_10device_ptrIyEEEEPS6_PKS6_NS0_5tupleIJSF_S6_EEENSJ_IJSG_SG_EEENS0_18inequality_wrapperI22is_equal_div_10_uniqueIyEEEPmJS6_EEE10hipError_tPvRmT3_T4_T5_T6_T7_T9_mT8_P12ihipStream_tbDpT10_ENKUlT_T0_E_clISt17integral_constantIbLb1EES19_IbLb0EEEEDaS15_S16_EUlS15_E_NS1_11comp_targetILNS1_3genE2ELNS1_11target_archE906ELNS1_3gpuE6ELNS1_3repE0EEENS1_30default_config_static_selectorELNS0_4arch9wavefront6targetE1EEEvT1_.num_named_barrier, 0
	.set _ZN7rocprim17ROCPRIM_400000_NS6detail17trampoline_kernelINS0_14default_configENS1_25partition_config_selectorILNS1_17partition_subalgoE8EyNS0_10empty_typeEbEEZZNS1_14partition_implILS5_8ELb0ES3_jN6thrust23THRUST_200600_302600_NS6detail15normal_iteratorINSA_10device_ptrIyEEEEPS6_PKS6_NS0_5tupleIJSF_S6_EEENSJ_IJSG_SG_EEENS0_18inequality_wrapperI22is_equal_div_10_uniqueIyEEEPmJS6_EEE10hipError_tPvRmT3_T4_T5_T6_T7_T9_mT8_P12ihipStream_tbDpT10_ENKUlT_T0_E_clISt17integral_constantIbLb1EES19_IbLb0EEEEDaS15_S16_EUlS15_E_NS1_11comp_targetILNS1_3genE2ELNS1_11target_archE906ELNS1_3gpuE6ELNS1_3repE0EEENS1_30default_config_static_selectorELNS0_4arch9wavefront6targetE1EEEvT1_.private_seg_size, 0
	.set _ZN7rocprim17ROCPRIM_400000_NS6detail17trampoline_kernelINS0_14default_configENS1_25partition_config_selectorILNS1_17partition_subalgoE8EyNS0_10empty_typeEbEEZZNS1_14partition_implILS5_8ELb0ES3_jN6thrust23THRUST_200600_302600_NS6detail15normal_iteratorINSA_10device_ptrIyEEEEPS6_PKS6_NS0_5tupleIJSF_S6_EEENSJ_IJSG_SG_EEENS0_18inequality_wrapperI22is_equal_div_10_uniqueIyEEEPmJS6_EEE10hipError_tPvRmT3_T4_T5_T6_T7_T9_mT8_P12ihipStream_tbDpT10_ENKUlT_T0_E_clISt17integral_constantIbLb1EES19_IbLb0EEEEDaS15_S16_EUlS15_E_NS1_11comp_targetILNS1_3genE2ELNS1_11target_archE906ELNS1_3gpuE6ELNS1_3repE0EEENS1_30default_config_static_selectorELNS0_4arch9wavefront6targetE1EEEvT1_.uses_vcc, 0
	.set _ZN7rocprim17ROCPRIM_400000_NS6detail17trampoline_kernelINS0_14default_configENS1_25partition_config_selectorILNS1_17partition_subalgoE8EyNS0_10empty_typeEbEEZZNS1_14partition_implILS5_8ELb0ES3_jN6thrust23THRUST_200600_302600_NS6detail15normal_iteratorINSA_10device_ptrIyEEEEPS6_PKS6_NS0_5tupleIJSF_S6_EEENSJ_IJSG_SG_EEENS0_18inequality_wrapperI22is_equal_div_10_uniqueIyEEEPmJS6_EEE10hipError_tPvRmT3_T4_T5_T6_T7_T9_mT8_P12ihipStream_tbDpT10_ENKUlT_T0_E_clISt17integral_constantIbLb1EES19_IbLb0EEEEDaS15_S16_EUlS15_E_NS1_11comp_targetILNS1_3genE2ELNS1_11target_archE906ELNS1_3gpuE6ELNS1_3repE0EEENS1_30default_config_static_selectorELNS0_4arch9wavefront6targetE1EEEvT1_.uses_flat_scratch, 0
	.set _ZN7rocprim17ROCPRIM_400000_NS6detail17trampoline_kernelINS0_14default_configENS1_25partition_config_selectorILNS1_17partition_subalgoE8EyNS0_10empty_typeEbEEZZNS1_14partition_implILS5_8ELb0ES3_jN6thrust23THRUST_200600_302600_NS6detail15normal_iteratorINSA_10device_ptrIyEEEEPS6_PKS6_NS0_5tupleIJSF_S6_EEENSJ_IJSG_SG_EEENS0_18inequality_wrapperI22is_equal_div_10_uniqueIyEEEPmJS6_EEE10hipError_tPvRmT3_T4_T5_T6_T7_T9_mT8_P12ihipStream_tbDpT10_ENKUlT_T0_E_clISt17integral_constantIbLb1EES19_IbLb0EEEEDaS15_S16_EUlS15_E_NS1_11comp_targetILNS1_3genE2ELNS1_11target_archE906ELNS1_3gpuE6ELNS1_3repE0EEENS1_30default_config_static_selectorELNS0_4arch9wavefront6targetE1EEEvT1_.has_dyn_sized_stack, 0
	.set _ZN7rocprim17ROCPRIM_400000_NS6detail17trampoline_kernelINS0_14default_configENS1_25partition_config_selectorILNS1_17partition_subalgoE8EyNS0_10empty_typeEbEEZZNS1_14partition_implILS5_8ELb0ES3_jN6thrust23THRUST_200600_302600_NS6detail15normal_iteratorINSA_10device_ptrIyEEEEPS6_PKS6_NS0_5tupleIJSF_S6_EEENSJ_IJSG_SG_EEENS0_18inequality_wrapperI22is_equal_div_10_uniqueIyEEEPmJS6_EEE10hipError_tPvRmT3_T4_T5_T6_T7_T9_mT8_P12ihipStream_tbDpT10_ENKUlT_T0_E_clISt17integral_constantIbLb1EES19_IbLb0EEEEDaS15_S16_EUlS15_E_NS1_11comp_targetILNS1_3genE2ELNS1_11target_archE906ELNS1_3gpuE6ELNS1_3repE0EEENS1_30default_config_static_selectorELNS0_4arch9wavefront6targetE1EEEvT1_.has_recursion, 0
	.set _ZN7rocprim17ROCPRIM_400000_NS6detail17trampoline_kernelINS0_14default_configENS1_25partition_config_selectorILNS1_17partition_subalgoE8EyNS0_10empty_typeEbEEZZNS1_14partition_implILS5_8ELb0ES3_jN6thrust23THRUST_200600_302600_NS6detail15normal_iteratorINSA_10device_ptrIyEEEEPS6_PKS6_NS0_5tupleIJSF_S6_EEENSJ_IJSG_SG_EEENS0_18inequality_wrapperI22is_equal_div_10_uniqueIyEEEPmJS6_EEE10hipError_tPvRmT3_T4_T5_T6_T7_T9_mT8_P12ihipStream_tbDpT10_ENKUlT_T0_E_clISt17integral_constantIbLb1EES19_IbLb0EEEEDaS15_S16_EUlS15_E_NS1_11comp_targetILNS1_3genE2ELNS1_11target_archE906ELNS1_3gpuE6ELNS1_3repE0EEENS1_30default_config_static_selectorELNS0_4arch9wavefront6targetE1EEEvT1_.has_indirect_call, 0
	.section	.AMDGPU.csdata,"",@progbits
; Kernel info:
; codeLenInByte = 4
; TotalNumSgprs: 4
; NumVgprs: 0
; ScratchSize: 0
; MemoryBound: 0
; FloatMode: 240
; IeeeMode: 1
; LDSByteSize: 0 bytes/workgroup (compile time only)
; SGPRBlocks: 0
; VGPRBlocks: 0
; NumSGPRsForWavesPerEU: 4
; NumVGPRsForWavesPerEU: 1
; Occupancy: 10
; WaveLimiterHint : 0
; COMPUTE_PGM_RSRC2:SCRATCH_EN: 0
; COMPUTE_PGM_RSRC2:USER_SGPR: 6
; COMPUTE_PGM_RSRC2:TRAP_HANDLER: 0
; COMPUTE_PGM_RSRC2:TGID_X_EN: 1
; COMPUTE_PGM_RSRC2:TGID_Y_EN: 0
; COMPUTE_PGM_RSRC2:TGID_Z_EN: 0
; COMPUTE_PGM_RSRC2:TIDIG_COMP_CNT: 0
	.section	.text._ZN7rocprim17ROCPRIM_400000_NS6detail17trampoline_kernelINS0_14default_configENS1_25partition_config_selectorILNS1_17partition_subalgoE8EyNS0_10empty_typeEbEEZZNS1_14partition_implILS5_8ELb0ES3_jN6thrust23THRUST_200600_302600_NS6detail15normal_iteratorINSA_10device_ptrIyEEEEPS6_PKS6_NS0_5tupleIJSF_S6_EEENSJ_IJSG_SG_EEENS0_18inequality_wrapperI22is_equal_div_10_uniqueIyEEEPmJS6_EEE10hipError_tPvRmT3_T4_T5_T6_T7_T9_mT8_P12ihipStream_tbDpT10_ENKUlT_T0_E_clISt17integral_constantIbLb1EES19_IbLb0EEEEDaS15_S16_EUlS15_E_NS1_11comp_targetILNS1_3genE10ELNS1_11target_archE1200ELNS1_3gpuE4ELNS1_3repE0EEENS1_30default_config_static_selectorELNS0_4arch9wavefront6targetE1EEEvT1_,"axG",@progbits,_ZN7rocprim17ROCPRIM_400000_NS6detail17trampoline_kernelINS0_14default_configENS1_25partition_config_selectorILNS1_17partition_subalgoE8EyNS0_10empty_typeEbEEZZNS1_14partition_implILS5_8ELb0ES3_jN6thrust23THRUST_200600_302600_NS6detail15normal_iteratorINSA_10device_ptrIyEEEEPS6_PKS6_NS0_5tupleIJSF_S6_EEENSJ_IJSG_SG_EEENS0_18inequality_wrapperI22is_equal_div_10_uniqueIyEEEPmJS6_EEE10hipError_tPvRmT3_T4_T5_T6_T7_T9_mT8_P12ihipStream_tbDpT10_ENKUlT_T0_E_clISt17integral_constantIbLb1EES19_IbLb0EEEEDaS15_S16_EUlS15_E_NS1_11comp_targetILNS1_3genE10ELNS1_11target_archE1200ELNS1_3gpuE4ELNS1_3repE0EEENS1_30default_config_static_selectorELNS0_4arch9wavefront6targetE1EEEvT1_,comdat
	.protected	_ZN7rocprim17ROCPRIM_400000_NS6detail17trampoline_kernelINS0_14default_configENS1_25partition_config_selectorILNS1_17partition_subalgoE8EyNS0_10empty_typeEbEEZZNS1_14partition_implILS5_8ELb0ES3_jN6thrust23THRUST_200600_302600_NS6detail15normal_iteratorINSA_10device_ptrIyEEEEPS6_PKS6_NS0_5tupleIJSF_S6_EEENSJ_IJSG_SG_EEENS0_18inequality_wrapperI22is_equal_div_10_uniqueIyEEEPmJS6_EEE10hipError_tPvRmT3_T4_T5_T6_T7_T9_mT8_P12ihipStream_tbDpT10_ENKUlT_T0_E_clISt17integral_constantIbLb1EES19_IbLb0EEEEDaS15_S16_EUlS15_E_NS1_11comp_targetILNS1_3genE10ELNS1_11target_archE1200ELNS1_3gpuE4ELNS1_3repE0EEENS1_30default_config_static_selectorELNS0_4arch9wavefront6targetE1EEEvT1_ ; -- Begin function _ZN7rocprim17ROCPRIM_400000_NS6detail17trampoline_kernelINS0_14default_configENS1_25partition_config_selectorILNS1_17partition_subalgoE8EyNS0_10empty_typeEbEEZZNS1_14partition_implILS5_8ELb0ES3_jN6thrust23THRUST_200600_302600_NS6detail15normal_iteratorINSA_10device_ptrIyEEEEPS6_PKS6_NS0_5tupleIJSF_S6_EEENSJ_IJSG_SG_EEENS0_18inequality_wrapperI22is_equal_div_10_uniqueIyEEEPmJS6_EEE10hipError_tPvRmT3_T4_T5_T6_T7_T9_mT8_P12ihipStream_tbDpT10_ENKUlT_T0_E_clISt17integral_constantIbLb1EES19_IbLb0EEEEDaS15_S16_EUlS15_E_NS1_11comp_targetILNS1_3genE10ELNS1_11target_archE1200ELNS1_3gpuE4ELNS1_3repE0EEENS1_30default_config_static_selectorELNS0_4arch9wavefront6targetE1EEEvT1_
	.globl	_ZN7rocprim17ROCPRIM_400000_NS6detail17trampoline_kernelINS0_14default_configENS1_25partition_config_selectorILNS1_17partition_subalgoE8EyNS0_10empty_typeEbEEZZNS1_14partition_implILS5_8ELb0ES3_jN6thrust23THRUST_200600_302600_NS6detail15normal_iteratorINSA_10device_ptrIyEEEEPS6_PKS6_NS0_5tupleIJSF_S6_EEENSJ_IJSG_SG_EEENS0_18inequality_wrapperI22is_equal_div_10_uniqueIyEEEPmJS6_EEE10hipError_tPvRmT3_T4_T5_T6_T7_T9_mT8_P12ihipStream_tbDpT10_ENKUlT_T0_E_clISt17integral_constantIbLb1EES19_IbLb0EEEEDaS15_S16_EUlS15_E_NS1_11comp_targetILNS1_3genE10ELNS1_11target_archE1200ELNS1_3gpuE4ELNS1_3repE0EEENS1_30default_config_static_selectorELNS0_4arch9wavefront6targetE1EEEvT1_
	.p2align	8
	.type	_ZN7rocprim17ROCPRIM_400000_NS6detail17trampoline_kernelINS0_14default_configENS1_25partition_config_selectorILNS1_17partition_subalgoE8EyNS0_10empty_typeEbEEZZNS1_14partition_implILS5_8ELb0ES3_jN6thrust23THRUST_200600_302600_NS6detail15normal_iteratorINSA_10device_ptrIyEEEEPS6_PKS6_NS0_5tupleIJSF_S6_EEENSJ_IJSG_SG_EEENS0_18inequality_wrapperI22is_equal_div_10_uniqueIyEEEPmJS6_EEE10hipError_tPvRmT3_T4_T5_T6_T7_T9_mT8_P12ihipStream_tbDpT10_ENKUlT_T0_E_clISt17integral_constantIbLb1EES19_IbLb0EEEEDaS15_S16_EUlS15_E_NS1_11comp_targetILNS1_3genE10ELNS1_11target_archE1200ELNS1_3gpuE4ELNS1_3repE0EEENS1_30default_config_static_selectorELNS0_4arch9wavefront6targetE1EEEvT1_,@function
_ZN7rocprim17ROCPRIM_400000_NS6detail17trampoline_kernelINS0_14default_configENS1_25partition_config_selectorILNS1_17partition_subalgoE8EyNS0_10empty_typeEbEEZZNS1_14partition_implILS5_8ELb0ES3_jN6thrust23THRUST_200600_302600_NS6detail15normal_iteratorINSA_10device_ptrIyEEEEPS6_PKS6_NS0_5tupleIJSF_S6_EEENSJ_IJSG_SG_EEENS0_18inequality_wrapperI22is_equal_div_10_uniqueIyEEEPmJS6_EEE10hipError_tPvRmT3_T4_T5_T6_T7_T9_mT8_P12ihipStream_tbDpT10_ENKUlT_T0_E_clISt17integral_constantIbLb1EES19_IbLb0EEEEDaS15_S16_EUlS15_E_NS1_11comp_targetILNS1_3genE10ELNS1_11target_archE1200ELNS1_3gpuE4ELNS1_3repE0EEENS1_30default_config_static_selectorELNS0_4arch9wavefront6targetE1EEEvT1_: ; @_ZN7rocprim17ROCPRIM_400000_NS6detail17trampoline_kernelINS0_14default_configENS1_25partition_config_selectorILNS1_17partition_subalgoE8EyNS0_10empty_typeEbEEZZNS1_14partition_implILS5_8ELb0ES3_jN6thrust23THRUST_200600_302600_NS6detail15normal_iteratorINSA_10device_ptrIyEEEEPS6_PKS6_NS0_5tupleIJSF_S6_EEENSJ_IJSG_SG_EEENS0_18inequality_wrapperI22is_equal_div_10_uniqueIyEEEPmJS6_EEE10hipError_tPvRmT3_T4_T5_T6_T7_T9_mT8_P12ihipStream_tbDpT10_ENKUlT_T0_E_clISt17integral_constantIbLb1EES19_IbLb0EEEEDaS15_S16_EUlS15_E_NS1_11comp_targetILNS1_3genE10ELNS1_11target_archE1200ELNS1_3gpuE4ELNS1_3repE0EEENS1_30default_config_static_selectorELNS0_4arch9wavefront6targetE1EEEvT1_
; %bb.0:
	.section	.rodata,"a",@progbits
	.p2align	6, 0x0
	.amdhsa_kernel _ZN7rocprim17ROCPRIM_400000_NS6detail17trampoline_kernelINS0_14default_configENS1_25partition_config_selectorILNS1_17partition_subalgoE8EyNS0_10empty_typeEbEEZZNS1_14partition_implILS5_8ELb0ES3_jN6thrust23THRUST_200600_302600_NS6detail15normal_iteratorINSA_10device_ptrIyEEEEPS6_PKS6_NS0_5tupleIJSF_S6_EEENSJ_IJSG_SG_EEENS0_18inequality_wrapperI22is_equal_div_10_uniqueIyEEEPmJS6_EEE10hipError_tPvRmT3_T4_T5_T6_T7_T9_mT8_P12ihipStream_tbDpT10_ENKUlT_T0_E_clISt17integral_constantIbLb1EES19_IbLb0EEEEDaS15_S16_EUlS15_E_NS1_11comp_targetILNS1_3genE10ELNS1_11target_archE1200ELNS1_3gpuE4ELNS1_3repE0EEENS1_30default_config_static_selectorELNS0_4arch9wavefront6targetE1EEEvT1_
		.amdhsa_group_segment_fixed_size 0
		.amdhsa_private_segment_fixed_size 0
		.amdhsa_kernarg_size 112
		.amdhsa_user_sgpr_count 6
		.amdhsa_user_sgpr_private_segment_buffer 1
		.amdhsa_user_sgpr_dispatch_ptr 0
		.amdhsa_user_sgpr_queue_ptr 0
		.amdhsa_user_sgpr_kernarg_segment_ptr 1
		.amdhsa_user_sgpr_dispatch_id 0
		.amdhsa_user_sgpr_flat_scratch_init 0
		.amdhsa_user_sgpr_private_segment_size 0
		.amdhsa_uses_dynamic_stack 0
		.amdhsa_system_sgpr_private_segment_wavefront_offset 0
		.amdhsa_system_sgpr_workgroup_id_x 1
		.amdhsa_system_sgpr_workgroup_id_y 0
		.amdhsa_system_sgpr_workgroup_id_z 0
		.amdhsa_system_sgpr_workgroup_info 0
		.amdhsa_system_vgpr_workitem_id 0
		.amdhsa_next_free_vgpr 1
		.amdhsa_next_free_sgpr 0
		.amdhsa_reserve_vcc 0
		.amdhsa_reserve_flat_scratch 0
		.amdhsa_float_round_mode_32 0
		.amdhsa_float_round_mode_16_64 0
		.amdhsa_float_denorm_mode_32 3
		.amdhsa_float_denorm_mode_16_64 3
		.amdhsa_dx10_clamp 1
		.amdhsa_ieee_mode 1
		.amdhsa_fp16_overflow 0
		.amdhsa_exception_fp_ieee_invalid_op 0
		.amdhsa_exception_fp_denorm_src 0
		.amdhsa_exception_fp_ieee_div_zero 0
		.amdhsa_exception_fp_ieee_overflow 0
		.amdhsa_exception_fp_ieee_underflow 0
		.amdhsa_exception_fp_ieee_inexact 0
		.amdhsa_exception_int_div_zero 0
	.end_amdhsa_kernel
	.section	.text._ZN7rocprim17ROCPRIM_400000_NS6detail17trampoline_kernelINS0_14default_configENS1_25partition_config_selectorILNS1_17partition_subalgoE8EyNS0_10empty_typeEbEEZZNS1_14partition_implILS5_8ELb0ES3_jN6thrust23THRUST_200600_302600_NS6detail15normal_iteratorINSA_10device_ptrIyEEEEPS6_PKS6_NS0_5tupleIJSF_S6_EEENSJ_IJSG_SG_EEENS0_18inequality_wrapperI22is_equal_div_10_uniqueIyEEEPmJS6_EEE10hipError_tPvRmT3_T4_T5_T6_T7_T9_mT8_P12ihipStream_tbDpT10_ENKUlT_T0_E_clISt17integral_constantIbLb1EES19_IbLb0EEEEDaS15_S16_EUlS15_E_NS1_11comp_targetILNS1_3genE10ELNS1_11target_archE1200ELNS1_3gpuE4ELNS1_3repE0EEENS1_30default_config_static_selectorELNS0_4arch9wavefront6targetE1EEEvT1_,"axG",@progbits,_ZN7rocprim17ROCPRIM_400000_NS6detail17trampoline_kernelINS0_14default_configENS1_25partition_config_selectorILNS1_17partition_subalgoE8EyNS0_10empty_typeEbEEZZNS1_14partition_implILS5_8ELb0ES3_jN6thrust23THRUST_200600_302600_NS6detail15normal_iteratorINSA_10device_ptrIyEEEEPS6_PKS6_NS0_5tupleIJSF_S6_EEENSJ_IJSG_SG_EEENS0_18inequality_wrapperI22is_equal_div_10_uniqueIyEEEPmJS6_EEE10hipError_tPvRmT3_T4_T5_T6_T7_T9_mT8_P12ihipStream_tbDpT10_ENKUlT_T0_E_clISt17integral_constantIbLb1EES19_IbLb0EEEEDaS15_S16_EUlS15_E_NS1_11comp_targetILNS1_3genE10ELNS1_11target_archE1200ELNS1_3gpuE4ELNS1_3repE0EEENS1_30default_config_static_selectorELNS0_4arch9wavefront6targetE1EEEvT1_,comdat
.Lfunc_end198:
	.size	_ZN7rocprim17ROCPRIM_400000_NS6detail17trampoline_kernelINS0_14default_configENS1_25partition_config_selectorILNS1_17partition_subalgoE8EyNS0_10empty_typeEbEEZZNS1_14partition_implILS5_8ELb0ES3_jN6thrust23THRUST_200600_302600_NS6detail15normal_iteratorINSA_10device_ptrIyEEEEPS6_PKS6_NS0_5tupleIJSF_S6_EEENSJ_IJSG_SG_EEENS0_18inequality_wrapperI22is_equal_div_10_uniqueIyEEEPmJS6_EEE10hipError_tPvRmT3_T4_T5_T6_T7_T9_mT8_P12ihipStream_tbDpT10_ENKUlT_T0_E_clISt17integral_constantIbLb1EES19_IbLb0EEEEDaS15_S16_EUlS15_E_NS1_11comp_targetILNS1_3genE10ELNS1_11target_archE1200ELNS1_3gpuE4ELNS1_3repE0EEENS1_30default_config_static_selectorELNS0_4arch9wavefront6targetE1EEEvT1_, .Lfunc_end198-_ZN7rocprim17ROCPRIM_400000_NS6detail17trampoline_kernelINS0_14default_configENS1_25partition_config_selectorILNS1_17partition_subalgoE8EyNS0_10empty_typeEbEEZZNS1_14partition_implILS5_8ELb0ES3_jN6thrust23THRUST_200600_302600_NS6detail15normal_iteratorINSA_10device_ptrIyEEEEPS6_PKS6_NS0_5tupleIJSF_S6_EEENSJ_IJSG_SG_EEENS0_18inequality_wrapperI22is_equal_div_10_uniqueIyEEEPmJS6_EEE10hipError_tPvRmT3_T4_T5_T6_T7_T9_mT8_P12ihipStream_tbDpT10_ENKUlT_T0_E_clISt17integral_constantIbLb1EES19_IbLb0EEEEDaS15_S16_EUlS15_E_NS1_11comp_targetILNS1_3genE10ELNS1_11target_archE1200ELNS1_3gpuE4ELNS1_3repE0EEENS1_30default_config_static_selectorELNS0_4arch9wavefront6targetE1EEEvT1_
                                        ; -- End function
	.set _ZN7rocprim17ROCPRIM_400000_NS6detail17trampoline_kernelINS0_14default_configENS1_25partition_config_selectorILNS1_17partition_subalgoE8EyNS0_10empty_typeEbEEZZNS1_14partition_implILS5_8ELb0ES3_jN6thrust23THRUST_200600_302600_NS6detail15normal_iteratorINSA_10device_ptrIyEEEEPS6_PKS6_NS0_5tupleIJSF_S6_EEENSJ_IJSG_SG_EEENS0_18inequality_wrapperI22is_equal_div_10_uniqueIyEEEPmJS6_EEE10hipError_tPvRmT3_T4_T5_T6_T7_T9_mT8_P12ihipStream_tbDpT10_ENKUlT_T0_E_clISt17integral_constantIbLb1EES19_IbLb0EEEEDaS15_S16_EUlS15_E_NS1_11comp_targetILNS1_3genE10ELNS1_11target_archE1200ELNS1_3gpuE4ELNS1_3repE0EEENS1_30default_config_static_selectorELNS0_4arch9wavefront6targetE1EEEvT1_.num_vgpr, 0
	.set _ZN7rocprim17ROCPRIM_400000_NS6detail17trampoline_kernelINS0_14default_configENS1_25partition_config_selectorILNS1_17partition_subalgoE8EyNS0_10empty_typeEbEEZZNS1_14partition_implILS5_8ELb0ES3_jN6thrust23THRUST_200600_302600_NS6detail15normal_iteratorINSA_10device_ptrIyEEEEPS6_PKS6_NS0_5tupleIJSF_S6_EEENSJ_IJSG_SG_EEENS0_18inequality_wrapperI22is_equal_div_10_uniqueIyEEEPmJS6_EEE10hipError_tPvRmT3_T4_T5_T6_T7_T9_mT8_P12ihipStream_tbDpT10_ENKUlT_T0_E_clISt17integral_constantIbLb1EES19_IbLb0EEEEDaS15_S16_EUlS15_E_NS1_11comp_targetILNS1_3genE10ELNS1_11target_archE1200ELNS1_3gpuE4ELNS1_3repE0EEENS1_30default_config_static_selectorELNS0_4arch9wavefront6targetE1EEEvT1_.num_agpr, 0
	.set _ZN7rocprim17ROCPRIM_400000_NS6detail17trampoline_kernelINS0_14default_configENS1_25partition_config_selectorILNS1_17partition_subalgoE8EyNS0_10empty_typeEbEEZZNS1_14partition_implILS5_8ELb0ES3_jN6thrust23THRUST_200600_302600_NS6detail15normal_iteratorINSA_10device_ptrIyEEEEPS6_PKS6_NS0_5tupleIJSF_S6_EEENSJ_IJSG_SG_EEENS0_18inequality_wrapperI22is_equal_div_10_uniqueIyEEEPmJS6_EEE10hipError_tPvRmT3_T4_T5_T6_T7_T9_mT8_P12ihipStream_tbDpT10_ENKUlT_T0_E_clISt17integral_constantIbLb1EES19_IbLb0EEEEDaS15_S16_EUlS15_E_NS1_11comp_targetILNS1_3genE10ELNS1_11target_archE1200ELNS1_3gpuE4ELNS1_3repE0EEENS1_30default_config_static_selectorELNS0_4arch9wavefront6targetE1EEEvT1_.numbered_sgpr, 0
	.set _ZN7rocprim17ROCPRIM_400000_NS6detail17trampoline_kernelINS0_14default_configENS1_25partition_config_selectorILNS1_17partition_subalgoE8EyNS0_10empty_typeEbEEZZNS1_14partition_implILS5_8ELb0ES3_jN6thrust23THRUST_200600_302600_NS6detail15normal_iteratorINSA_10device_ptrIyEEEEPS6_PKS6_NS0_5tupleIJSF_S6_EEENSJ_IJSG_SG_EEENS0_18inequality_wrapperI22is_equal_div_10_uniqueIyEEEPmJS6_EEE10hipError_tPvRmT3_T4_T5_T6_T7_T9_mT8_P12ihipStream_tbDpT10_ENKUlT_T0_E_clISt17integral_constantIbLb1EES19_IbLb0EEEEDaS15_S16_EUlS15_E_NS1_11comp_targetILNS1_3genE10ELNS1_11target_archE1200ELNS1_3gpuE4ELNS1_3repE0EEENS1_30default_config_static_selectorELNS0_4arch9wavefront6targetE1EEEvT1_.num_named_barrier, 0
	.set _ZN7rocprim17ROCPRIM_400000_NS6detail17trampoline_kernelINS0_14default_configENS1_25partition_config_selectorILNS1_17partition_subalgoE8EyNS0_10empty_typeEbEEZZNS1_14partition_implILS5_8ELb0ES3_jN6thrust23THRUST_200600_302600_NS6detail15normal_iteratorINSA_10device_ptrIyEEEEPS6_PKS6_NS0_5tupleIJSF_S6_EEENSJ_IJSG_SG_EEENS0_18inequality_wrapperI22is_equal_div_10_uniqueIyEEEPmJS6_EEE10hipError_tPvRmT3_T4_T5_T6_T7_T9_mT8_P12ihipStream_tbDpT10_ENKUlT_T0_E_clISt17integral_constantIbLb1EES19_IbLb0EEEEDaS15_S16_EUlS15_E_NS1_11comp_targetILNS1_3genE10ELNS1_11target_archE1200ELNS1_3gpuE4ELNS1_3repE0EEENS1_30default_config_static_selectorELNS0_4arch9wavefront6targetE1EEEvT1_.private_seg_size, 0
	.set _ZN7rocprim17ROCPRIM_400000_NS6detail17trampoline_kernelINS0_14default_configENS1_25partition_config_selectorILNS1_17partition_subalgoE8EyNS0_10empty_typeEbEEZZNS1_14partition_implILS5_8ELb0ES3_jN6thrust23THRUST_200600_302600_NS6detail15normal_iteratorINSA_10device_ptrIyEEEEPS6_PKS6_NS0_5tupleIJSF_S6_EEENSJ_IJSG_SG_EEENS0_18inequality_wrapperI22is_equal_div_10_uniqueIyEEEPmJS6_EEE10hipError_tPvRmT3_T4_T5_T6_T7_T9_mT8_P12ihipStream_tbDpT10_ENKUlT_T0_E_clISt17integral_constantIbLb1EES19_IbLb0EEEEDaS15_S16_EUlS15_E_NS1_11comp_targetILNS1_3genE10ELNS1_11target_archE1200ELNS1_3gpuE4ELNS1_3repE0EEENS1_30default_config_static_selectorELNS0_4arch9wavefront6targetE1EEEvT1_.uses_vcc, 0
	.set _ZN7rocprim17ROCPRIM_400000_NS6detail17trampoline_kernelINS0_14default_configENS1_25partition_config_selectorILNS1_17partition_subalgoE8EyNS0_10empty_typeEbEEZZNS1_14partition_implILS5_8ELb0ES3_jN6thrust23THRUST_200600_302600_NS6detail15normal_iteratorINSA_10device_ptrIyEEEEPS6_PKS6_NS0_5tupleIJSF_S6_EEENSJ_IJSG_SG_EEENS0_18inequality_wrapperI22is_equal_div_10_uniqueIyEEEPmJS6_EEE10hipError_tPvRmT3_T4_T5_T6_T7_T9_mT8_P12ihipStream_tbDpT10_ENKUlT_T0_E_clISt17integral_constantIbLb1EES19_IbLb0EEEEDaS15_S16_EUlS15_E_NS1_11comp_targetILNS1_3genE10ELNS1_11target_archE1200ELNS1_3gpuE4ELNS1_3repE0EEENS1_30default_config_static_selectorELNS0_4arch9wavefront6targetE1EEEvT1_.uses_flat_scratch, 0
	.set _ZN7rocprim17ROCPRIM_400000_NS6detail17trampoline_kernelINS0_14default_configENS1_25partition_config_selectorILNS1_17partition_subalgoE8EyNS0_10empty_typeEbEEZZNS1_14partition_implILS5_8ELb0ES3_jN6thrust23THRUST_200600_302600_NS6detail15normal_iteratorINSA_10device_ptrIyEEEEPS6_PKS6_NS0_5tupleIJSF_S6_EEENSJ_IJSG_SG_EEENS0_18inequality_wrapperI22is_equal_div_10_uniqueIyEEEPmJS6_EEE10hipError_tPvRmT3_T4_T5_T6_T7_T9_mT8_P12ihipStream_tbDpT10_ENKUlT_T0_E_clISt17integral_constantIbLb1EES19_IbLb0EEEEDaS15_S16_EUlS15_E_NS1_11comp_targetILNS1_3genE10ELNS1_11target_archE1200ELNS1_3gpuE4ELNS1_3repE0EEENS1_30default_config_static_selectorELNS0_4arch9wavefront6targetE1EEEvT1_.has_dyn_sized_stack, 0
	.set _ZN7rocprim17ROCPRIM_400000_NS6detail17trampoline_kernelINS0_14default_configENS1_25partition_config_selectorILNS1_17partition_subalgoE8EyNS0_10empty_typeEbEEZZNS1_14partition_implILS5_8ELb0ES3_jN6thrust23THRUST_200600_302600_NS6detail15normal_iteratorINSA_10device_ptrIyEEEEPS6_PKS6_NS0_5tupleIJSF_S6_EEENSJ_IJSG_SG_EEENS0_18inequality_wrapperI22is_equal_div_10_uniqueIyEEEPmJS6_EEE10hipError_tPvRmT3_T4_T5_T6_T7_T9_mT8_P12ihipStream_tbDpT10_ENKUlT_T0_E_clISt17integral_constantIbLb1EES19_IbLb0EEEEDaS15_S16_EUlS15_E_NS1_11comp_targetILNS1_3genE10ELNS1_11target_archE1200ELNS1_3gpuE4ELNS1_3repE0EEENS1_30default_config_static_selectorELNS0_4arch9wavefront6targetE1EEEvT1_.has_recursion, 0
	.set _ZN7rocprim17ROCPRIM_400000_NS6detail17trampoline_kernelINS0_14default_configENS1_25partition_config_selectorILNS1_17partition_subalgoE8EyNS0_10empty_typeEbEEZZNS1_14partition_implILS5_8ELb0ES3_jN6thrust23THRUST_200600_302600_NS6detail15normal_iteratorINSA_10device_ptrIyEEEEPS6_PKS6_NS0_5tupleIJSF_S6_EEENSJ_IJSG_SG_EEENS0_18inequality_wrapperI22is_equal_div_10_uniqueIyEEEPmJS6_EEE10hipError_tPvRmT3_T4_T5_T6_T7_T9_mT8_P12ihipStream_tbDpT10_ENKUlT_T0_E_clISt17integral_constantIbLb1EES19_IbLb0EEEEDaS15_S16_EUlS15_E_NS1_11comp_targetILNS1_3genE10ELNS1_11target_archE1200ELNS1_3gpuE4ELNS1_3repE0EEENS1_30default_config_static_selectorELNS0_4arch9wavefront6targetE1EEEvT1_.has_indirect_call, 0
	.section	.AMDGPU.csdata,"",@progbits
; Kernel info:
; codeLenInByte = 0
; TotalNumSgprs: 4
; NumVgprs: 0
; ScratchSize: 0
; MemoryBound: 0
; FloatMode: 240
; IeeeMode: 1
; LDSByteSize: 0 bytes/workgroup (compile time only)
; SGPRBlocks: 0
; VGPRBlocks: 0
; NumSGPRsForWavesPerEU: 4
; NumVGPRsForWavesPerEU: 1
; Occupancy: 10
; WaveLimiterHint : 0
; COMPUTE_PGM_RSRC2:SCRATCH_EN: 0
; COMPUTE_PGM_RSRC2:USER_SGPR: 6
; COMPUTE_PGM_RSRC2:TRAP_HANDLER: 0
; COMPUTE_PGM_RSRC2:TGID_X_EN: 1
; COMPUTE_PGM_RSRC2:TGID_Y_EN: 0
; COMPUTE_PGM_RSRC2:TGID_Z_EN: 0
; COMPUTE_PGM_RSRC2:TIDIG_COMP_CNT: 0
	.section	.text._ZN7rocprim17ROCPRIM_400000_NS6detail17trampoline_kernelINS0_14default_configENS1_25partition_config_selectorILNS1_17partition_subalgoE8EyNS0_10empty_typeEbEEZZNS1_14partition_implILS5_8ELb0ES3_jN6thrust23THRUST_200600_302600_NS6detail15normal_iteratorINSA_10device_ptrIyEEEEPS6_PKS6_NS0_5tupleIJSF_S6_EEENSJ_IJSG_SG_EEENS0_18inequality_wrapperI22is_equal_div_10_uniqueIyEEEPmJS6_EEE10hipError_tPvRmT3_T4_T5_T6_T7_T9_mT8_P12ihipStream_tbDpT10_ENKUlT_T0_E_clISt17integral_constantIbLb1EES19_IbLb0EEEEDaS15_S16_EUlS15_E_NS1_11comp_targetILNS1_3genE9ELNS1_11target_archE1100ELNS1_3gpuE3ELNS1_3repE0EEENS1_30default_config_static_selectorELNS0_4arch9wavefront6targetE1EEEvT1_,"axG",@progbits,_ZN7rocprim17ROCPRIM_400000_NS6detail17trampoline_kernelINS0_14default_configENS1_25partition_config_selectorILNS1_17partition_subalgoE8EyNS0_10empty_typeEbEEZZNS1_14partition_implILS5_8ELb0ES3_jN6thrust23THRUST_200600_302600_NS6detail15normal_iteratorINSA_10device_ptrIyEEEEPS6_PKS6_NS0_5tupleIJSF_S6_EEENSJ_IJSG_SG_EEENS0_18inequality_wrapperI22is_equal_div_10_uniqueIyEEEPmJS6_EEE10hipError_tPvRmT3_T4_T5_T6_T7_T9_mT8_P12ihipStream_tbDpT10_ENKUlT_T0_E_clISt17integral_constantIbLb1EES19_IbLb0EEEEDaS15_S16_EUlS15_E_NS1_11comp_targetILNS1_3genE9ELNS1_11target_archE1100ELNS1_3gpuE3ELNS1_3repE0EEENS1_30default_config_static_selectorELNS0_4arch9wavefront6targetE1EEEvT1_,comdat
	.protected	_ZN7rocprim17ROCPRIM_400000_NS6detail17trampoline_kernelINS0_14default_configENS1_25partition_config_selectorILNS1_17partition_subalgoE8EyNS0_10empty_typeEbEEZZNS1_14partition_implILS5_8ELb0ES3_jN6thrust23THRUST_200600_302600_NS6detail15normal_iteratorINSA_10device_ptrIyEEEEPS6_PKS6_NS0_5tupleIJSF_S6_EEENSJ_IJSG_SG_EEENS0_18inequality_wrapperI22is_equal_div_10_uniqueIyEEEPmJS6_EEE10hipError_tPvRmT3_T4_T5_T6_T7_T9_mT8_P12ihipStream_tbDpT10_ENKUlT_T0_E_clISt17integral_constantIbLb1EES19_IbLb0EEEEDaS15_S16_EUlS15_E_NS1_11comp_targetILNS1_3genE9ELNS1_11target_archE1100ELNS1_3gpuE3ELNS1_3repE0EEENS1_30default_config_static_selectorELNS0_4arch9wavefront6targetE1EEEvT1_ ; -- Begin function _ZN7rocprim17ROCPRIM_400000_NS6detail17trampoline_kernelINS0_14default_configENS1_25partition_config_selectorILNS1_17partition_subalgoE8EyNS0_10empty_typeEbEEZZNS1_14partition_implILS5_8ELb0ES3_jN6thrust23THRUST_200600_302600_NS6detail15normal_iteratorINSA_10device_ptrIyEEEEPS6_PKS6_NS0_5tupleIJSF_S6_EEENSJ_IJSG_SG_EEENS0_18inequality_wrapperI22is_equal_div_10_uniqueIyEEEPmJS6_EEE10hipError_tPvRmT3_T4_T5_T6_T7_T9_mT8_P12ihipStream_tbDpT10_ENKUlT_T0_E_clISt17integral_constantIbLb1EES19_IbLb0EEEEDaS15_S16_EUlS15_E_NS1_11comp_targetILNS1_3genE9ELNS1_11target_archE1100ELNS1_3gpuE3ELNS1_3repE0EEENS1_30default_config_static_selectorELNS0_4arch9wavefront6targetE1EEEvT1_
	.globl	_ZN7rocprim17ROCPRIM_400000_NS6detail17trampoline_kernelINS0_14default_configENS1_25partition_config_selectorILNS1_17partition_subalgoE8EyNS0_10empty_typeEbEEZZNS1_14partition_implILS5_8ELb0ES3_jN6thrust23THRUST_200600_302600_NS6detail15normal_iteratorINSA_10device_ptrIyEEEEPS6_PKS6_NS0_5tupleIJSF_S6_EEENSJ_IJSG_SG_EEENS0_18inequality_wrapperI22is_equal_div_10_uniqueIyEEEPmJS6_EEE10hipError_tPvRmT3_T4_T5_T6_T7_T9_mT8_P12ihipStream_tbDpT10_ENKUlT_T0_E_clISt17integral_constantIbLb1EES19_IbLb0EEEEDaS15_S16_EUlS15_E_NS1_11comp_targetILNS1_3genE9ELNS1_11target_archE1100ELNS1_3gpuE3ELNS1_3repE0EEENS1_30default_config_static_selectorELNS0_4arch9wavefront6targetE1EEEvT1_
	.p2align	8
	.type	_ZN7rocprim17ROCPRIM_400000_NS6detail17trampoline_kernelINS0_14default_configENS1_25partition_config_selectorILNS1_17partition_subalgoE8EyNS0_10empty_typeEbEEZZNS1_14partition_implILS5_8ELb0ES3_jN6thrust23THRUST_200600_302600_NS6detail15normal_iteratorINSA_10device_ptrIyEEEEPS6_PKS6_NS0_5tupleIJSF_S6_EEENSJ_IJSG_SG_EEENS0_18inequality_wrapperI22is_equal_div_10_uniqueIyEEEPmJS6_EEE10hipError_tPvRmT3_T4_T5_T6_T7_T9_mT8_P12ihipStream_tbDpT10_ENKUlT_T0_E_clISt17integral_constantIbLb1EES19_IbLb0EEEEDaS15_S16_EUlS15_E_NS1_11comp_targetILNS1_3genE9ELNS1_11target_archE1100ELNS1_3gpuE3ELNS1_3repE0EEENS1_30default_config_static_selectorELNS0_4arch9wavefront6targetE1EEEvT1_,@function
_ZN7rocprim17ROCPRIM_400000_NS6detail17trampoline_kernelINS0_14default_configENS1_25partition_config_selectorILNS1_17partition_subalgoE8EyNS0_10empty_typeEbEEZZNS1_14partition_implILS5_8ELb0ES3_jN6thrust23THRUST_200600_302600_NS6detail15normal_iteratorINSA_10device_ptrIyEEEEPS6_PKS6_NS0_5tupleIJSF_S6_EEENSJ_IJSG_SG_EEENS0_18inequality_wrapperI22is_equal_div_10_uniqueIyEEEPmJS6_EEE10hipError_tPvRmT3_T4_T5_T6_T7_T9_mT8_P12ihipStream_tbDpT10_ENKUlT_T0_E_clISt17integral_constantIbLb1EES19_IbLb0EEEEDaS15_S16_EUlS15_E_NS1_11comp_targetILNS1_3genE9ELNS1_11target_archE1100ELNS1_3gpuE3ELNS1_3repE0EEENS1_30default_config_static_selectorELNS0_4arch9wavefront6targetE1EEEvT1_: ; @_ZN7rocprim17ROCPRIM_400000_NS6detail17trampoline_kernelINS0_14default_configENS1_25partition_config_selectorILNS1_17partition_subalgoE8EyNS0_10empty_typeEbEEZZNS1_14partition_implILS5_8ELb0ES3_jN6thrust23THRUST_200600_302600_NS6detail15normal_iteratorINSA_10device_ptrIyEEEEPS6_PKS6_NS0_5tupleIJSF_S6_EEENSJ_IJSG_SG_EEENS0_18inequality_wrapperI22is_equal_div_10_uniqueIyEEEPmJS6_EEE10hipError_tPvRmT3_T4_T5_T6_T7_T9_mT8_P12ihipStream_tbDpT10_ENKUlT_T0_E_clISt17integral_constantIbLb1EES19_IbLb0EEEEDaS15_S16_EUlS15_E_NS1_11comp_targetILNS1_3genE9ELNS1_11target_archE1100ELNS1_3gpuE3ELNS1_3repE0EEENS1_30default_config_static_selectorELNS0_4arch9wavefront6targetE1EEEvT1_
; %bb.0:
	.section	.rodata,"a",@progbits
	.p2align	6, 0x0
	.amdhsa_kernel _ZN7rocprim17ROCPRIM_400000_NS6detail17trampoline_kernelINS0_14default_configENS1_25partition_config_selectorILNS1_17partition_subalgoE8EyNS0_10empty_typeEbEEZZNS1_14partition_implILS5_8ELb0ES3_jN6thrust23THRUST_200600_302600_NS6detail15normal_iteratorINSA_10device_ptrIyEEEEPS6_PKS6_NS0_5tupleIJSF_S6_EEENSJ_IJSG_SG_EEENS0_18inequality_wrapperI22is_equal_div_10_uniqueIyEEEPmJS6_EEE10hipError_tPvRmT3_T4_T5_T6_T7_T9_mT8_P12ihipStream_tbDpT10_ENKUlT_T0_E_clISt17integral_constantIbLb1EES19_IbLb0EEEEDaS15_S16_EUlS15_E_NS1_11comp_targetILNS1_3genE9ELNS1_11target_archE1100ELNS1_3gpuE3ELNS1_3repE0EEENS1_30default_config_static_selectorELNS0_4arch9wavefront6targetE1EEEvT1_
		.amdhsa_group_segment_fixed_size 0
		.amdhsa_private_segment_fixed_size 0
		.amdhsa_kernarg_size 112
		.amdhsa_user_sgpr_count 6
		.amdhsa_user_sgpr_private_segment_buffer 1
		.amdhsa_user_sgpr_dispatch_ptr 0
		.amdhsa_user_sgpr_queue_ptr 0
		.amdhsa_user_sgpr_kernarg_segment_ptr 1
		.amdhsa_user_sgpr_dispatch_id 0
		.amdhsa_user_sgpr_flat_scratch_init 0
		.amdhsa_user_sgpr_private_segment_size 0
		.amdhsa_uses_dynamic_stack 0
		.amdhsa_system_sgpr_private_segment_wavefront_offset 0
		.amdhsa_system_sgpr_workgroup_id_x 1
		.amdhsa_system_sgpr_workgroup_id_y 0
		.amdhsa_system_sgpr_workgroup_id_z 0
		.amdhsa_system_sgpr_workgroup_info 0
		.amdhsa_system_vgpr_workitem_id 0
		.amdhsa_next_free_vgpr 1
		.amdhsa_next_free_sgpr 0
		.amdhsa_reserve_vcc 0
		.amdhsa_reserve_flat_scratch 0
		.amdhsa_float_round_mode_32 0
		.amdhsa_float_round_mode_16_64 0
		.amdhsa_float_denorm_mode_32 3
		.amdhsa_float_denorm_mode_16_64 3
		.amdhsa_dx10_clamp 1
		.amdhsa_ieee_mode 1
		.amdhsa_fp16_overflow 0
		.amdhsa_exception_fp_ieee_invalid_op 0
		.amdhsa_exception_fp_denorm_src 0
		.amdhsa_exception_fp_ieee_div_zero 0
		.amdhsa_exception_fp_ieee_overflow 0
		.amdhsa_exception_fp_ieee_underflow 0
		.amdhsa_exception_fp_ieee_inexact 0
		.amdhsa_exception_int_div_zero 0
	.end_amdhsa_kernel
	.section	.text._ZN7rocprim17ROCPRIM_400000_NS6detail17trampoline_kernelINS0_14default_configENS1_25partition_config_selectorILNS1_17partition_subalgoE8EyNS0_10empty_typeEbEEZZNS1_14partition_implILS5_8ELb0ES3_jN6thrust23THRUST_200600_302600_NS6detail15normal_iteratorINSA_10device_ptrIyEEEEPS6_PKS6_NS0_5tupleIJSF_S6_EEENSJ_IJSG_SG_EEENS0_18inequality_wrapperI22is_equal_div_10_uniqueIyEEEPmJS6_EEE10hipError_tPvRmT3_T4_T5_T6_T7_T9_mT8_P12ihipStream_tbDpT10_ENKUlT_T0_E_clISt17integral_constantIbLb1EES19_IbLb0EEEEDaS15_S16_EUlS15_E_NS1_11comp_targetILNS1_3genE9ELNS1_11target_archE1100ELNS1_3gpuE3ELNS1_3repE0EEENS1_30default_config_static_selectorELNS0_4arch9wavefront6targetE1EEEvT1_,"axG",@progbits,_ZN7rocprim17ROCPRIM_400000_NS6detail17trampoline_kernelINS0_14default_configENS1_25partition_config_selectorILNS1_17partition_subalgoE8EyNS0_10empty_typeEbEEZZNS1_14partition_implILS5_8ELb0ES3_jN6thrust23THRUST_200600_302600_NS6detail15normal_iteratorINSA_10device_ptrIyEEEEPS6_PKS6_NS0_5tupleIJSF_S6_EEENSJ_IJSG_SG_EEENS0_18inequality_wrapperI22is_equal_div_10_uniqueIyEEEPmJS6_EEE10hipError_tPvRmT3_T4_T5_T6_T7_T9_mT8_P12ihipStream_tbDpT10_ENKUlT_T0_E_clISt17integral_constantIbLb1EES19_IbLb0EEEEDaS15_S16_EUlS15_E_NS1_11comp_targetILNS1_3genE9ELNS1_11target_archE1100ELNS1_3gpuE3ELNS1_3repE0EEENS1_30default_config_static_selectorELNS0_4arch9wavefront6targetE1EEEvT1_,comdat
.Lfunc_end199:
	.size	_ZN7rocprim17ROCPRIM_400000_NS6detail17trampoline_kernelINS0_14default_configENS1_25partition_config_selectorILNS1_17partition_subalgoE8EyNS0_10empty_typeEbEEZZNS1_14partition_implILS5_8ELb0ES3_jN6thrust23THRUST_200600_302600_NS6detail15normal_iteratorINSA_10device_ptrIyEEEEPS6_PKS6_NS0_5tupleIJSF_S6_EEENSJ_IJSG_SG_EEENS0_18inequality_wrapperI22is_equal_div_10_uniqueIyEEEPmJS6_EEE10hipError_tPvRmT3_T4_T5_T6_T7_T9_mT8_P12ihipStream_tbDpT10_ENKUlT_T0_E_clISt17integral_constantIbLb1EES19_IbLb0EEEEDaS15_S16_EUlS15_E_NS1_11comp_targetILNS1_3genE9ELNS1_11target_archE1100ELNS1_3gpuE3ELNS1_3repE0EEENS1_30default_config_static_selectorELNS0_4arch9wavefront6targetE1EEEvT1_, .Lfunc_end199-_ZN7rocprim17ROCPRIM_400000_NS6detail17trampoline_kernelINS0_14default_configENS1_25partition_config_selectorILNS1_17partition_subalgoE8EyNS0_10empty_typeEbEEZZNS1_14partition_implILS5_8ELb0ES3_jN6thrust23THRUST_200600_302600_NS6detail15normal_iteratorINSA_10device_ptrIyEEEEPS6_PKS6_NS0_5tupleIJSF_S6_EEENSJ_IJSG_SG_EEENS0_18inequality_wrapperI22is_equal_div_10_uniqueIyEEEPmJS6_EEE10hipError_tPvRmT3_T4_T5_T6_T7_T9_mT8_P12ihipStream_tbDpT10_ENKUlT_T0_E_clISt17integral_constantIbLb1EES19_IbLb0EEEEDaS15_S16_EUlS15_E_NS1_11comp_targetILNS1_3genE9ELNS1_11target_archE1100ELNS1_3gpuE3ELNS1_3repE0EEENS1_30default_config_static_selectorELNS0_4arch9wavefront6targetE1EEEvT1_
                                        ; -- End function
	.set _ZN7rocprim17ROCPRIM_400000_NS6detail17trampoline_kernelINS0_14default_configENS1_25partition_config_selectorILNS1_17partition_subalgoE8EyNS0_10empty_typeEbEEZZNS1_14partition_implILS5_8ELb0ES3_jN6thrust23THRUST_200600_302600_NS6detail15normal_iteratorINSA_10device_ptrIyEEEEPS6_PKS6_NS0_5tupleIJSF_S6_EEENSJ_IJSG_SG_EEENS0_18inequality_wrapperI22is_equal_div_10_uniqueIyEEEPmJS6_EEE10hipError_tPvRmT3_T4_T5_T6_T7_T9_mT8_P12ihipStream_tbDpT10_ENKUlT_T0_E_clISt17integral_constantIbLb1EES19_IbLb0EEEEDaS15_S16_EUlS15_E_NS1_11comp_targetILNS1_3genE9ELNS1_11target_archE1100ELNS1_3gpuE3ELNS1_3repE0EEENS1_30default_config_static_selectorELNS0_4arch9wavefront6targetE1EEEvT1_.num_vgpr, 0
	.set _ZN7rocprim17ROCPRIM_400000_NS6detail17trampoline_kernelINS0_14default_configENS1_25partition_config_selectorILNS1_17partition_subalgoE8EyNS0_10empty_typeEbEEZZNS1_14partition_implILS5_8ELb0ES3_jN6thrust23THRUST_200600_302600_NS6detail15normal_iteratorINSA_10device_ptrIyEEEEPS6_PKS6_NS0_5tupleIJSF_S6_EEENSJ_IJSG_SG_EEENS0_18inequality_wrapperI22is_equal_div_10_uniqueIyEEEPmJS6_EEE10hipError_tPvRmT3_T4_T5_T6_T7_T9_mT8_P12ihipStream_tbDpT10_ENKUlT_T0_E_clISt17integral_constantIbLb1EES19_IbLb0EEEEDaS15_S16_EUlS15_E_NS1_11comp_targetILNS1_3genE9ELNS1_11target_archE1100ELNS1_3gpuE3ELNS1_3repE0EEENS1_30default_config_static_selectorELNS0_4arch9wavefront6targetE1EEEvT1_.num_agpr, 0
	.set _ZN7rocprim17ROCPRIM_400000_NS6detail17trampoline_kernelINS0_14default_configENS1_25partition_config_selectorILNS1_17partition_subalgoE8EyNS0_10empty_typeEbEEZZNS1_14partition_implILS5_8ELb0ES3_jN6thrust23THRUST_200600_302600_NS6detail15normal_iteratorINSA_10device_ptrIyEEEEPS6_PKS6_NS0_5tupleIJSF_S6_EEENSJ_IJSG_SG_EEENS0_18inequality_wrapperI22is_equal_div_10_uniqueIyEEEPmJS6_EEE10hipError_tPvRmT3_T4_T5_T6_T7_T9_mT8_P12ihipStream_tbDpT10_ENKUlT_T0_E_clISt17integral_constantIbLb1EES19_IbLb0EEEEDaS15_S16_EUlS15_E_NS1_11comp_targetILNS1_3genE9ELNS1_11target_archE1100ELNS1_3gpuE3ELNS1_3repE0EEENS1_30default_config_static_selectorELNS0_4arch9wavefront6targetE1EEEvT1_.numbered_sgpr, 0
	.set _ZN7rocprim17ROCPRIM_400000_NS6detail17trampoline_kernelINS0_14default_configENS1_25partition_config_selectorILNS1_17partition_subalgoE8EyNS0_10empty_typeEbEEZZNS1_14partition_implILS5_8ELb0ES3_jN6thrust23THRUST_200600_302600_NS6detail15normal_iteratorINSA_10device_ptrIyEEEEPS6_PKS6_NS0_5tupleIJSF_S6_EEENSJ_IJSG_SG_EEENS0_18inequality_wrapperI22is_equal_div_10_uniqueIyEEEPmJS6_EEE10hipError_tPvRmT3_T4_T5_T6_T7_T9_mT8_P12ihipStream_tbDpT10_ENKUlT_T0_E_clISt17integral_constantIbLb1EES19_IbLb0EEEEDaS15_S16_EUlS15_E_NS1_11comp_targetILNS1_3genE9ELNS1_11target_archE1100ELNS1_3gpuE3ELNS1_3repE0EEENS1_30default_config_static_selectorELNS0_4arch9wavefront6targetE1EEEvT1_.num_named_barrier, 0
	.set _ZN7rocprim17ROCPRIM_400000_NS6detail17trampoline_kernelINS0_14default_configENS1_25partition_config_selectorILNS1_17partition_subalgoE8EyNS0_10empty_typeEbEEZZNS1_14partition_implILS5_8ELb0ES3_jN6thrust23THRUST_200600_302600_NS6detail15normal_iteratorINSA_10device_ptrIyEEEEPS6_PKS6_NS0_5tupleIJSF_S6_EEENSJ_IJSG_SG_EEENS0_18inequality_wrapperI22is_equal_div_10_uniqueIyEEEPmJS6_EEE10hipError_tPvRmT3_T4_T5_T6_T7_T9_mT8_P12ihipStream_tbDpT10_ENKUlT_T0_E_clISt17integral_constantIbLb1EES19_IbLb0EEEEDaS15_S16_EUlS15_E_NS1_11comp_targetILNS1_3genE9ELNS1_11target_archE1100ELNS1_3gpuE3ELNS1_3repE0EEENS1_30default_config_static_selectorELNS0_4arch9wavefront6targetE1EEEvT1_.private_seg_size, 0
	.set _ZN7rocprim17ROCPRIM_400000_NS6detail17trampoline_kernelINS0_14default_configENS1_25partition_config_selectorILNS1_17partition_subalgoE8EyNS0_10empty_typeEbEEZZNS1_14partition_implILS5_8ELb0ES3_jN6thrust23THRUST_200600_302600_NS6detail15normal_iteratorINSA_10device_ptrIyEEEEPS6_PKS6_NS0_5tupleIJSF_S6_EEENSJ_IJSG_SG_EEENS0_18inequality_wrapperI22is_equal_div_10_uniqueIyEEEPmJS6_EEE10hipError_tPvRmT3_T4_T5_T6_T7_T9_mT8_P12ihipStream_tbDpT10_ENKUlT_T0_E_clISt17integral_constantIbLb1EES19_IbLb0EEEEDaS15_S16_EUlS15_E_NS1_11comp_targetILNS1_3genE9ELNS1_11target_archE1100ELNS1_3gpuE3ELNS1_3repE0EEENS1_30default_config_static_selectorELNS0_4arch9wavefront6targetE1EEEvT1_.uses_vcc, 0
	.set _ZN7rocprim17ROCPRIM_400000_NS6detail17trampoline_kernelINS0_14default_configENS1_25partition_config_selectorILNS1_17partition_subalgoE8EyNS0_10empty_typeEbEEZZNS1_14partition_implILS5_8ELb0ES3_jN6thrust23THRUST_200600_302600_NS6detail15normal_iteratorINSA_10device_ptrIyEEEEPS6_PKS6_NS0_5tupleIJSF_S6_EEENSJ_IJSG_SG_EEENS0_18inequality_wrapperI22is_equal_div_10_uniqueIyEEEPmJS6_EEE10hipError_tPvRmT3_T4_T5_T6_T7_T9_mT8_P12ihipStream_tbDpT10_ENKUlT_T0_E_clISt17integral_constantIbLb1EES19_IbLb0EEEEDaS15_S16_EUlS15_E_NS1_11comp_targetILNS1_3genE9ELNS1_11target_archE1100ELNS1_3gpuE3ELNS1_3repE0EEENS1_30default_config_static_selectorELNS0_4arch9wavefront6targetE1EEEvT1_.uses_flat_scratch, 0
	.set _ZN7rocprim17ROCPRIM_400000_NS6detail17trampoline_kernelINS0_14default_configENS1_25partition_config_selectorILNS1_17partition_subalgoE8EyNS0_10empty_typeEbEEZZNS1_14partition_implILS5_8ELb0ES3_jN6thrust23THRUST_200600_302600_NS6detail15normal_iteratorINSA_10device_ptrIyEEEEPS6_PKS6_NS0_5tupleIJSF_S6_EEENSJ_IJSG_SG_EEENS0_18inequality_wrapperI22is_equal_div_10_uniqueIyEEEPmJS6_EEE10hipError_tPvRmT3_T4_T5_T6_T7_T9_mT8_P12ihipStream_tbDpT10_ENKUlT_T0_E_clISt17integral_constantIbLb1EES19_IbLb0EEEEDaS15_S16_EUlS15_E_NS1_11comp_targetILNS1_3genE9ELNS1_11target_archE1100ELNS1_3gpuE3ELNS1_3repE0EEENS1_30default_config_static_selectorELNS0_4arch9wavefront6targetE1EEEvT1_.has_dyn_sized_stack, 0
	.set _ZN7rocprim17ROCPRIM_400000_NS6detail17trampoline_kernelINS0_14default_configENS1_25partition_config_selectorILNS1_17partition_subalgoE8EyNS0_10empty_typeEbEEZZNS1_14partition_implILS5_8ELb0ES3_jN6thrust23THRUST_200600_302600_NS6detail15normal_iteratorINSA_10device_ptrIyEEEEPS6_PKS6_NS0_5tupleIJSF_S6_EEENSJ_IJSG_SG_EEENS0_18inequality_wrapperI22is_equal_div_10_uniqueIyEEEPmJS6_EEE10hipError_tPvRmT3_T4_T5_T6_T7_T9_mT8_P12ihipStream_tbDpT10_ENKUlT_T0_E_clISt17integral_constantIbLb1EES19_IbLb0EEEEDaS15_S16_EUlS15_E_NS1_11comp_targetILNS1_3genE9ELNS1_11target_archE1100ELNS1_3gpuE3ELNS1_3repE0EEENS1_30default_config_static_selectorELNS0_4arch9wavefront6targetE1EEEvT1_.has_recursion, 0
	.set _ZN7rocprim17ROCPRIM_400000_NS6detail17trampoline_kernelINS0_14default_configENS1_25partition_config_selectorILNS1_17partition_subalgoE8EyNS0_10empty_typeEbEEZZNS1_14partition_implILS5_8ELb0ES3_jN6thrust23THRUST_200600_302600_NS6detail15normal_iteratorINSA_10device_ptrIyEEEEPS6_PKS6_NS0_5tupleIJSF_S6_EEENSJ_IJSG_SG_EEENS0_18inequality_wrapperI22is_equal_div_10_uniqueIyEEEPmJS6_EEE10hipError_tPvRmT3_T4_T5_T6_T7_T9_mT8_P12ihipStream_tbDpT10_ENKUlT_T0_E_clISt17integral_constantIbLb1EES19_IbLb0EEEEDaS15_S16_EUlS15_E_NS1_11comp_targetILNS1_3genE9ELNS1_11target_archE1100ELNS1_3gpuE3ELNS1_3repE0EEENS1_30default_config_static_selectorELNS0_4arch9wavefront6targetE1EEEvT1_.has_indirect_call, 0
	.section	.AMDGPU.csdata,"",@progbits
; Kernel info:
; codeLenInByte = 0
; TotalNumSgprs: 4
; NumVgprs: 0
; ScratchSize: 0
; MemoryBound: 0
; FloatMode: 240
; IeeeMode: 1
; LDSByteSize: 0 bytes/workgroup (compile time only)
; SGPRBlocks: 0
; VGPRBlocks: 0
; NumSGPRsForWavesPerEU: 4
; NumVGPRsForWavesPerEU: 1
; Occupancy: 10
; WaveLimiterHint : 0
; COMPUTE_PGM_RSRC2:SCRATCH_EN: 0
; COMPUTE_PGM_RSRC2:USER_SGPR: 6
; COMPUTE_PGM_RSRC2:TRAP_HANDLER: 0
; COMPUTE_PGM_RSRC2:TGID_X_EN: 1
; COMPUTE_PGM_RSRC2:TGID_Y_EN: 0
; COMPUTE_PGM_RSRC2:TGID_Z_EN: 0
; COMPUTE_PGM_RSRC2:TIDIG_COMP_CNT: 0
	.section	.text._ZN7rocprim17ROCPRIM_400000_NS6detail17trampoline_kernelINS0_14default_configENS1_25partition_config_selectorILNS1_17partition_subalgoE8EyNS0_10empty_typeEbEEZZNS1_14partition_implILS5_8ELb0ES3_jN6thrust23THRUST_200600_302600_NS6detail15normal_iteratorINSA_10device_ptrIyEEEEPS6_PKS6_NS0_5tupleIJSF_S6_EEENSJ_IJSG_SG_EEENS0_18inequality_wrapperI22is_equal_div_10_uniqueIyEEEPmJS6_EEE10hipError_tPvRmT3_T4_T5_T6_T7_T9_mT8_P12ihipStream_tbDpT10_ENKUlT_T0_E_clISt17integral_constantIbLb1EES19_IbLb0EEEEDaS15_S16_EUlS15_E_NS1_11comp_targetILNS1_3genE8ELNS1_11target_archE1030ELNS1_3gpuE2ELNS1_3repE0EEENS1_30default_config_static_selectorELNS0_4arch9wavefront6targetE1EEEvT1_,"axG",@progbits,_ZN7rocprim17ROCPRIM_400000_NS6detail17trampoline_kernelINS0_14default_configENS1_25partition_config_selectorILNS1_17partition_subalgoE8EyNS0_10empty_typeEbEEZZNS1_14partition_implILS5_8ELb0ES3_jN6thrust23THRUST_200600_302600_NS6detail15normal_iteratorINSA_10device_ptrIyEEEEPS6_PKS6_NS0_5tupleIJSF_S6_EEENSJ_IJSG_SG_EEENS0_18inequality_wrapperI22is_equal_div_10_uniqueIyEEEPmJS6_EEE10hipError_tPvRmT3_T4_T5_T6_T7_T9_mT8_P12ihipStream_tbDpT10_ENKUlT_T0_E_clISt17integral_constantIbLb1EES19_IbLb0EEEEDaS15_S16_EUlS15_E_NS1_11comp_targetILNS1_3genE8ELNS1_11target_archE1030ELNS1_3gpuE2ELNS1_3repE0EEENS1_30default_config_static_selectorELNS0_4arch9wavefront6targetE1EEEvT1_,comdat
	.protected	_ZN7rocprim17ROCPRIM_400000_NS6detail17trampoline_kernelINS0_14default_configENS1_25partition_config_selectorILNS1_17partition_subalgoE8EyNS0_10empty_typeEbEEZZNS1_14partition_implILS5_8ELb0ES3_jN6thrust23THRUST_200600_302600_NS6detail15normal_iteratorINSA_10device_ptrIyEEEEPS6_PKS6_NS0_5tupleIJSF_S6_EEENSJ_IJSG_SG_EEENS0_18inequality_wrapperI22is_equal_div_10_uniqueIyEEEPmJS6_EEE10hipError_tPvRmT3_T4_T5_T6_T7_T9_mT8_P12ihipStream_tbDpT10_ENKUlT_T0_E_clISt17integral_constantIbLb1EES19_IbLb0EEEEDaS15_S16_EUlS15_E_NS1_11comp_targetILNS1_3genE8ELNS1_11target_archE1030ELNS1_3gpuE2ELNS1_3repE0EEENS1_30default_config_static_selectorELNS0_4arch9wavefront6targetE1EEEvT1_ ; -- Begin function _ZN7rocprim17ROCPRIM_400000_NS6detail17trampoline_kernelINS0_14default_configENS1_25partition_config_selectorILNS1_17partition_subalgoE8EyNS0_10empty_typeEbEEZZNS1_14partition_implILS5_8ELb0ES3_jN6thrust23THRUST_200600_302600_NS6detail15normal_iteratorINSA_10device_ptrIyEEEEPS6_PKS6_NS0_5tupleIJSF_S6_EEENSJ_IJSG_SG_EEENS0_18inequality_wrapperI22is_equal_div_10_uniqueIyEEEPmJS6_EEE10hipError_tPvRmT3_T4_T5_T6_T7_T9_mT8_P12ihipStream_tbDpT10_ENKUlT_T0_E_clISt17integral_constantIbLb1EES19_IbLb0EEEEDaS15_S16_EUlS15_E_NS1_11comp_targetILNS1_3genE8ELNS1_11target_archE1030ELNS1_3gpuE2ELNS1_3repE0EEENS1_30default_config_static_selectorELNS0_4arch9wavefront6targetE1EEEvT1_
	.globl	_ZN7rocprim17ROCPRIM_400000_NS6detail17trampoline_kernelINS0_14default_configENS1_25partition_config_selectorILNS1_17partition_subalgoE8EyNS0_10empty_typeEbEEZZNS1_14partition_implILS5_8ELb0ES3_jN6thrust23THRUST_200600_302600_NS6detail15normal_iteratorINSA_10device_ptrIyEEEEPS6_PKS6_NS0_5tupleIJSF_S6_EEENSJ_IJSG_SG_EEENS0_18inequality_wrapperI22is_equal_div_10_uniqueIyEEEPmJS6_EEE10hipError_tPvRmT3_T4_T5_T6_T7_T9_mT8_P12ihipStream_tbDpT10_ENKUlT_T0_E_clISt17integral_constantIbLb1EES19_IbLb0EEEEDaS15_S16_EUlS15_E_NS1_11comp_targetILNS1_3genE8ELNS1_11target_archE1030ELNS1_3gpuE2ELNS1_3repE0EEENS1_30default_config_static_selectorELNS0_4arch9wavefront6targetE1EEEvT1_
	.p2align	8
	.type	_ZN7rocprim17ROCPRIM_400000_NS6detail17trampoline_kernelINS0_14default_configENS1_25partition_config_selectorILNS1_17partition_subalgoE8EyNS0_10empty_typeEbEEZZNS1_14partition_implILS5_8ELb0ES3_jN6thrust23THRUST_200600_302600_NS6detail15normal_iteratorINSA_10device_ptrIyEEEEPS6_PKS6_NS0_5tupleIJSF_S6_EEENSJ_IJSG_SG_EEENS0_18inequality_wrapperI22is_equal_div_10_uniqueIyEEEPmJS6_EEE10hipError_tPvRmT3_T4_T5_T6_T7_T9_mT8_P12ihipStream_tbDpT10_ENKUlT_T0_E_clISt17integral_constantIbLb1EES19_IbLb0EEEEDaS15_S16_EUlS15_E_NS1_11comp_targetILNS1_3genE8ELNS1_11target_archE1030ELNS1_3gpuE2ELNS1_3repE0EEENS1_30default_config_static_selectorELNS0_4arch9wavefront6targetE1EEEvT1_,@function
_ZN7rocprim17ROCPRIM_400000_NS6detail17trampoline_kernelINS0_14default_configENS1_25partition_config_selectorILNS1_17partition_subalgoE8EyNS0_10empty_typeEbEEZZNS1_14partition_implILS5_8ELb0ES3_jN6thrust23THRUST_200600_302600_NS6detail15normal_iteratorINSA_10device_ptrIyEEEEPS6_PKS6_NS0_5tupleIJSF_S6_EEENSJ_IJSG_SG_EEENS0_18inequality_wrapperI22is_equal_div_10_uniqueIyEEEPmJS6_EEE10hipError_tPvRmT3_T4_T5_T6_T7_T9_mT8_P12ihipStream_tbDpT10_ENKUlT_T0_E_clISt17integral_constantIbLb1EES19_IbLb0EEEEDaS15_S16_EUlS15_E_NS1_11comp_targetILNS1_3genE8ELNS1_11target_archE1030ELNS1_3gpuE2ELNS1_3repE0EEENS1_30default_config_static_selectorELNS0_4arch9wavefront6targetE1EEEvT1_: ; @_ZN7rocprim17ROCPRIM_400000_NS6detail17trampoline_kernelINS0_14default_configENS1_25partition_config_selectorILNS1_17partition_subalgoE8EyNS0_10empty_typeEbEEZZNS1_14partition_implILS5_8ELb0ES3_jN6thrust23THRUST_200600_302600_NS6detail15normal_iteratorINSA_10device_ptrIyEEEEPS6_PKS6_NS0_5tupleIJSF_S6_EEENSJ_IJSG_SG_EEENS0_18inequality_wrapperI22is_equal_div_10_uniqueIyEEEPmJS6_EEE10hipError_tPvRmT3_T4_T5_T6_T7_T9_mT8_P12ihipStream_tbDpT10_ENKUlT_T0_E_clISt17integral_constantIbLb1EES19_IbLb0EEEEDaS15_S16_EUlS15_E_NS1_11comp_targetILNS1_3genE8ELNS1_11target_archE1030ELNS1_3gpuE2ELNS1_3repE0EEENS1_30default_config_static_selectorELNS0_4arch9wavefront6targetE1EEEvT1_
; %bb.0:
	.section	.rodata,"a",@progbits
	.p2align	6, 0x0
	.amdhsa_kernel _ZN7rocprim17ROCPRIM_400000_NS6detail17trampoline_kernelINS0_14default_configENS1_25partition_config_selectorILNS1_17partition_subalgoE8EyNS0_10empty_typeEbEEZZNS1_14partition_implILS5_8ELb0ES3_jN6thrust23THRUST_200600_302600_NS6detail15normal_iteratorINSA_10device_ptrIyEEEEPS6_PKS6_NS0_5tupleIJSF_S6_EEENSJ_IJSG_SG_EEENS0_18inequality_wrapperI22is_equal_div_10_uniqueIyEEEPmJS6_EEE10hipError_tPvRmT3_T4_T5_T6_T7_T9_mT8_P12ihipStream_tbDpT10_ENKUlT_T0_E_clISt17integral_constantIbLb1EES19_IbLb0EEEEDaS15_S16_EUlS15_E_NS1_11comp_targetILNS1_3genE8ELNS1_11target_archE1030ELNS1_3gpuE2ELNS1_3repE0EEENS1_30default_config_static_selectorELNS0_4arch9wavefront6targetE1EEEvT1_
		.amdhsa_group_segment_fixed_size 0
		.amdhsa_private_segment_fixed_size 0
		.amdhsa_kernarg_size 112
		.amdhsa_user_sgpr_count 6
		.amdhsa_user_sgpr_private_segment_buffer 1
		.amdhsa_user_sgpr_dispatch_ptr 0
		.amdhsa_user_sgpr_queue_ptr 0
		.amdhsa_user_sgpr_kernarg_segment_ptr 1
		.amdhsa_user_sgpr_dispatch_id 0
		.amdhsa_user_sgpr_flat_scratch_init 0
		.amdhsa_user_sgpr_private_segment_size 0
		.amdhsa_uses_dynamic_stack 0
		.amdhsa_system_sgpr_private_segment_wavefront_offset 0
		.amdhsa_system_sgpr_workgroup_id_x 1
		.amdhsa_system_sgpr_workgroup_id_y 0
		.amdhsa_system_sgpr_workgroup_id_z 0
		.amdhsa_system_sgpr_workgroup_info 0
		.amdhsa_system_vgpr_workitem_id 0
		.amdhsa_next_free_vgpr 1
		.amdhsa_next_free_sgpr 0
		.amdhsa_reserve_vcc 0
		.amdhsa_reserve_flat_scratch 0
		.amdhsa_float_round_mode_32 0
		.amdhsa_float_round_mode_16_64 0
		.amdhsa_float_denorm_mode_32 3
		.amdhsa_float_denorm_mode_16_64 3
		.amdhsa_dx10_clamp 1
		.amdhsa_ieee_mode 1
		.amdhsa_fp16_overflow 0
		.amdhsa_exception_fp_ieee_invalid_op 0
		.amdhsa_exception_fp_denorm_src 0
		.amdhsa_exception_fp_ieee_div_zero 0
		.amdhsa_exception_fp_ieee_overflow 0
		.amdhsa_exception_fp_ieee_underflow 0
		.amdhsa_exception_fp_ieee_inexact 0
		.amdhsa_exception_int_div_zero 0
	.end_amdhsa_kernel
	.section	.text._ZN7rocprim17ROCPRIM_400000_NS6detail17trampoline_kernelINS0_14default_configENS1_25partition_config_selectorILNS1_17partition_subalgoE8EyNS0_10empty_typeEbEEZZNS1_14partition_implILS5_8ELb0ES3_jN6thrust23THRUST_200600_302600_NS6detail15normal_iteratorINSA_10device_ptrIyEEEEPS6_PKS6_NS0_5tupleIJSF_S6_EEENSJ_IJSG_SG_EEENS0_18inequality_wrapperI22is_equal_div_10_uniqueIyEEEPmJS6_EEE10hipError_tPvRmT3_T4_T5_T6_T7_T9_mT8_P12ihipStream_tbDpT10_ENKUlT_T0_E_clISt17integral_constantIbLb1EES19_IbLb0EEEEDaS15_S16_EUlS15_E_NS1_11comp_targetILNS1_3genE8ELNS1_11target_archE1030ELNS1_3gpuE2ELNS1_3repE0EEENS1_30default_config_static_selectorELNS0_4arch9wavefront6targetE1EEEvT1_,"axG",@progbits,_ZN7rocprim17ROCPRIM_400000_NS6detail17trampoline_kernelINS0_14default_configENS1_25partition_config_selectorILNS1_17partition_subalgoE8EyNS0_10empty_typeEbEEZZNS1_14partition_implILS5_8ELb0ES3_jN6thrust23THRUST_200600_302600_NS6detail15normal_iteratorINSA_10device_ptrIyEEEEPS6_PKS6_NS0_5tupleIJSF_S6_EEENSJ_IJSG_SG_EEENS0_18inequality_wrapperI22is_equal_div_10_uniqueIyEEEPmJS6_EEE10hipError_tPvRmT3_T4_T5_T6_T7_T9_mT8_P12ihipStream_tbDpT10_ENKUlT_T0_E_clISt17integral_constantIbLb1EES19_IbLb0EEEEDaS15_S16_EUlS15_E_NS1_11comp_targetILNS1_3genE8ELNS1_11target_archE1030ELNS1_3gpuE2ELNS1_3repE0EEENS1_30default_config_static_selectorELNS0_4arch9wavefront6targetE1EEEvT1_,comdat
.Lfunc_end200:
	.size	_ZN7rocprim17ROCPRIM_400000_NS6detail17trampoline_kernelINS0_14default_configENS1_25partition_config_selectorILNS1_17partition_subalgoE8EyNS0_10empty_typeEbEEZZNS1_14partition_implILS5_8ELb0ES3_jN6thrust23THRUST_200600_302600_NS6detail15normal_iteratorINSA_10device_ptrIyEEEEPS6_PKS6_NS0_5tupleIJSF_S6_EEENSJ_IJSG_SG_EEENS0_18inequality_wrapperI22is_equal_div_10_uniqueIyEEEPmJS6_EEE10hipError_tPvRmT3_T4_T5_T6_T7_T9_mT8_P12ihipStream_tbDpT10_ENKUlT_T0_E_clISt17integral_constantIbLb1EES19_IbLb0EEEEDaS15_S16_EUlS15_E_NS1_11comp_targetILNS1_3genE8ELNS1_11target_archE1030ELNS1_3gpuE2ELNS1_3repE0EEENS1_30default_config_static_selectorELNS0_4arch9wavefront6targetE1EEEvT1_, .Lfunc_end200-_ZN7rocprim17ROCPRIM_400000_NS6detail17trampoline_kernelINS0_14default_configENS1_25partition_config_selectorILNS1_17partition_subalgoE8EyNS0_10empty_typeEbEEZZNS1_14partition_implILS5_8ELb0ES3_jN6thrust23THRUST_200600_302600_NS6detail15normal_iteratorINSA_10device_ptrIyEEEEPS6_PKS6_NS0_5tupleIJSF_S6_EEENSJ_IJSG_SG_EEENS0_18inequality_wrapperI22is_equal_div_10_uniqueIyEEEPmJS6_EEE10hipError_tPvRmT3_T4_T5_T6_T7_T9_mT8_P12ihipStream_tbDpT10_ENKUlT_T0_E_clISt17integral_constantIbLb1EES19_IbLb0EEEEDaS15_S16_EUlS15_E_NS1_11comp_targetILNS1_3genE8ELNS1_11target_archE1030ELNS1_3gpuE2ELNS1_3repE0EEENS1_30default_config_static_selectorELNS0_4arch9wavefront6targetE1EEEvT1_
                                        ; -- End function
	.set _ZN7rocprim17ROCPRIM_400000_NS6detail17trampoline_kernelINS0_14default_configENS1_25partition_config_selectorILNS1_17partition_subalgoE8EyNS0_10empty_typeEbEEZZNS1_14partition_implILS5_8ELb0ES3_jN6thrust23THRUST_200600_302600_NS6detail15normal_iteratorINSA_10device_ptrIyEEEEPS6_PKS6_NS0_5tupleIJSF_S6_EEENSJ_IJSG_SG_EEENS0_18inequality_wrapperI22is_equal_div_10_uniqueIyEEEPmJS6_EEE10hipError_tPvRmT3_T4_T5_T6_T7_T9_mT8_P12ihipStream_tbDpT10_ENKUlT_T0_E_clISt17integral_constantIbLb1EES19_IbLb0EEEEDaS15_S16_EUlS15_E_NS1_11comp_targetILNS1_3genE8ELNS1_11target_archE1030ELNS1_3gpuE2ELNS1_3repE0EEENS1_30default_config_static_selectorELNS0_4arch9wavefront6targetE1EEEvT1_.num_vgpr, 0
	.set _ZN7rocprim17ROCPRIM_400000_NS6detail17trampoline_kernelINS0_14default_configENS1_25partition_config_selectorILNS1_17partition_subalgoE8EyNS0_10empty_typeEbEEZZNS1_14partition_implILS5_8ELb0ES3_jN6thrust23THRUST_200600_302600_NS6detail15normal_iteratorINSA_10device_ptrIyEEEEPS6_PKS6_NS0_5tupleIJSF_S6_EEENSJ_IJSG_SG_EEENS0_18inequality_wrapperI22is_equal_div_10_uniqueIyEEEPmJS6_EEE10hipError_tPvRmT3_T4_T5_T6_T7_T9_mT8_P12ihipStream_tbDpT10_ENKUlT_T0_E_clISt17integral_constantIbLb1EES19_IbLb0EEEEDaS15_S16_EUlS15_E_NS1_11comp_targetILNS1_3genE8ELNS1_11target_archE1030ELNS1_3gpuE2ELNS1_3repE0EEENS1_30default_config_static_selectorELNS0_4arch9wavefront6targetE1EEEvT1_.num_agpr, 0
	.set _ZN7rocprim17ROCPRIM_400000_NS6detail17trampoline_kernelINS0_14default_configENS1_25partition_config_selectorILNS1_17partition_subalgoE8EyNS0_10empty_typeEbEEZZNS1_14partition_implILS5_8ELb0ES3_jN6thrust23THRUST_200600_302600_NS6detail15normal_iteratorINSA_10device_ptrIyEEEEPS6_PKS6_NS0_5tupleIJSF_S6_EEENSJ_IJSG_SG_EEENS0_18inequality_wrapperI22is_equal_div_10_uniqueIyEEEPmJS6_EEE10hipError_tPvRmT3_T4_T5_T6_T7_T9_mT8_P12ihipStream_tbDpT10_ENKUlT_T0_E_clISt17integral_constantIbLb1EES19_IbLb0EEEEDaS15_S16_EUlS15_E_NS1_11comp_targetILNS1_3genE8ELNS1_11target_archE1030ELNS1_3gpuE2ELNS1_3repE0EEENS1_30default_config_static_selectorELNS0_4arch9wavefront6targetE1EEEvT1_.numbered_sgpr, 0
	.set _ZN7rocprim17ROCPRIM_400000_NS6detail17trampoline_kernelINS0_14default_configENS1_25partition_config_selectorILNS1_17partition_subalgoE8EyNS0_10empty_typeEbEEZZNS1_14partition_implILS5_8ELb0ES3_jN6thrust23THRUST_200600_302600_NS6detail15normal_iteratorINSA_10device_ptrIyEEEEPS6_PKS6_NS0_5tupleIJSF_S6_EEENSJ_IJSG_SG_EEENS0_18inequality_wrapperI22is_equal_div_10_uniqueIyEEEPmJS6_EEE10hipError_tPvRmT3_T4_T5_T6_T7_T9_mT8_P12ihipStream_tbDpT10_ENKUlT_T0_E_clISt17integral_constantIbLb1EES19_IbLb0EEEEDaS15_S16_EUlS15_E_NS1_11comp_targetILNS1_3genE8ELNS1_11target_archE1030ELNS1_3gpuE2ELNS1_3repE0EEENS1_30default_config_static_selectorELNS0_4arch9wavefront6targetE1EEEvT1_.num_named_barrier, 0
	.set _ZN7rocprim17ROCPRIM_400000_NS6detail17trampoline_kernelINS0_14default_configENS1_25partition_config_selectorILNS1_17partition_subalgoE8EyNS0_10empty_typeEbEEZZNS1_14partition_implILS5_8ELb0ES3_jN6thrust23THRUST_200600_302600_NS6detail15normal_iteratorINSA_10device_ptrIyEEEEPS6_PKS6_NS0_5tupleIJSF_S6_EEENSJ_IJSG_SG_EEENS0_18inequality_wrapperI22is_equal_div_10_uniqueIyEEEPmJS6_EEE10hipError_tPvRmT3_T4_T5_T6_T7_T9_mT8_P12ihipStream_tbDpT10_ENKUlT_T0_E_clISt17integral_constantIbLb1EES19_IbLb0EEEEDaS15_S16_EUlS15_E_NS1_11comp_targetILNS1_3genE8ELNS1_11target_archE1030ELNS1_3gpuE2ELNS1_3repE0EEENS1_30default_config_static_selectorELNS0_4arch9wavefront6targetE1EEEvT1_.private_seg_size, 0
	.set _ZN7rocprim17ROCPRIM_400000_NS6detail17trampoline_kernelINS0_14default_configENS1_25partition_config_selectorILNS1_17partition_subalgoE8EyNS0_10empty_typeEbEEZZNS1_14partition_implILS5_8ELb0ES3_jN6thrust23THRUST_200600_302600_NS6detail15normal_iteratorINSA_10device_ptrIyEEEEPS6_PKS6_NS0_5tupleIJSF_S6_EEENSJ_IJSG_SG_EEENS0_18inequality_wrapperI22is_equal_div_10_uniqueIyEEEPmJS6_EEE10hipError_tPvRmT3_T4_T5_T6_T7_T9_mT8_P12ihipStream_tbDpT10_ENKUlT_T0_E_clISt17integral_constantIbLb1EES19_IbLb0EEEEDaS15_S16_EUlS15_E_NS1_11comp_targetILNS1_3genE8ELNS1_11target_archE1030ELNS1_3gpuE2ELNS1_3repE0EEENS1_30default_config_static_selectorELNS0_4arch9wavefront6targetE1EEEvT1_.uses_vcc, 0
	.set _ZN7rocprim17ROCPRIM_400000_NS6detail17trampoline_kernelINS0_14default_configENS1_25partition_config_selectorILNS1_17partition_subalgoE8EyNS0_10empty_typeEbEEZZNS1_14partition_implILS5_8ELb0ES3_jN6thrust23THRUST_200600_302600_NS6detail15normal_iteratorINSA_10device_ptrIyEEEEPS6_PKS6_NS0_5tupleIJSF_S6_EEENSJ_IJSG_SG_EEENS0_18inequality_wrapperI22is_equal_div_10_uniqueIyEEEPmJS6_EEE10hipError_tPvRmT3_T4_T5_T6_T7_T9_mT8_P12ihipStream_tbDpT10_ENKUlT_T0_E_clISt17integral_constantIbLb1EES19_IbLb0EEEEDaS15_S16_EUlS15_E_NS1_11comp_targetILNS1_3genE8ELNS1_11target_archE1030ELNS1_3gpuE2ELNS1_3repE0EEENS1_30default_config_static_selectorELNS0_4arch9wavefront6targetE1EEEvT1_.uses_flat_scratch, 0
	.set _ZN7rocprim17ROCPRIM_400000_NS6detail17trampoline_kernelINS0_14default_configENS1_25partition_config_selectorILNS1_17partition_subalgoE8EyNS0_10empty_typeEbEEZZNS1_14partition_implILS5_8ELb0ES3_jN6thrust23THRUST_200600_302600_NS6detail15normal_iteratorINSA_10device_ptrIyEEEEPS6_PKS6_NS0_5tupleIJSF_S6_EEENSJ_IJSG_SG_EEENS0_18inequality_wrapperI22is_equal_div_10_uniqueIyEEEPmJS6_EEE10hipError_tPvRmT3_T4_T5_T6_T7_T9_mT8_P12ihipStream_tbDpT10_ENKUlT_T0_E_clISt17integral_constantIbLb1EES19_IbLb0EEEEDaS15_S16_EUlS15_E_NS1_11comp_targetILNS1_3genE8ELNS1_11target_archE1030ELNS1_3gpuE2ELNS1_3repE0EEENS1_30default_config_static_selectorELNS0_4arch9wavefront6targetE1EEEvT1_.has_dyn_sized_stack, 0
	.set _ZN7rocprim17ROCPRIM_400000_NS6detail17trampoline_kernelINS0_14default_configENS1_25partition_config_selectorILNS1_17partition_subalgoE8EyNS0_10empty_typeEbEEZZNS1_14partition_implILS5_8ELb0ES3_jN6thrust23THRUST_200600_302600_NS6detail15normal_iteratorINSA_10device_ptrIyEEEEPS6_PKS6_NS0_5tupleIJSF_S6_EEENSJ_IJSG_SG_EEENS0_18inequality_wrapperI22is_equal_div_10_uniqueIyEEEPmJS6_EEE10hipError_tPvRmT3_T4_T5_T6_T7_T9_mT8_P12ihipStream_tbDpT10_ENKUlT_T0_E_clISt17integral_constantIbLb1EES19_IbLb0EEEEDaS15_S16_EUlS15_E_NS1_11comp_targetILNS1_3genE8ELNS1_11target_archE1030ELNS1_3gpuE2ELNS1_3repE0EEENS1_30default_config_static_selectorELNS0_4arch9wavefront6targetE1EEEvT1_.has_recursion, 0
	.set _ZN7rocprim17ROCPRIM_400000_NS6detail17trampoline_kernelINS0_14default_configENS1_25partition_config_selectorILNS1_17partition_subalgoE8EyNS0_10empty_typeEbEEZZNS1_14partition_implILS5_8ELb0ES3_jN6thrust23THRUST_200600_302600_NS6detail15normal_iteratorINSA_10device_ptrIyEEEEPS6_PKS6_NS0_5tupleIJSF_S6_EEENSJ_IJSG_SG_EEENS0_18inequality_wrapperI22is_equal_div_10_uniqueIyEEEPmJS6_EEE10hipError_tPvRmT3_T4_T5_T6_T7_T9_mT8_P12ihipStream_tbDpT10_ENKUlT_T0_E_clISt17integral_constantIbLb1EES19_IbLb0EEEEDaS15_S16_EUlS15_E_NS1_11comp_targetILNS1_3genE8ELNS1_11target_archE1030ELNS1_3gpuE2ELNS1_3repE0EEENS1_30default_config_static_selectorELNS0_4arch9wavefront6targetE1EEEvT1_.has_indirect_call, 0
	.section	.AMDGPU.csdata,"",@progbits
; Kernel info:
; codeLenInByte = 0
; TotalNumSgprs: 4
; NumVgprs: 0
; ScratchSize: 0
; MemoryBound: 0
; FloatMode: 240
; IeeeMode: 1
; LDSByteSize: 0 bytes/workgroup (compile time only)
; SGPRBlocks: 0
; VGPRBlocks: 0
; NumSGPRsForWavesPerEU: 4
; NumVGPRsForWavesPerEU: 1
; Occupancy: 10
; WaveLimiterHint : 0
; COMPUTE_PGM_RSRC2:SCRATCH_EN: 0
; COMPUTE_PGM_RSRC2:USER_SGPR: 6
; COMPUTE_PGM_RSRC2:TRAP_HANDLER: 0
; COMPUTE_PGM_RSRC2:TGID_X_EN: 1
; COMPUTE_PGM_RSRC2:TGID_Y_EN: 0
; COMPUTE_PGM_RSRC2:TGID_Z_EN: 0
; COMPUTE_PGM_RSRC2:TIDIG_COMP_CNT: 0
	.section	.text._ZN7rocprim17ROCPRIM_400000_NS6detail17trampoline_kernelINS0_14default_configENS1_25partition_config_selectorILNS1_17partition_subalgoE8EyNS0_10empty_typeEbEEZZNS1_14partition_implILS5_8ELb0ES3_jN6thrust23THRUST_200600_302600_NS6detail15normal_iteratorINSA_10device_ptrIyEEEEPS6_PKS6_NS0_5tupleIJSF_S6_EEENSJ_IJSG_SG_EEENS0_18inequality_wrapperI22is_equal_div_10_uniqueIyEEEPmJS6_EEE10hipError_tPvRmT3_T4_T5_T6_T7_T9_mT8_P12ihipStream_tbDpT10_ENKUlT_T0_E_clISt17integral_constantIbLb0EES19_IbLb1EEEEDaS15_S16_EUlS15_E_NS1_11comp_targetILNS1_3genE0ELNS1_11target_archE4294967295ELNS1_3gpuE0ELNS1_3repE0EEENS1_30default_config_static_selectorELNS0_4arch9wavefront6targetE1EEEvT1_,"axG",@progbits,_ZN7rocprim17ROCPRIM_400000_NS6detail17trampoline_kernelINS0_14default_configENS1_25partition_config_selectorILNS1_17partition_subalgoE8EyNS0_10empty_typeEbEEZZNS1_14partition_implILS5_8ELb0ES3_jN6thrust23THRUST_200600_302600_NS6detail15normal_iteratorINSA_10device_ptrIyEEEEPS6_PKS6_NS0_5tupleIJSF_S6_EEENSJ_IJSG_SG_EEENS0_18inequality_wrapperI22is_equal_div_10_uniqueIyEEEPmJS6_EEE10hipError_tPvRmT3_T4_T5_T6_T7_T9_mT8_P12ihipStream_tbDpT10_ENKUlT_T0_E_clISt17integral_constantIbLb0EES19_IbLb1EEEEDaS15_S16_EUlS15_E_NS1_11comp_targetILNS1_3genE0ELNS1_11target_archE4294967295ELNS1_3gpuE0ELNS1_3repE0EEENS1_30default_config_static_selectorELNS0_4arch9wavefront6targetE1EEEvT1_,comdat
	.protected	_ZN7rocprim17ROCPRIM_400000_NS6detail17trampoline_kernelINS0_14default_configENS1_25partition_config_selectorILNS1_17partition_subalgoE8EyNS0_10empty_typeEbEEZZNS1_14partition_implILS5_8ELb0ES3_jN6thrust23THRUST_200600_302600_NS6detail15normal_iteratorINSA_10device_ptrIyEEEEPS6_PKS6_NS0_5tupleIJSF_S6_EEENSJ_IJSG_SG_EEENS0_18inequality_wrapperI22is_equal_div_10_uniqueIyEEEPmJS6_EEE10hipError_tPvRmT3_T4_T5_T6_T7_T9_mT8_P12ihipStream_tbDpT10_ENKUlT_T0_E_clISt17integral_constantIbLb0EES19_IbLb1EEEEDaS15_S16_EUlS15_E_NS1_11comp_targetILNS1_3genE0ELNS1_11target_archE4294967295ELNS1_3gpuE0ELNS1_3repE0EEENS1_30default_config_static_selectorELNS0_4arch9wavefront6targetE1EEEvT1_ ; -- Begin function _ZN7rocprim17ROCPRIM_400000_NS6detail17trampoline_kernelINS0_14default_configENS1_25partition_config_selectorILNS1_17partition_subalgoE8EyNS0_10empty_typeEbEEZZNS1_14partition_implILS5_8ELb0ES3_jN6thrust23THRUST_200600_302600_NS6detail15normal_iteratorINSA_10device_ptrIyEEEEPS6_PKS6_NS0_5tupleIJSF_S6_EEENSJ_IJSG_SG_EEENS0_18inequality_wrapperI22is_equal_div_10_uniqueIyEEEPmJS6_EEE10hipError_tPvRmT3_T4_T5_T6_T7_T9_mT8_P12ihipStream_tbDpT10_ENKUlT_T0_E_clISt17integral_constantIbLb0EES19_IbLb1EEEEDaS15_S16_EUlS15_E_NS1_11comp_targetILNS1_3genE0ELNS1_11target_archE4294967295ELNS1_3gpuE0ELNS1_3repE0EEENS1_30default_config_static_selectorELNS0_4arch9wavefront6targetE1EEEvT1_
	.globl	_ZN7rocprim17ROCPRIM_400000_NS6detail17trampoline_kernelINS0_14default_configENS1_25partition_config_selectorILNS1_17partition_subalgoE8EyNS0_10empty_typeEbEEZZNS1_14partition_implILS5_8ELb0ES3_jN6thrust23THRUST_200600_302600_NS6detail15normal_iteratorINSA_10device_ptrIyEEEEPS6_PKS6_NS0_5tupleIJSF_S6_EEENSJ_IJSG_SG_EEENS0_18inequality_wrapperI22is_equal_div_10_uniqueIyEEEPmJS6_EEE10hipError_tPvRmT3_T4_T5_T6_T7_T9_mT8_P12ihipStream_tbDpT10_ENKUlT_T0_E_clISt17integral_constantIbLb0EES19_IbLb1EEEEDaS15_S16_EUlS15_E_NS1_11comp_targetILNS1_3genE0ELNS1_11target_archE4294967295ELNS1_3gpuE0ELNS1_3repE0EEENS1_30default_config_static_selectorELNS0_4arch9wavefront6targetE1EEEvT1_
	.p2align	8
	.type	_ZN7rocprim17ROCPRIM_400000_NS6detail17trampoline_kernelINS0_14default_configENS1_25partition_config_selectorILNS1_17partition_subalgoE8EyNS0_10empty_typeEbEEZZNS1_14partition_implILS5_8ELb0ES3_jN6thrust23THRUST_200600_302600_NS6detail15normal_iteratorINSA_10device_ptrIyEEEEPS6_PKS6_NS0_5tupleIJSF_S6_EEENSJ_IJSG_SG_EEENS0_18inequality_wrapperI22is_equal_div_10_uniqueIyEEEPmJS6_EEE10hipError_tPvRmT3_T4_T5_T6_T7_T9_mT8_P12ihipStream_tbDpT10_ENKUlT_T0_E_clISt17integral_constantIbLb0EES19_IbLb1EEEEDaS15_S16_EUlS15_E_NS1_11comp_targetILNS1_3genE0ELNS1_11target_archE4294967295ELNS1_3gpuE0ELNS1_3repE0EEENS1_30default_config_static_selectorELNS0_4arch9wavefront6targetE1EEEvT1_,@function
_ZN7rocprim17ROCPRIM_400000_NS6detail17trampoline_kernelINS0_14default_configENS1_25partition_config_selectorILNS1_17partition_subalgoE8EyNS0_10empty_typeEbEEZZNS1_14partition_implILS5_8ELb0ES3_jN6thrust23THRUST_200600_302600_NS6detail15normal_iteratorINSA_10device_ptrIyEEEEPS6_PKS6_NS0_5tupleIJSF_S6_EEENSJ_IJSG_SG_EEENS0_18inequality_wrapperI22is_equal_div_10_uniqueIyEEEPmJS6_EEE10hipError_tPvRmT3_T4_T5_T6_T7_T9_mT8_P12ihipStream_tbDpT10_ENKUlT_T0_E_clISt17integral_constantIbLb0EES19_IbLb1EEEEDaS15_S16_EUlS15_E_NS1_11comp_targetILNS1_3genE0ELNS1_11target_archE4294967295ELNS1_3gpuE0ELNS1_3repE0EEENS1_30default_config_static_selectorELNS0_4arch9wavefront6targetE1EEEvT1_: ; @_ZN7rocprim17ROCPRIM_400000_NS6detail17trampoline_kernelINS0_14default_configENS1_25partition_config_selectorILNS1_17partition_subalgoE8EyNS0_10empty_typeEbEEZZNS1_14partition_implILS5_8ELb0ES3_jN6thrust23THRUST_200600_302600_NS6detail15normal_iteratorINSA_10device_ptrIyEEEEPS6_PKS6_NS0_5tupleIJSF_S6_EEENSJ_IJSG_SG_EEENS0_18inequality_wrapperI22is_equal_div_10_uniqueIyEEEPmJS6_EEE10hipError_tPvRmT3_T4_T5_T6_T7_T9_mT8_P12ihipStream_tbDpT10_ENKUlT_T0_E_clISt17integral_constantIbLb0EES19_IbLb1EEEEDaS15_S16_EUlS15_E_NS1_11comp_targetILNS1_3genE0ELNS1_11target_archE4294967295ELNS1_3gpuE0ELNS1_3repE0EEENS1_30default_config_static_selectorELNS0_4arch9wavefront6targetE1EEEvT1_
; %bb.0:
	.section	.rodata,"a",@progbits
	.p2align	6, 0x0
	.amdhsa_kernel _ZN7rocprim17ROCPRIM_400000_NS6detail17trampoline_kernelINS0_14default_configENS1_25partition_config_selectorILNS1_17partition_subalgoE8EyNS0_10empty_typeEbEEZZNS1_14partition_implILS5_8ELb0ES3_jN6thrust23THRUST_200600_302600_NS6detail15normal_iteratorINSA_10device_ptrIyEEEEPS6_PKS6_NS0_5tupleIJSF_S6_EEENSJ_IJSG_SG_EEENS0_18inequality_wrapperI22is_equal_div_10_uniqueIyEEEPmJS6_EEE10hipError_tPvRmT3_T4_T5_T6_T7_T9_mT8_P12ihipStream_tbDpT10_ENKUlT_T0_E_clISt17integral_constantIbLb0EES19_IbLb1EEEEDaS15_S16_EUlS15_E_NS1_11comp_targetILNS1_3genE0ELNS1_11target_archE4294967295ELNS1_3gpuE0ELNS1_3repE0EEENS1_30default_config_static_selectorELNS0_4arch9wavefront6targetE1EEEvT1_
		.amdhsa_group_segment_fixed_size 0
		.amdhsa_private_segment_fixed_size 0
		.amdhsa_kernarg_size 128
		.amdhsa_user_sgpr_count 6
		.amdhsa_user_sgpr_private_segment_buffer 1
		.amdhsa_user_sgpr_dispatch_ptr 0
		.amdhsa_user_sgpr_queue_ptr 0
		.amdhsa_user_sgpr_kernarg_segment_ptr 1
		.amdhsa_user_sgpr_dispatch_id 0
		.amdhsa_user_sgpr_flat_scratch_init 0
		.amdhsa_user_sgpr_private_segment_size 0
		.amdhsa_uses_dynamic_stack 0
		.amdhsa_system_sgpr_private_segment_wavefront_offset 0
		.amdhsa_system_sgpr_workgroup_id_x 1
		.amdhsa_system_sgpr_workgroup_id_y 0
		.amdhsa_system_sgpr_workgroup_id_z 0
		.amdhsa_system_sgpr_workgroup_info 0
		.amdhsa_system_vgpr_workitem_id 0
		.amdhsa_next_free_vgpr 1
		.amdhsa_next_free_sgpr 0
		.amdhsa_reserve_vcc 0
		.amdhsa_reserve_flat_scratch 0
		.amdhsa_float_round_mode_32 0
		.amdhsa_float_round_mode_16_64 0
		.amdhsa_float_denorm_mode_32 3
		.amdhsa_float_denorm_mode_16_64 3
		.amdhsa_dx10_clamp 1
		.amdhsa_ieee_mode 1
		.amdhsa_fp16_overflow 0
		.amdhsa_exception_fp_ieee_invalid_op 0
		.amdhsa_exception_fp_denorm_src 0
		.amdhsa_exception_fp_ieee_div_zero 0
		.amdhsa_exception_fp_ieee_overflow 0
		.amdhsa_exception_fp_ieee_underflow 0
		.amdhsa_exception_fp_ieee_inexact 0
		.amdhsa_exception_int_div_zero 0
	.end_amdhsa_kernel
	.section	.text._ZN7rocprim17ROCPRIM_400000_NS6detail17trampoline_kernelINS0_14default_configENS1_25partition_config_selectorILNS1_17partition_subalgoE8EyNS0_10empty_typeEbEEZZNS1_14partition_implILS5_8ELb0ES3_jN6thrust23THRUST_200600_302600_NS6detail15normal_iteratorINSA_10device_ptrIyEEEEPS6_PKS6_NS0_5tupleIJSF_S6_EEENSJ_IJSG_SG_EEENS0_18inequality_wrapperI22is_equal_div_10_uniqueIyEEEPmJS6_EEE10hipError_tPvRmT3_T4_T5_T6_T7_T9_mT8_P12ihipStream_tbDpT10_ENKUlT_T0_E_clISt17integral_constantIbLb0EES19_IbLb1EEEEDaS15_S16_EUlS15_E_NS1_11comp_targetILNS1_3genE0ELNS1_11target_archE4294967295ELNS1_3gpuE0ELNS1_3repE0EEENS1_30default_config_static_selectorELNS0_4arch9wavefront6targetE1EEEvT1_,"axG",@progbits,_ZN7rocprim17ROCPRIM_400000_NS6detail17trampoline_kernelINS0_14default_configENS1_25partition_config_selectorILNS1_17partition_subalgoE8EyNS0_10empty_typeEbEEZZNS1_14partition_implILS5_8ELb0ES3_jN6thrust23THRUST_200600_302600_NS6detail15normal_iteratorINSA_10device_ptrIyEEEEPS6_PKS6_NS0_5tupleIJSF_S6_EEENSJ_IJSG_SG_EEENS0_18inequality_wrapperI22is_equal_div_10_uniqueIyEEEPmJS6_EEE10hipError_tPvRmT3_T4_T5_T6_T7_T9_mT8_P12ihipStream_tbDpT10_ENKUlT_T0_E_clISt17integral_constantIbLb0EES19_IbLb1EEEEDaS15_S16_EUlS15_E_NS1_11comp_targetILNS1_3genE0ELNS1_11target_archE4294967295ELNS1_3gpuE0ELNS1_3repE0EEENS1_30default_config_static_selectorELNS0_4arch9wavefront6targetE1EEEvT1_,comdat
.Lfunc_end201:
	.size	_ZN7rocprim17ROCPRIM_400000_NS6detail17trampoline_kernelINS0_14default_configENS1_25partition_config_selectorILNS1_17partition_subalgoE8EyNS0_10empty_typeEbEEZZNS1_14partition_implILS5_8ELb0ES3_jN6thrust23THRUST_200600_302600_NS6detail15normal_iteratorINSA_10device_ptrIyEEEEPS6_PKS6_NS0_5tupleIJSF_S6_EEENSJ_IJSG_SG_EEENS0_18inequality_wrapperI22is_equal_div_10_uniqueIyEEEPmJS6_EEE10hipError_tPvRmT3_T4_T5_T6_T7_T9_mT8_P12ihipStream_tbDpT10_ENKUlT_T0_E_clISt17integral_constantIbLb0EES19_IbLb1EEEEDaS15_S16_EUlS15_E_NS1_11comp_targetILNS1_3genE0ELNS1_11target_archE4294967295ELNS1_3gpuE0ELNS1_3repE0EEENS1_30default_config_static_selectorELNS0_4arch9wavefront6targetE1EEEvT1_, .Lfunc_end201-_ZN7rocprim17ROCPRIM_400000_NS6detail17trampoline_kernelINS0_14default_configENS1_25partition_config_selectorILNS1_17partition_subalgoE8EyNS0_10empty_typeEbEEZZNS1_14partition_implILS5_8ELb0ES3_jN6thrust23THRUST_200600_302600_NS6detail15normal_iteratorINSA_10device_ptrIyEEEEPS6_PKS6_NS0_5tupleIJSF_S6_EEENSJ_IJSG_SG_EEENS0_18inequality_wrapperI22is_equal_div_10_uniqueIyEEEPmJS6_EEE10hipError_tPvRmT3_T4_T5_T6_T7_T9_mT8_P12ihipStream_tbDpT10_ENKUlT_T0_E_clISt17integral_constantIbLb0EES19_IbLb1EEEEDaS15_S16_EUlS15_E_NS1_11comp_targetILNS1_3genE0ELNS1_11target_archE4294967295ELNS1_3gpuE0ELNS1_3repE0EEENS1_30default_config_static_selectorELNS0_4arch9wavefront6targetE1EEEvT1_
                                        ; -- End function
	.set _ZN7rocprim17ROCPRIM_400000_NS6detail17trampoline_kernelINS0_14default_configENS1_25partition_config_selectorILNS1_17partition_subalgoE8EyNS0_10empty_typeEbEEZZNS1_14partition_implILS5_8ELb0ES3_jN6thrust23THRUST_200600_302600_NS6detail15normal_iteratorINSA_10device_ptrIyEEEEPS6_PKS6_NS0_5tupleIJSF_S6_EEENSJ_IJSG_SG_EEENS0_18inequality_wrapperI22is_equal_div_10_uniqueIyEEEPmJS6_EEE10hipError_tPvRmT3_T4_T5_T6_T7_T9_mT8_P12ihipStream_tbDpT10_ENKUlT_T0_E_clISt17integral_constantIbLb0EES19_IbLb1EEEEDaS15_S16_EUlS15_E_NS1_11comp_targetILNS1_3genE0ELNS1_11target_archE4294967295ELNS1_3gpuE0ELNS1_3repE0EEENS1_30default_config_static_selectorELNS0_4arch9wavefront6targetE1EEEvT1_.num_vgpr, 0
	.set _ZN7rocprim17ROCPRIM_400000_NS6detail17trampoline_kernelINS0_14default_configENS1_25partition_config_selectorILNS1_17partition_subalgoE8EyNS0_10empty_typeEbEEZZNS1_14partition_implILS5_8ELb0ES3_jN6thrust23THRUST_200600_302600_NS6detail15normal_iteratorINSA_10device_ptrIyEEEEPS6_PKS6_NS0_5tupleIJSF_S6_EEENSJ_IJSG_SG_EEENS0_18inequality_wrapperI22is_equal_div_10_uniqueIyEEEPmJS6_EEE10hipError_tPvRmT3_T4_T5_T6_T7_T9_mT8_P12ihipStream_tbDpT10_ENKUlT_T0_E_clISt17integral_constantIbLb0EES19_IbLb1EEEEDaS15_S16_EUlS15_E_NS1_11comp_targetILNS1_3genE0ELNS1_11target_archE4294967295ELNS1_3gpuE0ELNS1_3repE0EEENS1_30default_config_static_selectorELNS0_4arch9wavefront6targetE1EEEvT1_.num_agpr, 0
	.set _ZN7rocprim17ROCPRIM_400000_NS6detail17trampoline_kernelINS0_14default_configENS1_25partition_config_selectorILNS1_17partition_subalgoE8EyNS0_10empty_typeEbEEZZNS1_14partition_implILS5_8ELb0ES3_jN6thrust23THRUST_200600_302600_NS6detail15normal_iteratorINSA_10device_ptrIyEEEEPS6_PKS6_NS0_5tupleIJSF_S6_EEENSJ_IJSG_SG_EEENS0_18inequality_wrapperI22is_equal_div_10_uniqueIyEEEPmJS6_EEE10hipError_tPvRmT3_T4_T5_T6_T7_T9_mT8_P12ihipStream_tbDpT10_ENKUlT_T0_E_clISt17integral_constantIbLb0EES19_IbLb1EEEEDaS15_S16_EUlS15_E_NS1_11comp_targetILNS1_3genE0ELNS1_11target_archE4294967295ELNS1_3gpuE0ELNS1_3repE0EEENS1_30default_config_static_selectorELNS0_4arch9wavefront6targetE1EEEvT1_.numbered_sgpr, 0
	.set _ZN7rocprim17ROCPRIM_400000_NS6detail17trampoline_kernelINS0_14default_configENS1_25partition_config_selectorILNS1_17partition_subalgoE8EyNS0_10empty_typeEbEEZZNS1_14partition_implILS5_8ELb0ES3_jN6thrust23THRUST_200600_302600_NS6detail15normal_iteratorINSA_10device_ptrIyEEEEPS6_PKS6_NS0_5tupleIJSF_S6_EEENSJ_IJSG_SG_EEENS0_18inequality_wrapperI22is_equal_div_10_uniqueIyEEEPmJS6_EEE10hipError_tPvRmT3_T4_T5_T6_T7_T9_mT8_P12ihipStream_tbDpT10_ENKUlT_T0_E_clISt17integral_constantIbLb0EES19_IbLb1EEEEDaS15_S16_EUlS15_E_NS1_11comp_targetILNS1_3genE0ELNS1_11target_archE4294967295ELNS1_3gpuE0ELNS1_3repE0EEENS1_30default_config_static_selectorELNS0_4arch9wavefront6targetE1EEEvT1_.num_named_barrier, 0
	.set _ZN7rocprim17ROCPRIM_400000_NS6detail17trampoline_kernelINS0_14default_configENS1_25partition_config_selectorILNS1_17partition_subalgoE8EyNS0_10empty_typeEbEEZZNS1_14partition_implILS5_8ELb0ES3_jN6thrust23THRUST_200600_302600_NS6detail15normal_iteratorINSA_10device_ptrIyEEEEPS6_PKS6_NS0_5tupleIJSF_S6_EEENSJ_IJSG_SG_EEENS0_18inequality_wrapperI22is_equal_div_10_uniqueIyEEEPmJS6_EEE10hipError_tPvRmT3_T4_T5_T6_T7_T9_mT8_P12ihipStream_tbDpT10_ENKUlT_T0_E_clISt17integral_constantIbLb0EES19_IbLb1EEEEDaS15_S16_EUlS15_E_NS1_11comp_targetILNS1_3genE0ELNS1_11target_archE4294967295ELNS1_3gpuE0ELNS1_3repE0EEENS1_30default_config_static_selectorELNS0_4arch9wavefront6targetE1EEEvT1_.private_seg_size, 0
	.set _ZN7rocprim17ROCPRIM_400000_NS6detail17trampoline_kernelINS0_14default_configENS1_25partition_config_selectorILNS1_17partition_subalgoE8EyNS0_10empty_typeEbEEZZNS1_14partition_implILS5_8ELb0ES3_jN6thrust23THRUST_200600_302600_NS6detail15normal_iteratorINSA_10device_ptrIyEEEEPS6_PKS6_NS0_5tupleIJSF_S6_EEENSJ_IJSG_SG_EEENS0_18inequality_wrapperI22is_equal_div_10_uniqueIyEEEPmJS6_EEE10hipError_tPvRmT3_T4_T5_T6_T7_T9_mT8_P12ihipStream_tbDpT10_ENKUlT_T0_E_clISt17integral_constantIbLb0EES19_IbLb1EEEEDaS15_S16_EUlS15_E_NS1_11comp_targetILNS1_3genE0ELNS1_11target_archE4294967295ELNS1_3gpuE0ELNS1_3repE0EEENS1_30default_config_static_selectorELNS0_4arch9wavefront6targetE1EEEvT1_.uses_vcc, 0
	.set _ZN7rocprim17ROCPRIM_400000_NS6detail17trampoline_kernelINS0_14default_configENS1_25partition_config_selectorILNS1_17partition_subalgoE8EyNS0_10empty_typeEbEEZZNS1_14partition_implILS5_8ELb0ES3_jN6thrust23THRUST_200600_302600_NS6detail15normal_iteratorINSA_10device_ptrIyEEEEPS6_PKS6_NS0_5tupleIJSF_S6_EEENSJ_IJSG_SG_EEENS0_18inequality_wrapperI22is_equal_div_10_uniqueIyEEEPmJS6_EEE10hipError_tPvRmT3_T4_T5_T6_T7_T9_mT8_P12ihipStream_tbDpT10_ENKUlT_T0_E_clISt17integral_constantIbLb0EES19_IbLb1EEEEDaS15_S16_EUlS15_E_NS1_11comp_targetILNS1_3genE0ELNS1_11target_archE4294967295ELNS1_3gpuE0ELNS1_3repE0EEENS1_30default_config_static_selectorELNS0_4arch9wavefront6targetE1EEEvT1_.uses_flat_scratch, 0
	.set _ZN7rocprim17ROCPRIM_400000_NS6detail17trampoline_kernelINS0_14default_configENS1_25partition_config_selectorILNS1_17partition_subalgoE8EyNS0_10empty_typeEbEEZZNS1_14partition_implILS5_8ELb0ES3_jN6thrust23THRUST_200600_302600_NS6detail15normal_iteratorINSA_10device_ptrIyEEEEPS6_PKS6_NS0_5tupleIJSF_S6_EEENSJ_IJSG_SG_EEENS0_18inequality_wrapperI22is_equal_div_10_uniqueIyEEEPmJS6_EEE10hipError_tPvRmT3_T4_T5_T6_T7_T9_mT8_P12ihipStream_tbDpT10_ENKUlT_T0_E_clISt17integral_constantIbLb0EES19_IbLb1EEEEDaS15_S16_EUlS15_E_NS1_11comp_targetILNS1_3genE0ELNS1_11target_archE4294967295ELNS1_3gpuE0ELNS1_3repE0EEENS1_30default_config_static_selectorELNS0_4arch9wavefront6targetE1EEEvT1_.has_dyn_sized_stack, 0
	.set _ZN7rocprim17ROCPRIM_400000_NS6detail17trampoline_kernelINS0_14default_configENS1_25partition_config_selectorILNS1_17partition_subalgoE8EyNS0_10empty_typeEbEEZZNS1_14partition_implILS5_8ELb0ES3_jN6thrust23THRUST_200600_302600_NS6detail15normal_iteratorINSA_10device_ptrIyEEEEPS6_PKS6_NS0_5tupleIJSF_S6_EEENSJ_IJSG_SG_EEENS0_18inequality_wrapperI22is_equal_div_10_uniqueIyEEEPmJS6_EEE10hipError_tPvRmT3_T4_T5_T6_T7_T9_mT8_P12ihipStream_tbDpT10_ENKUlT_T0_E_clISt17integral_constantIbLb0EES19_IbLb1EEEEDaS15_S16_EUlS15_E_NS1_11comp_targetILNS1_3genE0ELNS1_11target_archE4294967295ELNS1_3gpuE0ELNS1_3repE0EEENS1_30default_config_static_selectorELNS0_4arch9wavefront6targetE1EEEvT1_.has_recursion, 0
	.set _ZN7rocprim17ROCPRIM_400000_NS6detail17trampoline_kernelINS0_14default_configENS1_25partition_config_selectorILNS1_17partition_subalgoE8EyNS0_10empty_typeEbEEZZNS1_14partition_implILS5_8ELb0ES3_jN6thrust23THRUST_200600_302600_NS6detail15normal_iteratorINSA_10device_ptrIyEEEEPS6_PKS6_NS0_5tupleIJSF_S6_EEENSJ_IJSG_SG_EEENS0_18inequality_wrapperI22is_equal_div_10_uniqueIyEEEPmJS6_EEE10hipError_tPvRmT3_T4_T5_T6_T7_T9_mT8_P12ihipStream_tbDpT10_ENKUlT_T0_E_clISt17integral_constantIbLb0EES19_IbLb1EEEEDaS15_S16_EUlS15_E_NS1_11comp_targetILNS1_3genE0ELNS1_11target_archE4294967295ELNS1_3gpuE0ELNS1_3repE0EEENS1_30default_config_static_selectorELNS0_4arch9wavefront6targetE1EEEvT1_.has_indirect_call, 0
	.section	.AMDGPU.csdata,"",@progbits
; Kernel info:
; codeLenInByte = 0
; TotalNumSgprs: 4
; NumVgprs: 0
; ScratchSize: 0
; MemoryBound: 0
; FloatMode: 240
; IeeeMode: 1
; LDSByteSize: 0 bytes/workgroup (compile time only)
; SGPRBlocks: 0
; VGPRBlocks: 0
; NumSGPRsForWavesPerEU: 4
; NumVGPRsForWavesPerEU: 1
; Occupancy: 10
; WaveLimiterHint : 0
; COMPUTE_PGM_RSRC2:SCRATCH_EN: 0
; COMPUTE_PGM_RSRC2:USER_SGPR: 6
; COMPUTE_PGM_RSRC2:TRAP_HANDLER: 0
; COMPUTE_PGM_RSRC2:TGID_X_EN: 1
; COMPUTE_PGM_RSRC2:TGID_Y_EN: 0
; COMPUTE_PGM_RSRC2:TGID_Z_EN: 0
; COMPUTE_PGM_RSRC2:TIDIG_COMP_CNT: 0
	.section	.text._ZN7rocprim17ROCPRIM_400000_NS6detail17trampoline_kernelINS0_14default_configENS1_25partition_config_selectorILNS1_17partition_subalgoE8EyNS0_10empty_typeEbEEZZNS1_14partition_implILS5_8ELb0ES3_jN6thrust23THRUST_200600_302600_NS6detail15normal_iteratorINSA_10device_ptrIyEEEEPS6_PKS6_NS0_5tupleIJSF_S6_EEENSJ_IJSG_SG_EEENS0_18inequality_wrapperI22is_equal_div_10_uniqueIyEEEPmJS6_EEE10hipError_tPvRmT3_T4_T5_T6_T7_T9_mT8_P12ihipStream_tbDpT10_ENKUlT_T0_E_clISt17integral_constantIbLb0EES19_IbLb1EEEEDaS15_S16_EUlS15_E_NS1_11comp_targetILNS1_3genE5ELNS1_11target_archE942ELNS1_3gpuE9ELNS1_3repE0EEENS1_30default_config_static_selectorELNS0_4arch9wavefront6targetE1EEEvT1_,"axG",@progbits,_ZN7rocprim17ROCPRIM_400000_NS6detail17trampoline_kernelINS0_14default_configENS1_25partition_config_selectorILNS1_17partition_subalgoE8EyNS0_10empty_typeEbEEZZNS1_14partition_implILS5_8ELb0ES3_jN6thrust23THRUST_200600_302600_NS6detail15normal_iteratorINSA_10device_ptrIyEEEEPS6_PKS6_NS0_5tupleIJSF_S6_EEENSJ_IJSG_SG_EEENS0_18inequality_wrapperI22is_equal_div_10_uniqueIyEEEPmJS6_EEE10hipError_tPvRmT3_T4_T5_T6_T7_T9_mT8_P12ihipStream_tbDpT10_ENKUlT_T0_E_clISt17integral_constantIbLb0EES19_IbLb1EEEEDaS15_S16_EUlS15_E_NS1_11comp_targetILNS1_3genE5ELNS1_11target_archE942ELNS1_3gpuE9ELNS1_3repE0EEENS1_30default_config_static_selectorELNS0_4arch9wavefront6targetE1EEEvT1_,comdat
	.protected	_ZN7rocprim17ROCPRIM_400000_NS6detail17trampoline_kernelINS0_14default_configENS1_25partition_config_selectorILNS1_17partition_subalgoE8EyNS0_10empty_typeEbEEZZNS1_14partition_implILS5_8ELb0ES3_jN6thrust23THRUST_200600_302600_NS6detail15normal_iteratorINSA_10device_ptrIyEEEEPS6_PKS6_NS0_5tupleIJSF_S6_EEENSJ_IJSG_SG_EEENS0_18inequality_wrapperI22is_equal_div_10_uniqueIyEEEPmJS6_EEE10hipError_tPvRmT3_T4_T5_T6_T7_T9_mT8_P12ihipStream_tbDpT10_ENKUlT_T0_E_clISt17integral_constantIbLb0EES19_IbLb1EEEEDaS15_S16_EUlS15_E_NS1_11comp_targetILNS1_3genE5ELNS1_11target_archE942ELNS1_3gpuE9ELNS1_3repE0EEENS1_30default_config_static_selectorELNS0_4arch9wavefront6targetE1EEEvT1_ ; -- Begin function _ZN7rocprim17ROCPRIM_400000_NS6detail17trampoline_kernelINS0_14default_configENS1_25partition_config_selectorILNS1_17partition_subalgoE8EyNS0_10empty_typeEbEEZZNS1_14partition_implILS5_8ELb0ES3_jN6thrust23THRUST_200600_302600_NS6detail15normal_iteratorINSA_10device_ptrIyEEEEPS6_PKS6_NS0_5tupleIJSF_S6_EEENSJ_IJSG_SG_EEENS0_18inequality_wrapperI22is_equal_div_10_uniqueIyEEEPmJS6_EEE10hipError_tPvRmT3_T4_T5_T6_T7_T9_mT8_P12ihipStream_tbDpT10_ENKUlT_T0_E_clISt17integral_constantIbLb0EES19_IbLb1EEEEDaS15_S16_EUlS15_E_NS1_11comp_targetILNS1_3genE5ELNS1_11target_archE942ELNS1_3gpuE9ELNS1_3repE0EEENS1_30default_config_static_selectorELNS0_4arch9wavefront6targetE1EEEvT1_
	.globl	_ZN7rocprim17ROCPRIM_400000_NS6detail17trampoline_kernelINS0_14default_configENS1_25partition_config_selectorILNS1_17partition_subalgoE8EyNS0_10empty_typeEbEEZZNS1_14partition_implILS5_8ELb0ES3_jN6thrust23THRUST_200600_302600_NS6detail15normal_iteratorINSA_10device_ptrIyEEEEPS6_PKS6_NS0_5tupleIJSF_S6_EEENSJ_IJSG_SG_EEENS0_18inequality_wrapperI22is_equal_div_10_uniqueIyEEEPmJS6_EEE10hipError_tPvRmT3_T4_T5_T6_T7_T9_mT8_P12ihipStream_tbDpT10_ENKUlT_T0_E_clISt17integral_constantIbLb0EES19_IbLb1EEEEDaS15_S16_EUlS15_E_NS1_11comp_targetILNS1_3genE5ELNS1_11target_archE942ELNS1_3gpuE9ELNS1_3repE0EEENS1_30default_config_static_selectorELNS0_4arch9wavefront6targetE1EEEvT1_
	.p2align	8
	.type	_ZN7rocprim17ROCPRIM_400000_NS6detail17trampoline_kernelINS0_14default_configENS1_25partition_config_selectorILNS1_17partition_subalgoE8EyNS0_10empty_typeEbEEZZNS1_14partition_implILS5_8ELb0ES3_jN6thrust23THRUST_200600_302600_NS6detail15normal_iteratorINSA_10device_ptrIyEEEEPS6_PKS6_NS0_5tupleIJSF_S6_EEENSJ_IJSG_SG_EEENS0_18inequality_wrapperI22is_equal_div_10_uniqueIyEEEPmJS6_EEE10hipError_tPvRmT3_T4_T5_T6_T7_T9_mT8_P12ihipStream_tbDpT10_ENKUlT_T0_E_clISt17integral_constantIbLb0EES19_IbLb1EEEEDaS15_S16_EUlS15_E_NS1_11comp_targetILNS1_3genE5ELNS1_11target_archE942ELNS1_3gpuE9ELNS1_3repE0EEENS1_30default_config_static_selectorELNS0_4arch9wavefront6targetE1EEEvT1_,@function
_ZN7rocprim17ROCPRIM_400000_NS6detail17trampoline_kernelINS0_14default_configENS1_25partition_config_selectorILNS1_17partition_subalgoE8EyNS0_10empty_typeEbEEZZNS1_14partition_implILS5_8ELb0ES3_jN6thrust23THRUST_200600_302600_NS6detail15normal_iteratorINSA_10device_ptrIyEEEEPS6_PKS6_NS0_5tupleIJSF_S6_EEENSJ_IJSG_SG_EEENS0_18inequality_wrapperI22is_equal_div_10_uniqueIyEEEPmJS6_EEE10hipError_tPvRmT3_T4_T5_T6_T7_T9_mT8_P12ihipStream_tbDpT10_ENKUlT_T0_E_clISt17integral_constantIbLb0EES19_IbLb1EEEEDaS15_S16_EUlS15_E_NS1_11comp_targetILNS1_3genE5ELNS1_11target_archE942ELNS1_3gpuE9ELNS1_3repE0EEENS1_30default_config_static_selectorELNS0_4arch9wavefront6targetE1EEEvT1_: ; @_ZN7rocprim17ROCPRIM_400000_NS6detail17trampoline_kernelINS0_14default_configENS1_25partition_config_selectorILNS1_17partition_subalgoE8EyNS0_10empty_typeEbEEZZNS1_14partition_implILS5_8ELb0ES3_jN6thrust23THRUST_200600_302600_NS6detail15normal_iteratorINSA_10device_ptrIyEEEEPS6_PKS6_NS0_5tupleIJSF_S6_EEENSJ_IJSG_SG_EEENS0_18inequality_wrapperI22is_equal_div_10_uniqueIyEEEPmJS6_EEE10hipError_tPvRmT3_T4_T5_T6_T7_T9_mT8_P12ihipStream_tbDpT10_ENKUlT_T0_E_clISt17integral_constantIbLb0EES19_IbLb1EEEEDaS15_S16_EUlS15_E_NS1_11comp_targetILNS1_3genE5ELNS1_11target_archE942ELNS1_3gpuE9ELNS1_3repE0EEENS1_30default_config_static_selectorELNS0_4arch9wavefront6targetE1EEEvT1_
; %bb.0:
	.section	.rodata,"a",@progbits
	.p2align	6, 0x0
	.amdhsa_kernel _ZN7rocprim17ROCPRIM_400000_NS6detail17trampoline_kernelINS0_14default_configENS1_25partition_config_selectorILNS1_17partition_subalgoE8EyNS0_10empty_typeEbEEZZNS1_14partition_implILS5_8ELb0ES3_jN6thrust23THRUST_200600_302600_NS6detail15normal_iteratorINSA_10device_ptrIyEEEEPS6_PKS6_NS0_5tupleIJSF_S6_EEENSJ_IJSG_SG_EEENS0_18inequality_wrapperI22is_equal_div_10_uniqueIyEEEPmJS6_EEE10hipError_tPvRmT3_T4_T5_T6_T7_T9_mT8_P12ihipStream_tbDpT10_ENKUlT_T0_E_clISt17integral_constantIbLb0EES19_IbLb1EEEEDaS15_S16_EUlS15_E_NS1_11comp_targetILNS1_3genE5ELNS1_11target_archE942ELNS1_3gpuE9ELNS1_3repE0EEENS1_30default_config_static_selectorELNS0_4arch9wavefront6targetE1EEEvT1_
		.amdhsa_group_segment_fixed_size 0
		.amdhsa_private_segment_fixed_size 0
		.amdhsa_kernarg_size 128
		.amdhsa_user_sgpr_count 6
		.amdhsa_user_sgpr_private_segment_buffer 1
		.amdhsa_user_sgpr_dispatch_ptr 0
		.amdhsa_user_sgpr_queue_ptr 0
		.amdhsa_user_sgpr_kernarg_segment_ptr 1
		.amdhsa_user_sgpr_dispatch_id 0
		.amdhsa_user_sgpr_flat_scratch_init 0
		.amdhsa_user_sgpr_private_segment_size 0
		.amdhsa_uses_dynamic_stack 0
		.amdhsa_system_sgpr_private_segment_wavefront_offset 0
		.amdhsa_system_sgpr_workgroup_id_x 1
		.amdhsa_system_sgpr_workgroup_id_y 0
		.amdhsa_system_sgpr_workgroup_id_z 0
		.amdhsa_system_sgpr_workgroup_info 0
		.amdhsa_system_vgpr_workitem_id 0
		.amdhsa_next_free_vgpr 1
		.amdhsa_next_free_sgpr 0
		.amdhsa_reserve_vcc 0
		.amdhsa_reserve_flat_scratch 0
		.amdhsa_float_round_mode_32 0
		.amdhsa_float_round_mode_16_64 0
		.amdhsa_float_denorm_mode_32 3
		.amdhsa_float_denorm_mode_16_64 3
		.amdhsa_dx10_clamp 1
		.amdhsa_ieee_mode 1
		.amdhsa_fp16_overflow 0
		.amdhsa_exception_fp_ieee_invalid_op 0
		.amdhsa_exception_fp_denorm_src 0
		.amdhsa_exception_fp_ieee_div_zero 0
		.amdhsa_exception_fp_ieee_overflow 0
		.amdhsa_exception_fp_ieee_underflow 0
		.amdhsa_exception_fp_ieee_inexact 0
		.amdhsa_exception_int_div_zero 0
	.end_amdhsa_kernel
	.section	.text._ZN7rocprim17ROCPRIM_400000_NS6detail17trampoline_kernelINS0_14default_configENS1_25partition_config_selectorILNS1_17partition_subalgoE8EyNS0_10empty_typeEbEEZZNS1_14partition_implILS5_8ELb0ES3_jN6thrust23THRUST_200600_302600_NS6detail15normal_iteratorINSA_10device_ptrIyEEEEPS6_PKS6_NS0_5tupleIJSF_S6_EEENSJ_IJSG_SG_EEENS0_18inequality_wrapperI22is_equal_div_10_uniqueIyEEEPmJS6_EEE10hipError_tPvRmT3_T4_T5_T6_T7_T9_mT8_P12ihipStream_tbDpT10_ENKUlT_T0_E_clISt17integral_constantIbLb0EES19_IbLb1EEEEDaS15_S16_EUlS15_E_NS1_11comp_targetILNS1_3genE5ELNS1_11target_archE942ELNS1_3gpuE9ELNS1_3repE0EEENS1_30default_config_static_selectorELNS0_4arch9wavefront6targetE1EEEvT1_,"axG",@progbits,_ZN7rocprim17ROCPRIM_400000_NS6detail17trampoline_kernelINS0_14default_configENS1_25partition_config_selectorILNS1_17partition_subalgoE8EyNS0_10empty_typeEbEEZZNS1_14partition_implILS5_8ELb0ES3_jN6thrust23THRUST_200600_302600_NS6detail15normal_iteratorINSA_10device_ptrIyEEEEPS6_PKS6_NS0_5tupleIJSF_S6_EEENSJ_IJSG_SG_EEENS0_18inequality_wrapperI22is_equal_div_10_uniqueIyEEEPmJS6_EEE10hipError_tPvRmT3_T4_T5_T6_T7_T9_mT8_P12ihipStream_tbDpT10_ENKUlT_T0_E_clISt17integral_constantIbLb0EES19_IbLb1EEEEDaS15_S16_EUlS15_E_NS1_11comp_targetILNS1_3genE5ELNS1_11target_archE942ELNS1_3gpuE9ELNS1_3repE0EEENS1_30default_config_static_selectorELNS0_4arch9wavefront6targetE1EEEvT1_,comdat
.Lfunc_end202:
	.size	_ZN7rocprim17ROCPRIM_400000_NS6detail17trampoline_kernelINS0_14default_configENS1_25partition_config_selectorILNS1_17partition_subalgoE8EyNS0_10empty_typeEbEEZZNS1_14partition_implILS5_8ELb0ES3_jN6thrust23THRUST_200600_302600_NS6detail15normal_iteratorINSA_10device_ptrIyEEEEPS6_PKS6_NS0_5tupleIJSF_S6_EEENSJ_IJSG_SG_EEENS0_18inequality_wrapperI22is_equal_div_10_uniqueIyEEEPmJS6_EEE10hipError_tPvRmT3_T4_T5_T6_T7_T9_mT8_P12ihipStream_tbDpT10_ENKUlT_T0_E_clISt17integral_constantIbLb0EES19_IbLb1EEEEDaS15_S16_EUlS15_E_NS1_11comp_targetILNS1_3genE5ELNS1_11target_archE942ELNS1_3gpuE9ELNS1_3repE0EEENS1_30default_config_static_selectorELNS0_4arch9wavefront6targetE1EEEvT1_, .Lfunc_end202-_ZN7rocprim17ROCPRIM_400000_NS6detail17trampoline_kernelINS0_14default_configENS1_25partition_config_selectorILNS1_17partition_subalgoE8EyNS0_10empty_typeEbEEZZNS1_14partition_implILS5_8ELb0ES3_jN6thrust23THRUST_200600_302600_NS6detail15normal_iteratorINSA_10device_ptrIyEEEEPS6_PKS6_NS0_5tupleIJSF_S6_EEENSJ_IJSG_SG_EEENS0_18inequality_wrapperI22is_equal_div_10_uniqueIyEEEPmJS6_EEE10hipError_tPvRmT3_T4_T5_T6_T7_T9_mT8_P12ihipStream_tbDpT10_ENKUlT_T0_E_clISt17integral_constantIbLb0EES19_IbLb1EEEEDaS15_S16_EUlS15_E_NS1_11comp_targetILNS1_3genE5ELNS1_11target_archE942ELNS1_3gpuE9ELNS1_3repE0EEENS1_30default_config_static_selectorELNS0_4arch9wavefront6targetE1EEEvT1_
                                        ; -- End function
	.set _ZN7rocprim17ROCPRIM_400000_NS6detail17trampoline_kernelINS0_14default_configENS1_25partition_config_selectorILNS1_17partition_subalgoE8EyNS0_10empty_typeEbEEZZNS1_14partition_implILS5_8ELb0ES3_jN6thrust23THRUST_200600_302600_NS6detail15normal_iteratorINSA_10device_ptrIyEEEEPS6_PKS6_NS0_5tupleIJSF_S6_EEENSJ_IJSG_SG_EEENS0_18inequality_wrapperI22is_equal_div_10_uniqueIyEEEPmJS6_EEE10hipError_tPvRmT3_T4_T5_T6_T7_T9_mT8_P12ihipStream_tbDpT10_ENKUlT_T0_E_clISt17integral_constantIbLb0EES19_IbLb1EEEEDaS15_S16_EUlS15_E_NS1_11comp_targetILNS1_3genE5ELNS1_11target_archE942ELNS1_3gpuE9ELNS1_3repE0EEENS1_30default_config_static_selectorELNS0_4arch9wavefront6targetE1EEEvT1_.num_vgpr, 0
	.set _ZN7rocprim17ROCPRIM_400000_NS6detail17trampoline_kernelINS0_14default_configENS1_25partition_config_selectorILNS1_17partition_subalgoE8EyNS0_10empty_typeEbEEZZNS1_14partition_implILS5_8ELb0ES3_jN6thrust23THRUST_200600_302600_NS6detail15normal_iteratorINSA_10device_ptrIyEEEEPS6_PKS6_NS0_5tupleIJSF_S6_EEENSJ_IJSG_SG_EEENS0_18inequality_wrapperI22is_equal_div_10_uniqueIyEEEPmJS6_EEE10hipError_tPvRmT3_T4_T5_T6_T7_T9_mT8_P12ihipStream_tbDpT10_ENKUlT_T0_E_clISt17integral_constantIbLb0EES19_IbLb1EEEEDaS15_S16_EUlS15_E_NS1_11comp_targetILNS1_3genE5ELNS1_11target_archE942ELNS1_3gpuE9ELNS1_3repE0EEENS1_30default_config_static_selectorELNS0_4arch9wavefront6targetE1EEEvT1_.num_agpr, 0
	.set _ZN7rocprim17ROCPRIM_400000_NS6detail17trampoline_kernelINS0_14default_configENS1_25partition_config_selectorILNS1_17partition_subalgoE8EyNS0_10empty_typeEbEEZZNS1_14partition_implILS5_8ELb0ES3_jN6thrust23THRUST_200600_302600_NS6detail15normal_iteratorINSA_10device_ptrIyEEEEPS6_PKS6_NS0_5tupleIJSF_S6_EEENSJ_IJSG_SG_EEENS0_18inequality_wrapperI22is_equal_div_10_uniqueIyEEEPmJS6_EEE10hipError_tPvRmT3_T4_T5_T6_T7_T9_mT8_P12ihipStream_tbDpT10_ENKUlT_T0_E_clISt17integral_constantIbLb0EES19_IbLb1EEEEDaS15_S16_EUlS15_E_NS1_11comp_targetILNS1_3genE5ELNS1_11target_archE942ELNS1_3gpuE9ELNS1_3repE0EEENS1_30default_config_static_selectorELNS0_4arch9wavefront6targetE1EEEvT1_.numbered_sgpr, 0
	.set _ZN7rocprim17ROCPRIM_400000_NS6detail17trampoline_kernelINS0_14default_configENS1_25partition_config_selectorILNS1_17partition_subalgoE8EyNS0_10empty_typeEbEEZZNS1_14partition_implILS5_8ELb0ES3_jN6thrust23THRUST_200600_302600_NS6detail15normal_iteratorINSA_10device_ptrIyEEEEPS6_PKS6_NS0_5tupleIJSF_S6_EEENSJ_IJSG_SG_EEENS0_18inequality_wrapperI22is_equal_div_10_uniqueIyEEEPmJS6_EEE10hipError_tPvRmT3_T4_T5_T6_T7_T9_mT8_P12ihipStream_tbDpT10_ENKUlT_T0_E_clISt17integral_constantIbLb0EES19_IbLb1EEEEDaS15_S16_EUlS15_E_NS1_11comp_targetILNS1_3genE5ELNS1_11target_archE942ELNS1_3gpuE9ELNS1_3repE0EEENS1_30default_config_static_selectorELNS0_4arch9wavefront6targetE1EEEvT1_.num_named_barrier, 0
	.set _ZN7rocprim17ROCPRIM_400000_NS6detail17trampoline_kernelINS0_14default_configENS1_25partition_config_selectorILNS1_17partition_subalgoE8EyNS0_10empty_typeEbEEZZNS1_14partition_implILS5_8ELb0ES3_jN6thrust23THRUST_200600_302600_NS6detail15normal_iteratorINSA_10device_ptrIyEEEEPS6_PKS6_NS0_5tupleIJSF_S6_EEENSJ_IJSG_SG_EEENS0_18inequality_wrapperI22is_equal_div_10_uniqueIyEEEPmJS6_EEE10hipError_tPvRmT3_T4_T5_T6_T7_T9_mT8_P12ihipStream_tbDpT10_ENKUlT_T0_E_clISt17integral_constantIbLb0EES19_IbLb1EEEEDaS15_S16_EUlS15_E_NS1_11comp_targetILNS1_3genE5ELNS1_11target_archE942ELNS1_3gpuE9ELNS1_3repE0EEENS1_30default_config_static_selectorELNS0_4arch9wavefront6targetE1EEEvT1_.private_seg_size, 0
	.set _ZN7rocprim17ROCPRIM_400000_NS6detail17trampoline_kernelINS0_14default_configENS1_25partition_config_selectorILNS1_17partition_subalgoE8EyNS0_10empty_typeEbEEZZNS1_14partition_implILS5_8ELb0ES3_jN6thrust23THRUST_200600_302600_NS6detail15normal_iteratorINSA_10device_ptrIyEEEEPS6_PKS6_NS0_5tupleIJSF_S6_EEENSJ_IJSG_SG_EEENS0_18inequality_wrapperI22is_equal_div_10_uniqueIyEEEPmJS6_EEE10hipError_tPvRmT3_T4_T5_T6_T7_T9_mT8_P12ihipStream_tbDpT10_ENKUlT_T0_E_clISt17integral_constantIbLb0EES19_IbLb1EEEEDaS15_S16_EUlS15_E_NS1_11comp_targetILNS1_3genE5ELNS1_11target_archE942ELNS1_3gpuE9ELNS1_3repE0EEENS1_30default_config_static_selectorELNS0_4arch9wavefront6targetE1EEEvT1_.uses_vcc, 0
	.set _ZN7rocprim17ROCPRIM_400000_NS6detail17trampoline_kernelINS0_14default_configENS1_25partition_config_selectorILNS1_17partition_subalgoE8EyNS0_10empty_typeEbEEZZNS1_14partition_implILS5_8ELb0ES3_jN6thrust23THRUST_200600_302600_NS6detail15normal_iteratorINSA_10device_ptrIyEEEEPS6_PKS6_NS0_5tupleIJSF_S6_EEENSJ_IJSG_SG_EEENS0_18inequality_wrapperI22is_equal_div_10_uniqueIyEEEPmJS6_EEE10hipError_tPvRmT3_T4_T5_T6_T7_T9_mT8_P12ihipStream_tbDpT10_ENKUlT_T0_E_clISt17integral_constantIbLb0EES19_IbLb1EEEEDaS15_S16_EUlS15_E_NS1_11comp_targetILNS1_3genE5ELNS1_11target_archE942ELNS1_3gpuE9ELNS1_3repE0EEENS1_30default_config_static_selectorELNS0_4arch9wavefront6targetE1EEEvT1_.uses_flat_scratch, 0
	.set _ZN7rocprim17ROCPRIM_400000_NS6detail17trampoline_kernelINS0_14default_configENS1_25partition_config_selectorILNS1_17partition_subalgoE8EyNS0_10empty_typeEbEEZZNS1_14partition_implILS5_8ELb0ES3_jN6thrust23THRUST_200600_302600_NS6detail15normal_iteratorINSA_10device_ptrIyEEEEPS6_PKS6_NS0_5tupleIJSF_S6_EEENSJ_IJSG_SG_EEENS0_18inequality_wrapperI22is_equal_div_10_uniqueIyEEEPmJS6_EEE10hipError_tPvRmT3_T4_T5_T6_T7_T9_mT8_P12ihipStream_tbDpT10_ENKUlT_T0_E_clISt17integral_constantIbLb0EES19_IbLb1EEEEDaS15_S16_EUlS15_E_NS1_11comp_targetILNS1_3genE5ELNS1_11target_archE942ELNS1_3gpuE9ELNS1_3repE0EEENS1_30default_config_static_selectorELNS0_4arch9wavefront6targetE1EEEvT1_.has_dyn_sized_stack, 0
	.set _ZN7rocprim17ROCPRIM_400000_NS6detail17trampoline_kernelINS0_14default_configENS1_25partition_config_selectorILNS1_17partition_subalgoE8EyNS0_10empty_typeEbEEZZNS1_14partition_implILS5_8ELb0ES3_jN6thrust23THRUST_200600_302600_NS6detail15normal_iteratorINSA_10device_ptrIyEEEEPS6_PKS6_NS0_5tupleIJSF_S6_EEENSJ_IJSG_SG_EEENS0_18inequality_wrapperI22is_equal_div_10_uniqueIyEEEPmJS6_EEE10hipError_tPvRmT3_T4_T5_T6_T7_T9_mT8_P12ihipStream_tbDpT10_ENKUlT_T0_E_clISt17integral_constantIbLb0EES19_IbLb1EEEEDaS15_S16_EUlS15_E_NS1_11comp_targetILNS1_3genE5ELNS1_11target_archE942ELNS1_3gpuE9ELNS1_3repE0EEENS1_30default_config_static_selectorELNS0_4arch9wavefront6targetE1EEEvT1_.has_recursion, 0
	.set _ZN7rocprim17ROCPRIM_400000_NS6detail17trampoline_kernelINS0_14default_configENS1_25partition_config_selectorILNS1_17partition_subalgoE8EyNS0_10empty_typeEbEEZZNS1_14partition_implILS5_8ELb0ES3_jN6thrust23THRUST_200600_302600_NS6detail15normal_iteratorINSA_10device_ptrIyEEEEPS6_PKS6_NS0_5tupleIJSF_S6_EEENSJ_IJSG_SG_EEENS0_18inequality_wrapperI22is_equal_div_10_uniqueIyEEEPmJS6_EEE10hipError_tPvRmT3_T4_T5_T6_T7_T9_mT8_P12ihipStream_tbDpT10_ENKUlT_T0_E_clISt17integral_constantIbLb0EES19_IbLb1EEEEDaS15_S16_EUlS15_E_NS1_11comp_targetILNS1_3genE5ELNS1_11target_archE942ELNS1_3gpuE9ELNS1_3repE0EEENS1_30default_config_static_selectorELNS0_4arch9wavefront6targetE1EEEvT1_.has_indirect_call, 0
	.section	.AMDGPU.csdata,"",@progbits
; Kernel info:
; codeLenInByte = 0
; TotalNumSgprs: 4
; NumVgprs: 0
; ScratchSize: 0
; MemoryBound: 0
; FloatMode: 240
; IeeeMode: 1
; LDSByteSize: 0 bytes/workgroup (compile time only)
; SGPRBlocks: 0
; VGPRBlocks: 0
; NumSGPRsForWavesPerEU: 4
; NumVGPRsForWavesPerEU: 1
; Occupancy: 10
; WaveLimiterHint : 0
; COMPUTE_PGM_RSRC2:SCRATCH_EN: 0
; COMPUTE_PGM_RSRC2:USER_SGPR: 6
; COMPUTE_PGM_RSRC2:TRAP_HANDLER: 0
; COMPUTE_PGM_RSRC2:TGID_X_EN: 1
; COMPUTE_PGM_RSRC2:TGID_Y_EN: 0
; COMPUTE_PGM_RSRC2:TGID_Z_EN: 0
; COMPUTE_PGM_RSRC2:TIDIG_COMP_CNT: 0
	.section	.text._ZN7rocprim17ROCPRIM_400000_NS6detail17trampoline_kernelINS0_14default_configENS1_25partition_config_selectorILNS1_17partition_subalgoE8EyNS0_10empty_typeEbEEZZNS1_14partition_implILS5_8ELb0ES3_jN6thrust23THRUST_200600_302600_NS6detail15normal_iteratorINSA_10device_ptrIyEEEEPS6_PKS6_NS0_5tupleIJSF_S6_EEENSJ_IJSG_SG_EEENS0_18inequality_wrapperI22is_equal_div_10_uniqueIyEEEPmJS6_EEE10hipError_tPvRmT3_T4_T5_T6_T7_T9_mT8_P12ihipStream_tbDpT10_ENKUlT_T0_E_clISt17integral_constantIbLb0EES19_IbLb1EEEEDaS15_S16_EUlS15_E_NS1_11comp_targetILNS1_3genE4ELNS1_11target_archE910ELNS1_3gpuE8ELNS1_3repE0EEENS1_30default_config_static_selectorELNS0_4arch9wavefront6targetE1EEEvT1_,"axG",@progbits,_ZN7rocprim17ROCPRIM_400000_NS6detail17trampoline_kernelINS0_14default_configENS1_25partition_config_selectorILNS1_17partition_subalgoE8EyNS0_10empty_typeEbEEZZNS1_14partition_implILS5_8ELb0ES3_jN6thrust23THRUST_200600_302600_NS6detail15normal_iteratorINSA_10device_ptrIyEEEEPS6_PKS6_NS0_5tupleIJSF_S6_EEENSJ_IJSG_SG_EEENS0_18inequality_wrapperI22is_equal_div_10_uniqueIyEEEPmJS6_EEE10hipError_tPvRmT3_T4_T5_T6_T7_T9_mT8_P12ihipStream_tbDpT10_ENKUlT_T0_E_clISt17integral_constantIbLb0EES19_IbLb1EEEEDaS15_S16_EUlS15_E_NS1_11comp_targetILNS1_3genE4ELNS1_11target_archE910ELNS1_3gpuE8ELNS1_3repE0EEENS1_30default_config_static_selectorELNS0_4arch9wavefront6targetE1EEEvT1_,comdat
	.protected	_ZN7rocprim17ROCPRIM_400000_NS6detail17trampoline_kernelINS0_14default_configENS1_25partition_config_selectorILNS1_17partition_subalgoE8EyNS0_10empty_typeEbEEZZNS1_14partition_implILS5_8ELb0ES3_jN6thrust23THRUST_200600_302600_NS6detail15normal_iteratorINSA_10device_ptrIyEEEEPS6_PKS6_NS0_5tupleIJSF_S6_EEENSJ_IJSG_SG_EEENS0_18inequality_wrapperI22is_equal_div_10_uniqueIyEEEPmJS6_EEE10hipError_tPvRmT3_T4_T5_T6_T7_T9_mT8_P12ihipStream_tbDpT10_ENKUlT_T0_E_clISt17integral_constantIbLb0EES19_IbLb1EEEEDaS15_S16_EUlS15_E_NS1_11comp_targetILNS1_3genE4ELNS1_11target_archE910ELNS1_3gpuE8ELNS1_3repE0EEENS1_30default_config_static_selectorELNS0_4arch9wavefront6targetE1EEEvT1_ ; -- Begin function _ZN7rocprim17ROCPRIM_400000_NS6detail17trampoline_kernelINS0_14default_configENS1_25partition_config_selectorILNS1_17partition_subalgoE8EyNS0_10empty_typeEbEEZZNS1_14partition_implILS5_8ELb0ES3_jN6thrust23THRUST_200600_302600_NS6detail15normal_iteratorINSA_10device_ptrIyEEEEPS6_PKS6_NS0_5tupleIJSF_S6_EEENSJ_IJSG_SG_EEENS0_18inequality_wrapperI22is_equal_div_10_uniqueIyEEEPmJS6_EEE10hipError_tPvRmT3_T4_T5_T6_T7_T9_mT8_P12ihipStream_tbDpT10_ENKUlT_T0_E_clISt17integral_constantIbLb0EES19_IbLb1EEEEDaS15_S16_EUlS15_E_NS1_11comp_targetILNS1_3genE4ELNS1_11target_archE910ELNS1_3gpuE8ELNS1_3repE0EEENS1_30default_config_static_selectorELNS0_4arch9wavefront6targetE1EEEvT1_
	.globl	_ZN7rocprim17ROCPRIM_400000_NS6detail17trampoline_kernelINS0_14default_configENS1_25partition_config_selectorILNS1_17partition_subalgoE8EyNS0_10empty_typeEbEEZZNS1_14partition_implILS5_8ELb0ES3_jN6thrust23THRUST_200600_302600_NS6detail15normal_iteratorINSA_10device_ptrIyEEEEPS6_PKS6_NS0_5tupleIJSF_S6_EEENSJ_IJSG_SG_EEENS0_18inequality_wrapperI22is_equal_div_10_uniqueIyEEEPmJS6_EEE10hipError_tPvRmT3_T4_T5_T6_T7_T9_mT8_P12ihipStream_tbDpT10_ENKUlT_T0_E_clISt17integral_constantIbLb0EES19_IbLb1EEEEDaS15_S16_EUlS15_E_NS1_11comp_targetILNS1_3genE4ELNS1_11target_archE910ELNS1_3gpuE8ELNS1_3repE0EEENS1_30default_config_static_selectorELNS0_4arch9wavefront6targetE1EEEvT1_
	.p2align	8
	.type	_ZN7rocprim17ROCPRIM_400000_NS6detail17trampoline_kernelINS0_14default_configENS1_25partition_config_selectorILNS1_17partition_subalgoE8EyNS0_10empty_typeEbEEZZNS1_14partition_implILS5_8ELb0ES3_jN6thrust23THRUST_200600_302600_NS6detail15normal_iteratorINSA_10device_ptrIyEEEEPS6_PKS6_NS0_5tupleIJSF_S6_EEENSJ_IJSG_SG_EEENS0_18inequality_wrapperI22is_equal_div_10_uniqueIyEEEPmJS6_EEE10hipError_tPvRmT3_T4_T5_T6_T7_T9_mT8_P12ihipStream_tbDpT10_ENKUlT_T0_E_clISt17integral_constantIbLb0EES19_IbLb1EEEEDaS15_S16_EUlS15_E_NS1_11comp_targetILNS1_3genE4ELNS1_11target_archE910ELNS1_3gpuE8ELNS1_3repE0EEENS1_30default_config_static_selectorELNS0_4arch9wavefront6targetE1EEEvT1_,@function
_ZN7rocprim17ROCPRIM_400000_NS6detail17trampoline_kernelINS0_14default_configENS1_25partition_config_selectorILNS1_17partition_subalgoE8EyNS0_10empty_typeEbEEZZNS1_14partition_implILS5_8ELb0ES3_jN6thrust23THRUST_200600_302600_NS6detail15normal_iteratorINSA_10device_ptrIyEEEEPS6_PKS6_NS0_5tupleIJSF_S6_EEENSJ_IJSG_SG_EEENS0_18inequality_wrapperI22is_equal_div_10_uniqueIyEEEPmJS6_EEE10hipError_tPvRmT3_T4_T5_T6_T7_T9_mT8_P12ihipStream_tbDpT10_ENKUlT_T0_E_clISt17integral_constantIbLb0EES19_IbLb1EEEEDaS15_S16_EUlS15_E_NS1_11comp_targetILNS1_3genE4ELNS1_11target_archE910ELNS1_3gpuE8ELNS1_3repE0EEENS1_30default_config_static_selectorELNS0_4arch9wavefront6targetE1EEEvT1_: ; @_ZN7rocprim17ROCPRIM_400000_NS6detail17trampoline_kernelINS0_14default_configENS1_25partition_config_selectorILNS1_17partition_subalgoE8EyNS0_10empty_typeEbEEZZNS1_14partition_implILS5_8ELb0ES3_jN6thrust23THRUST_200600_302600_NS6detail15normal_iteratorINSA_10device_ptrIyEEEEPS6_PKS6_NS0_5tupleIJSF_S6_EEENSJ_IJSG_SG_EEENS0_18inequality_wrapperI22is_equal_div_10_uniqueIyEEEPmJS6_EEE10hipError_tPvRmT3_T4_T5_T6_T7_T9_mT8_P12ihipStream_tbDpT10_ENKUlT_T0_E_clISt17integral_constantIbLb0EES19_IbLb1EEEEDaS15_S16_EUlS15_E_NS1_11comp_targetILNS1_3genE4ELNS1_11target_archE910ELNS1_3gpuE8ELNS1_3repE0EEENS1_30default_config_static_selectorELNS0_4arch9wavefront6targetE1EEEvT1_
; %bb.0:
	.section	.rodata,"a",@progbits
	.p2align	6, 0x0
	.amdhsa_kernel _ZN7rocprim17ROCPRIM_400000_NS6detail17trampoline_kernelINS0_14default_configENS1_25partition_config_selectorILNS1_17partition_subalgoE8EyNS0_10empty_typeEbEEZZNS1_14partition_implILS5_8ELb0ES3_jN6thrust23THRUST_200600_302600_NS6detail15normal_iteratorINSA_10device_ptrIyEEEEPS6_PKS6_NS0_5tupleIJSF_S6_EEENSJ_IJSG_SG_EEENS0_18inequality_wrapperI22is_equal_div_10_uniqueIyEEEPmJS6_EEE10hipError_tPvRmT3_T4_T5_T6_T7_T9_mT8_P12ihipStream_tbDpT10_ENKUlT_T0_E_clISt17integral_constantIbLb0EES19_IbLb1EEEEDaS15_S16_EUlS15_E_NS1_11comp_targetILNS1_3genE4ELNS1_11target_archE910ELNS1_3gpuE8ELNS1_3repE0EEENS1_30default_config_static_selectorELNS0_4arch9wavefront6targetE1EEEvT1_
		.amdhsa_group_segment_fixed_size 0
		.amdhsa_private_segment_fixed_size 0
		.amdhsa_kernarg_size 128
		.amdhsa_user_sgpr_count 6
		.amdhsa_user_sgpr_private_segment_buffer 1
		.amdhsa_user_sgpr_dispatch_ptr 0
		.amdhsa_user_sgpr_queue_ptr 0
		.amdhsa_user_sgpr_kernarg_segment_ptr 1
		.amdhsa_user_sgpr_dispatch_id 0
		.amdhsa_user_sgpr_flat_scratch_init 0
		.amdhsa_user_sgpr_private_segment_size 0
		.amdhsa_uses_dynamic_stack 0
		.amdhsa_system_sgpr_private_segment_wavefront_offset 0
		.amdhsa_system_sgpr_workgroup_id_x 1
		.amdhsa_system_sgpr_workgroup_id_y 0
		.amdhsa_system_sgpr_workgroup_id_z 0
		.amdhsa_system_sgpr_workgroup_info 0
		.amdhsa_system_vgpr_workitem_id 0
		.amdhsa_next_free_vgpr 1
		.amdhsa_next_free_sgpr 0
		.amdhsa_reserve_vcc 0
		.amdhsa_reserve_flat_scratch 0
		.amdhsa_float_round_mode_32 0
		.amdhsa_float_round_mode_16_64 0
		.amdhsa_float_denorm_mode_32 3
		.amdhsa_float_denorm_mode_16_64 3
		.amdhsa_dx10_clamp 1
		.amdhsa_ieee_mode 1
		.amdhsa_fp16_overflow 0
		.amdhsa_exception_fp_ieee_invalid_op 0
		.amdhsa_exception_fp_denorm_src 0
		.amdhsa_exception_fp_ieee_div_zero 0
		.amdhsa_exception_fp_ieee_overflow 0
		.amdhsa_exception_fp_ieee_underflow 0
		.amdhsa_exception_fp_ieee_inexact 0
		.amdhsa_exception_int_div_zero 0
	.end_amdhsa_kernel
	.section	.text._ZN7rocprim17ROCPRIM_400000_NS6detail17trampoline_kernelINS0_14default_configENS1_25partition_config_selectorILNS1_17partition_subalgoE8EyNS0_10empty_typeEbEEZZNS1_14partition_implILS5_8ELb0ES3_jN6thrust23THRUST_200600_302600_NS6detail15normal_iteratorINSA_10device_ptrIyEEEEPS6_PKS6_NS0_5tupleIJSF_S6_EEENSJ_IJSG_SG_EEENS0_18inequality_wrapperI22is_equal_div_10_uniqueIyEEEPmJS6_EEE10hipError_tPvRmT3_T4_T5_T6_T7_T9_mT8_P12ihipStream_tbDpT10_ENKUlT_T0_E_clISt17integral_constantIbLb0EES19_IbLb1EEEEDaS15_S16_EUlS15_E_NS1_11comp_targetILNS1_3genE4ELNS1_11target_archE910ELNS1_3gpuE8ELNS1_3repE0EEENS1_30default_config_static_selectorELNS0_4arch9wavefront6targetE1EEEvT1_,"axG",@progbits,_ZN7rocprim17ROCPRIM_400000_NS6detail17trampoline_kernelINS0_14default_configENS1_25partition_config_selectorILNS1_17partition_subalgoE8EyNS0_10empty_typeEbEEZZNS1_14partition_implILS5_8ELb0ES3_jN6thrust23THRUST_200600_302600_NS6detail15normal_iteratorINSA_10device_ptrIyEEEEPS6_PKS6_NS0_5tupleIJSF_S6_EEENSJ_IJSG_SG_EEENS0_18inequality_wrapperI22is_equal_div_10_uniqueIyEEEPmJS6_EEE10hipError_tPvRmT3_T4_T5_T6_T7_T9_mT8_P12ihipStream_tbDpT10_ENKUlT_T0_E_clISt17integral_constantIbLb0EES19_IbLb1EEEEDaS15_S16_EUlS15_E_NS1_11comp_targetILNS1_3genE4ELNS1_11target_archE910ELNS1_3gpuE8ELNS1_3repE0EEENS1_30default_config_static_selectorELNS0_4arch9wavefront6targetE1EEEvT1_,comdat
.Lfunc_end203:
	.size	_ZN7rocprim17ROCPRIM_400000_NS6detail17trampoline_kernelINS0_14default_configENS1_25partition_config_selectorILNS1_17partition_subalgoE8EyNS0_10empty_typeEbEEZZNS1_14partition_implILS5_8ELb0ES3_jN6thrust23THRUST_200600_302600_NS6detail15normal_iteratorINSA_10device_ptrIyEEEEPS6_PKS6_NS0_5tupleIJSF_S6_EEENSJ_IJSG_SG_EEENS0_18inequality_wrapperI22is_equal_div_10_uniqueIyEEEPmJS6_EEE10hipError_tPvRmT3_T4_T5_T6_T7_T9_mT8_P12ihipStream_tbDpT10_ENKUlT_T0_E_clISt17integral_constantIbLb0EES19_IbLb1EEEEDaS15_S16_EUlS15_E_NS1_11comp_targetILNS1_3genE4ELNS1_11target_archE910ELNS1_3gpuE8ELNS1_3repE0EEENS1_30default_config_static_selectorELNS0_4arch9wavefront6targetE1EEEvT1_, .Lfunc_end203-_ZN7rocprim17ROCPRIM_400000_NS6detail17trampoline_kernelINS0_14default_configENS1_25partition_config_selectorILNS1_17partition_subalgoE8EyNS0_10empty_typeEbEEZZNS1_14partition_implILS5_8ELb0ES3_jN6thrust23THRUST_200600_302600_NS6detail15normal_iteratorINSA_10device_ptrIyEEEEPS6_PKS6_NS0_5tupleIJSF_S6_EEENSJ_IJSG_SG_EEENS0_18inequality_wrapperI22is_equal_div_10_uniqueIyEEEPmJS6_EEE10hipError_tPvRmT3_T4_T5_T6_T7_T9_mT8_P12ihipStream_tbDpT10_ENKUlT_T0_E_clISt17integral_constantIbLb0EES19_IbLb1EEEEDaS15_S16_EUlS15_E_NS1_11comp_targetILNS1_3genE4ELNS1_11target_archE910ELNS1_3gpuE8ELNS1_3repE0EEENS1_30default_config_static_selectorELNS0_4arch9wavefront6targetE1EEEvT1_
                                        ; -- End function
	.set _ZN7rocprim17ROCPRIM_400000_NS6detail17trampoline_kernelINS0_14default_configENS1_25partition_config_selectorILNS1_17partition_subalgoE8EyNS0_10empty_typeEbEEZZNS1_14partition_implILS5_8ELb0ES3_jN6thrust23THRUST_200600_302600_NS6detail15normal_iteratorINSA_10device_ptrIyEEEEPS6_PKS6_NS0_5tupleIJSF_S6_EEENSJ_IJSG_SG_EEENS0_18inequality_wrapperI22is_equal_div_10_uniqueIyEEEPmJS6_EEE10hipError_tPvRmT3_T4_T5_T6_T7_T9_mT8_P12ihipStream_tbDpT10_ENKUlT_T0_E_clISt17integral_constantIbLb0EES19_IbLb1EEEEDaS15_S16_EUlS15_E_NS1_11comp_targetILNS1_3genE4ELNS1_11target_archE910ELNS1_3gpuE8ELNS1_3repE0EEENS1_30default_config_static_selectorELNS0_4arch9wavefront6targetE1EEEvT1_.num_vgpr, 0
	.set _ZN7rocprim17ROCPRIM_400000_NS6detail17trampoline_kernelINS0_14default_configENS1_25partition_config_selectorILNS1_17partition_subalgoE8EyNS0_10empty_typeEbEEZZNS1_14partition_implILS5_8ELb0ES3_jN6thrust23THRUST_200600_302600_NS6detail15normal_iteratorINSA_10device_ptrIyEEEEPS6_PKS6_NS0_5tupleIJSF_S6_EEENSJ_IJSG_SG_EEENS0_18inequality_wrapperI22is_equal_div_10_uniqueIyEEEPmJS6_EEE10hipError_tPvRmT3_T4_T5_T6_T7_T9_mT8_P12ihipStream_tbDpT10_ENKUlT_T0_E_clISt17integral_constantIbLb0EES19_IbLb1EEEEDaS15_S16_EUlS15_E_NS1_11comp_targetILNS1_3genE4ELNS1_11target_archE910ELNS1_3gpuE8ELNS1_3repE0EEENS1_30default_config_static_selectorELNS0_4arch9wavefront6targetE1EEEvT1_.num_agpr, 0
	.set _ZN7rocprim17ROCPRIM_400000_NS6detail17trampoline_kernelINS0_14default_configENS1_25partition_config_selectorILNS1_17partition_subalgoE8EyNS0_10empty_typeEbEEZZNS1_14partition_implILS5_8ELb0ES3_jN6thrust23THRUST_200600_302600_NS6detail15normal_iteratorINSA_10device_ptrIyEEEEPS6_PKS6_NS0_5tupleIJSF_S6_EEENSJ_IJSG_SG_EEENS0_18inequality_wrapperI22is_equal_div_10_uniqueIyEEEPmJS6_EEE10hipError_tPvRmT3_T4_T5_T6_T7_T9_mT8_P12ihipStream_tbDpT10_ENKUlT_T0_E_clISt17integral_constantIbLb0EES19_IbLb1EEEEDaS15_S16_EUlS15_E_NS1_11comp_targetILNS1_3genE4ELNS1_11target_archE910ELNS1_3gpuE8ELNS1_3repE0EEENS1_30default_config_static_selectorELNS0_4arch9wavefront6targetE1EEEvT1_.numbered_sgpr, 0
	.set _ZN7rocprim17ROCPRIM_400000_NS6detail17trampoline_kernelINS0_14default_configENS1_25partition_config_selectorILNS1_17partition_subalgoE8EyNS0_10empty_typeEbEEZZNS1_14partition_implILS5_8ELb0ES3_jN6thrust23THRUST_200600_302600_NS6detail15normal_iteratorINSA_10device_ptrIyEEEEPS6_PKS6_NS0_5tupleIJSF_S6_EEENSJ_IJSG_SG_EEENS0_18inequality_wrapperI22is_equal_div_10_uniqueIyEEEPmJS6_EEE10hipError_tPvRmT3_T4_T5_T6_T7_T9_mT8_P12ihipStream_tbDpT10_ENKUlT_T0_E_clISt17integral_constantIbLb0EES19_IbLb1EEEEDaS15_S16_EUlS15_E_NS1_11comp_targetILNS1_3genE4ELNS1_11target_archE910ELNS1_3gpuE8ELNS1_3repE0EEENS1_30default_config_static_selectorELNS0_4arch9wavefront6targetE1EEEvT1_.num_named_barrier, 0
	.set _ZN7rocprim17ROCPRIM_400000_NS6detail17trampoline_kernelINS0_14default_configENS1_25partition_config_selectorILNS1_17partition_subalgoE8EyNS0_10empty_typeEbEEZZNS1_14partition_implILS5_8ELb0ES3_jN6thrust23THRUST_200600_302600_NS6detail15normal_iteratorINSA_10device_ptrIyEEEEPS6_PKS6_NS0_5tupleIJSF_S6_EEENSJ_IJSG_SG_EEENS0_18inequality_wrapperI22is_equal_div_10_uniqueIyEEEPmJS6_EEE10hipError_tPvRmT3_T4_T5_T6_T7_T9_mT8_P12ihipStream_tbDpT10_ENKUlT_T0_E_clISt17integral_constantIbLb0EES19_IbLb1EEEEDaS15_S16_EUlS15_E_NS1_11comp_targetILNS1_3genE4ELNS1_11target_archE910ELNS1_3gpuE8ELNS1_3repE0EEENS1_30default_config_static_selectorELNS0_4arch9wavefront6targetE1EEEvT1_.private_seg_size, 0
	.set _ZN7rocprim17ROCPRIM_400000_NS6detail17trampoline_kernelINS0_14default_configENS1_25partition_config_selectorILNS1_17partition_subalgoE8EyNS0_10empty_typeEbEEZZNS1_14partition_implILS5_8ELb0ES3_jN6thrust23THRUST_200600_302600_NS6detail15normal_iteratorINSA_10device_ptrIyEEEEPS6_PKS6_NS0_5tupleIJSF_S6_EEENSJ_IJSG_SG_EEENS0_18inequality_wrapperI22is_equal_div_10_uniqueIyEEEPmJS6_EEE10hipError_tPvRmT3_T4_T5_T6_T7_T9_mT8_P12ihipStream_tbDpT10_ENKUlT_T0_E_clISt17integral_constantIbLb0EES19_IbLb1EEEEDaS15_S16_EUlS15_E_NS1_11comp_targetILNS1_3genE4ELNS1_11target_archE910ELNS1_3gpuE8ELNS1_3repE0EEENS1_30default_config_static_selectorELNS0_4arch9wavefront6targetE1EEEvT1_.uses_vcc, 0
	.set _ZN7rocprim17ROCPRIM_400000_NS6detail17trampoline_kernelINS0_14default_configENS1_25partition_config_selectorILNS1_17partition_subalgoE8EyNS0_10empty_typeEbEEZZNS1_14partition_implILS5_8ELb0ES3_jN6thrust23THRUST_200600_302600_NS6detail15normal_iteratorINSA_10device_ptrIyEEEEPS6_PKS6_NS0_5tupleIJSF_S6_EEENSJ_IJSG_SG_EEENS0_18inequality_wrapperI22is_equal_div_10_uniqueIyEEEPmJS6_EEE10hipError_tPvRmT3_T4_T5_T6_T7_T9_mT8_P12ihipStream_tbDpT10_ENKUlT_T0_E_clISt17integral_constantIbLb0EES19_IbLb1EEEEDaS15_S16_EUlS15_E_NS1_11comp_targetILNS1_3genE4ELNS1_11target_archE910ELNS1_3gpuE8ELNS1_3repE0EEENS1_30default_config_static_selectorELNS0_4arch9wavefront6targetE1EEEvT1_.uses_flat_scratch, 0
	.set _ZN7rocprim17ROCPRIM_400000_NS6detail17trampoline_kernelINS0_14default_configENS1_25partition_config_selectorILNS1_17partition_subalgoE8EyNS0_10empty_typeEbEEZZNS1_14partition_implILS5_8ELb0ES3_jN6thrust23THRUST_200600_302600_NS6detail15normal_iteratorINSA_10device_ptrIyEEEEPS6_PKS6_NS0_5tupleIJSF_S6_EEENSJ_IJSG_SG_EEENS0_18inequality_wrapperI22is_equal_div_10_uniqueIyEEEPmJS6_EEE10hipError_tPvRmT3_T4_T5_T6_T7_T9_mT8_P12ihipStream_tbDpT10_ENKUlT_T0_E_clISt17integral_constantIbLb0EES19_IbLb1EEEEDaS15_S16_EUlS15_E_NS1_11comp_targetILNS1_3genE4ELNS1_11target_archE910ELNS1_3gpuE8ELNS1_3repE0EEENS1_30default_config_static_selectorELNS0_4arch9wavefront6targetE1EEEvT1_.has_dyn_sized_stack, 0
	.set _ZN7rocprim17ROCPRIM_400000_NS6detail17trampoline_kernelINS0_14default_configENS1_25partition_config_selectorILNS1_17partition_subalgoE8EyNS0_10empty_typeEbEEZZNS1_14partition_implILS5_8ELb0ES3_jN6thrust23THRUST_200600_302600_NS6detail15normal_iteratorINSA_10device_ptrIyEEEEPS6_PKS6_NS0_5tupleIJSF_S6_EEENSJ_IJSG_SG_EEENS0_18inequality_wrapperI22is_equal_div_10_uniqueIyEEEPmJS6_EEE10hipError_tPvRmT3_T4_T5_T6_T7_T9_mT8_P12ihipStream_tbDpT10_ENKUlT_T0_E_clISt17integral_constantIbLb0EES19_IbLb1EEEEDaS15_S16_EUlS15_E_NS1_11comp_targetILNS1_3genE4ELNS1_11target_archE910ELNS1_3gpuE8ELNS1_3repE0EEENS1_30default_config_static_selectorELNS0_4arch9wavefront6targetE1EEEvT1_.has_recursion, 0
	.set _ZN7rocprim17ROCPRIM_400000_NS6detail17trampoline_kernelINS0_14default_configENS1_25partition_config_selectorILNS1_17partition_subalgoE8EyNS0_10empty_typeEbEEZZNS1_14partition_implILS5_8ELb0ES3_jN6thrust23THRUST_200600_302600_NS6detail15normal_iteratorINSA_10device_ptrIyEEEEPS6_PKS6_NS0_5tupleIJSF_S6_EEENSJ_IJSG_SG_EEENS0_18inequality_wrapperI22is_equal_div_10_uniqueIyEEEPmJS6_EEE10hipError_tPvRmT3_T4_T5_T6_T7_T9_mT8_P12ihipStream_tbDpT10_ENKUlT_T0_E_clISt17integral_constantIbLb0EES19_IbLb1EEEEDaS15_S16_EUlS15_E_NS1_11comp_targetILNS1_3genE4ELNS1_11target_archE910ELNS1_3gpuE8ELNS1_3repE0EEENS1_30default_config_static_selectorELNS0_4arch9wavefront6targetE1EEEvT1_.has_indirect_call, 0
	.section	.AMDGPU.csdata,"",@progbits
; Kernel info:
; codeLenInByte = 0
; TotalNumSgprs: 4
; NumVgprs: 0
; ScratchSize: 0
; MemoryBound: 0
; FloatMode: 240
; IeeeMode: 1
; LDSByteSize: 0 bytes/workgroup (compile time only)
; SGPRBlocks: 0
; VGPRBlocks: 0
; NumSGPRsForWavesPerEU: 4
; NumVGPRsForWavesPerEU: 1
; Occupancy: 10
; WaveLimiterHint : 0
; COMPUTE_PGM_RSRC2:SCRATCH_EN: 0
; COMPUTE_PGM_RSRC2:USER_SGPR: 6
; COMPUTE_PGM_RSRC2:TRAP_HANDLER: 0
; COMPUTE_PGM_RSRC2:TGID_X_EN: 1
; COMPUTE_PGM_RSRC2:TGID_Y_EN: 0
; COMPUTE_PGM_RSRC2:TGID_Z_EN: 0
; COMPUTE_PGM_RSRC2:TIDIG_COMP_CNT: 0
	.section	.text._ZN7rocprim17ROCPRIM_400000_NS6detail17trampoline_kernelINS0_14default_configENS1_25partition_config_selectorILNS1_17partition_subalgoE8EyNS0_10empty_typeEbEEZZNS1_14partition_implILS5_8ELb0ES3_jN6thrust23THRUST_200600_302600_NS6detail15normal_iteratorINSA_10device_ptrIyEEEEPS6_PKS6_NS0_5tupleIJSF_S6_EEENSJ_IJSG_SG_EEENS0_18inequality_wrapperI22is_equal_div_10_uniqueIyEEEPmJS6_EEE10hipError_tPvRmT3_T4_T5_T6_T7_T9_mT8_P12ihipStream_tbDpT10_ENKUlT_T0_E_clISt17integral_constantIbLb0EES19_IbLb1EEEEDaS15_S16_EUlS15_E_NS1_11comp_targetILNS1_3genE3ELNS1_11target_archE908ELNS1_3gpuE7ELNS1_3repE0EEENS1_30default_config_static_selectorELNS0_4arch9wavefront6targetE1EEEvT1_,"axG",@progbits,_ZN7rocprim17ROCPRIM_400000_NS6detail17trampoline_kernelINS0_14default_configENS1_25partition_config_selectorILNS1_17partition_subalgoE8EyNS0_10empty_typeEbEEZZNS1_14partition_implILS5_8ELb0ES3_jN6thrust23THRUST_200600_302600_NS6detail15normal_iteratorINSA_10device_ptrIyEEEEPS6_PKS6_NS0_5tupleIJSF_S6_EEENSJ_IJSG_SG_EEENS0_18inequality_wrapperI22is_equal_div_10_uniqueIyEEEPmJS6_EEE10hipError_tPvRmT3_T4_T5_T6_T7_T9_mT8_P12ihipStream_tbDpT10_ENKUlT_T0_E_clISt17integral_constantIbLb0EES19_IbLb1EEEEDaS15_S16_EUlS15_E_NS1_11comp_targetILNS1_3genE3ELNS1_11target_archE908ELNS1_3gpuE7ELNS1_3repE0EEENS1_30default_config_static_selectorELNS0_4arch9wavefront6targetE1EEEvT1_,comdat
	.protected	_ZN7rocprim17ROCPRIM_400000_NS6detail17trampoline_kernelINS0_14default_configENS1_25partition_config_selectorILNS1_17partition_subalgoE8EyNS0_10empty_typeEbEEZZNS1_14partition_implILS5_8ELb0ES3_jN6thrust23THRUST_200600_302600_NS6detail15normal_iteratorINSA_10device_ptrIyEEEEPS6_PKS6_NS0_5tupleIJSF_S6_EEENSJ_IJSG_SG_EEENS0_18inequality_wrapperI22is_equal_div_10_uniqueIyEEEPmJS6_EEE10hipError_tPvRmT3_T4_T5_T6_T7_T9_mT8_P12ihipStream_tbDpT10_ENKUlT_T0_E_clISt17integral_constantIbLb0EES19_IbLb1EEEEDaS15_S16_EUlS15_E_NS1_11comp_targetILNS1_3genE3ELNS1_11target_archE908ELNS1_3gpuE7ELNS1_3repE0EEENS1_30default_config_static_selectorELNS0_4arch9wavefront6targetE1EEEvT1_ ; -- Begin function _ZN7rocprim17ROCPRIM_400000_NS6detail17trampoline_kernelINS0_14default_configENS1_25partition_config_selectorILNS1_17partition_subalgoE8EyNS0_10empty_typeEbEEZZNS1_14partition_implILS5_8ELb0ES3_jN6thrust23THRUST_200600_302600_NS6detail15normal_iteratorINSA_10device_ptrIyEEEEPS6_PKS6_NS0_5tupleIJSF_S6_EEENSJ_IJSG_SG_EEENS0_18inequality_wrapperI22is_equal_div_10_uniqueIyEEEPmJS6_EEE10hipError_tPvRmT3_T4_T5_T6_T7_T9_mT8_P12ihipStream_tbDpT10_ENKUlT_T0_E_clISt17integral_constantIbLb0EES19_IbLb1EEEEDaS15_S16_EUlS15_E_NS1_11comp_targetILNS1_3genE3ELNS1_11target_archE908ELNS1_3gpuE7ELNS1_3repE0EEENS1_30default_config_static_selectorELNS0_4arch9wavefront6targetE1EEEvT1_
	.globl	_ZN7rocprim17ROCPRIM_400000_NS6detail17trampoline_kernelINS0_14default_configENS1_25partition_config_selectorILNS1_17partition_subalgoE8EyNS0_10empty_typeEbEEZZNS1_14partition_implILS5_8ELb0ES3_jN6thrust23THRUST_200600_302600_NS6detail15normal_iteratorINSA_10device_ptrIyEEEEPS6_PKS6_NS0_5tupleIJSF_S6_EEENSJ_IJSG_SG_EEENS0_18inequality_wrapperI22is_equal_div_10_uniqueIyEEEPmJS6_EEE10hipError_tPvRmT3_T4_T5_T6_T7_T9_mT8_P12ihipStream_tbDpT10_ENKUlT_T0_E_clISt17integral_constantIbLb0EES19_IbLb1EEEEDaS15_S16_EUlS15_E_NS1_11comp_targetILNS1_3genE3ELNS1_11target_archE908ELNS1_3gpuE7ELNS1_3repE0EEENS1_30default_config_static_selectorELNS0_4arch9wavefront6targetE1EEEvT1_
	.p2align	8
	.type	_ZN7rocprim17ROCPRIM_400000_NS6detail17trampoline_kernelINS0_14default_configENS1_25partition_config_selectorILNS1_17partition_subalgoE8EyNS0_10empty_typeEbEEZZNS1_14partition_implILS5_8ELb0ES3_jN6thrust23THRUST_200600_302600_NS6detail15normal_iteratorINSA_10device_ptrIyEEEEPS6_PKS6_NS0_5tupleIJSF_S6_EEENSJ_IJSG_SG_EEENS0_18inequality_wrapperI22is_equal_div_10_uniqueIyEEEPmJS6_EEE10hipError_tPvRmT3_T4_T5_T6_T7_T9_mT8_P12ihipStream_tbDpT10_ENKUlT_T0_E_clISt17integral_constantIbLb0EES19_IbLb1EEEEDaS15_S16_EUlS15_E_NS1_11comp_targetILNS1_3genE3ELNS1_11target_archE908ELNS1_3gpuE7ELNS1_3repE0EEENS1_30default_config_static_selectorELNS0_4arch9wavefront6targetE1EEEvT1_,@function
_ZN7rocprim17ROCPRIM_400000_NS6detail17trampoline_kernelINS0_14default_configENS1_25partition_config_selectorILNS1_17partition_subalgoE8EyNS0_10empty_typeEbEEZZNS1_14partition_implILS5_8ELb0ES3_jN6thrust23THRUST_200600_302600_NS6detail15normal_iteratorINSA_10device_ptrIyEEEEPS6_PKS6_NS0_5tupleIJSF_S6_EEENSJ_IJSG_SG_EEENS0_18inequality_wrapperI22is_equal_div_10_uniqueIyEEEPmJS6_EEE10hipError_tPvRmT3_T4_T5_T6_T7_T9_mT8_P12ihipStream_tbDpT10_ENKUlT_T0_E_clISt17integral_constantIbLb0EES19_IbLb1EEEEDaS15_S16_EUlS15_E_NS1_11comp_targetILNS1_3genE3ELNS1_11target_archE908ELNS1_3gpuE7ELNS1_3repE0EEENS1_30default_config_static_selectorELNS0_4arch9wavefront6targetE1EEEvT1_: ; @_ZN7rocprim17ROCPRIM_400000_NS6detail17trampoline_kernelINS0_14default_configENS1_25partition_config_selectorILNS1_17partition_subalgoE8EyNS0_10empty_typeEbEEZZNS1_14partition_implILS5_8ELb0ES3_jN6thrust23THRUST_200600_302600_NS6detail15normal_iteratorINSA_10device_ptrIyEEEEPS6_PKS6_NS0_5tupleIJSF_S6_EEENSJ_IJSG_SG_EEENS0_18inequality_wrapperI22is_equal_div_10_uniqueIyEEEPmJS6_EEE10hipError_tPvRmT3_T4_T5_T6_T7_T9_mT8_P12ihipStream_tbDpT10_ENKUlT_T0_E_clISt17integral_constantIbLb0EES19_IbLb1EEEEDaS15_S16_EUlS15_E_NS1_11comp_targetILNS1_3genE3ELNS1_11target_archE908ELNS1_3gpuE7ELNS1_3repE0EEENS1_30default_config_static_selectorELNS0_4arch9wavefront6targetE1EEEvT1_
; %bb.0:
	.section	.rodata,"a",@progbits
	.p2align	6, 0x0
	.amdhsa_kernel _ZN7rocprim17ROCPRIM_400000_NS6detail17trampoline_kernelINS0_14default_configENS1_25partition_config_selectorILNS1_17partition_subalgoE8EyNS0_10empty_typeEbEEZZNS1_14partition_implILS5_8ELb0ES3_jN6thrust23THRUST_200600_302600_NS6detail15normal_iteratorINSA_10device_ptrIyEEEEPS6_PKS6_NS0_5tupleIJSF_S6_EEENSJ_IJSG_SG_EEENS0_18inequality_wrapperI22is_equal_div_10_uniqueIyEEEPmJS6_EEE10hipError_tPvRmT3_T4_T5_T6_T7_T9_mT8_P12ihipStream_tbDpT10_ENKUlT_T0_E_clISt17integral_constantIbLb0EES19_IbLb1EEEEDaS15_S16_EUlS15_E_NS1_11comp_targetILNS1_3genE3ELNS1_11target_archE908ELNS1_3gpuE7ELNS1_3repE0EEENS1_30default_config_static_selectorELNS0_4arch9wavefront6targetE1EEEvT1_
		.amdhsa_group_segment_fixed_size 0
		.amdhsa_private_segment_fixed_size 0
		.amdhsa_kernarg_size 128
		.amdhsa_user_sgpr_count 6
		.amdhsa_user_sgpr_private_segment_buffer 1
		.amdhsa_user_sgpr_dispatch_ptr 0
		.amdhsa_user_sgpr_queue_ptr 0
		.amdhsa_user_sgpr_kernarg_segment_ptr 1
		.amdhsa_user_sgpr_dispatch_id 0
		.amdhsa_user_sgpr_flat_scratch_init 0
		.amdhsa_user_sgpr_private_segment_size 0
		.amdhsa_uses_dynamic_stack 0
		.amdhsa_system_sgpr_private_segment_wavefront_offset 0
		.amdhsa_system_sgpr_workgroup_id_x 1
		.amdhsa_system_sgpr_workgroup_id_y 0
		.amdhsa_system_sgpr_workgroup_id_z 0
		.amdhsa_system_sgpr_workgroup_info 0
		.amdhsa_system_vgpr_workitem_id 0
		.amdhsa_next_free_vgpr 1
		.amdhsa_next_free_sgpr 0
		.amdhsa_reserve_vcc 0
		.amdhsa_reserve_flat_scratch 0
		.amdhsa_float_round_mode_32 0
		.amdhsa_float_round_mode_16_64 0
		.amdhsa_float_denorm_mode_32 3
		.amdhsa_float_denorm_mode_16_64 3
		.amdhsa_dx10_clamp 1
		.amdhsa_ieee_mode 1
		.amdhsa_fp16_overflow 0
		.amdhsa_exception_fp_ieee_invalid_op 0
		.amdhsa_exception_fp_denorm_src 0
		.amdhsa_exception_fp_ieee_div_zero 0
		.amdhsa_exception_fp_ieee_overflow 0
		.amdhsa_exception_fp_ieee_underflow 0
		.amdhsa_exception_fp_ieee_inexact 0
		.amdhsa_exception_int_div_zero 0
	.end_amdhsa_kernel
	.section	.text._ZN7rocprim17ROCPRIM_400000_NS6detail17trampoline_kernelINS0_14default_configENS1_25partition_config_selectorILNS1_17partition_subalgoE8EyNS0_10empty_typeEbEEZZNS1_14partition_implILS5_8ELb0ES3_jN6thrust23THRUST_200600_302600_NS6detail15normal_iteratorINSA_10device_ptrIyEEEEPS6_PKS6_NS0_5tupleIJSF_S6_EEENSJ_IJSG_SG_EEENS0_18inequality_wrapperI22is_equal_div_10_uniqueIyEEEPmJS6_EEE10hipError_tPvRmT3_T4_T5_T6_T7_T9_mT8_P12ihipStream_tbDpT10_ENKUlT_T0_E_clISt17integral_constantIbLb0EES19_IbLb1EEEEDaS15_S16_EUlS15_E_NS1_11comp_targetILNS1_3genE3ELNS1_11target_archE908ELNS1_3gpuE7ELNS1_3repE0EEENS1_30default_config_static_selectorELNS0_4arch9wavefront6targetE1EEEvT1_,"axG",@progbits,_ZN7rocprim17ROCPRIM_400000_NS6detail17trampoline_kernelINS0_14default_configENS1_25partition_config_selectorILNS1_17partition_subalgoE8EyNS0_10empty_typeEbEEZZNS1_14partition_implILS5_8ELb0ES3_jN6thrust23THRUST_200600_302600_NS6detail15normal_iteratorINSA_10device_ptrIyEEEEPS6_PKS6_NS0_5tupleIJSF_S6_EEENSJ_IJSG_SG_EEENS0_18inequality_wrapperI22is_equal_div_10_uniqueIyEEEPmJS6_EEE10hipError_tPvRmT3_T4_T5_T6_T7_T9_mT8_P12ihipStream_tbDpT10_ENKUlT_T0_E_clISt17integral_constantIbLb0EES19_IbLb1EEEEDaS15_S16_EUlS15_E_NS1_11comp_targetILNS1_3genE3ELNS1_11target_archE908ELNS1_3gpuE7ELNS1_3repE0EEENS1_30default_config_static_selectorELNS0_4arch9wavefront6targetE1EEEvT1_,comdat
.Lfunc_end204:
	.size	_ZN7rocprim17ROCPRIM_400000_NS6detail17trampoline_kernelINS0_14default_configENS1_25partition_config_selectorILNS1_17partition_subalgoE8EyNS0_10empty_typeEbEEZZNS1_14partition_implILS5_8ELb0ES3_jN6thrust23THRUST_200600_302600_NS6detail15normal_iteratorINSA_10device_ptrIyEEEEPS6_PKS6_NS0_5tupleIJSF_S6_EEENSJ_IJSG_SG_EEENS0_18inequality_wrapperI22is_equal_div_10_uniqueIyEEEPmJS6_EEE10hipError_tPvRmT3_T4_T5_T6_T7_T9_mT8_P12ihipStream_tbDpT10_ENKUlT_T0_E_clISt17integral_constantIbLb0EES19_IbLb1EEEEDaS15_S16_EUlS15_E_NS1_11comp_targetILNS1_3genE3ELNS1_11target_archE908ELNS1_3gpuE7ELNS1_3repE0EEENS1_30default_config_static_selectorELNS0_4arch9wavefront6targetE1EEEvT1_, .Lfunc_end204-_ZN7rocprim17ROCPRIM_400000_NS6detail17trampoline_kernelINS0_14default_configENS1_25partition_config_selectorILNS1_17partition_subalgoE8EyNS0_10empty_typeEbEEZZNS1_14partition_implILS5_8ELb0ES3_jN6thrust23THRUST_200600_302600_NS6detail15normal_iteratorINSA_10device_ptrIyEEEEPS6_PKS6_NS0_5tupleIJSF_S6_EEENSJ_IJSG_SG_EEENS0_18inequality_wrapperI22is_equal_div_10_uniqueIyEEEPmJS6_EEE10hipError_tPvRmT3_T4_T5_T6_T7_T9_mT8_P12ihipStream_tbDpT10_ENKUlT_T0_E_clISt17integral_constantIbLb0EES19_IbLb1EEEEDaS15_S16_EUlS15_E_NS1_11comp_targetILNS1_3genE3ELNS1_11target_archE908ELNS1_3gpuE7ELNS1_3repE0EEENS1_30default_config_static_selectorELNS0_4arch9wavefront6targetE1EEEvT1_
                                        ; -- End function
	.set _ZN7rocprim17ROCPRIM_400000_NS6detail17trampoline_kernelINS0_14default_configENS1_25partition_config_selectorILNS1_17partition_subalgoE8EyNS0_10empty_typeEbEEZZNS1_14partition_implILS5_8ELb0ES3_jN6thrust23THRUST_200600_302600_NS6detail15normal_iteratorINSA_10device_ptrIyEEEEPS6_PKS6_NS0_5tupleIJSF_S6_EEENSJ_IJSG_SG_EEENS0_18inequality_wrapperI22is_equal_div_10_uniqueIyEEEPmJS6_EEE10hipError_tPvRmT3_T4_T5_T6_T7_T9_mT8_P12ihipStream_tbDpT10_ENKUlT_T0_E_clISt17integral_constantIbLb0EES19_IbLb1EEEEDaS15_S16_EUlS15_E_NS1_11comp_targetILNS1_3genE3ELNS1_11target_archE908ELNS1_3gpuE7ELNS1_3repE0EEENS1_30default_config_static_selectorELNS0_4arch9wavefront6targetE1EEEvT1_.num_vgpr, 0
	.set _ZN7rocprim17ROCPRIM_400000_NS6detail17trampoline_kernelINS0_14default_configENS1_25partition_config_selectorILNS1_17partition_subalgoE8EyNS0_10empty_typeEbEEZZNS1_14partition_implILS5_8ELb0ES3_jN6thrust23THRUST_200600_302600_NS6detail15normal_iteratorINSA_10device_ptrIyEEEEPS6_PKS6_NS0_5tupleIJSF_S6_EEENSJ_IJSG_SG_EEENS0_18inequality_wrapperI22is_equal_div_10_uniqueIyEEEPmJS6_EEE10hipError_tPvRmT3_T4_T5_T6_T7_T9_mT8_P12ihipStream_tbDpT10_ENKUlT_T0_E_clISt17integral_constantIbLb0EES19_IbLb1EEEEDaS15_S16_EUlS15_E_NS1_11comp_targetILNS1_3genE3ELNS1_11target_archE908ELNS1_3gpuE7ELNS1_3repE0EEENS1_30default_config_static_selectorELNS0_4arch9wavefront6targetE1EEEvT1_.num_agpr, 0
	.set _ZN7rocprim17ROCPRIM_400000_NS6detail17trampoline_kernelINS0_14default_configENS1_25partition_config_selectorILNS1_17partition_subalgoE8EyNS0_10empty_typeEbEEZZNS1_14partition_implILS5_8ELb0ES3_jN6thrust23THRUST_200600_302600_NS6detail15normal_iteratorINSA_10device_ptrIyEEEEPS6_PKS6_NS0_5tupleIJSF_S6_EEENSJ_IJSG_SG_EEENS0_18inequality_wrapperI22is_equal_div_10_uniqueIyEEEPmJS6_EEE10hipError_tPvRmT3_T4_T5_T6_T7_T9_mT8_P12ihipStream_tbDpT10_ENKUlT_T0_E_clISt17integral_constantIbLb0EES19_IbLb1EEEEDaS15_S16_EUlS15_E_NS1_11comp_targetILNS1_3genE3ELNS1_11target_archE908ELNS1_3gpuE7ELNS1_3repE0EEENS1_30default_config_static_selectorELNS0_4arch9wavefront6targetE1EEEvT1_.numbered_sgpr, 0
	.set _ZN7rocprim17ROCPRIM_400000_NS6detail17trampoline_kernelINS0_14default_configENS1_25partition_config_selectorILNS1_17partition_subalgoE8EyNS0_10empty_typeEbEEZZNS1_14partition_implILS5_8ELb0ES3_jN6thrust23THRUST_200600_302600_NS6detail15normal_iteratorINSA_10device_ptrIyEEEEPS6_PKS6_NS0_5tupleIJSF_S6_EEENSJ_IJSG_SG_EEENS0_18inequality_wrapperI22is_equal_div_10_uniqueIyEEEPmJS6_EEE10hipError_tPvRmT3_T4_T5_T6_T7_T9_mT8_P12ihipStream_tbDpT10_ENKUlT_T0_E_clISt17integral_constantIbLb0EES19_IbLb1EEEEDaS15_S16_EUlS15_E_NS1_11comp_targetILNS1_3genE3ELNS1_11target_archE908ELNS1_3gpuE7ELNS1_3repE0EEENS1_30default_config_static_selectorELNS0_4arch9wavefront6targetE1EEEvT1_.num_named_barrier, 0
	.set _ZN7rocprim17ROCPRIM_400000_NS6detail17trampoline_kernelINS0_14default_configENS1_25partition_config_selectorILNS1_17partition_subalgoE8EyNS0_10empty_typeEbEEZZNS1_14partition_implILS5_8ELb0ES3_jN6thrust23THRUST_200600_302600_NS6detail15normal_iteratorINSA_10device_ptrIyEEEEPS6_PKS6_NS0_5tupleIJSF_S6_EEENSJ_IJSG_SG_EEENS0_18inequality_wrapperI22is_equal_div_10_uniqueIyEEEPmJS6_EEE10hipError_tPvRmT3_T4_T5_T6_T7_T9_mT8_P12ihipStream_tbDpT10_ENKUlT_T0_E_clISt17integral_constantIbLb0EES19_IbLb1EEEEDaS15_S16_EUlS15_E_NS1_11comp_targetILNS1_3genE3ELNS1_11target_archE908ELNS1_3gpuE7ELNS1_3repE0EEENS1_30default_config_static_selectorELNS0_4arch9wavefront6targetE1EEEvT1_.private_seg_size, 0
	.set _ZN7rocprim17ROCPRIM_400000_NS6detail17trampoline_kernelINS0_14default_configENS1_25partition_config_selectorILNS1_17partition_subalgoE8EyNS0_10empty_typeEbEEZZNS1_14partition_implILS5_8ELb0ES3_jN6thrust23THRUST_200600_302600_NS6detail15normal_iteratorINSA_10device_ptrIyEEEEPS6_PKS6_NS0_5tupleIJSF_S6_EEENSJ_IJSG_SG_EEENS0_18inequality_wrapperI22is_equal_div_10_uniqueIyEEEPmJS6_EEE10hipError_tPvRmT3_T4_T5_T6_T7_T9_mT8_P12ihipStream_tbDpT10_ENKUlT_T0_E_clISt17integral_constantIbLb0EES19_IbLb1EEEEDaS15_S16_EUlS15_E_NS1_11comp_targetILNS1_3genE3ELNS1_11target_archE908ELNS1_3gpuE7ELNS1_3repE0EEENS1_30default_config_static_selectorELNS0_4arch9wavefront6targetE1EEEvT1_.uses_vcc, 0
	.set _ZN7rocprim17ROCPRIM_400000_NS6detail17trampoline_kernelINS0_14default_configENS1_25partition_config_selectorILNS1_17partition_subalgoE8EyNS0_10empty_typeEbEEZZNS1_14partition_implILS5_8ELb0ES3_jN6thrust23THRUST_200600_302600_NS6detail15normal_iteratorINSA_10device_ptrIyEEEEPS6_PKS6_NS0_5tupleIJSF_S6_EEENSJ_IJSG_SG_EEENS0_18inequality_wrapperI22is_equal_div_10_uniqueIyEEEPmJS6_EEE10hipError_tPvRmT3_T4_T5_T6_T7_T9_mT8_P12ihipStream_tbDpT10_ENKUlT_T0_E_clISt17integral_constantIbLb0EES19_IbLb1EEEEDaS15_S16_EUlS15_E_NS1_11comp_targetILNS1_3genE3ELNS1_11target_archE908ELNS1_3gpuE7ELNS1_3repE0EEENS1_30default_config_static_selectorELNS0_4arch9wavefront6targetE1EEEvT1_.uses_flat_scratch, 0
	.set _ZN7rocprim17ROCPRIM_400000_NS6detail17trampoline_kernelINS0_14default_configENS1_25partition_config_selectorILNS1_17partition_subalgoE8EyNS0_10empty_typeEbEEZZNS1_14partition_implILS5_8ELb0ES3_jN6thrust23THRUST_200600_302600_NS6detail15normal_iteratorINSA_10device_ptrIyEEEEPS6_PKS6_NS0_5tupleIJSF_S6_EEENSJ_IJSG_SG_EEENS0_18inequality_wrapperI22is_equal_div_10_uniqueIyEEEPmJS6_EEE10hipError_tPvRmT3_T4_T5_T6_T7_T9_mT8_P12ihipStream_tbDpT10_ENKUlT_T0_E_clISt17integral_constantIbLb0EES19_IbLb1EEEEDaS15_S16_EUlS15_E_NS1_11comp_targetILNS1_3genE3ELNS1_11target_archE908ELNS1_3gpuE7ELNS1_3repE0EEENS1_30default_config_static_selectorELNS0_4arch9wavefront6targetE1EEEvT1_.has_dyn_sized_stack, 0
	.set _ZN7rocprim17ROCPRIM_400000_NS6detail17trampoline_kernelINS0_14default_configENS1_25partition_config_selectorILNS1_17partition_subalgoE8EyNS0_10empty_typeEbEEZZNS1_14partition_implILS5_8ELb0ES3_jN6thrust23THRUST_200600_302600_NS6detail15normal_iteratorINSA_10device_ptrIyEEEEPS6_PKS6_NS0_5tupleIJSF_S6_EEENSJ_IJSG_SG_EEENS0_18inequality_wrapperI22is_equal_div_10_uniqueIyEEEPmJS6_EEE10hipError_tPvRmT3_T4_T5_T6_T7_T9_mT8_P12ihipStream_tbDpT10_ENKUlT_T0_E_clISt17integral_constantIbLb0EES19_IbLb1EEEEDaS15_S16_EUlS15_E_NS1_11comp_targetILNS1_3genE3ELNS1_11target_archE908ELNS1_3gpuE7ELNS1_3repE0EEENS1_30default_config_static_selectorELNS0_4arch9wavefront6targetE1EEEvT1_.has_recursion, 0
	.set _ZN7rocprim17ROCPRIM_400000_NS6detail17trampoline_kernelINS0_14default_configENS1_25partition_config_selectorILNS1_17partition_subalgoE8EyNS0_10empty_typeEbEEZZNS1_14partition_implILS5_8ELb0ES3_jN6thrust23THRUST_200600_302600_NS6detail15normal_iteratorINSA_10device_ptrIyEEEEPS6_PKS6_NS0_5tupleIJSF_S6_EEENSJ_IJSG_SG_EEENS0_18inequality_wrapperI22is_equal_div_10_uniqueIyEEEPmJS6_EEE10hipError_tPvRmT3_T4_T5_T6_T7_T9_mT8_P12ihipStream_tbDpT10_ENKUlT_T0_E_clISt17integral_constantIbLb0EES19_IbLb1EEEEDaS15_S16_EUlS15_E_NS1_11comp_targetILNS1_3genE3ELNS1_11target_archE908ELNS1_3gpuE7ELNS1_3repE0EEENS1_30default_config_static_selectorELNS0_4arch9wavefront6targetE1EEEvT1_.has_indirect_call, 0
	.section	.AMDGPU.csdata,"",@progbits
; Kernel info:
; codeLenInByte = 0
; TotalNumSgprs: 4
; NumVgprs: 0
; ScratchSize: 0
; MemoryBound: 0
; FloatMode: 240
; IeeeMode: 1
; LDSByteSize: 0 bytes/workgroup (compile time only)
; SGPRBlocks: 0
; VGPRBlocks: 0
; NumSGPRsForWavesPerEU: 4
; NumVGPRsForWavesPerEU: 1
; Occupancy: 10
; WaveLimiterHint : 0
; COMPUTE_PGM_RSRC2:SCRATCH_EN: 0
; COMPUTE_PGM_RSRC2:USER_SGPR: 6
; COMPUTE_PGM_RSRC2:TRAP_HANDLER: 0
; COMPUTE_PGM_RSRC2:TGID_X_EN: 1
; COMPUTE_PGM_RSRC2:TGID_Y_EN: 0
; COMPUTE_PGM_RSRC2:TGID_Z_EN: 0
; COMPUTE_PGM_RSRC2:TIDIG_COMP_CNT: 0
	.section	.text._ZN7rocprim17ROCPRIM_400000_NS6detail17trampoline_kernelINS0_14default_configENS1_25partition_config_selectorILNS1_17partition_subalgoE8EyNS0_10empty_typeEbEEZZNS1_14partition_implILS5_8ELb0ES3_jN6thrust23THRUST_200600_302600_NS6detail15normal_iteratorINSA_10device_ptrIyEEEEPS6_PKS6_NS0_5tupleIJSF_S6_EEENSJ_IJSG_SG_EEENS0_18inequality_wrapperI22is_equal_div_10_uniqueIyEEEPmJS6_EEE10hipError_tPvRmT3_T4_T5_T6_T7_T9_mT8_P12ihipStream_tbDpT10_ENKUlT_T0_E_clISt17integral_constantIbLb0EES19_IbLb1EEEEDaS15_S16_EUlS15_E_NS1_11comp_targetILNS1_3genE2ELNS1_11target_archE906ELNS1_3gpuE6ELNS1_3repE0EEENS1_30default_config_static_selectorELNS0_4arch9wavefront6targetE1EEEvT1_,"axG",@progbits,_ZN7rocprim17ROCPRIM_400000_NS6detail17trampoline_kernelINS0_14default_configENS1_25partition_config_selectorILNS1_17partition_subalgoE8EyNS0_10empty_typeEbEEZZNS1_14partition_implILS5_8ELb0ES3_jN6thrust23THRUST_200600_302600_NS6detail15normal_iteratorINSA_10device_ptrIyEEEEPS6_PKS6_NS0_5tupleIJSF_S6_EEENSJ_IJSG_SG_EEENS0_18inequality_wrapperI22is_equal_div_10_uniqueIyEEEPmJS6_EEE10hipError_tPvRmT3_T4_T5_T6_T7_T9_mT8_P12ihipStream_tbDpT10_ENKUlT_T0_E_clISt17integral_constantIbLb0EES19_IbLb1EEEEDaS15_S16_EUlS15_E_NS1_11comp_targetILNS1_3genE2ELNS1_11target_archE906ELNS1_3gpuE6ELNS1_3repE0EEENS1_30default_config_static_selectorELNS0_4arch9wavefront6targetE1EEEvT1_,comdat
	.protected	_ZN7rocprim17ROCPRIM_400000_NS6detail17trampoline_kernelINS0_14default_configENS1_25partition_config_selectorILNS1_17partition_subalgoE8EyNS0_10empty_typeEbEEZZNS1_14partition_implILS5_8ELb0ES3_jN6thrust23THRUST_200600_302600_NS6detail15normal_iteratorINSA_10device_ptrIyEEEEPS6_PKS6_NS0_5tupleIJSF_S6_EEENSJ_IJSG_SG_EEENS0_18inequality_wrapperI22is_equal_div_10_uniqueIyEEEPmJS6_EEE10hipError_tPvRmT3_T4_T5_T6_T7_T9_mT8_P12ihipStream_tbDpT10_ENKUlT_T0_E_clISt17integral_constantIbLb0EES19_IbLb1EEEEDaS15_S16_EUlS15_E_NS1_11comp_targetILNS1_3genE2ELNS1_11target_archE906ELNS1_3gpuE6ELNS1_3repE0EEENS1_30default_config_static_selectorELNS0_4arch9wavefront6targetE1EEEvT1_ ; -- Begin function _ZN7rocprim17ROCPRIM_400000_NS6detail17trampoline_kernelINS0_14default_configENS1_25partition_config_selectorILNS1_17partition_subalgoE8EyNS0_10empty_typeEbEEZZNS1_14partition_implILS5_8ELb0ES3_jN6thrust23THRUST_200600_302600_NS6detail15normal_iteratorINSA_10device_ptrIyEEEEPS6_PKS6_NS0_5tupleIJSF_S6_EEENSJ_IJSG_SG_EEENS0_18inequality_wrapperI22is_equal_div_10_uniqueIyEEEPmJS6_EEE10hipError_tPvRmT3_T4_T5_T6_T7_T9_mT8_P12ihipStream_tbDpT10_ENKUlT_T0_E_clISt17integral_constantIbLb0EES19_IbLb1EEEEDaS15_S16_EUlS15_E_NS1_11comp_targetILNS1_3genE2ELNS1_11target_archE906ELNS1_3gpuE6ELNS1_3repE0EEENS1_30default_config_static_selectorELNS0_4arch9wavefront6targetE1EEEvT1_
	.globl	_ZN7rocprim17ROCPRIM_400000_NS6detail17trampoline_kernelINS0_14default_configENS1_25partition_config_selectorILNS1_17partition_subalgoE8EyNS0_10empty_typeEbEEZZNS1_14partition_implILS5_8ELb0ES3_jN6thrust23THRUST_200600_302600_NS6detail15normal_iteratorINSA_10device_ptrIyEEEEPS6_PKS6_NS0_5tupleIJSF_S6_EEENSJ_IJSG_SG_EEENS0_18inequality_wrapperI22is_equal_div_10_uniqueIyEEEPmJS6_EEE10hipError_tPvRmT3_T4_T5_T6_T7_T9_mT8_P12ihipStream_tbDpT10_ENKUlT_T0_E_clISt17integral_constantIbLb0EES19_IbLb1EEEEDaS15_S16_EUlS15_E_NS1_11comp_targetILNS1_3genE2ELNS1_11target_archE906ELNS1_3gpuE6ELNS1_3repE0EEENS1_30default_config_static_selectorELNS0_4arch9wavefront6targetE1EEEvT1_
	.p2align	8
	.type	_ZN7rocprim17ROCPRIM_400000_NS6detail17trampoline_kernelINS0_14default_configENS1_25partition_config_selectorILNS1_17partition_subalgoE8EyNS0_10empty_typeEbEEZZNS1_14partition_implILS5_8ELb0ES3_jN6thrust23THRUST_200600_302600_NS6detail15normal_iteratorINSA_10device_ptrIyEEEEPS6_PKS6_NS0_5tupleIJSF_S6_EEENSJ_IJSG_SG_EEENS0_18inequality_wrapperI22is_equal_div_10_uniqueIyEEEPmJS6_EEE10hipError_tPvRmT3_T4_T5_T6_T7_T9_mT8_P12ihipStream_tbDpT10_ENKUlT_T0_E_clISt17integral_constantIbLb0EES19_IbLb1EEEEDaS15_S16_EUlS15_E_NS1_11comp_targetILNS1_3genE2ELNS1_11target_archE906ELNS1_3gpuE6ELNS1_3repE0EEENS1_30default_config_static_selectorELNS0_4arch9wavefront6targetE1EEEvT1_,@function
_ZN7rocprim17ROCPRIM_400000_NS6detail17trampoline_kernelINS0_14default_configENS1_25partition_config_selectorILNS1_17partition_subalgoE8EyNS0_10empty_typeEbEEZZNS1_14partition_implILS5_8ELb0ES3_jN6thrust23THRUST_200600_302600_NS6detail15normal_iteratorINSA_10device_ptrIyEEEEPS6_PKS6_NS0_5tupleIJSF_S6_EEENSJ_IJSG_SG_EEENS0_18inequality_wrapperI22is_equal_div_10_uniqueIyEEEPmJS6_EEE10hipError_tPvRmT3_T4_T5_T6_T7_T9_mT8_P12ihipStream_tbDpT10_ENKUlT_T0_E_clISt17integral_constantIbLb0EES19_IbLb1EEEEDaS15_S16_EUlS15_E_NS1_11comp_targetILNS1_3genE2ELNS1_11target_archE906ELNS1_3gpuE6ELNS1_3repE0EEENS1_30default_config_static_selectorELNS0_4arch9wavefront6targetE1EEEvT1_: ; @_ZN7rocprim17ROCPRIM_400000_NS6detail17trampoline_kernelINS0_14default_configENS1_25partition_config_selectorILNS1_17partition_subalgoE8EyNS0_10empty_typeEbEEZZNS1_14partition_implILS5_8ELb0ES3_jN6thrust23THRUST_200600_302600_NS6detail15normal_iteratorINSA_10device_ptrIyEEEEPS6_PKS6_NS0_5tupleIJSF_S6_EEENSJ_IJSG_SG_EEENS0_18inequality_wrapperI22is_equal_div_10_uniqueIyEEEPmJS6_EEE10hipError_tPvRmT3_T4_T5_T6_T7_T9_mT8_P12ihipStream_tbDpT10_ENKUlT_T0_E_clISt17integral_constantIbLb0EES19_IbLb1EEEEDaS15_S16_EUlS15_E_NS1_11comp_targetILNS1_3genE2ELNS1_11target_archE906ELNS1_3gpuE6ELNS1_3repE0EEENS1_30default_config_static_selectorELNS0_4arch9wavefront6targetE1EEEvT1_
; %bb.0:
	s_load_dwordx2 s[24:25], s[4:5], 0x28
	s_load_dwordx4 s[20:23], s[4:5], 0x40
	s_load_dwordx2 s[6:7], s[4:5], 0x50
	s_load_dwordx2 s[28:29], s[4:5], 0x60
	v_cmp_ne_u32_e64 s[2:3], 0, v0
	v_cmp_eq_u32_e64 s[0:1], 0, v0
	s_and_saveexec_b64 s[8:9], s[0:1]
	s_cbranch_execz .LBB205_4
; %bb.1:
	s_mov_b64 s[12:13], exec
	v_mbcnt_lo_u32_b32 v1, s12, 0
	v_mbcnt_hi_u32_b32 v1, s13, v1
	v_cmp_eq_u32_e32 vcc, 0, v1
                                        ; implicit-def: $vgpr2
	s_and_saveexec_b64 s[10:11], vcc
	s_cbranch_execz .LBB205_3
; %bb.2:
	s_load_dwordx2 s[14:15], s[4:5], 0x70
	s_bcnt1_i32_b64 s12, s[12:13]
	v_mov_b32_e32 v2, 0
	v_mov_b32_e32 v3, s12
	s_waitcnt lgkmcnt(0)
	global_atomic_add v2, v2, v3, s[14:15] glc
.LBB205_3:
	s_or_b64 exec, exec, s[10:11]
	s_waitcnt vmcnt(0)
	v_readfirstlane_b32 s10, v2
	v_add_u32_e32 v1, s10, v1
	v_mov_b32_e32 v2, 0
	ds_write_b32 v2, v1
.LBB205_4:
	s_or_b64 exec, exec, s[8:9]
	v_mov_b32_e32 v2, 0
	s_load_dwordx4 s[8:11], s[4:5], 0x8
	s_load_dword s12, s[4:5], 0x68
	s_waitcnt lgkmcnt(0)
	s_barrier
	ds_read_b32 v1, v2
	s_waitcnt lgkmcnt(0)
	s_barrier
	global_load_dwordx2 v[17:18], v2, s[22:23]
	s_lshl_b64 s[4:5], s[10:11], 3
	s_add_u32 s8, s8, s4
	s_movk_i32 s4, 0x700
	v_readfirstlane_b32 s33, v1
	v_mul_lo_u32 v1, v1, s4
	s_mul_i32 s4, s12, 0x700
	s_addc_u32 s9, s9, s5
	s_add_i32 s5, s4, s10
	s_add_i32 s13, s12, -1
	s_sub_i32 s38, s6, s5
	s_add_u32 s4, s10, s4
	s_addc_u32 s5, s11, 0
	v_mov_b32_e32 v3, s4
	v_mov_b32_e32 v4, s5
	v_cmp_le_u64_e32 vcc, s[6:7], v[3:4]
	s_cmp_eq_u32 s33, s13
	v_lshlrev_b64 v[1:2], 3, v[1:2]
	s_cselect_b64 s[22:23], -1, 0
	s_and_b64 s[14:15], vcc, s[22:23]
	v_mov_b32_e32 v3, s9
	v_add_co_u32_e32 v19, vcc, s8, v1
	s_xor_b64 s[26:27], s[14:15], -1
	v_addc_co_u32_e32 v20, vcc, v3, v2, vcc
	s_mov_b64 s[4:5], -1
	s_and_b64 vcc, exec, s[26:27]
	v_lshlrev_b32_e32 v37, 3, v0
	s_cbranch_vccz .LBB205_6
; %bb.5:
	v_lshlrev_b32_e32 v23, 3, v0
	v_add_co_u32_e32 v1, vcc, v19, v23
	v_addc_co_u32_e32 v2, vcc, 0, v20, vcc
	v_add_co_u32_e32 v3, vcc, 0x1000, v1
	v_addc_co_u32_e32 v4, vcc, 0, v2, vcc
	flat_load_dwordx2 v[5:6], v[1:2]
	flat_load_dwordx2 v[7:8], v[1:2] offset:2048
	flat_load_dwordx2 v[9:10], v[3:4]
	flat_load_dwordx2 v[11:12], v[3:4] offset:2048
	v_add_co_u32_e32 v3, vcc, 0x2000, v1
	v_addc_co_u32_e32 v4, vcc, 0, v2, vcc
	v_add_co_u32_e32 v1, vcc, 0x3000, v1
	v_addc_co_u32_e32 v2, vcc, 0, v2, vcc
	flat_load_dwordx2 v[13:14], v[3:4]
	flat_load_dwordx2 v[15:16], v[3:4] offset:2048
	flat_load_dwordx2 v[21:22], v[1:2]
	s_mov_b64 s[4:5], 0
	s_waitcnt vmcnt(0) lgkmcnt(0)
	ds_write2st64_b64 v23, v[5:6], v[7:8] offset1:4
	ds_write2st64_b64 v23, v[9:10], v[11:12] offset0:8 offset1:12
	ds_write2st64_b64 v23, v[13:14], v[15:16] offset0:16 offset1:20
	ds_write_b64 v23, v[21:22] offset:12288
	s_waitcnt lgkmcnt(0)
	s_barrier
.LBB205_6:
	s_andn2_b64 vcc, exec, s[4:5]
	s_addk_i32 s38, 0x700
	s_cbranch_vccnz .LBB205_22
; %bb.7:
	v_mov_b32_e32 v1, 0
	v_cmp_gt_u32_e32 vcc, s38, v0
	v_mov_b32_e32 v2, v1
	v_mov_b32_e32 v3, v1
	;; [unrolled: 1-line block ×13, first 2 shown]
	s_and_saveexec_b64 s[4:5], vcc
	s_cbranch_execz .LBB205_9
; %bb.8:
	v_lshlrev_b32_e32 v2, 3, v0
	v_add_co_u32_e32 v2, vcc, v19, v2
	v_addc_co_u32_e32 v3, vcc, 0, v20, vcc
	flat_load_dwordx2 v[2:3], v[2:3]
	v_mov_b32_e32 v4, v1
	v_mov_b32_e32 v5, v1
	;; [unrolled: 1-line block ×12, first 2 shown]
	s_waitcnt vmcnt(0) lgkmcnt(0)
	v_mov_b32_e32 v1, v2
	v_mov_b32_e32 v2, v3
	;; [unrolled: 1-line block ×16, first 2 shown]
.LBB205_9:
	s_or_b64 exec, exec, s[4:5]
	v_or_b32_e32 v15, 0x100, v0
	v_cmp_gt_u32_e32 vcc, s38, v15
	s_and_saveexec_b64 s[4:5], vcc
	s_cbranch_execz .LBB205_11
; %bb.10:
	v_lshlrev_b32_e32 v3, 3, v0
	v_add_co_u32_e32 v3, vcc, v19, v3
	v_addc_co_u32_e32 v4, vcc, 0, v20, vcc
	flat_load_dwordx2 v[3:4], v[3:4] offset:2048
.LBB205_11:
	s_or_b64 exec, exec, s[4:5]
	v_or_b32_e32 v15, 0x200, v0
	v_cmp_gt_u32_e32 vcc, s38, v15
	s_and_saveexec_b64 s[4:5], vcc
	s_cbranch_execz .LBB205_13
; %bb.12:
	v_lshlrev_b32_e32 v5, 3, v15
	v_add_co_u32_e32 v5, vcc, v19, v5
	v_addc_co_u32_e32 v6, vcc, 0, v20, vcc
	flat_load_dwordx2 v[5:6], v[5:6]
.LBB205_13:
	s_or_b64 exec, exec, s[4:5]
	v_or_b32_e32 v15, 0x300, v0
	v_cmp_gt_u32_e32 vcc, s38, v15
	s_and_saveexec_b64 s[4:5], vcc
	s_cbranch_execz .LBB205_15
; %bb.14:
	v_lshlrev_b32_e32 v7, 3, v15
	v_add_co_u32_e32 v7, vcc, v19, v7
	v_addc_co_u32_e32 v8, vcc, 0, v20, vcc
	flat_load_dwordx2 v[7:8], v[7:8]
.LBB205_15:
	;; [unrolled: 11-line block ×5, first 2 shown]
	s_or_b64 exec, exec, s[4:5]
	v_lshlrev_b32_e32 v15, 3, v0
	s_waitcnt vmcnt(0) lgkmcnt(0)
	ds_write2st64_b64 v15, v[1:2], v[3:4] offset1:4
	ds_write2st64_b64 v15, v[5:6], v[7:8] offset0:8 offset1:12
	ds_write2st64_b64 v15, v[9:10], v[11:12] offset0:16 offset1:20
	ds_write_b64 v15, v[13:14] offset:12288
	s_waitcnt lgkmcnt(0)
	s_barrier
.LBB205_22:
	v_mul_u32_u24_e32 v21, 7, v0
	v_lshlrev_b32_e32 v22, 3, v21
	ds_read2_b64 v[9:12], v22 offset1:1
	ds_read2_b64 v[5:8], v22 offset0:2 offset1:3
	ds_read2_b64 v[1:4], v22 offset0:4 offset1:5
	ds_read_b64 v[13:14], v22 offset:48
	s_cmp_lg_u32 s33, 0
	s_cselect_b64 s[16:17], -1, 0
	s_cmp_lg_u64 s[10:11], 0
	s_cselect_b64 s[4:5], -1, 0
	s_or_b64 s[4:5], s[4:5], s[16:17]
	s_mov_b64 s[18:19], 0
	s_and_b64 vcc, exec, s[4:5]
	s_waitcnt vmcnt(0) lgkmcnt(0)
	s_barrier
	s_cbranch_vccz .LBB205_27
; %bb.23:
	v_add_co_u32_e32 v15, vcc, -8, v19
	v_addc_co_u32_e32 v16, vcc, -1, v20, vcc
	flat_load_dwordx2 v[15:16], v[15:16]
	v_lshlrev_b32_e32 v23, 3, v0
	s_and_b64 vcc, exec, s[26:27]
	ds_write_b64 v23, v[13:14]
	s_cbranch_vccz .LBB205_28
; %bb.24:
	s_waitcnt vmcnt(0) lgkmcnt(0)
	v_mov_b32_e32 v20, v16
	v_mov_b32_e32 v19, v15
	s_barrier
	s_and_saveexec_b64 s[4:5], s[2:3]
; %bb.25:
	v_add_u32_e32 v16, -8, v23
	ds_read_b64 v[19:20], v16
; %bb.26:
	s_or_b64 exec, exec, s[4:5]
	s_mov_b32 s4, 0x66666667
	v_mul_hi_i32 v16, v3, s4
	s_waitcnt lgkmcnt(0)
	v_mul_hi_i32 v20, v13, s4
	v_mul_hi_i32 v19, v19, s4
	v_lshrrev_b32_e32 v24, 31, v16
	v_ashrrev_i32_e32 v16, 2, v16
	v_add_u32_e32 v16, v16, v24
	v_mul_hi_i32 v24, v1, s4
	v_lshrrev_b32_e32 v25, 31, v20
	v_ashrrev_i32_e32 v20, 2, v20
	v_add_u32_e32 v20, v20, v25
	v_mul_hi_i32 v25, v7, s4
	v_cmp_ne_u32_e32 vcc, v16, v20
	v_lshrrev_b32_e32 v20, 31, v24
	v_ashrrev_i32_e32 v24, 2, v24
	v_add_u32_e32 v20, v24, v20
	v_cndmask_b32_e64 v38, 0, 1, vcc
	v_cmp_ne_u32_e32 vcc, v20, v16
	v_lshrrev_b32_e32 v16, 31, v25
	v_ashrrev_i32_e32 v24, 2, v25
	v_mul_hi_i32 v25, v5, s4
	v_add_u32_e32 v16, v24, v16
	v_cndmask_b32_e64 v39, 0, 1, vcc
	v_cmp_ne_u32_e32 vcc, v16, v20
	v_lshrrev_b32_e32 v20, 31, v25
	v_ashrrev_i32_e32 v24, 2, v25
	v_mul_hi_i32 v25, v11, s4
	;; [unrolled: 6-line block ×3, first 2 shown]
	v_add_u32_e32 v16, v24, v16
	v_cndmask_b32_e64 v41, 0, 1, vcc
	v_cmp_ne_u32_e32 vcc, v16, v20
	v_lshrrev_b32_e32 v20, 31, v25
	v_ashrrev_i32_e32 v24, 2, v25
	v_add_u32_e32 v20, v24, v20
	v_cndmask_b32_e64 v42, 0, 1, vcc
	v_cmp_ne_u32_e32 vcc, v20, v16
	v_lshrrev_b32_e32 v16, 31, v19
	v_ashrrev_i32_e32 v19, 2, v19
	v_add_u32_e32 v16, v19, v16
	v_cndmask_b32_e64 v43, 0, 1, vcc
	v_cmp_ne_u32_e64 s[30:31], v16, v20
	s_branch .LBB205_46
.LBB205_27:
                                        ; implicit-def: $sgpr30_sgpr31
                                        ; implicit-def: $vgpr38
                                        ; implicit-def: $vgpr39
                                        ; implicit-def: $vgpr40
                                        ; implicit-def: $vgpr41
                                        ; implicit-def: $vgpr42
                                        ; implicit-def: $vgpr43
	s_branch .LBB205_47
.LBB205_28:
                                        ; implicit-def: $sgpr30_sgpr31
                                        ; implicit-def: $vgpr38
                                        ; implicit-def: $vgpr39
                                        ; implicit-def: $vgpr40
                                        ; implicit-def: $vgpr41
                                        ; implicit-def: $vgpr42
                                        ; implicit-def: $vgpr43
	s_cbranch_execz .LBB205_46
; %bb.29:
	s_waitcnt vmcnt(0) lgkmcnt(0)
	v_add_u32_e32 v16, 6, v21
	v_cmp_gt_u32_e32 vcc, s38, v16
	s_mov_b64 s[6:7], 0
	s_mov_b64 s[4:5], 0
	s_and_saveexec_b64 s[8:9], vcc
	s_cbranch_execz .LBB205_31
; %bb.30:
	s_mov_b32 s4, 0x66666667
	v_mul_hi_i32 v16, v3, s4
	v_mul_hi_i32 v19, v13, s4
	v_lshrrev_b32_e32 v20, 31, v16
	v_ashrrev_i32_e32 v16, 2, v16
	v_lshrrev_b32_e32 v24, 31, v19
	v_ashrrev_i32_e32 v19, 2, v19
	v_add_u32_e32 v16, v16, v20
	v_add_u32_e32 v19, v19, v24
	v_cmp_ne_u32_e32 vcc, v16, v19
	s_and_b64 s[4:5], vcc, exec
.LBB205_31:
	s_or_b64 exec, exec, s[8:9]
	v_add_u32_e32 v16, 5, v21
	v_cmp_gt_u32_e32 vcc, s38, v16
	s_and_saveexec_b64 s[8:9], vcc
	s_cbranch_execz .LBB205_33
; %bb.32:
	s_mov_b32 s6, 0x66666667
	v_mul_hi_i32 v16, v1, s6
	v_mul_hi_i32 v19, v3, s6
	v_lshrrev_b32_e32 v20, 31, v16
	v_ashrrev_i32_e32 v16, 2, v16
	v_lshrrev_b32_e32 v24, 31, v19
	v_ashrrev_i32_e32 v19, 2, v19
	v_add_u32_e32 v16, v16, v20
	v_add_u32_e32 v19, v19, v24
	v_cmp_ne_u32_e32 vcc, v16, v19
	s_and_b64 s[6:7], vcc, exec
.LBB205_33:
	s_or_b64 exec, exec, s[8:9]
	v_add_u32_e32 v16, 4, v21
	v_cmp_gt_u32_e32 vcc, s38, v16
	s_mov_b64 s[10:11], 0
	s_mov_b64 s[8:9], 0
	s_and_saveexec_b64 s[12:13], vcc
	s_cbranch_execz .LBB205_35
; %bb.34:
	s_mov_b32 s8, 0x66666667
	v_mul_hi_i32 v16, v7, s8
	v_mul_hi_i32 v19, v1, s8
	v_lshrrev_b32_e32 v20, 31, v16
	v_ashrrev_i32_e32 v16, 2, v16
	v_lshrrev_b32_e32 v24, 31, v19
	v_ashrrev_i32_e32 v19, 2, v19
	v_add_u32_e32 v16, v16, v20
	v_add_u32_e32 v19, v19, v24
	v_cmp_ne_u32_e32 vcc, v16, v19
	s_and_b64 s[8:9], vcc, exec
.LBB205_35:
	s_or_b64 exec, exec, s[12:13]
	v_add_u32_e32 v16, 3, v21
	v_cmp_gt_u32_e32 vcc, s38, v16
	s_and_saveexec_b64 s[12:13], vcc
	s_cbranch_execz .LBB205_37
; %bb.36:
	s_mov_b32 s10, 0x66666667
	v_mul_hi_i32 v16, v5, s10
	v_mul_hi_i32 v19, v7, s10
	v_lshrrev_b32_e32 v20, 31, v16
	v_ashrrev_i32_e32 v16, 2, v16
	v_lshrrev_b32_e32 v24, 31, v19
	v_ashrrev_i32_e32 v19, 2, v19
	v_add_u32_e32 v16, v16, v20
	v_add_u32_e32 v19, v19, v24
	v_cmp_ne_u32_e32 vcc, v16, v19
	s_and_b64 s[10:11], vcc, exec
.LBB205_37:
	s_or_b64 exec, exec, s[12:13]
	v_add_u32_e32 v16, 2, v21
	v_cmp_gt_u32_e32 vcc, s38, v16
	s_mov_b64 s[12:13], 0
	s_and_saveexec_b64 s[30:31], vcc
	s_cbranch_execz .LBB205_39
; %bb.38:
	s_mov_b32 s12, 0x66666667
	v_mul_hi_i32 v16, v11, s12
	v_mul_hi_i32 v19, v5, s12
	v_lshrrev_b32_e32 v20, 31, v16
	v_ashrrev_i32_e32 v16, 2, v16
	v_lshrrev_b32_e32 v24, 31, v19
	v_ashrrev_i32_e32 v19, 2, v19
	v_add_u32_e32 v16, v16, v20
	v_add_u32_e32 v19, v19, v24
	v_cmp_ne_u32_e32 vcc, v16, v19
	s_and_b64 s[12:13], vcc, exec
.LBB205_39:
	s_or_b64 exec, exec, s[30:31]
	v_add_u32_e32 v16, 1, v21
	v_cmp_gt_u32_e32 vcc, s38, v16
	s_and_saveexec_b64 s[30:31], vcc
	s_cbranch_execz .LBB205_41
; %bb.40:
	s_mov_b32 s18, 0x66666667
	v_mul_hi_i32 v16, v9, s18
	v_mul_hi_i32 v19, v11, s18
	v_lshrrev_b32_e32 v20, 31, v16
	v_ashrrev_i32_e32 v16, 2, v16
	v_lshrrev_b32_e32 v24, 31, v19
	v_ashrrev_i32_e32 v19, 2, v19
	v_add_u32_e32 v16, v16, v20
	v_add_u32_e32 v19, v19, v24
	v_cmp_ne_u32_e32 vcc, v16, v19
	s_and_b64 s[18:19], vcc, exec
.LBB205_41:
	s_or_b64 exec, exec, s[30:31]
	s_barrier
	s_and_saveexec_b64 s[30:31], s[2:3]
; %bb.42:
	v_add_u32_e32 v15, -8, v23
	ds_read_b64 v[15:16], v15
; %bb.43:
	s_or_b64 exec, exec, s[30:31]
	v_cmp_gt_u32_e32 vcc, s38, v21
	s_mov_b64 s[30:31], 0
	s_and_saveexec_b64 s[34:35], vcc
	s_cbranch_execz .LBB205_45
; %bb.44:
	s_mov_b32 s30, 0x66666667
	s_waitcnt lgkmcnt(0)
	v_mul_hi_i32 v15, v15, s30
	v_mul_hi_i32 v16, v9, s30
	v_lshrrev_b32_e32 v19, 31, v15
	v_ashrrev_i32_e32 v15, 2, v15
	v_lshrrev_b32_e32 v20, 31, v16
	v_ashrrev_i32_e32 v16, 2, v16
	v_add_u32_e32 v15, v15, v19
	v_add_u32_e32 v16, v16, v20
	v_cmp_ne_u32_e32 vcc, v15, v16
	s_and_b64 s[30:31], vcc, exec
.LBB205_45:
	s_or_b64 exec, exec, s[34:35]
	v_cndmask_b32_e64 v43, 0, 1, s[18:19]
	v_cndmask_b32_e64 v42, 0, 1, s[12:13]
	;; [unrolled: 1-line block ×6, first 2 shown]
.LBB205_46:
	s_mov_b64 s[18:19], -1
	s_cbranch_execnz .LBB205_69
.LBB205_47:
	s_movk_i32 s4, 0xffd0
	s_waitcnt vmcnt(0) lgkmcnt(0)
	v_mad_i32_i24 v15, v0, s4, v22
	s_and_b64 vcc, exec, s[26:27]
	ds_write_b64 v15, v[13:14]
	s_cbranch_vccz .LBB205_51
; %bb.48:
	s_mov_b32 s36, 0x66666667
	v_mul_hi_i32 v16, v3, s36
	v_mul_hi_i32 v19, v13, s36
	s_waitcnt lgkmcnt(0)
	s_barrier
	v_lshrrev_b32_e32 v20, 31, v16
	v_ashrrev_i32_e32 v16, 2, v16
	v_add_u32_e32 v16, v16, v20
	v_mul_hi_i32 v20, v1, s36
	v_lshrrev_b32_e32 v22, 31, v19
	v_ashrrev_i32_e32 v19, 2, v19
	v_add_u32_e32 v19, v19, v22
	v_mul_hi_i32 v22, v7, s36
	v_cmp_ne_u32_e32 vcc, v16, v19
	v_lshrrev_b32_e32 v19, 31, v20
	v_ashrrev_i32_e32 v20, 2, v20
	v_add_u32_e32 v19, v20, v19
	v_mul_hi_i32 v20, v5, s36
	v_cmp_ne_u32_e64 s[4:5], v19, v16
	v_lshrrev_b32_e32 v16, 31, v22
	v_ashrrev_i32_e32 v22, 2, v22
	v_add_u32_e32 v16, v22, v16
	v_mul_hi_i32 v22, v11, s36
	v_cmp_ne_u32_e64 s[6:7], v16, v19
	;; [unrolled: 5-line block ×3, first 2 shown]
	v_lshrrev_b32_e32 v16, 31, v22
	v_ashrrev_i32_e32 v22, 2, v22
	v_add_u32_e32 v22, v22, v16
	v_cmp_ne_u32_e64 s[10:11], v22, v19
	v_lshrrev_b32_e32 v16, 31, v20
	v_ashrrev_i32_e32 v19, 2, v20
	v_add_u32_e32 v16, v19, v16
	v_cmp_ne_u32_e64 s[12:13], v16, v22
                                        ; implicit-def: $sgpr30_sgpr31
	s_and_saveexec_b64 s[34:35], s[2:3]
	s_xor_b64 s[34:35], exec, s[34:35]
	s_cbranch_execz .LBB205_50
; %bb.49:
	v_add_u32_e32 v19, -8, v15
	ds_read_b32 v19, v19
	s_or_b64 s[18:19], s[18:19], exec
	s_waitcnt lgkmcnt(0)
	v_mul_hi_i32 v19, v19, s36
	v_lshrrev_b32_e32 v20, 31, v19
	v_ashrrev_i32_e32 v19, 2, v19
	v_add_u32_e32 v19, v19, v20
	v_cmp_ne_u32_e64 s[30:31], v19, v16
.LBB205_50:
	s_or_b64 exec, exec, s[34:35]
	v_cndmask_b32_e64 v38, 0, 1, vcc
	v_cndmask_b32_e64 v39, 0, 1, s[4:5]
	v_cndmask_b32_e64 v40, 0, 1, s[6:7]
	;; [unrolled: 1-line block ×5, first 2 shown]
	s_branch .LBB205_69
.LBB205_51:
                                        ; implicit-def: $sgpr30_sgpr31
                                        ; implicit-def: $vgpr38
                                        ; implicit-def: $vgpr39
                                        ; implicit-def: $vgpr40
                                        ; implicit-def: $vgpr41
                                        ; implicit-def: $vgpr42
                                        ; implicit-def: $vgpr43
	s_cbranch_execz .LBB205_69
; %bb.52:
	v_add_u32_e32 v16, 6, v21
	v_cmp_gt_u32_e32 vcc, s38, v16
	s_mov_b64 s[6:7], 0
	s_mov_b64 s[4:5], 0
	s_and_saveexec_b64 s[8:9], vcc
	s_cbranch_execz .LBB205_54
; %bb.53:
	s_mov_b32 s4, 0x66666667
	v_mul_hi_i32 v16, v3, s4
	v_mul_hi_i32 v19, v13, s4
	v_lshrrev_b32_e32 v20, 31, v16
	v_ashrrev_i32_e32 v16, 2, v16
	v_lshrrev_b32_e32 v22, 31, v19
	v_ashrrev_i32_e32 v19, 2, v19
	v_add_u32_e32 v16, v16, v20
	v_add_u32_e32 v19, v19, v22
	v_cmp_ne_u32_e32 vcc, v16, v19
	s_and_b64 s[4:5], vcc, exec
.LBB205_54:
	s_or_b64 exec, exec, s[8:9]
	v_add_u32_e32 v16, 5, v21
	v_cmp_gt_u32_e32 vcc, s38, v16
	s_and_saveexec_b64 s[8:9], vcc
	s_cbranch_execz .LBB205_56
; %bb.55:
	s_mov_b32 s6, 0x66666667
	v_mul_hi_i32 v16, v1, s6
	v_mul_hi_i32 v19, v3, s6
	v_lshrrev_b32_e32 v20, 31, v16
	v_ashrrev_i32_e32 v16, 2, v16
	v_lshrrev_b32_e32 v22, 31, v19
	v_ashrrev_i32_e32 v19, 2, v19
	v_add_u32_e32 v16, v16, v20
	v_add_u32_e32 v19, v19, v22
	v_cmp_ne_u32_e32 vcc, v16, v19
	s_and_b64 s[6:7], vcc, exec
.LBB205_56:
	s_or_b64 exec, exec, s[8:9]
	v_add_u32_e32 v16, 4, v21
	v_cmp_gt_u32_e32 vcc, s38, v16
	s_mov_b64 s[10:11], 0
	s_mov_b64 s[8:9], 0
	s_and_saveexec_b64 s[12:13], vcc
	s_cbranch_execz .LBB205_58
; %bb.57:
	s_mov_b32 s8, 0x66666667
	v_mul_hi_i32 v16, v7, s8
	v_mul_hi_i32 v19, v1, s8
	v_lshrrev_b32_e32 v20, 31, v16
	v_ashrrev_i32_e32 v16, 2, v16
	v_lshrrev_b32_e32 v22, 31, v19
	v_ashrrev_i32_e32 v19, 2, v19
	v_add_u32_e32 v16, v16, v20
	v_add_u32_e32 v19, v19, v22
	v_cmp_ne_u32_e32 vcc, v16, v19
	s_and_b64 s[8:9], vcc, exec
.LBB205_58:
	s_or_b64 exec, exec, s[12:13]
	v_add_u32_e32 v16, 3, v21
	v_cmp_gt_u32_e32 vcc, s38, v16
	s_and_saveexec_b64 s[12:13], vcc
	s_cbranch_execz .LBB205_60
; %bb.59:
	s_mov_b32 s10, 0x66666667
	v_mul_hi_i32 v16, v5, s10
	v_mul_hi_i32 v19, v7, s10
	v_lshrrev_b32_e32 v20, 31, v16
	v_ashrrev_i32_e32 v16, 2, v16
	v_lshrrev_b32_e32 v22, 31, v19
	v_ashrrev_i32_e32 v19, 2, v19
	v_add_u32_e32 v16, v16, v20
	v_add_u32_e32 v19, v19, v22
	v_cmp_ne_u32_e32 vcc, v16, v19
	s_and_b64 s[10:11], vcc, exec
.LBB205_60:
	s_or_b64 exec, exec, s[12:13]
	;; [unrolled: 38-line block ×3, first 2 shown]
	s_waitcnt lgkmcnt(0)
	s_barrier
                                        ; implicit-def: $sgpr30_sgpr31
	s_and_saveexec_b64 s[36:37], s[2:3]
	s_cbranch_execz .LBB205_68
; %bb.65:
	v_cmp_gt_u32_e32 vcc, s38, v21
	s_mov_b64 s[30:31], 0
	s_and_saveexec_b64 s[2:3], vcc
	s_cbranch_execz .LBB205_67
; %bb.66:
	v_add_u32_e32 v15, -8, v15
	ds_read_b32 v15, v15
	s_mov_b32 s30, 0x66666667
	v_mul_hi_i32 v16, v9, s30
	s_waitcnt lgkmcnt(0)
	v_mul_hi_i32 v15, v15, s30
	v_lshrrev_b32_e32 v19, 31, v16
	v_ashrrev_i32_e32 v16, 2, v16
	v_add_u32_e32 v16, v16, v19
	v_lshrrev_b32_e32 v20, 31, v15
	v_ashrrev_i32_e32 v15, 2, v15
	v_add_u32_e32 v15, v15, v20
	v_cmp_ne_u32_e32 vcc, v15, v16
	s_and_b64 s[30:31], vcc, exec
.LBB205_67:
	s_or_b64 exec, exec, s[2:3]
	s_or_b64 s[18:19], s[18:19], exec
.LBB205_68:
	s_or_b64 exec, exec, s[36:37]
	v_cndmask_b32_e64 v42, 0, 1, s[34:35]
	v_cndmask_b32_e64 v41, 0, 1, s[10:11]
	;; [unrolled: 1-line block ×6, first 2 shown]
.LBB205_69:
	v_mov_b32_e32 v28, 1
	s_and_saveexec_b64 s[2:3], s[18:19]
; %bb.70:
	v_cndmask_b32_e64 v28, 0, 1, s[30:31]
; %bb.71:
	s_or_b64 exec, exec, s[2:3]
	s_andn2_b64 vcc, exec, s[14:15]
	s_cbranch_vccnz .LBB205_73
; %bb.72:
	v_cmp_gt_u32_e32 vcc, s38, v21
	s_waitcnt vmcnt(0) lgkmcnt(0)
	v_add_u32_e32 v15, 1, v21
	v_cndmask_b32_e32 v28, 0, v28, vcc
	v_cmp_gt_u32_e32 vcc, s38, v15
	v_add_u32_e32 v15, 2, v21
	v_cndmask_b32_e32 v43, 0, v43, vcc
	v_cmp_gt_u32_e32 vcc, s38, v15
	;; [unrolled: 3-line block ×6, first 2 shown]
	v_cndmask_b32_e32 v38, 0, v38, vcc
.LBB205_73:
	v_and_b32_e32 v29, 0xffff, v28
	v_and_b32_e32 v30, 0xff, v43
	;; [unrolled: 1-line block ×5, first 2 shown]
	s_waitcnt vmcnt(0) lgkmcnt(0)
	v_add3_u32 v16, v30, v29, v31
	v_and_b32_e32 v36, 0xff, v39
	v_and_b32_e32 v15, 0xff, v38
	v_add3_u32 v16, v16, v32, v34
	v_add3_u32 v44, v16, v36, v15
	v_mbcnt_lo_u32_b32 v15, -1, 0
	v_mbcnt_hi_u32_b32 v33, -1, v15
	v_and_b32_e32 v15, 15, v33
	v_cmp_eq_u32_e64 s[14:15], 0, v15
	v_cmp_lt_u32_e64 s[12:13], 1, v15
	v_cmp_lt_u32_e64 s[10:11], 3, v15
	;; [unrolled: 1-line block ×3, first 2 shown]
	v_and_b32_e32 v15, 16, v33
	v_cmp_eq_u32_e64 s[6:7], 0, v15
	v_or_b32_e32 v15, 63, v0
	v_cmp_lt_u32_e64 s[2:3], 31, v33
	v_lshrrev_b32_e32 v35, 6, v0
	v_cmp_eq_u32_e64 s[4:5], v0, v15
	s_and_b64 vcc, exec, s[16:17]
	s_barrier
	s_cbranch_vccz .LBB205_95
; %bb.74:
	v_mov_b32_dpp v15, v44 row_shr:1 row_mask:0xf bank_mask:0xf
	v_cndmask_b32_e64 v15, v15, 0, s[14:15]
	v_add_u32_e32 v15, v15, v44
	s_nop 1
	v_mov_b32_dpp v16, v15 row_shr:2 row_mask:0xf bank_mask:0xf
	v_cndmask_b32_e64 v16, 0, v16, s[12:13]
	v_add_u32_e32 v15, v15, v16
	s_nop 1
	;; [unrolled: 4-line block ×4, first 2 shown]
	v_mov_b32_dpp v16, v15 row_bcast:15 row_mask:0xf bank_mask:0xf
	v_cndmask_b32_e64 v16, v16, 0, s[6:7]
	v_add_u32_e32 v15, v15, v16
	s_nop 1
	v_mov_b32_dpp v16, v15 row_bcast:31 row_mask:0xf bank_mask:0xf
	v_cndmask_b32_e64 v16, 0, v16, s[2:3]
	v_add_u32_e32 v15, v15, v16
	s_and_saveexec_b64 s[16:17], s[4:5]
; %bb.75:
	v_lshlrev_b32_e32 v16, 2, v35
	ds_write_b32 v16, v15
; %bb.76:
	s_or_b64 exec, exec, s[16:17]
	v_cmp_gt_u32_e32 vcc, 4, v0
	s_waitcnt lgkmcnt(0)
	s_barrier
	s_and_saveexec_b64 s[16:17], vcc
	s_cbranch_execz .LBB205_78
; %bb.77:
	v_lshlrev_b32_e32 v16, 2, v0
	ds_read_b32 v19, v16
	v_and_b32_e32 v20, 3, v33
	v_cmp_ne_u32_e32 vcc, 0, v20
	s_waitcnt lgkmcnt(0)
	v_mov_b32_dpp v21, v19 row_shr:1 row_mask:0xf bank_mask:0xf
	v_cndmask_b32_e32 v21, 0, v21, vcc
	v_add_u32_e32 v19, v21, v19
	v_cmp_lt_u32_e32 vcc, 1, v20
	s_nop 0
	v_mov_b32_dpp v21, v19 row_shr:2 row_mask:0xf bank_mask:0xf
	v_cndmask_b32_e32 v20, 0, v21, vcc
	v_add_u32_e32 v19, v19, v20
	ds_write_b32 v16, v19
.LBB205_78:
	s_or_b64 exec, exec, s[16:17]
	v_cmp_gt_u32_e32 vcc, 64, v0
	v_cmp_lt_u32_e64 s[16:17], 63, v0
	s_waitcnt lgkmcnt(0)
	s_barrier
                                        ; implicit-def: $vgpr27
	s_and_saveexec_b64 s[18:19], s[16:17]
	s_cbranch_execz .LBB205_80
; %bb.79:
	v_lshl_add_u32 v16, v35, 2, -4
	ds_read_b32 v27, v16
	s_waitcnt lgkmcnt(0)
	v_add_u32_e32 v15, v27, v15
.LBB205_80:
	s_or_b64 exec, exec, s[18:19]
	v_subrev_co_u32_e64 v16, s[16:17], 1, v33
	v_and_b32_e32 v19, 64, v33
	v_cmp_lt_i32_e64 s[18:19], v16, v19
	v_cndmask_b32_e64 v16, v16, v33, s[18:19]
	v_lshlrev_b32_e32 v16, 2, v16
	ds_bpermute_b32 v45, v16, v15
	s_and_saveexec_b64 s[18:19], vcc
	s_cbranch_execz .LBB205_100
; %bb.81:
	v_mov_b32_e32 v23, 0
	ds_read_b32 v15, v23 offset:12
	s_and_saveexec_b64 s[30:31], s[16:17]
	s_cbranch_execz .LBB205_83
; %bb.82:
	s_add_i32 s34, s33, 64
	s_mov_b32 s35, 0
	s_lshl_b64 s[34:35], s[34:35], 3
	s_add_u32 s34, s28, s34
	v_mov_b32_e32 v16, 1
	s_addc_u32 s35, s29, s35
	s_waitcnt lgkmcnt(0)
	global_store_dwordx2 v23, v[15:16], s[34:35]
.LBB205_83:
	s_or_b64 exec, exec, s[30:31]
	v_xad_u32 v19, v33, -1, s33
	v_add_u32_e32 v22, 64, v19
	v_lshlrev_b64 v[20:21], 3, v[22:23]
	v_mov_b32_e32 v16, s29
	v_add_co_u32_e32 v24, vcc, s28, v20
	v_addc_co_u32_e32 v25, vcc, v16, v21, vcc
	global_load_dwordx2 v[21:22], v[24:25], off glc
	s_waitcnt vmcnt(0)
	v_cmp_eq_u16_sdwa s[34:35], v22, v23 src0_sel:BYTE_0 src1_sel:DWORD
	s_and_saveexec_b64 s[30:31], s[34:35]
	s_cbranch_execz .LBB205_87
; %bb.84:
	s_mov_b64 s[34:35], 0
	v_mov_b32_e32 v16, 0
.LBB205_85:                             ; =>This Inner Loop Header: Depth=1
	global_load_dwordx2 v[21:22], v[24:25], off glc
	s_waitcnt vmcnt(0)
	v_cmp_ne_u16_sdwa s[36:37], v22, v16 src0_sel:BYTE_0 src1_sel:DWORD
	s_or_b64 s[34:35], s[36:37], s[34:35]
	s_andn2_b64 exec, exec, s[34:35]
	s_cbranch_execnz .LBB205_85
; %bb.86:
	s_or_b64 exec, exec, s[34:35]
.LBB205_87:
	s_or_b64 exec, exec, s[30:31]
	v_and_b32_e32 v47, 63, v33
	v_mov_b32_e32 v46, 2
	v_lshlrev_b64 v[23:24], v33, -1
	v_cmp_ne_u32_e32 vcc, 63, v47
	v_cmp_eq_u16_sdwa s[30:31], v22, v46 src0_sel:BYTE_0 src1_sel:DWORD
	v_addc_co_u32_e32 v25, vcc, 0, v33, vcc
	v_and_b32_e32 v16, s31, v24
	v_lshlrev_b32_e32 v48, 2, v25
	v_or_b32_e32 v16, 0x80000000, v16
	ds_bpermute_b32 v25, v48, v21
	v_and_b32_e32 v20, s30, v23
	v_ffbl_b32_e32 v16, v16
	v_add_u32_e32 v16, 32, v16
	v_ffbl_b32_e32 v20, v20
	v_min_u32_e32 v16, v20, v16
	v_cmp_lt_u32_e32 vcc, v47, v16
	s_waitcnt lgkmcnt(0)
	v_cndmask_b32_e32 v20, 0, v25, vcc
	v_cmp_gt_u32_e32 vcc, 62, v47
	v_add_u32_e32 v20, v20, v21
	v_cndmask_b32_e64 v21, 0, 2, vcc
	v_add_lshl_u32 v49, v21, v33, 2
	ds_bpermute_b32 v21, v49, v20
	v_add_u32_e32 v50, 2, v47
	v_cmp_le_u32_e32 vcc, v50, v16
	v_add_u32_e32 v52, 4, v47
	v_add_u32_e32 v54, 8, v47
	s_waitcnt lgkmcnt(0)
	v_cndmask_b32_e32 v21, 0, v21, vcc
	v_cmp_gt_u32_e32 vcc, 60, v47
	v_add_u32_e32 v20, v20, v21
	v_cndmask_b32_e64 v21, 0, 4, vcc
	v_add_lshl_u32 v51, v21, v33, 2
	ds_bpermute_b32 v21, v51, v20
	v_cmp_le_u32_e32 vcc, v52, v16
	v_add_u32_e32 v56, 16, v47
	v_add_u32_e32 v58, 32, v47
	s_waitcnt lgkmcnt(0)
	v_cndmask_b32_e32 v21, 0, v21, vcc
	v_cmp_gt_u32_e32 vcc, 56, v47
	v_add_u32_e32 v20, v20, v21
	v_cndmask_b32_e64 v21, 0, 8, vcc
	v_add_lshl_u32 v53, v21, v33, 2
	ds_bpermute_b32 v21, v53, v20
	v_cmp_le_u32_e32 vcc, v54, v16
	s_waitcnt lgkmcnt(0)
	v_cndmask_b32_e32 v21, 0, v21, vcc
	v_cmp_gt_u32_e32 vcc, 48, v47
	v_add_u32_e32 v20, v20, v21
	v_cndmask_b32_e64 v21, 0, 16, vcc
	v_add_lshl_u32 v55, v21, v33, 2
	ds_bpermute_b32 v21, v55, v20
	v_cmp_le_u32_e32 vcc, v56, v16
	s_waitcnt lgkmcnt(0)
	v_cndmask_b32_e32 v21, 0, v21, vcc
	v_add_u32_e32 v20, v20, v21
	v_mov_b32_e32 v21, 0x80
	v_lshl_or_b32 v57, v33, 2, v21
	ds_bpermute_b32 v21, v57, v20
	v_cmp_le_u32_e32 vcc, v58, v16
	s_waitcnt lgkmcnt(0)
	v_cndmask_b32_e32 v16, 0, v21, vcc
	v_add_u32_e32 v21, v20, v16
	v_mov_b32_e32 v20, 0
	s_branch .LBB205_90
.LBB205_88:                             ;   in Loop: Header=BB205_90 Depth=1
	s_or_b64 exec, exec, s[30:31]
	v_cmp_eq_u16_sdwa s[30:31], v22, v46 src0_sel:BYTE_0 src1_sel:DWORD
	v_and_b32_e32 v25, s31, v24
	v_or_b32_e32 v25, 0x80000000, v25
	ds_bpermute_b32 v59, v48, v21
	v_and_b32_e32 v26, s30, v23
	v_ffbl_b32_e32 v25, v25
	v_add_u32_e32 v25, 32, v25
	v_ffbl_b32_e32 v26, v26
	v_min_u32_e32 v25, v26, v25
	v_cmp_lt_u32_e32 vcc, v47, v25
	s_waitcnt lgkmcnt(0)
	v_cndmask_b32_e32 v26, 0, v59, vcc
	v_add_u32_e32 v21, v26, v21
	ds_bpermute_b32 v26, v49, v21
	v_cmp_le_u32_e32 vcc, v50, v25
	v_subrev_u32_e32 v19, 64, v19
	s_mov_b64 s[30:31], 0
	s_waitcnt lgkmcnt(0)
	v_cndmask_b32_e32 v26, 0, v26, vcc
	v_add_u32_e32 v21, v21, v26
	ds_bpermute_b32 v26, v51, v21
	v_cmp_le_u32_e32 vcc, v52, v25
	s_waitcnt lgkmcnt(0)
	v_cndmask_b32_e32 v26, 0, v26, vcc
	v_add_u32_e32 v21, v21, v26
	ds_bpermute_b32 v26, v53, v21
	v_cmp_le_u32_e32 vcc, v54, v25
	;; [unrolled: 5-line block ×4, first 2 shown]
	s_waitcnt lgkmcnt(0)
	v_cndmask_b32_e32 v25, 0, v26, vcc
	v_add3_u32 v21, v25, v16, v21
.LBB205_89:                             ;   in Loop: Header=BB205_90 Depth=1
	s_and_b64 vcc, exec, s[30:31]
	s_cbranch_vccnz .LBB205_96
.LBB205_90:                             ; =>This Loop Header: Depth=1
                                        ;     Child Loop BB205_93 Depth 2
	v_cmp_ne_u16_sdwa s[30:31], v22, v46 src0_sel:BYTE_0 src1_sel:DWORD
	v_mov_b32_e32 v16, v21
	s_cmp_lg_u64 s[30:31], exec
	s_mov_b64 s[30:31], -1
                                        ; implicit-def: $vgpr21
                                        ; implicit-def: $vgpr22
	s_cbranch_scc1 .LBB205_89
; %bb.91:                               ;   in Loop: Header=BB205_90 Depth=1
	v_lshlrev_b64 v[21:22], 3, v[19:20]
	v_mov_b32_e32 v26, s29
	v_add_co_u32_e32 v25, vcc, s28, v21
	v_addc_co_u32_e32 v26, vcc, v26, v22, vcc
	global_load_dwordx2 v[21:22], v[25:26], off glc
	s_waitcnt vmcnt(0)
	v_cmp_eq_u16_sdwa s[34:35], v22, v20 src0_sel:BYTE_0 src1_sel:DWORD
	s_and_saveexec_b64 s[30:31], s[34:35]
	s_cbranch_execz .LBB205_88
; %bb.92:                               ;   in Loop: Header=BB205_90 Depth=1
	s_mov_b64 s[34:35], 0
.LBB205_93:                             ;   Parent Loop BB205_90 Depth=1
                                        ; =>  This Inner Loop Header: Depth=2
	global_load_dwordx2 v[21:22], v[25:26], off glc
	s_waitcnt vmcnt(0)
	v_cmp_ne_u16_sdwa s[36:37], v22, v20 src0_sel:BYTE_0 src1_sel:DWORD
	s_or_b64 s[34:35], s[36:37], s[34:35]
	s_andn2_b64 exec, exec, s[34:35]
	s_cbranch_execnz .LBB205_93
; %bb.94:                               ;   in Loop: Header=BB205_90 Depth=1
	s_or_b64 exec, exec, s[34:35]
	s_branch .LBB205_88
.LBB205_95:
                                        ; implicit-def: $vgpr19
                                        ; implicit-def: $vgpr15
                                        ; implicit-def: $vgpr27
	s_cbranch_execnz .LBB205_101
	s_branch .LBB205_110
.LBB205_96:
	s_and_saveexec_b64 s[30:31], s[16:17]
	s_cbranch_execz .LBB205_98
; %bb.97:
	s_add_i32 s34, s33, 64
	s_mov_b32 s35, 0
	s_lshl_b64 s[34:35], s[34:35], 3
	s_add_u32 s34, s28, s34
	v_add_u32_e32 v19, v16, v15
	v_mov_b32_e32 v20, 2
	s_addc_u32 s35, s29, s35
	v_mov_b32_e32 v21, 0
	global_store_dwordx2 v21, v[19:20], s[34:35]
	ds_write_b64 v21, v[15:16] offset:14336
.LBB205_98:
	s_or_b64 exec, exec, s[30:31]
	s_and_b64 exec, exec, s[0:1]
; %bb.99:
	v_mov_b32_e32 v15, 0
	ds_write_b32 v15, v16 offset:12
.LBB205_100:
	s_or_b64 exec, exec, s[18:19]
	v_mov_b32_e32 v15, 0
	s_waitcnt vmcnt(0) lgkmcnt(0)
	s_barrier
	ds_read_b32 v19, v15 offset:12
	s_waitcnt lgkmcnt(0)
	s_barrier
	ds_read_b64 v[15:16], v15 offset:14336
	v_cndmask_b32_e64 v20, v45, v27, s[16:17]
	v_cndmask_b32_e64 v20, v20, 0, s[0:1]
	v_add_u32_e32 v27, v19, v20
	s_waitcnt lgkmcnt(0)
	v_mov_b32_e32 v19, v16
	s_branch .LBB205_110
.LBB205_101:
	v_mov_b32_dpp v15, v44 row_shr:1 row_mask:0xf bank_mask:0xf
	v_cndmask_b32_e64 v15, v15, 0, s[14:15]
	v_add_u32_e32 v15, v15, v44
	s_nop 1
	v_mov_b32_dpp v16, v15 row_shr:2 row_mask:0xf bank_mask:0xf
	v_cndmask_b32_e64 v16, 0, v16, s[12:13]
	v_add_u32_e32 v15, v15, v16
	s_nop 1
	;; [unrolled: 4-line block ×4, first 2 shown]
	v_mov_b32_dpp v16, v15 row_bcast:15 row_mask:0xf bank_mask:0xf
	v_cndmask_b32_e64 v16, v16, 0, s[6:7]
	v_add_u32_e32 v15, v15, v16
	s_nop 1
	v_mov_b32_dpp v16, v15 row_bcast:31 row_mask:0xf bank_mask:0xf
	v_cndmask_b32_e64 v16, 0, v16, s[2:3]
	v_add_u32_e32 v15, v15, v16
	s_and_saveexec_b64 s[2:3], s[4:5]
; %bb.102:
	v_lshlrev_b32_e32 v16, 2, v35
	ds_write_b32 v16, v15
; %bb.103:
	s_or_b64 exec, exec, s[2:3]
	v_cmp_gt_u32_e32 vcc, 4, v0
	s_waitcnt lgkmcnt(0)
	s_barrier
	s_and_saveexec_b64 s[2:3], vcc
	s_cbranch_execz .LBB205_105
; %bb.104:
	v_lshlrev_b32_e32 v16, 2, v0
	ds_read_b32 v19, v16
	v_and_b32_e32 v20, 3, v33
	v_cmp_ne_u32_e32 vcc, 0, v20
	s_waitcnt lgkmcnt(0)
	v_mov_b32_dpp v21, v19 row_shr:1 row_mask:0xf bank_mask:0xf
	v_cndmask_b32_e32 v21, 0, v21, vcc
	v_add_u32_e32 v19, v21, v19
	v_cmp_lt_u32_e32 vcc, 1, v20
	s_nop 0
	v_mov_b32_dpp v21, v19 row_shr:2 row_mask:0xf bank_mask:0xf
	v_cndmask_b32_e32 v20, 0, v21, vcc
	v_add_u32_e32 v19, v19, v20
	ds_write_b32 v16, v19
.LBB205_105:
	s_or_b64 exec, exec, s[2:3]
	v_cmp_lt_u32_e32 vcc, 63, v0
	v_mov_b32_e32 v16, 0
	v_mov_b32_e32 v19, 0
	s_waitcnt lgkmcnt(0)
	s_barrier
	s_and_saveexec_b64 s[2:3], vcc
; %bb.106:
	v_lshl_add_u32 v19, v35, 2, -4
	ds_read_b32 v19, v19
; %bb.107:
	s_or_b64 exec, exec, s[2:3]
	v_subrev_co_u32_e32 v20, vcc, 1, v33
	v_and_b32_e32 v21, 64, v33
	v_cmp_lt_i32_e64 s[2:3], v20, v21
	v_cndmask_b32_e64 v20, v20, v33, s[2:3]
	s_waitcnt lgkmcnt(0)
	v_add_u32_e32 v15, v19, v15
	v_lshlrev_b32_e32 v20, 2, v20
	ds_bpermute_b32 v20, v20, v15
	ds_read_b32 v15, v16 offset:12
	s_and_saveexec_b64 s[2:3], s[0:1]
	s_cbranch_execz .LBB205_109
; %bb.108:
	v_mov_b32_e32 v21, 0
	v_mov_b32_e32 v16, 2
	s_waitcnt lgkmcnt(0)
	global_store_dwordx2 v21, v[15:16], s[28:29] offset:512
.LBB205_109:
	s_or_b64 exec, exec, s[2:3]
	s_waitcnt lgkmcnt(1)
	v_cndmask_b32_e32 v16, v20, v19, vcc
	v_cndmask_b32_e64 v27, v16, 0, s[0:1]
	s_waitcnt vmcnt(0) lgkmcnt(0)
	s_barrier
	v_mov_b32_e32 v19, 0
.LBB205_110:
	v_add_u32_e32 v35, v27, v29
	v_add_u32_e32 v33, v35, v30
	v_add_u32_e32 v31, v33, v31
	v_add_u32_e32 v29, v31, v32
	s_movk_i32 s4, 0x101
	v_add_u32_e32 v25, v29, v34
	v_cmp_gt_u32_e32 vcc, s4, v15
	v_lshlrev_b64 v[21:22], 3, v[17:18]
	v_add_u32_e32 v23, v25, v36
	s_mov_b64 s[2:3], -1
	v_and_b32_e32 v16, 1, v28
	s_cbranch_vccnz .LBB205_114
; %bb.111:
	s_and_b64 vcc, exec, s[2:3]
	s_cbranch_vccnz .LBB205_129
.LBB205_112:
	s_and_b64 s[0:1], s[0:1], s[22:23]
	s_and_saveexec_b64 s[2:3], s[0:1]
	s_cbranch_execnz .LBB205_146
.LBB205_113:
	s_endpgm
.LBB205_114:
	v_mov_b32_e32 v26, s25
	v_add_co_u32_e32 v20, vcc, s24, v21
	v_add_u32_e32 v24, v19, v15
	v_addc_co_u32_e32 v44, vcc, v26, v22, vcc
	v_cmp_lt_u32_e32 vcc, v27, v24
	s_or_b64 s[2:3], s[26:27], vcc
	v_cmp_eq_u32_e32 vcc, 1, v16
	s_and_b64 s[4:5], s[2:3], vcc
	s_and_saveexec_b64 s[2:3], s[4:5]
	s_cbranch_execz .LBB205_116
; %bb.115:
	v_mov_b32_e32 v28, 0
	v_lshlrev_b64 v[45:46], 3, v[27:28]
	v_add_co_u32_e32 v45, vcc, v20, v45
	v_addc_co_u32_e32 v46, vcc, v44, v46, vcc
	global_store_dwordx2 v[45:46], v[9:10], off
.LBB205_116:
	s_or_b64 exec, exec, s[2:3]
	v_cmp_lt_u32_e32 vcc, v35, v24
	v_and_b32_e32 v26, 1, v43
	s_or_b64 s[2:3], s[26:27], vcc
	v_cmp_eq_u32_e32 vcc, 1, v26
	s_and_b64 s[4:5], s[2:3], vcc
	s_and_saveexec_b64 s[2:3], s[4:5]
	s_cbranch_execz .LBB205_118
; %bb.117:
	v_mov_b32_e32 v36, 0
	v_lshlrev_b64 v[45:46], 3, v[35:36]
	v_add_co_u32_e32 v45, vcc, v20, v45
	v_addc_co_u32_e32 v46, vcc, v44, v46, vcc
	global_store_dwordx2 v[45:46], v[11:12], off
.LBB205_118:
	s_or_b64 exec, exec, s[2:3]
	v_cmp_lt_u32_e32 vcc, v33, v24
	v_and_b32_e32 v26, 1, v42
	;; [unrolled: 15-line block ×6, first 2 shown]
	s_or_b64 s[2:3], s[26:27], vcc
	v_cmp_eq_u32_e32 vcc, 1, v24
	s_and_b64 s[4:5], s[2:3], vcc
	s_and_saveexec_b64 s[2:3], s[4:5]
	s_cbranch_execz .LBB205_128
; %bb.127:
	v_mov_b32_e32 v24, 0
	v_lshlrev_b64 v[45:46], 3, v[23:24]
	v_add_co_u32_e32 v45, vcc, v20, v45
	v_addc_co_u32_e32 v46, vcc, v44, v46, vcc
	global_store_dwordx2 v[45:46], v[13:14], off
.LBB205_128:
	s_or_b64 exec, exec, s[2:3]
	s_branch .LBB205_112
.LBB205_129:
	v_cmp_eq_u32_e32 vcc, 1, v16
	s_and_saveexec_b64 s[2:3], vcc
; %bb.130:
	v_sub_u32_e32 v16, v27, v19
	v_lshlrev_b32_e32 v16, 3, v16
	ds_write_b64 v16, v[9:10]
; %bb.131:
	s_or_b64 exec, exec, s[2:3]
	v_and_b32_e32 v9, 1, v43
	v_cmp_eq_u32_e32 vcc, 1, v9
	s_and_saveexec_b64 s[2:3], vcc
; %bb.132:
	v_sub_u32_e32 v9, v35, v19
	v_lshlrev_b32_e32 v9, 3, v9
	ds_write_b64 v9, v[11:12]
; %bb.133:
	s_or_b64 exec, exec, s[2:3]
	v_and_b32_e32 v9, 1, v42
	;; [unrolled: 9-line block ×6, first 2 shown]
	v_cmp_eq_u32_e32 vcc, 1, v1
	s_and_saveexec_b64 s[2:3], vcc
; %bb.142:
	v_sub_u32_e32 v1, v23, v19
	v_lshlrev_b32_e32 v1, 3, v1
	ds_write_b64 v1, v[13:14]
; %bb.143:
	s_or_b64 exec, exec, s[2:3]
	v_mov_b32_e32 v1, 0
	v_mov_b32_e32 v20, v1
	;; [unrolled: 1-line block ×3, first 2 shown]
	v_add_co_u32_e32 v4, vcc, s24, v21
	v_addc_co_u32_e32 v5, vcc, v2, v22, vcc
	v_lshlrev_b64 v[2:3], 3, v[19:20]
	s_mov_b64 s[4:5], 0
	v_add_co_u32_e32 v2, vcc, v4, v2
	v_addc_co_u32_e32 v3, vcc, v5, v3, vcc
	s_waitcnt vmcnt(0) lgkmcnt(0)
	s_barrier
.LBB205_144:                            ; =>This Inner Loop Header: Depth=1
	ds_read_b64 v[6:7], v37
	v_lshlrev_b64 v[4:5], 3, v[0:1]
	v_add_u32_e32 v0, 0x100, v0
	v_cmp_ge_u32_e32 vcc, v0, v15
	v_add_co_u32_e64 v4, s[2:3], v2, v4
	v_add_u32_e32 v37, 0x800, v37
	v_addc_co_u32_e64 v5, s[2:3], v3, v5, s[2:3]
	s_or_b64 s[4:5], vcc, s[4:5]
	s_waitcnt lgkmcnt(0)
	global_store_dwordx2 v[4:5], v[6:7], off
	s_andn2_b64 exec, exec, s[4:5]
	s_cbranch_execnz .LBB205_144
; %bb.145:
	s_or_b64 exec, exec, s[4:5]
	s_and_b64 s[0:1], s[0:1], s[22:23]
	s_and_saveexec_b64 s[2:3], s[0:1]
	s_cbranch_execz .LBB205_113
.LBB205_146:
	v_add_co_u32_e32 v0, vcc, v17, v15
	v_addc_co_u32_e32 v1, vcc, 0, v18, vcc
	v_add_co_u32_e32 v0, vcc, v0, v19
	v_mov_b32_e32 v2, 0
	v_addc_co_u32_e32 v1, vcc, 0, v1, vcc
	global_store_dwordx2 v2, v[0:1], s[20:21]
	s_endpgm
	.section	.rodata,"a",@progbits
	.p2align	6, 0x0
	.amdhsa_kernel _ZN7rocprim17ROCPRIM_400000_NS6detail17trampoline_kernelINS0_14default_configENS1_25partition_config_selectorILNS1_17partition_subalgoE8EyNS0_10empty_typeEbEEZZNS1_14partition_implILS5_8ELb0ES3_jN6thrust23THRUST_200600_302600_NS6detail15normal_iteratorINSA_10device_ptrIyEEEEPS6_PKS6_NS0_5tupleIJSF_S6_EEENSJ_IJSG_SG_EEENS0_18inequality_wrapperI22is_equal_div_10_uniqueIyEEEPmJS6_EEE10hipError_tPvRmT3_T4_T5_T6_T7_T9_mT8_P12ihipStream_tbDpT10_ENKUlT_T0_E_clISt17integral_constantIbLb0EES19_IbLb1EEEEDaS15_S16_EUlS15_E_NS1_11comp_targetILNS1_3genE2ELNS1_11target_archE906ELNS1_3gpuE6ELNS1_3repE0EEENS1_30default_config_static_selectorELNS0_4arch9wavefront6targetE1EEEvT1_
		.amdhsa_group_segment_fixed_size 14344
		.amdhsa_private_segment_fixed_size 0
		.amdhsa_kernarg_size 128
		.amdhsa_user_sgpr_count 6
		.amdhsa_user_sgpr_private_segment_buffer 1
		.amdhsa_user_sgpr_dispatch_ptr 0
		.amdhsa_user_sgpr_queue_ptr 0
		.amdhsa_user_sgpr_kernarg_segment_ptr 1
		.amdhsa_user_sgpr_dispatch_id 0
		.amdhsa_user_sgpr_flat_scratch_init 0
		.amdhsa_user_sgpr_private_segment_size 0
		.amdhsa_uses_dynamic_stack 0
		.amdhsa_system_sgpr_private_segment_wavefront_offset 0
		.amdhsa_system_sgpr_workgroup_id_x 1
		.amdhsa_system_sgpr_workgroup_id_y 0
		.amdhsa_system_sgpr_workgroup_id_z 0
		.amdhsa_system_sgpr_workgroup_info 0
		.amdhsa_system_vgpr_workitem_id 0
		.amdhsa_next_free_vgpr 60
		.amdhsa_next_free_sgpr 98
		.amdhsa_reserve_vcc 1
		.amdhsa_reserve_flat_scratch 0
		.amdhsa_float_round_mode_32 0
		.amdhsa_float_round_mode_16_64 0
		.amdhsa_float_denorm_mode_32 3
		.amdhsa_float_denorm_mode_16_64 3
		.amdhsa_dx10_clamp 1
		.amdhsa_ieee_mode 1
		.amdhsa_fp16_overflow 0
		.amdhsa_exception_fp_ieee_invalid_op 0
		.amdhsa_exception_fp_denorm_src 0
		.amdhsa_exception_fp_ieee_div_zero 0
		.amdhsa_exception_fp_ieee_overflow 0
		.amdhsa_exception_fp_ieee_underflow 0
		.amdhsa_exception_fp_ieee_inexact 0
		.amdhsa_exception_int_div_zero 0
	.end_amdhsa_kernel
	.section	.text._ZN7rocprim17ROCPRIM_400000_NS6detail17trampoline_kernelINS0_14default_configENS1_25partition_config_selectorILNS1_17partition_subalgoE8EyNS0_10empty_typeEbEEZZNS1_14partition_implILS5_8ELb0ES3_jN6thrust23THRUST_200600_302600_NS6detail15normal_iteratorINSA_10device_ptrIyEEEEPS6_PKS6_NS0_5tupleIJSF_S6_EEENSJ_IJSG_SG_EEENS0_18inequality_wrapperI22is_equal_div_10_uniqueIyEEEPmJS6_EEE10hipError_tPvRmT3_T4_T5_T6_T7_T9_mT8_P12ihipStream_tbDpT10_ENKUlT_T0_E_clISt17integral_constantIbLb0EES19_IbLb1EEEEDaS15_S16_EUlS15_E_NS1_11comp_targetILNS1_3genE2ELNS1_11target_archE906ELNS1_3gpuE6ELNS1_3repE0EEENS1_30default_config_static_selectorELNS0_4arch9wavefront6targetE1EEEvT1_,"axG",@progbits,_ZN7rocprim17ROCPRIM_400000_NS6detail17trampoline_kernelINS0_14default_configENS1_25partition_config_selectorILNS1_17partition_subalgoE8EyNS0_10empty_typeEbEEZZNS1_14partition_implILS5_8ELb0ES3_jN6thrust23THRUST_200600_302600_NS6detail15normal_iteratorINSA_10device_ptrIyEEEEPS6_PKS6_NS0_5tupleIJSF_S6_EEENSJ_IJSG_SG_EEENS0_18inequality_wrapperI22is_equal_div_10_uniqueIyEEEPmJS6_EEE10hipError_tPvRmT3_T4_T5_T6_T7_T9_mT8_P12ihipStream_tbDpT10_ENKUlT_T0_E_clISt17integral_constantIbLb0EES19_IbLb1EEEEDaS15_S16_EUlS15_E_NS1_11comp_targetILNS1_3genE2ELNS1_11target_archE906ELNS1_3gpuE6ELNS1_3repE0EEENS1_30default_config_static_selectorELNS0_4arch9wavefront6targetE1EEEvT1_,comdat
.Lfunc_end205:
	.size	_ZN7rocprim17ROCPRIM_400000_NS6detail17trampoline_kernelINS0_14default_configENS1_25partition_config_selectorILNS1_17partition_subalgoE8EyNS0_10empty_typeEbEEZZNS1_14partition_implILS5_8ELb0ES3_jN6thrust23THRUST_200600_302600_NS6detail15normal_iteratorINSA_10device_ptrIyEEEEPS6_PKS6_NS0_5tupleIJSF_S6_EEENSJ_IJSG_SG_EEENS0_18inequality_wrapperI22is_equal_div_10_uniqueIyEEEPmJS6_EEE10hipError_tPvRmT3_T4_T5_T6_T7_T9_mT8_P12ihipStream_tbDpT10_ENKUlT_T0_E_clISt17integral_constantIbLb0EES19_IbLb1EEEEDaS15_S16_EUlS15_E_NS1_11comp_targetILNS1_3genE2ELNS1_11target_archE906ELNS1_3gpuE6ELNS1_3repE0EEENS1_30default_config_static_selectorELNS0_4arch9wavefront6targetE1EEEvT1_, .Lfunc_end205-_ZN7rocprim17ROCPRIM_400000_NS6detail17trampoline_kernelINS0_14default_configENS1_25partition_config_selectorILNS1_17partition_subalgoE8EyNS0_10empty_typeEbEEZZNS1_14partition_implILS5_8ELb0ES3_jN6thrust23THRUST_200600_302600_NS6detail15normal_iteratorINSA_10device_ptrIyEEEEPS6_PKS6_NS0_5tupleIJSF_S6_EEENSJ_IJSG_SG_EEENS0_18inequality_wrapperI22is_equal_div_10_uniqueIyEEEPmJS6_EEE10hipError_tPvRmT3_T4_T5_T6_T7_T9_mT8_P12ihipStream_tbDpT10_ENKUlT_T0_E_clISt17integral_constantIbLb0EES19_IbLb1EEEEDaS15_S16_EUlS15_E_NS1_11comp_targetILNS1_3genE2ELNS1_11target_archE906ELNS1_3gpuE6ELNS1_3repE0EEENS1_30default_config_static_selectorELNS0_4arch9wavefront6targetE1EEEvT1_
                                        ; -- End function
	.set _ZN7rocprim17ROCPRIM_400000_NS6detail17trampoline_kernelINS0_14default_configENS1_25partition_config_selectorILNS1_17partition_subalgoE8EyNS0_10empty_typeEbEEZZNS1_14partition_implILS5_8ELb0ES3_jN6thrust23THRUST_200600_302600_NS6detail15normal_iteratorINSA_10device_ptrIyEEEEPS6_PKS6_NS0_5tupleIJSF_S6_EEENSJ_IJSG_SG_EEENS0_18inequality_wrapperI22is_equal_div_10_uniqueIyEEEPmJS6_EEE10hipError_tPvRmT3_T4_T5_T6_T7_T9_mT8_P12ihipStream_tbDpT10_ENKUlT_T0_E_clISt17integral_constantIbLb0EES19_IbLb1EEEEDaS15_S16_EUlS15_E_NS1_11comp_targetILNS1_3genE2ELNS1_11target_archE906ELNS1_3gpuE6ELNS1_3repE0EEENS1_30default_config_static_selectorELNS0_4arch9wavefront6targetE1EEEvT1_.num_vgpr, 60
	.set _ZN7rocprim17ROCPRIM_400000_NS6detail17trampoline_kernelINS0_14default_configENS1_25partition_config_selectorILNS1_17partition_subalgoE8EyNS0_10empty_typeEbEEZZNS1_14partition_implILS5_8ELb0ES3_jN6thrust23THRUST_200600_302600_NS6detail15normal_iteratorINSA_10device_ptrIyEEEEPS6_PKS6_NS0_5tupleIJSF_S6_EEENSJ_IJSG_SG_EEENS0_18inequality_wrapperI22is_equal_div_10_uniqueIyEEEPmJS6_EEE10hipError_tPvRmT3_T4_T5_T6_T7_T9_mT8_P12ihipStream_tbDpT10_ENKUlT_T0_E_clISt17integral_constantIbLb0EES19_IbLb1EEEEDaS15_S16_EUlS15_E_NS1_11comp_targetILNS1_3genE2ELNS1_11target_archE906ELNS1_3gpuE6ELNS1_3repE0EEENS1_30default_config_static_selectorELNS0_4arch9wavefront6targetE1EEEvT1_.num_agpr, 0
	.set _ZN7rocprim17ROCPRIM_400000_NS6detail17trampoline_kernelINS0_14default_configENS1_25partition_config_selectorILNS1_17partition_subalgoE8EyNS0_10empty_typeEbEEZZNS1_14partition_implILS5_8ELb0ES3_jN6thrust23THRUST_200600_302600_NS6detail15normal_iteratorINSA_10device_ptrIyEEEEPS6_PKS6_NS0_5tupleIJSF_S6_EEENSJ_IJSG_SG_EEENS0_18inequality_wrapperI22is_equal_div_10_uniqueIyEEEPmJS6_EEE10hipError_tPvRmT3_T4_T5_T6_T7_T9_mT8_P12ihipStream_tbDpT10_ENKUlT_T0_E_clISt17integral_constantIbLb0EES19_IbLb1EEEEDaS15_S16_EUlS15_E_NS1_11comp_targetILNS1_3genE2ELNS1_11target_archE906ELNS1_3gpuE6ELNS1_3repE0EEENS1_30default_config_static_selectorELNS0_4arch9wavefront6targetE1EEEvT1_.numbered_sgpr, 39
	.set _ZN7rocprim17ROCPRIM_400000_NS6detail17trampoline_kernelINS0_14default_configENS1_25partition_config_selectorILNS1_17partition_subalgoE8EyNS0_10empty_typeEbEEZZNS1_14partition_implILS5_8ELb0ES3_jN6thrust23THRUST_200600_302600_NS6detail15normal_iteratorINSA_10device_ptrIyEEEEPS6_PKS6_NS0_5tupleIJSF_S6_EEENSJ_IJSG_SG_EEENS0_18inequality_wrapperI22is_equal_div_10_uniqueIyEEEPmJS6_EEE10hipError_tPvRmT3_T4_T5_T6_T7_T9_mT8_P12ihipStream_tbDpT10_ENKUlT_T0_E_clISt17integral_constantIbLb0EES19_IbLb1EEEEDaS15_S16_EUlS15_E_NS1_11comp_targetILNS1_3genE2ELNS1_11target_archE906ELNS1_3gpuE6ELNS1_3repE0EEENS1_30default_config_static_selectorELNS0_4arch9wavefront6targetE1EEEvT1_.num_named_barrier, 0
	.set _ZN7rocprim17ROCPRIM_400000_NS6detail17trampoline_kernelINS0_14default_configENS1_25partition_config_selectorILNS1_17partition_subalgoE8EyNS0_10empty_typeEbEEZZNS1_14partition_implILS5_8ELb0ES3_jN6thrust23THRUST_200600_302600_NS6detail15normal_iteratorINSA_10device_ptrIyEEEEPS6_PKS6_NS0_5tupleIJSF_S6_EEENSJ_IJSG_SG_EEENS0_18inequality_wrapperI22is_equal_div_10_uniqueIyEEEPmJS6_EEE10hipError_tPvRmT3_T4_T5_T6_T7_T9_mT8_P12ihipStream_tbDpT10_ENKUlT_T0_E_clISt17integral_constantIbLb0EES19_IbLb1EEEEDaS15_S16_EUlS15_E_NS1_11comp_targetILNS1_3genE2ELNS1_11target_archE906ELNS1_3gpuE6ELNS1_3repE0EEENS1_30default_config_static_selectorELNS0_4arch9wavefront6targetE1EEEvT1_.private_seg_size, 0
	.set _ZN7rocprim17ROCPRIM_400000_NS6detail17trampoline_kernelINS0_14default_configENS1_25partition_config_selectorILNS1_17partition_subalgoE8EyNS0_10empty_typeEbEEZZNS1_14partition_implILS5_8ELb0ES3_jN6thrust23THRUST_200600_302600_NS6detail15normal_iteratorINSA_10device_ptrIyEEEEPS6_PKS6_NS0_5tupleIJSF_S6_EEENSJ_IJSG_SG_EEENS0_18inequality_wrapperI22is_equal_div_10_uniqueIyEEEPmJS6_EEE10hipError_tPvRmT3_T4_T5_T6_T7_T9_mT8_P12ihipStream_tbDpT10_ENKUlT_T0_E_clISt17integral_constantIbLb0EES19_IbLb1EEEEDaS15_S16_EUlS15_E_NS1_11comp_targetILNS1_3genE2ELNS1_11target_archE906ELNS1_3gpuE6ELNS1_3repE0EEENS1_30default_config_static_selectorELNS0_4arch9wavefront6targetE1EEEvT1_.uses_vcc, 1
	.set _ZN7rocprim17ROCPRIM_400000_NS6detail17trampoline_kernelINS0_14default_configENS1_25partition_config_selectorILNS1_17partition_subalgoE8EyNS0_10empty_typeEbEEZZNS1_14partition_implILS5_8ELb0ES3_jN6thrust23THRUST_200600_302600_NS6detail15normal_iteratorINSA_10device_ptrIyEEEEPS6_PKS6_NS0_5tupleIJSF_S6_EEENSJ_IJSG_SG_EEENS0_18inequality_wrapperI22is_equal_div_10_uniqueIyEEEPmJS6_EEE10hipError_tPvRmT3_T4_T5_T6_T7_T9_mT8_P12ihipStream_tbDpT10_ENKUlT_T0_E_clISt17integral_constantIbLb0EES19_IbLb1EEEEDaS15_S16_EUlS15_E_NS1_11comp_targetILNS1_3genE2ELNS1_11target_archE906ELNS1_3gpuE6ELNS1_3repE0EEENS1_30default_config_static_selectorELNS0_4arch9wavefront6targetE1EEEvT1_.uses_flat_scratch, 0
	.set _ZN7rocprim17ROCPRIM_400000_NS6detail17trampoline_kernelINS0_14default_configENS1_25partition_config_selectorILNS1_17partition_subalgoE8EyNS0_10empty_typeEbEEZZNS1_14partition_implILS5_8ELb0ES3_jN6thrust23THRUST_200600_302600_NS6detail15normal_iteratorINSA_10device_ptrIyEEEEPS6_PKS6_NS0_5tupleIJSF_S6_EEENSJ_IJSG_SG_EEENS0_18inequality_wrapperI22is_equal_div_10_uniqueIyEEEPmJS6_EEE10hipError_tPvRmT3_T4_T5_T6_T7_T9_mT8_P12ihipStream_tbDpT10_ENKUlT_T0_E_clISt17integral_constantIbLb0EES19_IbLb1EEEEDaS15_S16_EUlS15_E_NS1_11comp_targetILNS1_3genE2ELNS1_11target_archE906ELNS1_3gpuE6ELNS1_3repE0EEENS1_30default_config_static_selectorELNS0_4arch9wavefront6targetE1EEEvT1_.has_dyn_sized_stack, 0
	.set _ZN7rocprim17ROCPRIM_400000_NS6detail17trampoline_kernelINS0_14default_configENS1_25partition_config_selectorILNS1_17partition_subalgoE8EyNS0_10empty_typeEbEEZZNS1_14partition_implILS5_8ELb0ES3_jN6thrust23THRUST_200600_302600_NS6detail15normal_iteratorINSA_10device_ptrIyEEEEPS6_PKS6_NS0_5tupleIJSF_S6_EEENSJ_IJSG_SG_EEENS0_18inequality_wrapperI22is_equal_div_10_uniqueIyEEEPmJS6_EEE10hipError_tPvRmT3_T4_T5_T6_T7_T9_mT8_P12ihipStream_tbDpT10_ENKUlT_T0_E_clISt17integral_constantIbLb0EES19_IbLb1EEEEDaS15_S16_EUlS15_E_NS1_11comp_targetILNS1_3genE2ELNS1_11target_archE906ELNS1_3gpuE6ELNS1_3repE0EEENS1_30default_config_static_selectorELNS0_4arch9wavefront6targetE1EEEvT1_.has_recursion, 0
	.set _ZN7rocprim17ROCPRIM_400000_NS6detail17trampoline_kernelINS0_14default_configENS1_25partition_config_selectorILNS1_17partition_subalgoE8EyNS0_10empty_typeEbEEZZNS1_14partition_implILS5_8ELb0ES3_jN6thrust23THRUST_200600_302600_NS6detail15normal_iteratorINSA_10device_ptrIyEEEEPS6_PKS6_NS0_5tupleIJSF_S6_EEENSJ_IJSG_SG_EEENS0_18inequality_wrapperI22is_equal_div_10_uniqueIyEEEPmJS6_EEE10hipError_tPvRmT3_T4_T5_T6_T7_T9_mT8_P12ihipStream_tbDpT10_ENKUlT_T0_E_clISt17integral_constantIbLb0EES19_IbLb1EEEEDaS15_S16_EUlS15_E_NS1_11comp_targetILNS1_3genE2ELNS1_11target_archE906ELNS1_3gpuE6ELNS1_3repE0EEENS1_30default_config_static_selectorELNS0_4arch9wavefront6targetE1EEEvT1_.has_indirect_call, 0
	.section	.AMDGPU.csdata,"",@progbits
; Kernel info:
; codeLenInByte = 6016
; TotalNumSgprs: 43
; NumVgprs: 60
; ScratchSize: 0
; MemoryBound: 0
; FloatMode: 240
; IeeeMode: 1
; LDSByteSize: 14344 bytes/workgroup (compile time only)
; SGPRBlocks: 12
; VGPRBlocks: 14
; NumSGPRsForWavesPerEU: 102
; NumVGPRsForWavesPerEU: 60
; Occupancy: 4
; WaveLimiterHint : 1
; COMPUTE_PGM_RSRC2:SCRATCH_EN: 0
; COMPUTE_PGM_RSRC2:USER_SGPR: 6
; COMPUTE_PGM_RSRC2:TRAP_HANDLER: 0
; COMPUTE_PGM_RSRC2:TGID_X_EN: 1
; COMPUTE_PGM_RSRC2:TGID_Y_EN: 0
; COMPUTE_PGM_RSRC2:TGID_Z_EN: 0
; COMPUTE_PGM_RSRC2:TIDIG_COMP_CNT: 0
	.section	.text._ZN7rocprim17ROCPRIM_400000_NS6detail17trampoline_kernelINS0_14default_configENS1_25partition_config_selectorILNS1_17partition_subalgoE8EyNS0_10empty_typeEbEEZZNS1_14partition_implILS5_8ELb0ES3_jN6thrust23THRUST_200600_302600_NS6detail15normal_iteratorINSA_10device_ptrIyEEEEPS6_PKS6_NS0_5tupleIJSF_S6_EEENSJ_IJSG_SG_EEENS0_18inequality_wrapperI22is_equal_div_10_uniqueIyEEEPmJS6_EEE10hipError_tPvRmT3_T4_T5_T6_T7_T9_mT8_P12ihipStream_tbDpT10_ENKUlT_T0_E_clISt17integral_constantIbLb0EES19_IbLb1EEEEDaS15_S16_EUlS15_E_NS1_11comp_targetILNS1_3genE10ELNS1_11target_archE1200ELNS1_3gpuE4ELNS1_3repE0EEENS1_30default_config_static_selectorELNS0_4arch9wavefront6targetE1EEEvT1_,"axG",@progbits,_ZN7rocprim17ROCPRIM_400000_NS6detail17trampoline_kernelINS0_14default_configENS1_25partition_config_selectorILNS1_17partition_subalgoE8EyNS0_10empty_typeEbEEZZNS1_14partition_implILS5_8ELb0ES3_jN6thrust23THRUST_200600_302600_NS6detail15normal_iteratorINSA_10device_ptrIyEEEEPS6_PKS6_NS0_5tupleIJSF_S6_EEENSJ_IJSG_SG_EEENS0_18inequality_wrapperI22is_equal_div_10_uniqueIyEEEPmJS6_EEE10hipError_tPvRmT3_T4_T5_T6_T7_T9_mT8_P12ihipStream_tbDpT10_ENKUlT_T0_E_clISt17integral_constantIbLb0EES19_IbLb1EEEEDaS15_S16_EUlS15_E_NS1_11comp_targetILNS1_3genE10ELNS1_11target_archE1200ELNS1_3gpuE4ELNS1_3repE0EEENS1_30default_config_static_selectorELNS0_4arch9wavefront6targetE1EEEvT1_,comdat
	.protected	_ZN7rocprim17ROCPRIM_400000_NS6detail17trampoline_kernelINS0_14default_configENS1_25partition_config_selectorILNS1_17partition_subalgoE8EyNS0_10empty_typeEbEEZZNS1_14partition_implILS5_8ELb0ES3_jN6thrust23THRUST_200600_302600_NS6detail15normal_iteratorINSA_10device_ptrIyEEEEPS6_PKS6_NS0_5tupleIJSF_S6_EEENSJ_IJSG_SG_EEENS0_18inequality_wrapperI22is_equal_div_10_uniqueIyEEEPmJS6_EEE10hipError_tPvRmT3_T4_T5_T6_T7_T9_mT8_P12ihipStream_tbDpT10_ENKUlT_T0_E_clISt17integral_constantIbLb0EES19_IbLb1EEEEDaS15_S16_EUlS15_E_NS1_11comp_targetILNS1_3genE10ELNS1_11target_archE1200ELNS1_3gpuE4ELNS1_3repE0EEENS1_30default_config_static_selectorELNS0_4arch9wavefront6targetE1EEEvT1_ ; -- Begin function _ZN7rocprim17ROCPRIM_400000_NS6detail17trampoline_kernelINS0_14default_configENS1_25partition_config_selectorILNS1_17partition_subalgoE8EyNS0_10empty_typeEbEEZZNS1_14partition_implILS5_8ELb0ES3_jN6thrust23THRUST_200600_302600_NS6detail15normal_iteratorINSA_10device_ptrIyEEEEPS6_PKS6_NS0_5tupleIJSF_S6_EEENSJ_IJSG_SG_EEENS0_18inequality_wrapperI22is_equal_div_10_uniqueIyEEEPmJS6_EEE10hipError_tPvRmT3_T4_T5_T6_T7_T9_mT8_P12ihipStream_tbDpT10_ENKUlT_T0_E_clISt17integral_constantIbLb0EES19_IbLb1EEEEDaS15_S16_EUlS15_E_NS1_11comp_targetILNS1_3genE10ELNS1_11target_archE1200ELNS1_3gpuE4ELNS1_3repE0EEENS1_30default_config_static_selectorELNS0_4arch9wavefront6targetE1EEEvT1_
	.globl	_ZN7rocprim17ROCPRIM_400000_NS6detail17trampoline_kernelINS0_14default_configENS1_25partition_config_selectorILNS1_17partition_subalgoE8EyNS0_10empty_typeEbEEZZNS1_14partition_implILS5_8ELb0ES3_jN6thrust23THRUST_200600_302600_NS6detail15normal_iteratorINSA_10device_ptrIyEEEEPS6_PKS6_NS0_5tupleIJSF_S6_EEENSJ_IJSG_SG_EEENS0_18inequality_wrapperI22is_equal_div_10_uniqueIyEEEPmJS6_EEE10hipError_tPvRmT3_T4_T5_T6_T7_T9_mT8_P12ihipStream_tbDpT10_ENKUlT_T0_E_clISt17integral_constantIbLb0EES19_IbLb1EEEEDaS15_S16_EUlS15_E_NS1_11comp_targetILNS1_3genE10ELNS1_11target_archE1200ELNS1_3gpuE4ELNS1_3repE0EEENS1_30default_config_static_selectorELNS0_4arch9wavefront6targetE1EEEvT1_
	.p2align	8
	.type	_ZN7rocprim17ROCPRIM_400000_NS6detail17trampoline_kernelINS0_14default_configENS1_25partition_config_selectorILNS1_17partition_subalgoE8EyNS0_10empty_typeEbEEZZNS1_14partition_implILS5_8ELb0ES3_jN6thrust23THRUST_200600_302600_NS6detail15normal_iteratorINSA_10device_ptrIyEEEEPS6_PKS6_NS0_5tupleIJSF_S6_EEENSJ_IJSG_SG_EEENS0_18inequality_wrapperI22is_equal_div_10_uniqueIyEEEPmJS6_EEE10hipError_tPvRmT3_T4_T5_T6_T7_T9_mT8_P12ihipStream_tbDpT10_ENKUlT_T0_E_clISt17integral_constantIbLb0EES19_IbLb1EEEEDaS15_S16_EUlS15_E_NS1_11comp_targetILNS1_3genE10ELNS1_11target_archE1200ELNS1_3gpuE4ELNS1_3repE0EEENS1_30default_config_static_selectorELNS0_4arch9wavefront6targetE1EEEvT1_,@function
_ZN7rocprim17ROCPRIM_400000_NS6detail17trampoline_kernelINS0_14default_configENS1_25partition_config_selectorILNS1_17partition_subalgoE8EyNS0_10empty_typeEbEEZZNS1_14partition_implILS5_8ELb0ES3_jN6thrust23THRUST_200600_302600_NS6detail15normal_iteratorINSA_10device_ptrIyEEEEPS6_PKS6_NS0_5tupleIJSF_S6_EEENSJ_IJSG_SG_EEENS0_18inequality_wrapperI22is_equal_div_10_uniqueIyEEEPmJS6_EEE10hipError_tPvRmT3_T4_T5_T6_T7_T9_mT8_P12ihipStream_tbDpT10_ENKUlT_T0_E_clISt17integral_constantIbLb0EES19_IbLb1EEEEDaS15_S16_EUlS15_E_NS1_11comp_targetILNS1_3genE10ELNS1_11target_archE1200ELNS1_3gpuE4ELNS1_3repE0EEENS1_30default_config_static_selectorELNS0_4arch9wavefront6targetE1EEEvT1_: ; @_ZN7rocprim17ROCPRIM_400000_NS6detail17trampoline_kernelINS0_14default_configENS1_25partition_config_selectorILNS1_17partition_subalgoE8EyNS0_10empty_typeEbEEZZNS1_14partition_implILS5_8ELb0ES3_jN6thrust23THRUST_200600_302600_NS6detail15normal_iteratorINSA_10device_ptrIyEEEEPS6_PKS6_NS0_5tupleIJSF_S6_EEENSJ_IJSG_SG_EEENS0_18inequality_wrapperI22is_equal_div_10_uniqueIyEEEPmJS6_EEE10hipError_tPvRmT3_T4_T5_T6_T7_T9_mT8_P12ihipStream_tbDpT10_ENKUlT_T0_E_clISt17integral_constantIbLb0EES19_IbLb1EEEEDaS15_S16_EUlS15_E_NS1_11comp_targetILNS1_3genE10ELNS1_11target_archE1200ELNS1_3gpuE4ELNS1_3repE0EEENS1_30default_config_static_selectorELNS0_4arch9wavefront6targetE1EEEvT1_
; %bb.0:
	.section	.rodata,"a",@progbits
	.p2align	6, 0x0
	.amdhsa_kernel _ZN7rocprim17ROCPRIM_400000_NS6detail17trampoline_kernelINS0_14default_configENS1_25partition_config_selectorILNS1_17partition_subalgoE8EyNS0_10empty_typeEbEEZZNS1_14partition_implILS5_8ELb0ES3_jN6thrust23THRUST_200600_302600_NS6detail15normal_iteratorINSA_10device_ptrIyEEEEPS6_PKS6_NS0_5tupleIJSF_S6_EEENSJ_IJSG_SG_EEENS0_18inequality_wrapperI22is_equal_div_10_uniqueIyEEEPmJS6_EEE10hipError_tPvRmT3_T4_T5_T6_T7_T9_mT8_P12ihipStream_tbDpT10_ENKUlT_T0_E_clISt17integral_constantIbLb0EES19_IbLb1EEEEDaS15_S16_EUlS15_E_NS1_11comp_targetILNS1_3genE10ELNS1_11target_archE1200ELNS1_3gpuE4ELNS1_3repE0EEENS1_30default_config_static_selectorELNS0_4arch9wavefront6targetE1EEEvT1_
		.amdhsa_group_segment_fixed_size 0
		.amdhsa_private_segment_fixed_size 0
		.amdhsa_kernarg_size 128
		.amdhsa_user_sgpr_count 6
		.amdhsa_user_sgpr_private_segment_buffer 1
		.amdhsa_user_sgpr_dispatch_ptr 0
		.amdhsa_user_sgpr_queue_ptr 0
		.amdhsa_user_sgpr_kernarg_segment_ptr 1
		.amdhsa_user_sgpr_dispatch_id 0
		.amdhsa_user_sgpr_flat_scratch_init 0
		.amdhsa_user_sgpr_private_segment_size 0
		.amdhsa_uses_dynamic_stack 0
		.amdhsa_system_sgpr_private_segment_wavefront_offset 0
		.amdhsa_system_sgpr_workgroup_id_x 1
		.amdhsa_system_sgpr_workgroup_id_y 0
		.amdhsa_system_sgpr_workgroup_id_z 0
		.amdhsa_system_sgpr_workgroup_info 0
		.amdhsa_system_vgpr_workitem_id 0
		.amdhsa_next_free_vgpr 1
		.amdhsa_next_free_sgpr 0
		.amdhsa_reserve_vcc 0
		.amdhsa_reserve_flat_scratch 0
		.amdhsa_float_round_mode_32 0
		.amdhsa_float_round_mode_16_64 0
		.amdhsa_float_denorm_mode_32 3
		.amdhsa_float_denorm_mode_16_64 3
		.amdhsa_dx10_clamp 1
		.amdhsa_ieee_mode 1
		.amdhsa_fp16_overflow 0
		.amdhsa_exception_fp_ieee_invalid_op 0
		.amdhsa_exception_fp_denorm_src 0
		.amdhsa_exception_fp_ieee_div_zero 0
		.amdhsa_exception_fp_ieee_overflow 0
		.amdhsa_exception_fp_ieee_underflow 0
		.amdhsa_exception_fp_ieee_inexact 0
		.amdhsa_exception_int_div_zero 0
	.end_amdhsa_kernel
	.section	.text._ZN7rocprim17ROCPRIM_400000_NS6detail17trampoline_kernelINS0_14default_configENS1_25partition_config_selectorILNS1_17partition_subalgoE8EyNS0_10empty_typeEbEEZZNS1_14partition_implILS5_8ELb0ES3_jN6thrust23THRUST_200600_302600_NS6detail15normal_iteratorINSA_10device_ptrIyEEEEPS6_PKS6_NS0_5tupleIJSF_S6_EEENSJ_IJSG_SG_EEENS0_18inequality_wrapperI22is_equal_div_10_uniqueIyEEEPmJS6_EEE10hipError_tPvRmT3_T4_T5_T6_T7_T9_mT8_P12ihipStream_tbDpT10_ENKUlT_T0_E_clISt17integral_constantIbLb0EES19_IbLb1EEEEDaS15_S16_EUlS15_E_NS1_11comp_targetILNS1_3genE10ELNS1_11target_archE1200ELNS1_3gpuE4ELNS1_3repE0EEENS1_30default_config_static_selectorELNS0_4arch9wavefront6targetE1EEEvT1_,"axG",@progbits,_ZN7rocprim17ROCPRIM_400000_NS6detail17trampoline_kernelINS0_14default_configENS1_25partition_config_selectorILNS1_17partition_subalgoE8EyNS0_10empty_typeEbEEZZNS1_14partition_implILS5_8ELb0ES3_jN6thrust23THRUST_200600_302600_NS6detail15normal_iteratorINSA_10device_ptrIyEEEEPS6_PKS6_NS0_5tupleIJSF_S6_EEENSJ_IJSG_SG_EEENS0_18inequality_wrapperI22is_equal_div_10_uniqueIyEEEPmJS6_EEE10hipError_tPvRmT3_T4_T5_T6_T7_T9_mT8_P12ihipStream_tbDpT10_ENKUlT_T0_E_clISt17integral_constantIbLb0EES19_IbLb1EEEEDaS15_S16_EUlS15_E_NS1_11comp_targetILNS1_3genE10ELNS1_11target_archE1200ELNS1_3gpuE4ELNS1_3repE0EEENS1_30default_config_static_selectorELNS0_4arch9wavefront6targetE1EEEvT1_,comdat
.Lfunc_end206:
	.size	_ZN7rocprim17ROCPRIM_400000_NS6detail17trampoline_kernelINS0_14default_configENS1_25partition_config_selectorILNS1_17partition_subalgoE8EyNS0_10empty_typeEbEEZZNS1_14partition_implILS5_8ELb0ES3_jN6thrust23THRUST_200600_302600_NS6detail15normal_iteratorINSA_10device_ptrIyEEEEPS6_PKS6_NS0_5tupleIJSF_S6_EEENSJ_IJSG_SG_EEENS0_18inequality_wrapperI22is_equal_div_10_uniqueIyEEEPmJS6_EEE10hipError_tPvRmT3_T4_T5_T6_T7_T9_mT8_P12ihipStream_tbDpT10_ENKUlT_T0_E_clISt17integral_constantIbLb0EES19_IbLb1EEEEDaS15_S16_EUlS15_E_NS1_11comp_targetILNS1_3genE10ELNS1_11target_archE1200ELNS1_3gpuE4ELNS1_3repE0EEENS1_30default_config_static_selectorELNS0_4arch9wavefront6targetE1EEEvT1_, .Lfunc_end206-_ZN7rocprim17ROCPRIM_400000_NS6detail17trampoline_kernelINS0_14default_configENS1_25partition_config_selectorILNS1_17partition_subalgoE8EyNS0_10empty_typeEbEEZZNS1_14partition_implILS5_8ELb0ES3_jN6thrust23THRUST_200600_302600_NS6detail15normal_iteratorINSA_10device_ptrIyEEEEPS6_PKS6_NS0_5tupleIJSF_S6_EEENSJ_IJSG_SG_EEENS0_18inequality_wrapperI22is_equal_div_10_uniqueIyEEEPmJS6_EEE10hipError_tPvRmT3_T4_T5_T6_T7_T9_mT8_P12ihipStream_tbDpT10_ENKUlT_T0_E_clISt17integral_constantIbLb0EES19_IbLb1EEEEDaS15_S16_EUlS15_E_NS1_11comp_targetILNS1_3genE10ELNS1_11target_archE1200ELNS1_3gpuE4ELNS1_3repE0EEENS1_30default_config_static_selectorELNS0_4arch9wavefront6targetE1EEEvT1_
                                        ; -- End function
	.set _ZN7rocprim17ROCPRIM_400000_NS6detail17trampoline_kernelINS0_14default_configENS1_25partition_config_selectorILNS1_17partition_subalgoE8EyNS0_10empty_typeEbEEZZNS1_14partition_implILS5_8ELb0ES3_jN6thrust23THRUST_200600_302600_NS6detail15normal_iteratorINSA_10device_ptrIyEEEEPS6_PKS6_NS0_5tupleIJSF_S6_EEENSJ_IJSG_SG_EEENS0_18inequality_wrapperI22is_equal_div_10_uniqueIyEEEPmJS6_EEE10hipError_tPvRmT3_T4_T5_T6_T7_T9_mT8_P12ihipStream_tbDpT10_ENKUlT_T0_E_clISt17integral_constantIbLb0EES19_IbLb1EEEEDaS15_S16_EUlS15_E_NS1_11comp_targetILNS1_3genE10ELNS1_11target_archE1200ELNS1_3gpuE4ELNS1_3repE0EEENS1_30default_config_static_selectorELNS0_4arch9wavefront6targetE1EEEvT1_.num_vgpr, 0
	.set _ZN7rocprim17ROCPRIM_400000_NS6detail17trampoline_kernelINS0_14default_configENS1_25partition_config_selectorILNS1_17partition_subalgoE8EyNS0_10empty_typeEbEEZZNS1_14partition_implILS5_8ELb0ES3_jN6thrust23THRUST_200600_302600_NS6detail15normal_iteratorINSA_10device_ptrIyEEEEPS6_PKS6_NS0_5tupleIJSF_S6_EEENSJ_IJSG_SG_EEENS0_18inequality_wrapperI22is_equal_div_10_uniqueIyEEEPmJS6_EEE10hipError_tPvRmT3_T4_T5_T6_T7_T9_mT8_P12ihipStream_tbDpT10_ENKUlT_T0_E_clISt17integral_constantIbLb0EES19_IbLb1EEEEDaS15_S16_EUlS15_E_NS1_11comp_targetILNS1_3genE10ELNS1_11target_archE1200ELNS1_3gpuE4ELNS1_3repE0EEENS1_30default_config_static_selectorELNS0_4arch9wavefront6targetE1EEEvT1_.num_agpr, 0
	.set _ZN7rocprim17ROCPRIM_400000_NS6detail17trampoline_kernelINS0_14default_configENS1_25partition_config_selectorILNS1_17partition_subalgoE8EyNS0_10empty_typeEbEEZZNS1_14partition_implILS5_8ELb0ES3_jN6thrust23THRUST_200600_302600_NS6detail15normal_iteratorINSA_10device_ptrIyEEEEPS6_PKS6_NS0_5tupleIJSF_S6_EEENSJ_IJSG_SG_EEENS0_18inequality_wrapperI22is_equal_div_10_uniqueIyEEEPmJS6_EEE10hipError_tPvRmT3_T4_T5_T6_T7_T9_mT8_P12ihipStream_tbDpT10_ENKUlT_T0_E_clISt17integral_constantIbLb0EES19_IbLb1EEEEDaS15_S16_EUlS15_E_NS1_11comp_targetILNS1_3genE10ELNS1_11target_archE1200ELNS1_3gpuE4ELNS1_3repE0EEENS1_30default_config_static_selectorELNS0_4arch9wavefront6targetE1EEEvT1_.numbered_sgpr, 0
	.set _ZN7rocprim17ROCPRIM_400000_NS6detail17trampoline_kernelINS0_14default_configENS1_25partition_config_selectorILNS1_17partition_subalgoE8EyNS0_10empty_typeEbEEZZNS1_14partition_implILS5_8ELb0ES3_jN6thrust23THRUST_200600_302600_NS6detail15normal_iteratorINSA_10device_ptrIyEEEEPS6_PKS6_NS0_5tupleIJSF_S6_EEENSJ_IJSG_SG_EEENS0_18inequality_wrapperI22is_equal_div_10_uniqueIyEEEPmJS6_EEE10hipError_tPvRmT3_T4_T5_T6_T7_T9_mT8_P12ihipStream_tbDpT10_ENKUlT_T0_E_clISt17integral_constantIbLb0EES19_IbLb1EEEEDaS15_S16_EUlS15_E_NS1_11comp_targetILNS1_3genE10ELNS1_11target_archE1200ELNS1_3gpuE4ELNS1_3repE0EEENS1_30default_config_static_selectorELNS0_4arch9wavefront6targetE1EEEvT1_.num_named_barrier, 0
	.set _ZN7rocprim17ROCPRIM_400000_NS6detail17trampoline_kernelINS0_14default_configENS1_25partition_config_selectorILNS1_17partition_subalgoE8EyNS0_10empty_typeEbEEZZNS1_14partition_implILS5_8ELb0ES3_jN6thrust23THRUST_200600_302600_NS6detail15normal_iteratorINSA_10device_ptrIyEEEEPS6_PKS6_NS0_5tupleIJSF_S6_EEENSJ_IJSG_SG_EEENS0_18inequality_wrapperI22is_equal_div_10_uniqueIyEEEPmJS6_EEE10hipError_tPvRmT3_T4_T5_T6_T7_T9_mT8_P12ihipStream_tbDpT10_ENKUlT_T0_E_clISt17integral_constantIbLb0EES19_IbLb1EEEEDaS15_S16_EUlS15_E_NS1_11comp_targetILNS1_3genE10ELNS1_11target_archE1200ELNS1_3gpuE4ELNS1_3repE0EEENS1_30default_config_static_selectorELNS0_4arch9wavefront6targetE1EEEvT1_.private_seg_size, 0
	.set _ZN7rocprim17ROCPRIM_400000_NS6detail17trampoline_kernelINS0_14default_configENS1_25partition_config_selectorILNS1_17partition_subalgoE8EyNS0_10empty_typeEbEEZZNS1_14partition_implILS5_8ELb0ES3_jN6thrust23THRUST_200600_302600_NS6detail15normal_iteratorINSA_10device_ptrIyEEEEPS6_PKS6_NS0_5tupleIJSF_S6_EEENSJ_IJSG_SG_EEENS0_18inequality_wrapperI22is_equal_div_10_uniqueIyEEEPmJS6_EEE10hipError_tPvRmT3_T4_T5_T6_T7_T9_mT8_P12ihipStream_tbDpT10_ENKUlT_T0_E_clISt17integral_constantIbLb0EES19_IbLb1EEEEDaS15_S16_EUlS15_E_NS1_11comp_targetILNS1_3genE10ELNS1_11target_archE1200ELNS1_3gpuE4ELNS1_3repE0EEENS1_30default_config_static_selectorELNS0_4arch9wavefront6targetE1EEEvT1_.uses_vcc, 0
	.set _ZN7rocprim17ROCPRIM_400000_NS6detail17trampoline_kernelINS0_14default_configENS1_25partition_config_selectorILNS1_17partition_subalgoE8EyNS0_10empty_typeEbEEZZNS1_14partition_implILS5_8ELb0ES3_jN6thrust23THRUST_200600_302600_NS6detail15normal_iteratorINSA_10device_ptrIyEEEEPS6_PKS6_NS0_5tupleIJSF_S6_EEENSJ_IJSG_SG_EEENS0_18inequality_wrapperI22is_equal_div_10_uniqueIyEEEPmJS6_EEE10hipError_tPvRmT3_T4_T5_T6_T7_T9_mT8_P12ihipStream_tbDpT10_ENKUlT_T0_E_clISt17integral_constantIbLb0EES19_IbLb1EEEEDaS15_S16_EUlS15_E_NS1_11comp_targetILNS1_3genE10ELNS1_11target_archE1200ELNS1_3gpuE4ELNS1_3repE0EEENS1_30default_config_static_selectorELNS0_4arch9wavefront6targetE1EEEvT1_.uses_flat_scratch, 0
	.set _ZN7rocprim17ROCPRIM_400000_NS6detail17trampoline_kernelINS0_14default_configENS1_25partition_config_selectorILNS1_17partition_subalgoE8EyNS0_10empty_typeEbEEZZNS1_14partition_implILS5_8ELb0ES3_jN6thrust23THRUST_200600_302600_NS6detail15normal_iteratorINSA_10device_ptrIyEEEEPS6_PKS6_NS0_5tupleIJSF_S6_EEENSJ_IJSG_SG_EEENS0_18inequality_wrapperI22is_equal_div_10_uniqueIyEEEPmJS6_EEE10hipError_tPvRmT3_T4_T5_T6_T7_T9_mT8_P12ihipStream_tbDpT10_ENKUlT_T0_E_clISt17integral_constantIbLb0EES19_IbLb1EEEEDaS15_S16_EUlS15_E_NS1_11comp_targetILNS1_3genE10ELNS1_11target_archE1200ELNS1_3gpuE4ELNS1_3repE0EEENS1_30default_config_static_selectorELNS0_4arch9wavefront6targetE1EEEvT1_.has_dyn_sized_stack, 0
	.set _ZN7rocprim17ROCPRIM_400000_NS6detail17trampoline_kernelINS0_14default_configENS1_25partition_config_selectorILNS1_17partition_subalgoE8EyNS0_10empty_typeEbEEZZNS1_14partition_implILS5_8ELb0ES3_jN6thrust23THRUST_200600_302600_NS6detail15normal_iteratorINSA_10device_ptrIyEEEEPS6_PKS6_NS0_5tupleIJSF_S6_EEENSJ_IJSG_SG_EEENS0_18inequality_wrapperI22is_equal_div_10_uniqueIyEEEPmJS6_EEE10hipError_tPvRmT3_T4_T5_T6_T7_T9_mT8_P12ihipStream_tbDpT10_ENKUlT_T0_E_clISt17integral_constantIbLb0EES19_IbLb1EEEEDaS15_S16_EUlS15_E_NS1_11comp_targetILNS1_3genE10ELNS1_11target_archE1200ELNS1_3gpuE4ELNS1_3repE0EEENS1_30default_config_static_selectorELNS0_4arch9wavefront6targetE1EEEvT1_.has_recursion, 0
	.set _ZN7rocprim17ROCPRIM_400000_NS6detail17trampoline_kernelINS0_14default_configENS1_25partition_config_selectorILNS1_17partition_subalgoE8EyNS0_10empty_typeEbEEZZNS1_14partition_implILS5_8ELb0ES3_jN6thrust23THRUST_200600_302600_NS6detail15normal_iteratorINSA_10device_ptrIyEEEEPS6_PKS6_NS0_5tupleIJSF_S6_EEENSJ_IJSG_SG_EEENS0_18inequality_wrapperI22is_equal_div_10_uniqueIyEEEPmJS6_EEE10hipError_tPvRmT3_T4_T5_T6_T7_T9_mT8_P12ihipStream_tbDpT10_ENKUlT_T0_E_clISt17integral_constantIbLb0EES19_IbLb1EEEEDaS15_S16_EUlS15_E_NS1_11comp_targetILNS1_3genE10ELNS1_11target_archE1200ELNS1_3gpuE4ELNS1_3repE0EEENS1_30default_config_static_selectorELNS0_4arch9wavefront6targetE1EEEvT1_.has_indirect_call, 0
	.section	.AMDGPU.csdata,"",@progbits
; Kernel info:
; codeLenInByte = 0
; TotalNumSgprs: 4
; NumVgprs: 0
; ScratchSize: 0
; MemoryBound: 0
; FloatMode: 240
; IeeeMode: 1
; LDSByteSize: 0 bytes/workgroup (compile time only)
; SGPRBlocks: 0
; VGPRBlocks: 0
; NumSGPRsForWavesPerEU: 4
; NumVGPRsForWavesPerEU: 1
; Occupancy: 10
; WaveLimiterHint : 0
; COMPUTE_PGM_RSRC2:SCRATCH_EN: 0
; COMPUTE_PGM_RSRC2:USER_SGPR: 6
; COMPUTE_PGM_RSRC2:TRAP_HANDLER: 0
; COMPUTE_PGM_RSRC2:TGID_X_EN: 1
; COMPUTE_PGM_RSRC2:TGID_Y_EN: 0
; COMPUTE_PGM_RSRC2:TGID_Z_EN: 0
; COMPUTE_PGM_RSRC2:TIDIG_COMP_CNT: 0
	.section	.text._ZN7rocprim17ROCPRIM_400000_NS6detail17trampoline_kernelINS0_14default_configENS1_25partition_config_selectorILNS1_17partition_subalgoE8EyNS0_10empty_typeEbEEZZNS1_14partition_implILS5_8ELb0ES3_jN6thrust23THRUST_200600_302600_NS6detail15normal_iteratorINSA_10device_ptrIyEEEEPS6_PKS6_NS0_5tupleIJSF_S6_EEENSJ_IJSG_SG_EEENS0_18inequality_wrapperI22is_equal_div_10_uniqueIyEEEPmJS6_EEE10hipError_tPvRmT3_T4_T5_T6_T7_T9_mT8_P12ihipStream_tbDpT10_ENKUlT_T0_E_clISt17integral_constantIbLb0EES19_IbLb1EEEEDaS15_S16_EUlS15_E_NS1_11comp_targetILNS1_3genE9ELNS1_11target_archE1100ELNS1_3gpuE3ELNS1_3repE0EEENS1_30default_config_static_selectorELNS0_4arch9wavefront6targetE1EEEvT1_,"axG",@progbits,_ZN7rocprim17ROCPRIM_400000_NS6detail17trampoline_kernelINS0_14default_configENS1_25partition_config_selectorILNS1_17partition_subalgoE8EyNS0_10empty_typeEbEEZZNS1_14partition_implILS5_8ELb0ES3_jN6thrust23THRUST_200600_302600_NS6detail15normal_iteratorINSA_10device_ptrIyEEEEPS6_PKS6_NS0_5tupleIJSF_S6_EEENSJ_IJSG_SG_EEENS0_18inequality_wrapperI22is_equal_div_10_uniqueIyEEEPmJS6_EEE10hipError_tPvRmT3_T4_T5_T6_T7_T9_mT8_P12ihipStream_tbDpT10_ENKUlT_T0_E_clISt17integral_constantIbLb0EES19_IbLb1EEEEDaS15_S16_EUlS15_E_NS1_11comp_targetILNS1_3genE9ELNS1_11target_archE1100ELNS1_3gpuE3ELNS1_3repE0EEENS1_30default_config_static_selectorELNS0_4arch9wavefront6targetE1EEEvT1_,comdat
	.protected	_ZN7rocprim17ROCPRIM_400000_NS6detail17trampoline_kernelINS0_14default_configENS1_25partition_config_selectorILNS1_17partition_subalgoE8EyNS0_10empty_typeEbEEZZNS1_14partition_implILS5_8ELb0ES3_jN6thrust23THRUST_200600_302600_NS6detail15normal_iteratorINSA_10device_ptrIyEEEEPS6_PKS6_NS0_5tupleIJSF_S6_EEENSJ_IJSG_SG_EEENS0_18inequality_wrapperI22is_equal_div_10_uniqueIyEEEPmJS6_EEE10hipError_tPvRmT3_T4_T5_T6_T7_T9_mT8_P12ihipStream_tbDpT10_ENKUlT_T0_E_clISt17integral_constantIbLb0EES19_IbLb1EEEEDaS15_S16_EUlS15_E_NS1_11comp_targetILNS1_3genE9ELNS1_11target_archE1100ELNS1_3gpuE3ELNS1_3repE0EEENS1_30default_config_static_selectorELNS0_4arch9wavefront6targetE1EEEvT1_ ; -- Begin function _ZN7rocprim17ROCPRIM_400000_NS6detail17trampoline_kernelINS0_14default_configENS1_25partition_config_selectorILNS1_17partition_subalgoE8EyNS0_10empty_typeEbEEZZNS1_14partition_implILS5_8ELb0ES3_jN6thrust23THRUST_200600_302600_NS6detail15normal_iteratorINSA_10device_ptrIyEEEEPS6_PKS6_NS0_5tupleIJSF_S6_EEENSJ_IJSG_SG_EEENS0_18inequality_wrapperI22is_equal_div_10_uniqueIyEEEPmJS6_EEE10hipError_tPvRmT3_T4_T5_T6_T7_T9_mT8_P12ihipStream_tbDpT10_ENKUlT_T0_E_clISt17integral_constantIbLb0EES19_IbLb1EEEEDaS15_S16_EUlS15_E_NS1_11comp_targetILNS1_3genE9ELNS1_11target_archE1100ELNS1_3gpuE3ELNS1_3repE0EEENS1_30default_config_static_selectorELNS0_4arch9wavefront6targetE1EEEvT1_
	.globl	_ZN7rocprim17ROCPRIM_400000_NS6detail17trampoline_kernelINS0_14default_configENS1_25partition_config_selectorILNS1_17partition_subalgoE8EyNS0_10empty_typeEbEEZZNS1_14partition_implILS5_8ELb0ES3_jN6thrust23THRUST_200600_302600_NS6detail15normal_iteratorINSA_10device_ptrIyEEEEPS6_PKS6_NS0_5tupleIJSF_S6_EEENSJ_IJSG_SG_EEENS0_18inequality_wrapperI22is_equal_div_10_uniqueIyEEEPmJS6_EEE10hipError_tPvRmT3_T4_T5_T6_T7_T9_mT8_P12ihipStream_tbDpT10_ENKUlT_T0_E_clISt17integral_constantIbLb0EES19_IbLb1EEEEDaS15_S16_EUlS15_E_NS1_11comp_targetILNS1_3genE9ELNS1_11target_archE1100ELNS1_3gpuE3ELNS1_3repE0EEENS1_30default_config_static_selectorELNS0_4arch9wavefront6targetE1EEEvT1_
	.p2align	8
	.type	_ZN7rocprim17ROCPRIM_400000_NS6detail17trampoline_kernelINS0_14default_configENS1_25partition_config_selectorILNS1_17partition_subalgoE8EyNS0_10empty_typeEbEEZZNS1_14partition_implILS5_8ELb0ES3_jN6thrust23THRUST_200600_302600_NS6detail15normal_iteratorINSA_10device_ptrIyEEEEPS6_PKS6_NS0_5tupleIJSF_S6_EEENSJ_IJSG_SG_EEENS0_18inequality_wrapperI22is_equal_div_10_uniqueIyEEEPmJS6_EEE10hipError_tPvRmT3_T4_T5_T6_T7_T9_mT8_P12ihipStream_tbDpT10_ENKUlT_T0_E_clISt17integral_constantIbLb0EES19_IbLb1EEEEDaS15_S16_EUlS15_E_NS1_11comp_targetILNS1_3genE9ELNS1_11target_archE1100ELNS1_3gpuE3ELNS1_3repE0EEENS1_30default_config_static_selectorELNS0_4arch9wavefront6targetE1EEEvT1_,@function
_ZN7rocprim17ROCPRIM_400000_NS6detail17trampoline_kernelINS0_14default_configENS1_25partition_config_selectorILNS1_17partition_subalgoE8EyNS0_10empty_typeEbEEZZNS1_14partition_implILS5_8ELb0ES3_jN6thrust23THRUST_200600_302600_NS6detail15normal_iteratorINSA_10device_ptrIyEEEEPS6_PKS6_NS0_5tupleIJSF_S6_EEENSJ_IJSG_SG_EEENS0_18inequality_wrapperI22is_equal_div_10_uniqueIyEEEPmJS6_EEE10hipError_tPvRmT3_T4_T5_T6_T7_T9_mT8_P12ihipStream_tbDpT10_ENKUlT_T0_E_clISt17integral_constantIbLb0EES19_IbLb1EEEEDaS15_S16_EUlS15_E_NS1_11comp_targetILNS1_3genE9ELNS1_11target_archE1100ELNS1_3gpuE3ELNS1_3repE0EEENS1_30default_config_static_selectorELNS0_4arch9wavefront6targetE1EEEvT1_: ; @_ZN7rocprim17ROCPRIM_400000_NS6detail17trampoline_kernelINS0_14default_configENS1_25partition_config_selectorILNS1_17partition_subalgoE8EyNS0_10empty_typeEbEEZZNS1_14partition_implILS5_8ELb0ES3_jN6thrust23THRUST_200600_302600_NS6detail15normal_iteratorINSA_10device_ptrIyEEEEPS6_PKS6_NS0_5tupleIJSF_S6_EEENSJ_IJSG_SG_EEENS0_18inequality_wrapperI22is_equal_div_10_uniqueIyEEEPmJS6_EEE10hipError_tPvRmT3_T4_T5_T6_T7_T9_mT8_P12ihipStream_tbDpT10_ENKUlT_T0_E_clISt17integral_constantIbLb0EES19_IbLb1EEEEDaS15_S16_EUlS15_E_NS1_11comp_targetILNS1_3genE9ELNS1_11target_archE1100ELNS1_3gpuE3ELNS1_3repE0EEENS1_30default_config_static_selectorELNS0_4arch9wavefront6targetE1EEEvT1_
; %bb.0:
	.section	.rodata,"a",@progbits
	.p2align	6, 0x0
	.amdhsa_kernel _ZN7rocprim17ROCPRIM_400000_NS6detail17trampoline_kernelINS0_14default_configENS1_25partition_config_selectorILNS1_17partition_subalgoE8EyNS0_10empty_typeEbEEZZNS1_14partition_implILS5_8ELb0ES3_jN6thrust23THRUST_200600_302600_NS6detail15normal_iteratorINSA_10device_ptrIyEEEEPS6_PKS6_NS0_5tupleIJSF_S6_EEENSJ_IJSG_SG_EEENS0_18inequality_wrapperI22is_equal_div_10_uniqueIyEEEPmJS6_EEE10hipError_tPvRmT3_T4_T5_T6_T7_T9_mT8_P12ihipStream_tbDpT10_ENKUlT_T0_E_clISt17integral_constantIbLb0EES19_IbLb1EEEEDaS15_S16_EUlS15_E_NS1_11comp_targetILNS1_3genE9ELNS1_11target_archE1100ELNS1_3gpuE3ELNS1_3repE0EEENS1_30default_config_static_selectorELNS0_4arch9wavefront6targetE1EEEvT1_
		.amdhsa_group_segment_fixed_size 0
		.amdhsa_private_segment_fixed_size 0
		.amdhsa_kernarg_size 128
		.amdhsa_user_sgpr_count 6
		.amdhsa_user_sgpr_private_segment_buffer 1
		.amdhsa_user_sgpr_dispatch_ptr 0
		.amdhsa_user_sgpr_queue_ptr 0
		.amdhsa_user_sgpr_kernarg_segment_ptr 1
		.amdhsa_user_sgpr_dispatch_id 0
		.amdhsa_user_sgpr_flat_scratch_init 0
		.amdhsa_user_sgpr_private_segment_size 0
		.amdhsa_uses_dynamic_stack 0
		.amdhsa_system_sgpr_private_segment_wavefront_offset 0
		.amdhsa_system_sgpr_workgroup_id_x 1
		.amdhsa_system_sgpr_workgroup_id_y 0
		.amdhsa_system_sgpr_workgroup_id_z 0
		.amdhsa_system_sgpr_workgroup_info 0
		.amdhsa_system_vgpr_workitem_id 0
		.amdhsa_next_free_vgpr 1
		.amdhsa_next_free_sgpr 0
		.amdhsa_reserve_vcc 0
		.amdhsa_reserve_flat_scratch 0
		.amdhsa_float_round_mode_32 0
		.amdhsa_float_round_mode_16_64 0
		.amdhsa_float_denorm_mode_32 3
		.amdhsa_float_denorm_mode_16_64 3
		.amdhsa_dx10_clamp 1
		.amdhsa_ieee_mode 1
		.amdhsa_fp16_overflow 0
		.amdhsa_exception_fp_ieee_invalid_op 0
		.amdhsa_exception_fp_denorm_src 0
		.amdhsa_exception_fp_ieee_div_zero 0
		.amdhsa_exception_fp_ieee_overflow 0
		.amdhsa_exception_fp_ieee_underflow 0
		.amdhsa_exception_fp_ieee_inexact 0
		.amdhsa_exception_int_div_zero 0
	.end_amdhsa_kernel
	.section	.text._ZN7rocprim17ROCPRIM_400000_NS6detail17trampoline_kernelINS0_14default_configENS1_25partition_config_selectorILNS1_17partition_subalgoE8EyNS0_10empty_typeEbEEZZNS1_14partition_implILS5_8ELb0ES3_jN6thrust23THRUST_200600_302600_NS6detail15normal_iteratorINSA_10device_ptrIyEEEEPS6_PKS6_NS0_5tupleIJSF_S6_EEENSJ_IJSG_SG_EEENS0_18inequality_wrapperI22is_equal_div_10_uniqueIyEEEPmJS6_EEE10hipError_tPvRmT3_T4_T5_T6_T7_T9_mT8_P12ihipStream_tbDpT10_ENKUlT_T0_E_clISt17integral_constantIbLb0EES19_IbLb1EEEEDaS15_S16_EUlS15_E_NS1_11comp_targetILNS1_3genE9ELNS1_11target_archE1100ELNS1_3gpuE3ELNS1_3repE0EEENS1_30default_config_static_selectorELNS0_4arch9wavefront6targetE1EEEvT1_,"axG",@progbits,_ZN7rocprim17ROCPRIM_400000_NS6detail17trampoline_kernelINS0_14default_configENS1_25partition_config_selectorILNS1_17partition_subalgoE8EyNS0_10empty_typeEbEEZZNS1_14partition_implILS5_8ELb0ES3_jN6thrust23THRUST_200600_302600_NS6detail15normal_iteratorINSA_10device_ptrIyEEEEPS6_PKS6_NS0_5tupleIJSF_S6_EEENSJ_IJSG_SG_EEENS0_18inequality_wrapperI22is_equal_div_10_uniqueIyEEEPmJS6_EEE10hipError_tPvRmT3_T4_T5_T6_T7_T9_mT8_P12ihipStream_tbDpT10_ENKUlT_T0_E_clISt17integral_constantIbLb0EES19_IbLb1EEEEDaS15_S16_EUlS15_E_NS1_11comp_targetILNS1_3genE9ELNS1_11target_archE1100ELNS1_3gpuE3ELNS1_3repE0EEENS1_30default_config_static_selectorELNS0_4arch9wavefront6targetE1EEEvT1_,comdat
.Lfunc_end207:
	.size	_ZN7rocprim17ROCPRIM_400000_NS6detail17trampoline_kernelINS0_14default_configENS1_25partition_config_selectorILNS1_17partition_subalgoE8EyNS0_10empty_typeEbEEZZNS1_14partition_implILS5_8ELb0ES3_jN6thrust23THRUST_200600_302600_NS6detail15normal_iteratorINSA_10device_ptrIyEEEEPS6_PKS6_NS0_5tupleIJSF_S6_EEENSJ_IJSG_SG_EEENS0_18inequality_wrapperI22is_equal_div_10_uniqueIyEEEPmJS6_EEE10hipError_tPvRmT3_T4_T5_T6_T7_T9_mT8_P12ihipStream_tbDpT10_ENKUlT_T0_E_clISt17integral_constantIbLb0EES19_IbLb1EEEEDaS15_S16_EUlS15_E_NS1_11comp_targetILNS1_3genE9ELNS1_11target_archE1100ELNS1_3gpuE3ELNS1_3repE0EEENS1_30default_config_static_selectorELNS0_4arch9wavefront6targetE1EEEvT1_, .Lfunc_end207-_ZN7rocprim17ROCPRIM_400000_NS6detail17trampoline_kernelINS0_14default_configENS1_25partition_config_selectorILNS1_17partition_subalgoE8EyNS0_10empty_typeEbEEZZNS1_14partition_implILS5_8ELb0ES3_jN6thrust23THRUST_200600_302600_NS6detail15normal_iteratorINSA_10device_ptrIyEEEEPS6_PKS6_NS0_5tupleIJSF_S6_EEENSJ_IJSG_SG_EEENS0_18inequality_wrapperI22is_equal_div_10_uniqueIyEEEPmJS6_EEE10hipError_tPvRmT3_T4_T5_T6_T7_T9_mT8_P12ihipStream_tbDpT10_ENKUlT_T0_E_clISt17integral_constantIbLb0EES19_IbLb1EEEEDaS15_S16_EUlS15_E_NS1_11comp_targetILNS1_3genE9ELNS1_11target_archE1100ELNS1_3gpuE3ELNS1_3repE0EEENS1_30default_config_static_selectorELNS0_4arch9wavefront6targetE1EEEvT1_
                                        ; -- End function
	.set _ZN7rocprim17ROCPRIM_400000_NS6detail17trampoline_kernelINS0_14default_configENS1_25partition_config_selectorILNS1_17partition_subalgoE8EyNS0_10empty_typeEbEEZZNS1_14partition_implILS5_8ELb0ES3_jN6thrust23THRUST_200600_302600_NS6detail15normal_iteratorINSA_10device_ptrIyEEEEPS6_PKS6_NS0_5tupleIJSF_S6_EEENSJ_IJSG_SG_EEENS0_18inequality_wrapperI22is_equal_div_10_uniqueIyEEEPmJS6_EEE10hipError_tPvRmT3_T4_T5_T6_T7_T9_mT8_P12ihipStream_tbDpT10_ENKUlT_T0_E_clISt17integral_constantIbLb0EES19_IbLb1EEEEDaS15_S16_EUlS15_E_NS1_11comp_targetILNS1_3genE9ELNS1_11target_archE1100ELNS1_3gpuE3ELNS1_3repE0EEENS1_30default_config_static_selectorELNS0_4arch9wavefront6targetE1EEEvT1_.num_vgpr, 0
	.set _ZN7rocprim17ROCPRIM_400000_NS6detail17trampoline_kernelINS0_14default_configENS1_25partition_config_selectorILNS1_17partition_subalgoE8EyNS0_10empty_typeEbEEZZNS1_14partition_implILS5_8ELb0ES3_jN6thrust23THRUST_200600_302600_NS6detail15normal_iteratorINSA_10device_ptrIyEEEEPS6_PKS6_NS0_5tupleIJSF_S6_EEENSJ_IJSG_SG_EEENS0_18inequality_wrapperI22is_equal_div_10_uniqueIyEEEPmJS6_EEE10hipError_tPvRmT3_T4_T5_T6_T7_T9_mT8_P12ihipStream_tbDpT10_ENKUlT_T0_E_clISt17integral_constantIbLb0EES19_IbLb1EEEEDaS15_S16_EUlS15_E_NS1_11comp_targetILNS1_3genE9ELNS1_11target_archE1100ELNS1_3gpuE3ELNS1_3repE0EEENS1_30default_config_static_selectorELNS0_4arch9wavefront6targetE1EEEvT1_.num_agpr, 0
	.set _ZN7rocprim17ROCPRIM_400000_NS6detail17trampoline_kernelINS0_14default_configENS1_25partition_config_selectorILNS1_17partition_subalgoE8EyNS0_10empty_typeEbEEZZNS1_14partition_implILS5_8ELb0ES3_jN6thrust23THRUST_200600_302600_NS6detail15normal_iteratorINSA_10device_ptrIyEEEEPS6_PKS6_NS0_5tupleIJSF_S6_EEENSJ_IJSG_SG_EEENS0_18inequality_wrapperI22is_equal_div_10_uniqueIyEEEPmJS6_EEE10hipError_tPvRmT3_T4_T5_T6_T7_T9_mT8_P12ihipStream_tbDpT10_ENKUlT_T0_E_clISt17integral_constantIbLb0EES19_IbLb1EEEEDaS15_S16_EUlS15_E_NS1_11comp_targetILNS1_3genE9ELNS1_11target_archE1100ELNS1_3gpuE3ELNS1_3repE0EEENS1_30default_config_static_selectorELNS0_4arch9wavefront6targetE1EEEvT1_.numbered_sgpr, 0
	.set _ZN7rocprim17ROCPRIM_400000_NS6detail17trampoline_kernelINS0_14default_configENS1_25partition_config_selectorILNS1_17partition_subalgoE8EyNS0_10empty_typeEbEEZZNS1_14partition_implILS5_8ELb0ES3_jN6thrust23THRUST_200600_302600_NS6detail15normal_iteratorINSA_10device_ptrIyEEEEPS6_PKS6_NS0_5tupleIJSF_S6_EEENSJ_IJSG_SG_EEENS0_18inequality_wrapperI22is_equal_div_10_uniqueIyEEEPmJS6_EEE10hipError_tPvRmT3_T4_T5_T6_T7_T9_mT8_P12ihipStream_tbDpT10_ENKUlT_T0_E_clISt17integral_constantIbLb0EES19_IbLb1EEEEDaS15_S16_EUlS15_E_NS1_11comp_targetILNS1_3genE9ELNS1_11target_archE1100ELNS1_3gpuE3ELNS1_3repE0EEENS1_30default_config_static_selectorELNS0_4arch9wavefront6targetE1EEEvT1_.num_named_barrier, 0
	.set _ZN7rocprim17ROCPRIM_400000_NS6detail17trampoline_kernelINS0_14default_configENS1_25partition_config_selectorILNS1_17partition_subalgoE8EyNS0_10empty_typeEbEEZZNS1_14partition_implILS5_8ELb0ES3_jN6thrust23THRUST_200600_302600_NS6detail15normal_iteratorINSA_10device_ptrIyEEEEPS6_PKS6_NS0_5tupleIJSF_S6_EEENSJ_IJSG_SG_EEENS0_18inequality_wrapperI22is_equal_div_10_uniqueIyEEEPmJS6_EEE10hipError_tPvRmT3_T4_T5_T6_T7_T9_mT8_P12ihipStream_tbDpT10_ENKUlT_T0_E_clISt17integral_constantIbLb0EES19_IbLb1EEEEDaS15_S16_EUlS15_E_NS1_11comp_targetILNS1_3genE9ELNS1_11target_archE1100ELNS1_3gpuE3ELNS1_3repE0EEENS1_30default_config_static_selectorELNS0_4arch9wavefront6targetE1EEEvT1_.private_seg_size, 0
	.set _ZN7rocprim17ROCPRIM_400000_NS6detail17trampoline_kernelINS0_14default_configENS1_25partition_config_selectorILNS1_17partition_subalgoE8EyNS0_10empty_typeEbEEZZNS1_14partition_implILS5_8ELb0ES3_jN6thrust23THRUST_200600_302600_NS6detail15normal_iteratorINSA_10device_ptrIyEEEEPS6_PKS6_NS0_5tupleIJSF_S6_EEENSJ_IJSG_SG_EEENS0_18inequality_wrapperI22is_equal_div_10_uniqueIyEEEPmJS6_EEE10hipError_tPvRmT3_T4_T5_T6_T7_T9_mT8_P12ihipStream_tbDpT10_ENKUlT_T0_E_clISt17integral_constantIbLb0EES19_IbLb1EEEEDaS15_S16_EUlS15_E_NS1_11comp_targetILNS1_3genE9ELNS1_11target_archE1100ELNS1_3gpuE3ELNS1_3repE0EEENS1_30default_config_static_selectorELNS0_4arch9wavefront6targetE1EEEvT1_.uses_vcc, 0
	.set _ZN7rocprim17ROCPRIM_400000_NS6detail17trampoline_kernelINS0_14default_configENS1_25partition_config_selectorILNS1_17partition_subalgoE8EyNS0_10empty_typeEbEEZZNS1_14partition_implILS5_8ELb0ES3_jN6thrust23THRUST_200600_302600_NS6detail15normal_iteratorINSA_10device_ptrIyEEEEPS6_PKS6_NS0_5tupleIJSF_S6_EEENSJ_IJSG_SG_EEENS0_18inequality_wrapperI22is_equal_div_10_uniqueIyEEEPmJS6_EEE10hipError_tPvRmT3_T4_T5_T6_T7_T9_mT8_P12ihipStream_tbDpT10_ENKUlT_T0_E_clISt17integral_constantIbLb0EES19_IbLb1EEEEDaS15_S16_EUlS15_E_NS1_11comp_targetILNS1_3genE9ELNS1_11target_archE1100ELNS1_3gpuE3ELNS1_3repE0EEENS1_30default_config_static_selectorELNS0_4arch9wavefront6targetE1EEEvT1_.uses_flat_scratch, 0
	.set _ZN7rocprim17ROCPRIM_400000_NS6detail17trampoline_kernelINS0_14default_configENS1_25partition_config_selectorILNS1_17partition_subalgoE8EyNS0_10empty_typeEbEEZZNS1_14partition_implILS5_8ELb0ES3_jN6thrust23THRUST_200600_302600_NS6detail15normal_iteratorINSA_10device_ptrIyEEEEPS6_PKS6_NS0_5tupleIJSF_S6_EEENSJ_IJSG_SG_EEENS0_18inequality_wrapperI22is_equal_div_10_uniqueIyEEEPmJS6_EEE10hipError_tPvRmT3_T4_T5_T6_T7_T9_mT8_P12ihipStream_tbDpT10_ENKUlT_T0_E_clISt17integral_constantIbLb0EES19_IbLb1EEEEDaS15_S16_EUlS15_E_NS1_11comp_targetILNS1_3genE9ELNS1_11target_archE1100ELNS1_3gpuE3ELNS1_3repE0EEENS1_30default_config_static_selectorELNS0_4arch9wavefront6targetE1EEEvT1_.has_dyn_sized_stack, 0
	.set _ZN7rocprim17ROCPRIM_400000_NS6detail17trampoline_kernelINS0_14default_configENS1_25partition_config_selectorILNS1_17partition_subalgoE8EyNS0_10empty_typeEbEEZZNS1_14partition_implILS5_8ELb0ES3_jN6thrust23THRUST_200600_302600_NS6detail15normal_iteratorINSA_10device_ptrIyEEEEPS6_PKS6_NS0_5tupleIJSF_S6_EEENSJ_IJSG_SG_EEENS0_18inequality_wrapperI22is_equal_div_10_uniqueIyEEEPmJS6_EEE10hipError_tPvRmT3_T4_T5_T6_T7_T9_mT8_P12ihipStream_tbDpT10_ENKUlT_T0_E_clISt17integral_constantIbLb0EES19_IbLb1EEEEDaS15_S16_EUlS15_E_NS1_11comp_targetILNS1_3genE9ELNS1_11target_archE1100ELNS1_3gpuE3ELNS1_3repE0EEENS1_30default_config_static_selectorELNS0_4arch9wavefront6targetE1EEEvT1_.has_recursion, 0
	.set _ZN7rocprim17ROCPRIM_400000_NS6detail17trampoline_kernelINS0_14default_configENS1_25partition_config_selectorILNS1_17partition_subalgoE8EyNS0_10empty_typeEbEEZZNS1_14partition_implILS5_8ELb0ES3_jN6thrust23THRUST_200600_302600_NS6detail15normal_iteratorINSA_10device_ptrIyEEEEPS6_PKS6_NS0_5tupleIJSF_S6_EEENSJ_IJSG_SG_EEENS0_18inequality_wrapperI22is_equal_div_10_uniqueIyEEEPmJS6_EEE10hipError_tPvRmT3_T4_T5_T6_T7_T9_mT8_P12ihipStream_tbDpT10_ENKUlT_T0_E_clISt17integral_constantIbLb0EES19_IbLb1EEEEDaS15_S16_EUlS15_E_NS1_11comp_targetILNS1_3genE9ELNS1_11target_archE1100ELNS1_3gpuE3ELNS1_3repE0EEENS1_30default_config_static_selectorELNS0_4arch9wavefront6targetE1EEEvT1_.has_indirect_call, 0
	.section	.AMDGPU.csdata,"",@progbits
; Kernel info:
; codeLenInByte = 0
; TotalNumSgprs: 4
; NumVgprs: 0
; ScratchSize: 0
; MemoryBound: 0
; FloatMode: 240
; IeeeMode: 1
; LDSByteSize: 0 bytes/workgroup (compile time only)
; SGPRBlocks: 0
; VGPRBlocks: 0
; NumSGPRsForWavesPerEU: 4
; NumVGPRsForWavesPerEU: 1
; Occupancy: 10
; WaveLimiterHint : 0
; COMPUTE_PGM_RSRC2:SCRATCH_EN: 0
; COMPUTE_PGM_RSRC2:USER_SGPR: 6
; COMPUTE_PGM_RSRC2:TRAP_HANDLER: 0
; COMPUTE_PGM_RSRC2:TGID_X_EN: 1
; COMPUTE_PGM_RSRC2:TGID_Y_EN: 0
; COMPUTE_PGM_RSRC2:TGID_Z_EN: 0
; COMPUTE_PGM_RSRC2:TIDIG_COMP_CNT: 0
	.section	.text._ZN7rocprim17ROCPRIM_400000_NS6detail17trampoline_kernelINS0_14default_configENS1_25partition_config_selectorILNS1_17partition_subalgoE8EyNS0_10empty_typeEbEEZZNS1_14partition_implILS5_8ELb0ES3_jN6thrust23THRUST_200600_302600_NS6detail15normal_iteratorINSA_10device_ptrIyEEEEPS6_PKS6_NS0_5tupleIJSF_S6_EEENSJ_IJSG_SG_EEENS0_18inequality_wrapperI22is_equal_div_10_uniqueIyEEEPmJS6_EEE10hipError_tPvRmT3_T4_T5_T6_T7_T9_mT8_P12ihipStream_tbDpT10_ENKUlT_T0_E_clISt17integral_constantIbLb0EES19_IbLb1EEEEDaS15_S16_EUlS15_E_NS1_11comp_targetILNS1_3genE8ELNS1_11target_archE1030ELNS1_3gpuE2ELNS1_3repE0EEENS1_30default_config_static_selectorELNS0_4arch9wavefront6targetE1EEEvT1_,"axG",@progbits,_ZN7rocprim17ROCPRIM_400000_NS6detail17trampoline_kernelINS0_14default_configENS1_25partition_config_selectorILNS1_17partition_subalgoE8EyNS0_10empty_typeEbEEZZNS1_14partition_implILS5_8ELb0ES3_jN6thrust23THRUST_200600_302600_NS6detail15normal_iteratorINSA_10device_ptrIyEEEEPS6_PKS6_NS0_5tupleIJSF_S6_EEENSJ_IJSG_SG_EEENS0_18inequality_wrapperI22is_equal_div_10_uniqueIyEEEPmJS6_EEE10hipError_tPvRmT3_T4_T5_T6_T7_T9_mT8_P12ihipStream_tbDpT10_ENKUlT_T0_E_clISt17integral_constantIbLb0EES19_IbLb1EEEEDaS15_S16_EUlS15_E_NS1_11comp_targetILNS1_3genE8ELNS1_11target_archE1030ELNS1_3gpuE2ELNS1_3repE0EEENS1_30default_config_static_selectorELNS0_4arch9wavefront6targetE1EEEvT1_,comdat
	.protected	_ZN7rocprim17ROCPRIM_400000_NS6detail17trampoline_kernelINS0_14default_configENS1_25partition_config_selectorILNS1_17partition_subalgoE8EyNS0_10empty_typeEbEEZZNS1_14partition_implILS5_8ELb0ES3_jN6thrust23THRUST_200600_302600_NS6detail15normal_iteratorINSA_10device_ptrIyEEEEPS6_PKS6_NS0_5tupleIJSF_S6_EEENSJ_IJSG_SG_EEENS0_18inequality_wrapperI22is_equal_div_10_uniqueIyEEEPmJS6_EEE10hipError_tPvRmT3_T4_T5_T6_T7_T9_mT8_P12ihipStream_tbDpT10_ENKUlT_T0_E_clISt17integral_constantIbLb0EES19_IbLb1EEEEDaS15_S16_EUlS15_E_NS1_11comp_targetILNS1_3genE8ELNS1_11target_archE1030ELNS1_3gpuE2ELNS1_3repE0EEENS1_30default_config_static_selectorELNS0_4arch9wavefront6targetE1EEEvT1_ ; -- Begin function _ZN7rocprim17ROCPRIM_400000_NS6detail17trampoline_kernelINS0_14default_configENS1_25partition_config_selectorILNS1_17partition_subalgoE8EyNS0_10empty_typeEbEEZZNS1_14partition_implILS5_8ELb0ES3_jN6thrust23THRUST_200600_302600_NS6detail15normal_iteratorINSA_10device_ptrIyEEEEPS6_PKS6_NS0_5tupleIJSF_S6_EEENSJ_IJSG_SG_EEENS0_18inequality_wrapperI22is_equal_div_10_uniqueIyEEEPmJS6_EEE10hipError_tPvRmT3_T4_T5_T6_T7_T9_mT8_P12ihipStream_tbDpT10_ENKUlT_T0_E_clISt17integral_constantIbLb0EES19_IbLb1EEEEDaS15_S16_EUlS15_E_NS1_11comp_targetILNS1_3genE8ELNS1_11target_archE1030ELNS1_3gpuE2ELNS1_3repE0EEENS1_30default_config_static_selectorELNS0_4arch9wavefront6targetE1EEEvT1_
	.globl	_ZN7rocprim17ROCPRIM_400000_NS6detail17trampoline_kernelINS0_14default_configENS1_25partition_config_selectorILNS1_17partition_subalgoE8EyNS0_10empty_typeEbEEZZNS1_14partition_implILS5_8ELb0ES3_jN6thrust23THRUST_200600_302600_NS6detail15normal_iteratorINSA_10device_ptrIyEEEEPS6_PKS6_NS0_5tupleIJSF_S6_EEENSJ_IJSG_SG_EEENS0_18inequality_wrapperI22is_equal_div_10_uniqueIyEEEPmJS6_EEE10hipError_tPvRmT3_T4_T5_T6_T7_T9_mT8_P12ihipStream_tbDpT10_ENKUlT_T0_E_clISt17integral_constantIbLb0EES19_IbLb1EEEEDaS15_S16_EUlS15_E_NS1_11comp_targetILNS1_3genE8ELNS1_11target_archE1030ELNS1_3gpuE2ELNS1_3repE0EEENS1_30default_config_static_selectorELNS0_4arch9wavefront6targetE1EEEvT1_
	.p2align	8
	.type	_ZN7rocprim17ROCPRIM_400000_NS6detail17trampoline_kernelINS0_14default_configENS1_25partition_config_selectorILNS1_17partition_subalgoE8EyNS0_10empty_typeEbEEZZNS1_14partition_implILS5_8ELb0ES3_jN6thrust23THRUST_200600_302600_NS6detail15normal_iteratorINSA_10device_ptrIyEEEEPS6_PKS6_NS0_5tupleIJSF_S6_EEENSJ_IJSG_SG_EEENS0_18inequality_wrapperI22is_equal_div_10_uniqueIyEEEPmJS6_EEE10hipError_tPvRmT3_T4_T5_T6_T7_T9_mT8_P12ihipStream_tbDpT10_ENKUlT_T0_E_clISt17integral_constantIbLb0EES19_IbLb1EEEEDaS15_S16_EUlS15_E_NS1_11comp_targetILNS1_3genE8ELNS1_11target_archE1030ELNS1_3gpuE2ELNS1_3repE0EEENS1_30default_config_static_selectorELNS0_4arch9wavefront6targetE1EEEvT1_,@function
_ZN7rocprim17ROCPRIM_400000_NS6detail17trampoline_kernelINS0_14default_configENS1_25partition_config_selectorILNS1_17partition_subalgoE8EyNS0_10empty_typeEbEEZZNS1_14partition_implILS5_8ELb0ES3_jN6thrust23THRUST_200600_302600_NS6detail15normal_iteratorINSA_10device_ptrIyEEEEPS6_PKS6_NS0_5tupleIJSF_S6_EEENSJ_IJSG_SG_EEENS0_18inequality_wrapperI22is_equal_div_10_uniqueIyEEEPmJS6_EEE10hipError_tPvRmT3_T4_T5_T6_T7_T9_mT8_P12ihipStream_tbDpT10_ENKUlT_T0_E_clISt17integral_constantIbLb0EES19_IbLb1EEEEDaS15_S16_EUlS15_E_NS1_11comp_targetILNS1_3genE8ELNS1_11target_archE1030ELNS1_3gpuE2ELNS1_3repE0EEENS1_30default_config_static_selectorELNS0_4arch9wavefront6targetE1EEEvT1_: ; @_ZN7rocprim17ROCPRIM_400000_NS6detail17trampoline_kernelINS0_14default_configENS1_25partition_config_selectorILNS1_17partition_subalgoE8EyNS0_10empty_typeEbEEZZNS1_14partition_implILS5_8ELb0ES3_jN6thrust23THRUST_200600_302600_NS6detail15normal_iteratorINSA_10device_ptrIyEEEEPS6_PKS6_NS0_5tupleIJSF_S6_EEENSJ_IJSG_SG_EEENS0_18inequality_wrapperI22is_equal_div_10_uniqueIyEEEPmJS6_EEE10hipError_tPvRmT3_T4_T5_T6_T7_T9_mT8_P12ihipStream_tbDpT10_ENKUlT_T0_E_clISt17integral_constantIbLb0EES19_IbLb1EEEEDaS15_S16_EUlS15_E_NS1_11comp_targetILNS1_3genE8ELNS1_11target_archE1030ELNS1_3gpuE2ELNS1_3repE0EEENS1_30default_config_static_selectorELNS0_4arch9wavefront6targetE1EEEvT1_
; %bb.0:
	.section	.rodata,"a",@progbits
	.p2align	6, 0x0
	.amdhsa_kernel _ZN7rocprim17ROCPRIM_400000_NS6detail17trampoline_kernelINS0_14default_configENS1_25partition_config_selectorILNS1_17partition_subalgoE8EyNS0_10empty_typeEbEEZZNS1_14partition_implILS5_8ELb0ES3_jN6thrust23THRUST_200600_302600_NS6detail15normal_iteratorINSA_10device_ptrIyEEEEPS6_PKS6_NS0_5tupleIJSF_S6_EEENSJ_IJSG_SG_EEENS0_18inequality_wrapperI22is_equal_div_10_uniqueIyEEEPmJS6_EEE10hipError_tPvRmT3_T4_T5_T6_T7_T9_mT8_P12ihipStream_tbDpT10_ENKUlT_T0_E_clISt17integral_constantIbLb0EES19_IbLb1EEEEDaS15_S16_EUlS15_E_NS1_11comp_targetILNS1_3genE8ELNS1_11target_archE1030ELNS1_3gpuE2ELNS1_3repE0EEENS1_30default_config_static_selectorELNS0_4arch9wavefront6targetE1EEEvT1_
		.amdhsa_group_segment_fixed_size 0
		.amdhsa_private_segment_fixed_size 0
		.amdhsa_kernarg_size 128
		.amdhsa_user_sgpr_count 6
		.amdhsa_user_sgpr_private_segment_buffer 1
		.amdhsa_user_sgpr_dispatch_ptr 0
		.amdhsa_user_sgpr_queue_ptr 0
		.amdhsa_user_sgpr_kernarg_segment_ptr 1
		.amdhsa_user_sgpr_dispatch_id 0
		.amdhsa_user_sgpr_flat_scratch_init 0
		.amdhsa_user_sgpr_private_segment_size 0
		.amdhsa_uses_dynamic_stack 0
		.amdhsa_system_sgpr_private_segment_wavefront_offset 0
		.amdhsa_system_sgpr_workgroup_id_x 1
		.amdhsa_system_sgpr_workgroup_id_y 0
		.amdhsa_system_sgpr_workgroup_id_z 0
		.amdhsa_system_sgpr_workgroup_info 0
		.amdhsa_system_vgpr_workitem_id 0
		.amdhsa_next_free_vgpr 1
		.amdhsa_next_free_sgpr 0
		.amdhsa_reserve_vcc 0
		.amdhsa_reserve_flat_scratch 0
		.amdhsa_float_round_mode_32 0
		.amdhsa_float_round_mode_16_64 0
		.amdhsa_float_denorm_mode_32 3
		.amdhsa_float_denorm_mode_16_64 3
		.amdhsa_dx10_clamp 1
		.amdhsa_ieee_mode 1
		.amdhsa_fp16_overflow 0
		.amdhsa_exception_fp_ieee_invalid_op 0
		.amdhsa_exception_fp_denorm_src 0
		.amdhsa_exception_fp_ieee_div_zero 0
		.amdhsa_exception_fp_ieee_overflow 0
		.amdhsa_exception_fp_ieee_underflow 0
		.amdhsa_exception_fp_ieee_inexact 0
		.amdhsa_exception_int_div_zero 0
	.end_amdhsa_kernel
	.section	.text._ZN7rocprim17ROCPRIM_400000_NS6detail17trampoline_kernelINS0_14default_configENS1_25partition_config_selectorILNS1_17partition_subalgoE8EyNS0_10empty_typeEbEEZZNS1_14partition_implILS5_8ELb0ES3_jN6thrust23THRUST_200600_302600_NS6detail15normal_iteratorINSA_10device_ptrIyEEEEPS6_PKS6_NS0_5tupleIJSF_S6_EEENSJ_IJSG_SG_EEENS0_18inequality_wrapperI22is_equal_div_10_uniqueIyEEEPmJS6_EEE10hipError_tPvRmT3_T4_T5_T6_T7_T9_mT8_P12ihipStream_tbDpT10_ENKUlT_T0_E_clISt17integral_constantIbLb0EES19_IbLb1EEEEDaS15_S16_EUlS15_E_NS1_11comp_targetILNS1_3genE8ELNS1_11target_archE1030ELNS1_3gpuE2ELNS1_3repE0EEENS1_30default_config_static_selectorELNS0_4arch9wavefront6targetE1EEEvT1_,"axG",@progbits,_ZN7rocprim17ROCPRIM_400000_NS6detail17trampoline_kernelINS0_14default_configENS1_25partition_config_selectorILNS1_17partition_subalgoE8EyNS0_10empty_typeEbEEZZNS1_14partition_implILS5_8ELb0ES3_jN6thrust23THRUST_200600_302600_NS6detail15normal_iteratorINSA_10device_ptrIyEEEEPS6_PKS6_NS0_5tupleIJSF_S6_EEENSJ_IJSG_SG_EEENS0_18inequality_wrapperI22is_equal_div_10_uniqueIyEEEPmJS6_EEE10hipError_tPvRmT3_T4_T5_T6_T7_T9_mT8_P12ihipStream_tbDpT10_ENKUlT_T0_E_clISt17integral_constantIbLb0EES19_IbLb1EEEEDaS15_S16_EUlS15_E_NS1_11comp_targetILNS1_3genE8ELNS1_11target_archE1030ELNS1_3gpuE2ELNS1_3repE0EEENS1_30default_config_static_selectorELNS0_4arch9wavefront6targetE1EEEvT1_,comdat
.Lfunc_end208:
	.size	_ZN7rocprim17ROCPRIM_400000_NS6detail17trampoline_kernelINS0_14default_configENS1_25partition_config_selectorILNS1_17partition_subalgoE8EyNS0_10empty_typeEbEEZZNS1_14partition_implILS5_8ELb0ES3_jN6thrust23THRUST_200600_302600_NS6detail15normal_iteratorINSA_10device_ptrIyEEEEPS6_PKS6_NS0_5tupleIJSF_S6_EEENSJ_IJSG_SG_EEENS0_18inequality_wrapperI22is_equal_div_10_uniqueIyEEEPmJS6_EEE10hipError_tPvRmT3_T4_T5_T6_T7_T9_mT8_P12ihipStream_tbDpT10_ENKUlT_T0_E_clISt17integral_constantIbLb0EES19_IbLb1EEEEDaS15_S16_EUlS15_E_NS1_11comp_targetILNS1_3genE8ELNS1_11target_archE1030ELNS1_3gpuE2ELNS1_3repE0EEENS1_30default_config_static_selectorELNS0_4arch9wavefront6targetE1EEEvT1_, .Lfunc_end208-_ZN7rocprim17ROCPRIM_400000_NS6detail17trampoline_kernelINS0_14default_configENS1_25partition_config_selectorILNS1_17partition_subalgoE8EyNS0_10empty_typeEbEEZZNS1_14partition_implILS5_8ELb0ES3_jN6thrust23THRUST_200600_302600_NS6detail15normal_iteratorINSA_10device_ptrIyEEEEPS6_PKS6_NS0_5tupleIJSF_S6_EEENSJ_IJSG_SG_EEENS0_18inequality_wrapperI22is_equal_div_10_uniqueIyEEEPmJS6_EEE10hipError_tPvRmT3_T4_T5_T6_T7_T9_mT8_P12ihipStream_tbDpT10_ENKUlT_T0_E_clISt17integral_constantIbLb0EES19_IbLb1EEEEDaS15_S16_EUlS15_E_NS1_11comp_targetILNS1_3genE8ELNS1_11target_archE1030ELNS1_3gpuE2ELNS1_3repE0EEENS1_30default_config_static_selectorELNS0_4arch9wavefront6targetE1EEEvT1_
                                        ; -- End function
	.set _ZN7rocprim17ROCPRIM_400000_NS6detail17trampoline_kernelINS0_14default_configENS1_25partition_config_selectorILNS1_17partition_subalgoE8EyNS0_10empty_typeEbEEZZNS1_14partition_implILS5_8ELb0ES3_jN6thrust23THRUST_200600_302600_NS6detail15normal_iteratorINSA_10device_ptrIyEEEEPS6_PKS6_NS0_5tupleIJSF_S6_EEENSJ_IJSG_SG_EEENS0_18inequality_wrapperI22is_equal_div_10_uniqueIyEEEPmJS6_EEE10hipError_tPvRmT3_T4_T5_T6_T7_T9_mT8_P12ihipStream_tbDpT10_ENKUlT_T0_E_clISt17integral_constantIbLb0EES19_IbLb1EEEEDaS15_S16_EUlS15_E_NS1_11comp_targetILNS1_3genE8ELNS1_11target_archE1030ELNS1_3gpuE2ELNS1_3repE0EEENS1_30default_config_static_selectorELNS0_4arch9wavefront6targetE1EEEvT1_.num_vgpr, 0
	.set _ZN7rocprim17ROCPRIM_400000_NS6detail17trampoline_kernelINS0_14default_configENS1_25partition_config_selectorILNS1_17partition_subalgoE8EyNS0_10empty_typeEbEEZZNS1_14partition_implILS5_8ELb0ES3_jN6thrust23THRUST_200600_302600_NS6detail15normal_iteratorINSA_10device_ptrIyEEEEPS6_PKS6_NS0_5tupleIJSF_S6_EEENSJ_IJSG_SG_EEENS0_18inequality_wrapperI22is_equal_div_10_uniqueIyEEEPmJS6_EEE10hipError_tPvRmT3_T4_T5_T6_T7_T9_mT8_P12ihipStream_tbDpT10_ENKUlT_T0_E_clISt17integral_constantIbLb0EES19_IbLb1EEEEDaS15_S16_EUlS15_E_NS1_11comp_targetILNS1_3genE8ELNS1_11target_archE1030ELNS1_3gpuE2ELNS1_3repE0EEENS1_30default_config_static_selectorELNS0_4arch9wavefront6targetE1EEEvT1_.num_agpr, 0
	.set _ZN7rocprim17ROCPRIM_400000_NS6detail17trampoline_kernelINS0_14default_configENS1_25partition_config_selectorILNS1_17partition_subalgoE8EyNS0_10empty_typeEbEEZZNS1_14partition_implILS5_8ELb0ES3_jN6thrust23THRUST_200600_302600_NS6detail15normal_iteratorINSA_10device_ptrIyEEEEPS6_PKS6_NS0_5tupleIJSF_S6_EEENSJ_IJSG_SG_EEENS0_18inequality_wrapperI22is_equal_div_10_uniqueIyEEEPmJS6_EEE10hipError_tPvRmT3_T4_T5_T6_T7_T9_mT8_P12ihipStream_tbDpT10_ENKUlT_T0_E_clISt17integral_constantIbLb0EES19_IbLb1EEEEDaS15_S16_EUlS15_E_NS1_11comp_targetILNS1_3genE8ELNS1_11target_archE1030ELNS1_3gpuE2ELNS1_3repE0EEENS1_30default_config_static_selectorELNS0_4arch9wavefront6targetE1EEEvT1_.numbered_sgpr, 0
	.set _ZN7rocprim17ROCPRIM_400000_NS6detail17trampoline_kernelINS0_14default_configENS1_25partition_config_selectorILNS1_17partition_subalgoE8EyNS0_10empty_typeEbEEZZNS1_14partition_implILS5_8ELb0ES3_jN6thrust23THRUST_200600_302600_NS6detail15normal_iteratorINSA_10device_ptrIyEEEEPS6_PKS6_NS0_5tupleIJSF_S6_EEENSJ_IJSG_SG_EEENS0_18inequality_wrapperI22is_equal_div_10_uniqueIyEEEPmJS6_EEE10hipError_tPvRmT3_T4_T5_T6_T7_T9_mT8_P12ihipStream_tbDpT10_ENKUlT_T0_E_clISt17integral_constantIbLb0EES19_IbLb1EEEEDaS15_S16_EUlS15_E_NS1_11comp_targetILNS1_3genE8ELNS1_11target_archE1030ELNS1_3gpuE2ELNS1_3repE0EEENS1_30default_config_static_selectorELNS0_4arch9wavefront6targetE1EEEvT1_.num_named_barrier, 0
	.set _ZN7rocprim17ROCPRIM_400000_NS6detail17trampoline_kernelINS0_14default_configENS1_25partition_config_selectorILNS1_17partition_subalgoE8EyNS0_10empty_typeEbEEZZNS1_14partition_implILS5_8ELb0ES3_jN6thrust23THRUST_200600_302600_NS6detail15normal_iteratorINSA_10device_ptrIyEEEEPS6_PKS6_NS0_5tupleIJSF_S6_EEENSJ_IJSG_SG_EEENS0_18inequality_wrapperI22is_equal_div_10_uniqueIyEEEPmJS6_EEE10hipError_tPvRmT3_T4_T5_T6_T7_T9_mT8_P12ihipStream_tbDpT10_ENKUlT_T0_E_clISt17integral_constantIbLb0EES19_IbLb1EEEEDaS15_S16_EUlS15_E_NS1_11comp_targetILNS1_3genE8ELNS1_11target_archE1030ELNS1_3gpuE2ELNS1_3repE0EEENS1_30default_config_static_selectorELNS0_4arch9wavefront6targetE1EEEvT1_.private_seg_size, 0
	.set _ZN7rocprim17ROCPRIM_400000_NS6detail17trampoline_kernelINS0_14default_configENS1_25partition_config_selectorILNS1_17partition_subalgoE8EyNS0_10empty_typeEbEEZZNS1_14partition_implILS5_8ELb0ES3_jN6thrust23THRUST_200600_302600_NS6detail15normal_iteratorINSA_10device_ptrIyEEEEPS6_PKS6_NS0_5tupleIJSF_S6_EEENSJ_IJSG_SG_EEENS0_18inequality_wrapperI22is_equal_div_10_uniqueIyEEEPmJS6_EEE10hipError_tPvRmT3_T4_T5_T6_T7_T9_mT8_P12ihipStream_tbDpT10_ENKUlT_T0_E_clISt17integral_constantIbLb0EES19_IbLb1EEEEDaS15_S16_EUlS15_E_NS1_11comp_targetILNS1_3genE8ELNS1_11target_archE1030ELNS1_3gpuE2ELNS1_3repE0EEENS1_30default_config_static_selectorELNS0_4arch9wavefront6targetE1EEEvT1_.uses_vcc, 0
	.set _ZN7rocprim17ROCPRIM_400000_NS6detail17trampoline_kernelINS0_14default_configENS1_25partition_config_selectorILNS1_17partition_subalgoE8EyNS0_10empty_typeEbEEZZNS1_14partition_implILS5_8ELb0ES3_jN6thrust23THRUST_200600_302600_NS6detail15normal_iteratorINSA_10device_ptrIyEEEEPS6_PKS6_NS0_5tupleIJSF_S6_EEENSJ_IJSG_SG_EEENS0_18inequality_wrapperI22is_equal_div_10_uniqueIyEEEPmJS6_EEE10hipError_tPvRmT3_T4_T5_T6_T7_T9_mT8_P12ihipStream_tbDpT10_ENKUlT_T0_E_clISt17integral_constantIbLb0EES19_IbLb1EEEEDaS15_S16_EUlS15_E_NS1_11comp_targetILNS1_3genE8ELNS1_11target_archE1030ELNS1_3gpuE2ELNS1_3repE0EEENS1_30default_config_static_selectorELNS0_4arch9wavefront6targetE1EEEvT1_.uses_flat_scratch, 0
	.set _ZN7rocprim17ROCPRIM_400000_NS6detail17trampoline_kernelINS0_14default_configENS1_25partition_config_selectorILNS1_17partition_subalgoE8EyNS0_10empty_typeEbEEZZNS1_14partition_implILS5_8ELb0ES3_jN6thrust23THRUST_200600_302600_NS6detail15normal_iteratorINSA_10device_ptrIyEEEEPS6_PKS6_NS0_5tupleIJSF_S6_EEENSJ_IJSG_SG_EEENS0_18inequality_wrapperI22is_equal_div_10_uniqueIyEEEPmJS6_EEE10hipError_tPvRmT3_T4_T5_T6_T7_T9_mT8_P12ihipStream_tbDpT10_ENKUlT_T0_E_clISt17integral_constantIbLb0EES19_IbLb1EEEEDaS15_S16_EUlS15_E_NS1_11comp_targetILNS1_3genE8ELNS1_11target_archE1030ELNS1_3gpuE2ELNS1_3repE0EEENS1_30default_config_static_selectorELNS0_4arch9wavefront6targetE1EEEvT1_.has_dyn_sized_stack, 0
	.set _ZN7rocprim17ROCPRIM_400000_NS6detail17trampoline_kernelINS0_14default_configENS1_25partition_config_selectorILNS1_17partition_subalgoE8EyNS0_10empty_typeEbEEZZNS1_14partition_implILS5_8ELb0ES3_jN6thrust23THRUST_200600_302600_NS6detail15normal_iteratorINSA_10device_ptrIyEEEEPS6_PKS6_NS0_5tupleIJSF_S6_EEENSJ_IJSG_SG_EEENS0_18inequality_wrapperI22is_equal_div_10_uniqueIyEEEPmJS6_EEE10hipError_tPvRmT3_T4_T5_T6_T7_T9_mT8_P12ihipStream_tbDpT10_ENKUlT_T0_E_clISt17integral_constantIbLb0EES19_IbLb1EEEEDaS15_S16_EUlS15_E_NS1_11comp_targetILNS1_3genE8ELNS1_11target_archE1030ELNS1_3gpuE2ELNS1_3repE0EEENS1_30default_config_static_selectorELNS0_4arch9wavefront6targetE1EEEvT1_.has_recursion, 0
	.set _ZN7rocprim17ROCPRIM_400000_NS6detail17trampoline_kernelINS0_14default_configENS1_25partition_config_selectorILNS1_17partition_subalgoE8EyNS0_10empty_typeEbEEZZNS1_14partition_implILS5_8ELb0ES3_jN6thrust23THRUST_200600_302600_NS6detail15normal_iteratorINSA_10device_ptrIyEEEEPS6_PKS6_NS0_5tupleIJSF_S6_EEENSJ_IJSG_SG_EEENS0_18inequality_wrapperI22is_equal_div_10_uniqueIyEEEPmJS6_EEE10hipError_tPvRmT3_T4_T5_T6_T7_T9_mT8_P12ihipStream_tbDpT10_ENKUlT_T0_E_clISt17integral_constantIbLb0EES19_IbLb1EEEEDaS15_S16_EUlS15_E_NS1_11comp_targetILNS1_3genE8ELNS1_11target_archE1030ELNS1_3gpuE2ELNS1_3repE0EEENS1_30default_config_static_selectorELNS0_4arch9wavefront6targetE1EEEvT1_.has_indirect_call, 0
	.section	.AMDGPU.csdata,"",@progbits
; Kernel info:
; codeLenInByte = 0
; TotalNumSgprs: 4
; NumVgprs: 0
; ScratchSize: 0
; MemoryBound: 0
; FloatMode: 240
; IeeeMode: 1
; LDSByteSize: 0 bytes/workgroup (compile time only)
; SGPRBlocks: 0
; VGPRBlocks: 0
; NumSGPRsForWavesPerEU: 4
; NumVGPRsForWavesPerEU: 1
; Occupancy: 10
; WaveLimiterHint : 0
; COMPUTE_PGM_RSRC2:SCRATCH_EN: 0
; COMPUTE_PGM_RSRC2:USER_SGPR: 6
; COMPUTE_PGM_RSRC2:TRAP_HANDLER: 0
; COMPUTE_PGM_RSRC2:TGID_X_EN: 1
; COMPUTE_PGM_RSRC2:TGID_Y_EN: 0
; COMPUTE_PGM_RSRC2:TGID_Z_EN: 0
; COMPUTE_PGM_RSRC2:TIDIG_COMP_CNT: 0
	.section	.text._ZN6thrust23THRUST_200600_302600_NS11hip_rocprim14__parallel_for6kernelILj256ENS1_20__uninitialized_fill7functorINS0_10device_ptrIjEEjEEmLj1EEEvT0_T1_SA_,"axG",@progbits,_ZN6thrust23THRUST_200600_302600_NS11hip_rocprim14__parallel_for6kernelILj256ENS1_20__uninitialized_fill7functorINS0_10device_ptrIjEEjEEmLj1EEEvT0_T1_SA_,comdat
	.protected	_ZN6thrust23THRUST_200600_302600_NS11hip_rocprim14__parallel_for6kernelILj256ENS1_20__uninitialized_fill7functorINS0_10device_ptrIjEEjEEmLj1EEEvT0_T1_SA_ ; -- Begin function _ZN6thrust23THRUST_200600_302600_NS11hip_rocprim14__parallel_for6kernelILj256ENS1_20__uninitialized_fill7functorINS0_10device_ptrIjEEjEEmLj1EEEvT0_T1_SA_
	.globl	_ZN6thrust23THRUST_200600_302600_NS11hip_rocprim14__parallel_for6kernelILj256ENS1_20__uninitialized_fill7functorINS0_10device_ptrIjEEjEEmLj1EEEvT0_T1_SA_
	.p2align	8
	.type	_ZN6thrust23THRUST_200600_302600_NS11hip_rocprim14__parallel_for6kernelILj256ENS1_20__uninitialized_fill7functorINS0_10device_ptrIjEEjEEmLj1EEEvT0_T1_SA_,@function
_ZN6thrust23THRUST_200600_302600_NS11hip_rocprim14__parallel_for6kernelILj256ENS1_20__uninitialized_fill7functorINS0_10device_ptrIjEEjEEmLj1EEEvT0_T1_SA_: ; @_ZN6thrust23THRUST_200600_302600_NS11hip_rocprim14__parallel_for6kernelILj256ENS1_20__uninitialized_fill7functorINS0_10device_ptrIjEEjEEmLj1EEEvT0_T1_SA_
; %bb.0:
	s_load_dwordx4 s[12:15], s[4:5], 0x10
	s_load_dwordx2 s[0:1], s[4:5], 0x0
	s_load_dword s8, s[4:5], 0x8
	s_lshl_b32 s2, s6, 8
	v_mov_b32_e32 v1, 0xff
	s_waitcnt lgkmcnt(0)
	s_add_u32 s2, s14, s2
	s_addc_u32 s3, s15, 0
	s_sub_u32 s4, s12, s2
	v_mov_b32_e32 v2, 0
	s_subb_u32 s5, s13, s3
	v_cmp_gt_u64_e32 vcc, s[4:5], v[1:2]
	s_mov_b64 s[6:7], -1
	s_cbranch_vccz .LBB209_3
; %bb.1:
	s_andn2_b64 vcc, exec, s[6:7]
	s_cbranch_vccz .LBB209_6
.LBB209_2:
	s_endpgm
.LBB209_3:
	v_cmp_gt_u32_e32 vcc, s4, v0
	s_and_saveexec_b64 s[4:5], vcc
	s_cbranch_execz .LBB209_5
; %bb.4:
	s_lshl_b64 s[6:7], s[2:3], 2
	s_add_u32 s6, s0, s6
	s_addc_u32 s7, s1, s7
	v_lshlrev_b32_e32 v1, 2, v0
	v_mov_b32_e32 v2, s7
	v_add_co_u32_e32 v1, vcc, s6, v1
	v_addc_co_u32_e32 v2, vcc, 0, v2, vcc
	v_mov_b32_e32 v3, s8
	flat_store_dword v[1:2], v3
.LBB209_5:
	s_or_b64 exec, exec, s[4:5]
	s_cbranch_execnz .LBB209_2
.LBB209_6:
	s_lshl_b64 s[2:3], s[2:3], 2
	s_add_u32 s0, s0, s2
	s_addc_u32 s1, s1, s3
	v_lshlrev_b32_e32 v0, 2, v0
	v_mov_b32_e32 v1, s1
	v_add_co_u32_e32 v0, vcc, s0, v0
	v_addc_co_u32_e32 v1, vcc, 0, v1, vcc
	v_mov_b32_e32 v2, s8
	flat_store_dword v[0:1], v2
	s_endpgm
	.section	.rodata,"a",@progbits
	.p2align	6, 0x0
	.amdhsa_kernel _ZN6thrust23THRUST_200600_302600_NS11hip_rocprim14__parallel_for6kernelILj256ENS1_20__uninitialized_fill7functorINS0_10device_ptrIjEEjEEmLj1EEEvT0_T1_SA_
		.amdhsa_group_segment_fixed_size 0
		.amdhsa_private_segment_fixed_size 0
		.amdhsa_kernarg_size 32
		.amdhsa_user_sgpr_count 6
		.amdhsa_user_sgpr_private_segment_buffer 1
		.amdhsa_user_sgpr_dispatch_ptr 0
		.amdhsa_user_sgpr_queue_ptr 0
		.amdhsa_user_sgpr_kernarg_segment_ptr 1
		.amdhsa_user_sgpr_dispatch_id 0
		.amdhsa_user_sgpr_flat_scratch_init 0
		.amdhsa_user_sgpr_private_segment_size 0
		.amdhsa_uses_dynamic_stack 0
		.amdhsa_system_sgpr_private_segment_wavefront_offset 0
		.amdhsa_system_sgpr_workgroup_id_x 1
		.amdhsa_system_sgpr_workgroup_id_y 0
		.amdhsa_system_sgpr_workgroup_id_z 0
		.amdhsa_system_sgpr_workgroup_info 0
		.amdhsa_system_vgpr_workitem_id 0
		.amdhsa_next_free_vgpr 4
		.amdhsa_next_free_sgpr 16
		.amdhsa_reserve_vcc 1
		.amdhsa_reserve_flat_scratch 0
		.amdhsa_float_round_mode_32 0
		.amdhsa_float_round_mode_16_64 0
		.amdhsa_float_denorm_mode_32 3
		.amdhsa_float_denorm_mode_16_64 3
		.amdhsa_dx10_clamp 1
		.amdhsa_ieee_mode 1
		.amdhsa_fp16_overflow 0
		.amdhsa_exception_fp_ieee_invalid_op 0
		.amdhsa_exception_fp_denorm_src 0
		.amdhsa_exception_fp_ieee_div_zero 0
		.amdhsa_exception_fp_ieee_overflow 0
		.amdhsa_exception_fp_ieee_underflow 0
		.amdhsa_exception_fp_ieee_inexact 0
		.amdhsa_exception_int_div_zero 0
	.end_amdhsa_kernel
	.section	.text._ZN6thrust23THRUST_200600_302600_NS11hip_rocprim14__parallel_for6kernelILj256ENS1_20__uninitialized_fill7functorINS0_10device_ptrIjEEjEEmLj1EEEvT0_T1_SA_,"axG",@progbits,_ZN6thrust23THRUST_200600_302600_NS11hip_rocprim14__parallel_for6kernelILj256ENS1_20__uninitialized_fill7functorINS0_10device_ptrIjEEjEEmLj1EEEvT0_T1_SA_,comdat
.Lfunc_end209:
	.size	_ZN6thrust23THRUST_200600_302600_NS11hip_rocprim14__parallel_for6kernelILj256ENS1_20__uninitialized_fill7functorINS0_10device_ptrIjEEjEEmLj1EEEvT0_T1_SA_, .Lfunc_end209-_ZN6thrust23THRUST_200600_302600_NS11hip_rocprim14__parallel_for6kernelILj256ENS1_20__uninitialized_fill7functorINS0_10device_ptrIjEEjEEmLj1EEEvT0_T1_SA_
                                        ; -- End function
	.set _ZN6thrust23THRUST_200600_302600_NS11hip_rocprim14__parallel_for6kernelILj256ENS1_20__uninitialized_fill7functorINS0_10device_ptrIjEEjEEmLj1EEEvT0_T1_SA_.num_vgpr, 4
	.set _ZN6thrust23THRUST_200600_302600_NS11hip_rocprim14__parallel_for6kernelILj256ENS1_20__uninitialized_fill7functorINS0_10device_ptrIjEEjEEmLj1EEEvT0_T1_SA_.num_agpr, 0
	.set _ZN6thrust23THRUST_200600_302600_NS11hip_rocprim14__parallel_for6kernelILj256ENS1_20__uninitialized_fill7functorINS0_10device_ptrIjEEjEEmLj1EEEvT0_T1_SA_.numbered_sgpr, 16
	.set _ZN6thrust23THRUST_200600_302600_NS11hip_rocprim14__parallel_for6kernelILj256ENS1_20__uninitialized_fill7functorINS0_10device_ptrIjEEjEEmLj1EEEvT0_T1_SA_.num_named_barrier, 0
	.set _ZN6thrust23THRUST_200600_302600_NS11hip_rocprim14__parallel_for6kernelILj256ENS1_20__uninitialized_fill7functorINS0_10device_ptrIjEEjEEmLj1EEEvT0_T1_SA_.private_seg_size, 0
	.set _ZN6thrust23THRUST_200600_302600_NS11hip_rocprim14__parallel_for6kernelILj256ENS1_20__uninitialized_fill7functorINS0_10device_ptrIjEEjEEmLj1EEEvT0_T1_SA_.uses_vcc, 1
	.set _ZN6thrust23THRUST_200600_302600_NS11hip_rocprim14__parallel_for6kernelILj256ENS1_20__uninitialized_fill7functorINS0_10device_ptrIjEEjEEmLj1EEEvT0_T1_SA_.uses_flat_scratch, 0
	.set _ZN6thrust23THRUST_200600_302600_NS11hip_rocprim14__parallel_for6kernelILj256ENS1_20__uninitialized_fill7functorINS0_10device_ptrIjEEjEEmLj1EEEvT0_T1_SA_.has_dyn_sized_stack, 0
	.set _ZN6thrust23THRUST_200600_302600_NS11hip_rocprim14__parallel_for6kernelILj256ENS1_20__uninitialized_fill7functorINS0_10device_ptrIjEEjEEmLj1EEEvT0_T1_SA_.has_recursion, 0
	.set _ZN6thrust23THRUST_200600_302600_NS11hip_rocprim14__parallel_for6kernelILj256ENS1_20__uninitialized_fill7functorINS0_10device_ptrIjEEjEEmLj1EEEvT0_T1_SA_.has_indirect_call, 0
	.section	.AMDGPU.csdata,"",@progbits
; Kernel info:
; codeLenInByte = 188
; TotalNumSgprs: 20
; NumVgprs: 4
; ScratchSize: 0
; MemoryBound: 0
; FloatMode: 240
; IeeeMode: 1
; LDSByteSize: 0 bytes/workgroup (compile time only)
; SGPRBlocks: 2
; VGPRBlocks: 0
; NumSGPRsForWavesPerEU: 20
; NumVGPRsForWavesPerEU: 4
; Occupancy: 10
; WaveLimiterHint : 0
; COMPUTE_PGM_RSRC2:SCRATCH_EN: 0
; COMPUTE_PGM_RSRC2:USER_SGPR: 6
; COMPUTE_PGM_RSRC2:TRAP_HANDLER: 0
; COMPUTE_PGM_RSRC2:TGID_X_EN: 1
; COMPUTE_PGM_RSRC2:TGID_Y_EN: 0
; COMPUTE_PGM_RSRC2:TGID_Z_EN: 0
; COMPUTE_PGM_RSRC2:TIDIG_COMP_CNT: 0
	.section	.text._ZN7rocprim17ROCPRIM_400000_NS6detail17trampoline_kernelINS0_14default_configENS1_25partition_config_selectorILNS1_17partition_subalgoE8EjNS0_10empty_typeEbEEZZNS1_14partition_implILS5_8ELb0ES3_jN6thrust23THRUST_200600_302600_NS6detail15normal_iteratorINSA_10device_ptrIjEEEEPS6_PKS6_NS0_5tupleIJSF_S6_EEENSJ_IJSG_SG_EEENS0_18inequality_wrapperINSA_8equal_toIjEEEEPmJS6_EEE10hipError_tPvRmT3_T4_T5_T6_T7_T9_mT8_P12ihipStream_tbDpT10_ENKUlT_T0_E_clISt17integral_constantIbLb0EES1A_EEDaS15_S16_EUlS15_E_NS1_11comp_targetILNS1_3genE0ELNS1_11target_archE4294967295ELNS1_3gpuE0ELNS1_3repE0EEENS1_30default_config_static_selectorELNS0_4arch9wavefront6targetE1EEEvT1_,"axG",@progbits,_ZN7rocprim17ROCPRIM_400000_NS6detail17trampoline_kernelINS0_14default_configENS1_25partition_config_selectorILNS1_17partition_subalgoE8EjNS0_10empty_typeEbEEZZNS1_14partition_implILS5_8ELb0ES3_jN6thrust23THRUST_200600_302600_NS6detail15normal_iteratorINSA_10device_ptrIjEEEEPS6_PKS6_NS0_5tupleIJSF_S6_EEENSJ_IJSG_SG_EEENS0_18inequality_wrapperINSA_8equal_toIjEEEEPmJS6_EEE10hipError_tPvRmT3_T4_T5_T6_T7_T9_mT8_P12ihipStream_tbDpT10_ENKUlT_T0_E_clISt17integral_constantIbLb0EES1A_EEDaS15_S16_EUlS15_E_NS1_11comp_targetILNS1_3genE0ELNS1_11target_archE4294967295ELNS1_3gpuE0ELNS1_3repE0EEENS1_30default_config_static_selectorELNS0_4arch9wavefront6targetE1EEEvT1_,comdat
	.protected	_ZN7rocprim17ROCPRIM_400000_NS6detail17trampoline_kernelINS0_14default_configENS1_25partition_config_selectorILNS1_17partition_subalgoE8EjNS0_10empty_typeEbEEZZNS1_14partition_implILS5_8ELb0ES3_jN6thrust23THRUST_200600_302600_NS6detail15normal_iteratorINSA_10device_ptrIjEEEEPS6_PKS6_NS0_5tupleIJSF_S6_EEENSJ_IJSG_SG_EEENS0_18inequality_wrapperINSA_8equal_toIjEEEEPmJS6_EEE10hipError_tPvRmT3_T4_T5_T6_T7_T9_mT8_P12ihipStream_tbDpT10_ENKUlT_T0_E_clISt17integral_constantIbLb0EES1A_EEDaS15_S16_EUlS15_E_NS1_11comp_targetILNS1_3genE0ELNS1_11target_archE4294967295ELNS1_3gpuE0ELNS1_3repE0EEENS1_30default_config_static_selectorELNS0_4arch9wavefront6targetE1EEEvT1_ ; -- Begin function _ZN7rocprim17ROCPRIM_400000_NS6detail17trampoline_kernelINS0_14default_configENS1_25partition_config_selectorILNS1_17partition_subalgoE8EjNS0_10empty_typeEbEEZZNS1_14partition_implILS5_8ELb0ES3_jN6thrust23THRUST_200600_302600_NS6detail15normal_iteratorINSA_10device_ptrIjEEEEPS6_PKS6_NS0_5tupleIJSF_S6_EEENSJ_IJSG_SG_EEENS0_18inequality_wrapperINSA_8equal_toIjEEEEPmJS6_EEE10hipError_tPvRmT3_T4_T5_T6_T7_T9_mT8_P12ihipStream_tbDpT10_ENKUlT_T0_E_clISt17integral_constantIbLb0EES1A_EEDaS15_S16_EUlS15_E_NS1_11comp_targetILNS1_3genE0ELNS1_11target_archE4294967295ELNS1_3gpuE0ELNS1_3repE0EEENS1_30default_config_static_selectorELNS0_4arch9wavefront6targetE1EEEvT1_
	.globl	_ZN7rocprim17ROCPRIM_400000_NS6detail17trampoline_kernelINS0_14default_configENS1_25partition_config_selectorILNS1_17partition_subalgoE8EjNS0_10empty_typeEbEEZZNS1_14partition_implILS5_8ELb0ES3_jN6thrust23THRUST_200600_302600_NS6detail15normal_iteratorINSA_10device_ptrIjEEEEPS6_PKS6_NS0_5tupleIJSF_S6_EEENSJ_IJSG_SG_EEENS0_18inequality_wrapperINSA_8equal_toIjEEEEPmJS6_EEE10hipError_tPvRmT3_T4_T5_T6_T7_T9_mT8_P12ihipStream_tbDpT10_ENKUlT_T0_E_clISt17integral_constantIbLb0EES1A_EEDaS15_S16_EUlS15_E_NS1_11comp_targetILNS1_3genE0ELNS1_11target_archE4294967295ELNS1_3gpuE0ELNS1_3repE0EEENS1_30default_config_static_selectorELNS0_4arch9wavefront6targetE1EEEvT1_
	.p2align	8
	.type	_ZN7rocprim17ROCPRIM_400000_NS6detail17trampoline_kernelINS0_14default_configENS1_25partition_config_selectorILNS1_17partition_subalgoE8EjNS0_10empty_typeEbEEZZNS1_14partition_implILS5_8ELb0ES3_jN6thrust23THRUST_200600_302600_NS6detail15normal_iteratorINSA_10device_ptrIjEEEEPS6_PKS6_NS0_5tupleIJSF_S6_EEENSJ_IJSG_SG_EEENS0_18inequality_wrapperINSA_8equal_toIjEEEEPmJS6_EEE10hipError_tPvRmT3_T4_T5_T6_T7_T9_mT8_P12ihipStream_tbDpT10_ENKUlT_T0_E_clISt17integral_constantIbLb0EES1A_EEDaS15_S16_EUlS15_E_NS1_11comp_targetILNS1_3genE0ELNS1_11target_archE4294967295ELNS1_3gpuE0ELNS1_3repE0EEENS1_30default_config_static_selectorELNS0_4arch9wavefront6targetE1EEEvT1_,@function
_ZN7rocprim17ROCPRIM_400000_NS6detail17trampoline_kernelINS0_14default_configENS1_25partition_config_selectorILNS1_17partition_subalgoE8EjNS0_10empty_typeEbEEZZNS1_14partition_implILS5_8ELb0ES3_jN6thrust23THRUST_200600_302600_NS6detail15normal_iteratorINSA_10device_ptrIjEEEEPS6_PKS6_NS0_5tupleIJSF_S6_EEENSJ_IJSG_SG_EEENS0_18inequality_wrapperINSA_8equal_toIjEEEEPmJS6_EEE10hipError_tPvRmT3_T4_T5_T6_T7_T9_mT8_P12ihipStream_tbDpT10_ENKUlT_T0_E_clISt17integral_constantIbLb0EES1A_EEDaS15_S16_EUlS15_E_NS1_11comp_targetILNS1_3genE0ELNS1_11target_archE4294967295ELNS1_3gpuE0ELNS1_3repE0EEENS1_30default_config_static_selectorELNS0_4arch9wavefront6targetE1EEEvT1_: ; @_ZN7rocprim17ROCPRIM_400000_NS6detail17trampoline_kernelINS0_14default_configENS1_25partition_config_selectorILNS1_17partition_subalgoE8EjNS0_10empty_typeEbEEZZNS1_14partition_implILS5_8ELb0ES3_jN6thrust23THRUST_200600_302600_NS6detail15normal_iteratorINSA_10device_ptrIjEEEEPS6_PKS6_NS0_5tupleIJSF_S6_EEENSJ_IJSG_SG_EEENS0_18inequality_wrapperINSA_8equal_toIjEEEEPmJS6_EEE10hipError_tPvRmT3_T4_T5_T6_T7_T9_mT8_P12ihipStream_tbDpT10_ENKUlT_T0_E_clISt17integral_constantIbLb0EES1A_EEDaS15_S16_EUlS15_E_NS1_11comp_targetILNS1_3genE0ELNS1_11target_archE4294967295ELNS1_3gpuE0ELNS1_3repE0EEENS1_30default_config_static_selectorELNS0_4arch9wavefront6targetE1EEEvT1_
; %bb.0:
	.section	.rodata,"a",@progbits
	.p2align	6, 0x0
	.amdhsa_kernel _ZN7rocprim17ROCPRIM_400000_NS6detail17trampoline_kernelINS0_14default_configENS1_25partition_config_selectorILNS1_17partition_subalgoE8EjNS0_10empty_typeEbEEZZNS1_14partition_implILS5_8ELb0ES3_jN6thrust23THRUST_200600_302600_NS6detail15normal_iteratorINSA_10device_ptrIjEEEEPS6_PKS6_NS0_5tupleIJSF_S6_EEENSJ_IJSG_SG_EEENS0_18inequality_wrapperINSA_8equal_toIjEEEEPmJS6_EEE10hipError_tPvRmT3_T4_T5_T6_T7_T9_mT8_P12ihipStream_tbDpT10_ENKUlT_T0_E_clISt17integral_constantIbLb0EES1A_EEDaS15_S16_EUlS15_E_NS1_11comp_targetILNS1_3genE0ELNS1_11target_archE4294967295ELNS1_3gpuE0ELNS1_3repE0EEENS1_30default_config_static_selectorELNS0_4arch9wavefront6targetE1EEEvT1_
		.amdhsa_group_segment_fixed_size 0
		.amdhsa_private_segment_fixed_size 0
		.amdhsa_kernarg_size 112
		.amdhsa_user_sgpr_count 6
		.amdhsa_user_sgpr_private_segment_buffer 1
		.amdhsa_user_sgpr_dispatch_ptr 0
		.amdhsa_user_sgpr_queue_ptr 0
		.amdhsa_user_sgpr_kernarg_segment_ptr 1
		.amdhsa_user_sgpr_dispatch_id 0
		.amdhsa_user_sgpr_flat_scratch_init 0
		.amdhsa_user_sgpr_private_segment_size 0
		.amdhsa_uses_dynamic_stack 0
		.amdhsa_system_sgpr_private_segment_wavefront_offset 0
		.amdhsa_system_sgpr_workgroup_id_x 1
		.amdhsa_system_sgpr_workgroup_id_y 0
		.amdhsa_system_sgpr_workgroup_id_z 0
		.amdhsa_system_sgpr_workgroup_info 0
		.amdhsa_system_vgpr_workitem_id 0
		.amdhsa_next_free_vgpr 1
		.amdhsa_next_free_sgpr 0
		.amdhsa_reserve_vcc 0
		.amdhsa_reserve_flat_scratch 0
		.amdhsa_float_round_mode_32 0
		.amdhsa_float_round_mode_16_64 0
		.amdhsa_float_denorm_mode_32 3
		.amdhsa_float_denorm_mode_16_64 3
		.amdhsa_dx10_clamp 1
		.amdhsa_ieee_mode 1
		.amdhsa_fp16_overflow 0
		.amdhsa_exception_fp_ieee_invalid_op 0
		.amdhsa_exception_fp_denorm_src 0
		.amdhsa_exception_fp_ieee_div_zero 0
		.amdhsa_exception_fp_ieee_overflow 0
		.amdhsa_exception_fp_ieee_underflow 0
		.amdhsa_exception_fp_ieee_inexact 0
		.amdhsa_exception_int_div_zero 0
	.end_amdhsa_kernel
	.section	.text._ZN7rocprim17ROCPRIM_400000_NS6detail17trampoline_kernelINS0_14default_configENS1_25partition_config_selectorILNS1_17partition_subalgoE8EjNS0_10empty_typeEbEEZZNS1_14partition_implILS5_8ELb0ES3_jN6thrust23THRUST_200600_302600_NS6detail15normal_iteratorINSA_10device_ptrIjEEEEPS6_PKS6_NS0_5tupleIJSF_S6_EEENSJ_IJSG_SG_EEENS0_18inequality_wrapperINSA_8equal_toIjEEEEPmJS6_EEE10hipError_tPvRmT3_T4_T5_T6_T7_T9_mT8_P12ihipStream_tbDpT10_ENKUlT_T0_E_clISt17integral_constantIbLb0EES1A_EEDaS15_S16_EUlS15_E_NS1_11comp_targetILNS1_3genE0ELNS1_11target_archE4294967295ELNS1_3gpuE0ELNS1_3repE0EEENS1_30default_config_static_selectorELNS0_4arch9wavefront6targetE1EEEvT1_,"axG",@progbits,_ZN7rocprim17ROCPRIM_400000_NS6detail17trampoline_kernelINS0_14default_configENS1_25partition_config_selectorILNS1_17partition_subalgoE8EjNS0_10empty_typeEbEEZZNS1_14partition_implILS5_8ELb0ES3_jN6thrust23THRUST_200600_302600_NS6detail15normal_iteratorINSA_10device_ptrIjEEEEPS6_PKS6_NS0_5tupleIJSF_S6_EEENSJ_IJSG_SG_EEENS0_18inequality_wrapperINSA_8equal_toIjEEEEPmJS6_EEE10hipError_tPvRmT3_T4_T5_T6_T7_T9_mT8_P12ihipStream_tbDpT10_ENKUlT_T0_E_clISt17integral_constantIbLb0EES1A_EEDaS15_S16_EUlS15_E_NS1_11comp_targetILNS1_3genE0ELNS1_11target_archE4294967295ELNS1_3gpuE0ELNS1_3repE0EEENS1_30default_config_static_selectorELNS0_4arch9wavefront6targetE1EEEvT1_,comdat
.Lfunc_end210:
	.size	_ZN7rocprim17ROCPRIM_400000_NS6detail17trampoline_kernelINS0_14default_configENS1_25partition_config_selectorILNS1_17partition_subalgoE8EjNS0_10empty_typeEbEEZZNS1_14partition_implILS5_8ELb0ES3_jN6thrust23THRUST_200600_302600_NS6detail15normal_iteratorINSA_10device_ptrIjEEEEPS6_PKS6_NS0_5tupleIJSF_S6_EEENSJ_IJSG_SG_EEENS0_18inequality_wrapperINSA_8equal_toIjEEEEPmJS6_EEE10hipError_tPvRmT3_T4_T5_T6_T7_T9_mT8_P12ihipStream_tbDpT10_ENKUlT_T0_E_clISt17integral_constantIbLb0EES1A_EEDaS15_S16_EUlS15_E_NS1_11comp_targetILNS1_3genE0ELNS1_11target_archE4294967295ELNS1_3gpuE0ELNS1_3repE0EEENS1_30default_config_static_selectorELNS0_4arch9wavefront6targetE1EEEvT1_, .Lfunc_end210-_ZN7rocprim17ROCPRIM_400000_NS6detail17trampoline_kernelINS0_14default_configENS1_25partition_config_selectorILNS1_17partition_subalgoE8EjNS0_10empty_typeEbEEZZNS1_14partition_implILS5_8ELb0ES3_jN6thrust23THRUST_200600_302600_NS6detail15normal_iteratorINSA_10device_ptrIjEEEEPS6_PKS6_NS0_5tupleIJSF_S6_EEENSJ_IJSG_SG_EEENS0_18inequality_wrapperINSA_8equal_toIjEEEEPmJS6_EEE10hipError_tPvRmT3_T4_T5_T6_T7_T9_mT8_P12ihipStream_tbDpT10_ENKUlT_T0_E_clISt17integral_constantIbLb0EES1A_EEDaS15_S16_EUlS15_E_NS1_11comp_targetILNS1_3genE0ELNS1_11target_archE4294967295ELNS1_3gpuE0ELNS1_3repE0EEENS1_30default_config_static_selectorELNS0_4arch9wavefront6targetE1EEEvT1_
                                        ; -- End function
	.set _ZN7rocprim17ROCPRIM_400000_NS6detail17trampoline_kernelINS0_14default_configENS1_25partition_config_selectorILNS1_17partition_subalgoE8EjNS0_10empty_typeEbEEZZNS1_14partition_implILS5_8ELb0ES3_jN6thrust23THRUST_200600_302600_NS6detail15normal_iteratorINSA_10device_ptrIjEEEEPS6_PKS6_NS0_5tupleIJSF_S6_EEENSJ_IJSG_SG_EEENS0_18inequality_wrapperINSA_8equal_toIjEEEEPmJS6_EEE10hipError_tPvRmT3_T4_T5_T6_T7_T9_mT8_P12ihipStream_tbDpT10_ENKUlT_T0_E_clISt17integral_constantIbLb0EES1A_EEDaS15_S16_EUlS15_E_NS1_11comp_targetILNS1_3genE0ELNS1_11target_archE4294967295ELNS1_3gpuE0ELNS1_3repE0EEENS1_30default_config_static_selectorELNS0_4arch9wavefront6targetE1EEEvT1_.num_vgpr, 0
	.set _ZN7rocprim17ROCPRIM_400000_NS6detail17trampoline_kernelINS0_14default_configENS1_25partition_config_selectorILNS1_17partition_subalgoE8EjNS0_10empty_typeEbEEZZNS1_14partition_implILS5_8ELb0ES3_jN6thrust23THRUST_200600_302600_NS6detail15normal_iteratorINSA_10device_ptrIjEEEEPS6_PKS6_NS0_5tupleIJSF_S6_EEENSJ_IJSG_SG_EEENS0_18inequality_wrapperINSA_8equal_toIjEEEEPmJS6_EEE10hipError_tPvRmT3_T4_T5_T6_T7_T9_mT8_P12ihipStream_tbDpT10_ENKUlT_T0_E_clISt17integral_constantIbLb0EES1A_EEDaS15_S16_EUlS15_E_NS1_11comp_targetILNS1_3genE0ELNS1_11target_archE4294967295ELNS1_3gpuE0ELNS1_3repE0EEENS1_30default_config_static_selectorELNS0_4arch9wavefront6targetE1EEEvT1_.num_agpr, 0
	.set _ZN7rocprim17ROCPRIM_400000_NS6detail17trampoline_kernelINS0_14default_configENS1_25partition_config_selectorILNS1_17partition_subalgoE8EjNS0_10empty_typeEbEEZZNS1_14partition_implILS5_8ELb0ES3_jN6thrust23THRUST_200600_302600_NS6detail15normal_iteratorINSA_10device_ptrIjEEEEPS6_PKS6_NS0_5tupleIJSF_S6_EEENSJ_IJSG_SG_EEENS0_18inequality_wrapperINSA_8equal_toIjEEEEPmJS6_EEE10hipError_tPvRmT3_T4_T5_T6_T7_T9_mT8_P12ihipStream_tbDpT10_ENKUlT_T0_E_clISt17integral_constantIbLb0EES1A_EEDaS15_S16_EUlS15_E_NS1_11comp_targetILNS1_3genE0ELNS1_11target_archE4294967295ELNS1_3gpuE0ELNS1_3repE0EEENS1_30default_config_static_selectorELNS0_4arch9wavefront6targetE1EEEvT1_.numbered_sgpr, 0
	.set _ZN7rocprim17ROCPRIM_400000_NS6detail17trampoline_kernelINS0_14default_configENS1_25partition_config_selectorILNS1_17partition_subalgoE8EjNS0_10empty_typeEbEEZZNS1_14partition_implILS5_8ELb0ES3_jN6thrust23THRUST_200600_302600_NS6detail15normal_iteratorINSA_10device_ptrIjEEEEPS6_PKS6_NS0_5tupleIJSF_S6_EEENSJ_IJSG_SG_EEENS0_18inequality_wrapperINSA_8equal_toIjEEEEPmJS6_EEE10hipError_tPvRmT3_T4_T5_T6_T7_T9_mT8_P12ihipStream_tbDpT10_ENKUlT_T0_E_clISt17integral_constantIbLb0EES1A_EEDaS15_S16_EUlS15_E_NS1_11comp_targetILNS1_3genE0ELNS1_11target_archE4294967295ELNS1_3gpuE0ELNS1_3repE0EEENS1_30default_config_static_selectorELNS0_4arch9wavefront6targetE1EEEvT1_.num_named_barrier, 0
	.set _ZN7rocprim17ROCPRIM_400000_NS6detail17trampoline_kernelINS0_14default_configENS1_25partition_config_selectorILNS1_17partition_subalgoE8EjNS0_10empty_typeEbEEZZNS1_14partition_implILS5_8ELb0ES3_jN6thrust23THRUST_200600_302600_NS6detail15normal_iteratorINSA_10device_ptrIjEEEEPS6_PKS6_NS0_5tupleIJSF_S6_EEENSJ_IJSG_SG_EEENS0_18inequality_wrapperINSA_8equal_toIjEEEEPmJS6_EEE10hipError_tPvRmT3_T4_T5_T6_T7_T9_mT8_P12ihipStream_tbDpT10_ENKUlT_T0_E_clISt17integral_constantIbLb0EES1A_EEDaS15_S16_EUlS15_E_NS1_11comp_targetILNS1_3genE0ELNS1_11target_archE4294967295ELNS1_3gpuE0ELNS1_3repE0EEENS1_30default_config_static_selectorELNS0_4arch9wavefront6targetE1EEEvT1_.private_seg_size, 0
	.set _ZN7rocprim17ROCPRIM_400000_NS6detail17trampoline_kernelINS0_14default_configENS1_25partition_config_selectorILNS1_17partition_subalgoE8EjNS0_10empty_typeEbEEZZNS1_14partition_implILS5_8ELb0ES3_jN6thrust23THRUST_200600_302600_NS6detail15normal_iteratorINSA_10device_ptrIjEEEEPS6_PKS6_NS0_5tupleIJSF_S6_EEENSJ_IJSG_SG_EEENS0_18inequality_wrapperINSA_8equal_toIjEEEEPmJS6_EEE10hipError_tPvRmT3_T4_T5_T6_T7_T9_mT8_P12ihipStream_tbDpT10_ENKUlT_T0_E_clISt17integral_constantIbLb0EES1A_EEDaS15_S16_EUlS15_E_NS1_11comp_targetILNS1_3genE0ELNS1_11target_archE4294967295ELNS1_3gpuE0ELNS1_3repE0EEENS1_30default_config_static_selectorELNS0_4arch9wavefront6targetE1EEEvT1_.uses_vcc, 0
	.set _ZN7rocprim17ROCPRIM_400000_NS6detail17trampoline_kernelINS0_14default_configENS1_25partition_config_selectorILNS1_17partition_subalgoE8EjNS0_10empty_typeEbEEZZNS1_14partition_implILS5_8ELb0ES3_jN6thrust23THRUST_200600_302600_NS6detail15normal_iteratorINSA_10device_ptrIjEEEEPS6_PKS6_NS0_5tupleIJSF_S6_EEENSJ_IJSG_SG_EEENS0_18inequality_wrapperINSA_8equal_toIjEEEEPmJS6_EEE10hipError_tPvRmT3_T4_T5_T6_T7_T9_mT8_P12ihipStream_tbDpT10_ENKUlT_T0_E_clISt17integral_constantIbLb0EES1A_EEDaS15_S16_EUlS15_E_NS1_11comp_targetILNS1_3genE0ELNS1_11target_archE4294967295ELNS1_3gpuE0ELNS1_3repE0EEENS1_30default_config_static_selectorELNS0_4arch9wavefront6targetE1EEEvT1_.uses_flat_scratch, 0
	.set _ZN7rocprim17ROCPRIM_400000_NS6detail17trampoline_kernelINS0_14default_configENS1_25partition_config_selectorILNS1_17partition_subalgoE8EjNS0_10empty_typeEbEEZZNS1_14partition_implILS5_8ELb0ES3_jN6thrust23THRUST_200600_302600_NS6detail15normal_iteratorINSA_10device_ptrIjEEEEPS6_PKS6_NS0_5tupleIJSF_S6_EEENSJ_IJSG_SG_EEENS0_18inequality_wrapperINSA_8equal_toIjEEEEPmJS6_EEE10hipError_tPvRmT3_T4_T5_T6_T7_T9_mT8_P12ihipStream_tbDpT10_ENKUlT_T0_E_clISt17integral_constantIbLb0EES1A_EEDaS15_S16_EUlS15_E_NS1_11comp_targetILNS1_3genE0ELNS1_11target_archE4294967295ELNS1_3gpuE0ELNS1_3repE0EEENS1_30default_config_static_selectorELNS0_4arch9wavefront6targetE1EEEvT1_.has_dyn_sized_stack, 0
	.set _ZN7rocprim17ROCPRIM_400000_NS6detail17trampoline_kernelINS0_14default_configENS1_25partition_config_selectorILNS1_17partition_subalgoE8EjNS0_10empty_typeEbEEZZNS1_14partition_implILS5_8ELb0ES3_jN6thrust23THRUST_200600_302600_NS6detail15normal_iteratorINSA_10device_ptrIjEEEEPS6_PKS6_NS0_5tupleIJSF_S6_EEENSJ_IJSG_SG_EEENS0_18inequality_wrapperINSA_8equal_toIjEEEEPmJS6_EEE10hipError_tPvRmT3_T4_T5_T6_T7_T9_mT8_P12ihipStream_tbDpT10_ENKUlT_T0_E_clISt17integral_constantIbLb0EES1A_EEDaS15_S16_EUlS15_E_NS1_11comp_targetILNS1_3genE0ELNS1_11target_archE4294967295ELNS1_3gpuE0ELNS1_3repE0EEENS1_30default_config_static_selectorELNS0_4arch9wavefront6targetE1EEEvT1_.has_recursion, 0
	.set _ZN7rocprim17ROCPRIM_400000_NS6detail17trampoline_kernelINS0_14default_configENS1_25partition_config_selectorILNS1_17partition_subalgoE8EjNS0_10empty_typeEbEEZZNS1_14partition_implILS5_8ELb0ES3_jN6thrust23THRUST_200600_302600_NS6detail15normal_iteratorINSA_10device_ptrIjEEEEPS6_PKS6_NS0_5tupleIJSF_S6_EEENSJ_IJSG_SG_EEENS0_18inequality_wrapperINSA_8equal_toIjEEEEPmJS6_EEE10hipError_tPvRmT3_T4_T5_T6_T7_T9_mT8_P12ihipStream_tbDpT10_ENKUlT_T0_E_clISt17integral_constantIbLb0EES1A_EEDaS15_S16_EUlS15_E_NS1_11comp_targetILNS1_3genE0ELNS1_11target_archE4294967295ELNS1_3gpuE0ELNS1_3repE0EEENS1_30default_config_static_selectorELNS0_4arch9wavefront6targetE1EEEvT1_.has_indirect_call, 0
	.section	.AMDGPU.csdata,"",@progbits
; Kernel info:
; codeLenInByte = 0
; TotalNumSgprs: 4
; NumVgprs: 0
; ScratchSize: 0
; MemoryBound: 0
; FloatMode: 240
; IeeeMode: 1
; LDSByteSize: 0 bytes/workgroup (compile time only)
; SGPRBlocks: 0
; VGPRBlocks: 0
; NumSGPRsForWavesPerEU: 4
; NumVGPRsForWavesPerEU: 1
; Occupancy: 10
; WaveLimiterHint : 0
; COMPUTE_PGM_RSRC2:SCRATCH_EN: 0
; COMPUTE_PGM_RSRC2:USER_SGPR: 6
; COMPUTE_PGM_RSRC2:TRAP_HANDLER: 0
; COMPUTE_PGM_RSRC2:TGID_X_EN: 1
; COMPUTE_PGM_RSRC2:TGID_Y_EN: 0
; COMPUTE_PGM_RSRC2:TGID_Z_EN: 0
; COMPUTE_PGM_RSRC2:TIDIG_COMP_CNT: 0
	.section	.text._ZN7rocprim17ROCPRIM_400000_NS6detail17trampoline_kernelINS0_14default_configENS1_25partition_config_selectorILNS1_17partition_subalgoE8EjNS0_10empty_typeEbEEZZNS1_14partition_implILS5_8ELb0ES3_jN6thrust23THRUST_200600_302600_NS6detail15normal_iteratorINSA_10device_ptrIjEEEEPS6_PKS6_NS0_5tupleIJSF_S6_EEENSJ_IJSG_SG_EEENS0_18inequality_wrapperINSA_8equal_toIjEEEEPmJS6_EEE10hipError_tPvRmT3_T4_T5_T6_T7_T9_mT8_P12ihipStream_tbDpT10_ENKUlT_T0_E_clISt17integral_constantIbLb0EES1A_EEDaS15_S16_EUlS15_E_NS1_11comp_targetILNS1_3genE5ELNS1_11target_archE942ELNS1_3gpuE9ELNS1_3repE0EEENS1_30default_config_static_selectorELNS0_4arch9wavefront6targetE1EEEvT1_,"axG",@progbits,_ZN7rocprim17ROCPRIM_400000_NS6detail17trampoline_kernelINS0_14default_configENS1_25partition_config_selectorILNS1_17partition_subalgoE8EjNS0_10empty_typeEbEEZZNS1_14partition_implILS5_8ELb0ES3_jN6thrust23THRUST_200600_302600_NS6detail15normal_iteratorINSA_10device_ptrIjEEEEPS6_PKS6_NS0_5tupleIJSF_S6_EEENSJ_IJSG_SG_EEENS0_18inequality_wrapperINSA_8equal_toIjEEEEPmJS6_EEE10hipError_tPvRmT3_T4_T5_T6_T7_T9_mT8_P12ihipStream_tbDpT10_ENKUlT_T0_E_clISt17integral_constantIbLb0EES1A_EEDaS15_S16_EUlS15_E_NS1_11comp_targetILNS1_3genE5ELNS1_11target_archE942ELNS1_3gpuE9ELNS1_3repE0EEENS1_30default_config_static_selectorELNS0_4arch9wavefront6targetE1EEEvT1_,comdat
	.protected	_ZN7rocprim17ROCPRIM_400000_NS6detail17trampoline_kernelINS0_14default_configENS1_25partition_config_selectorILNS1_17partition_subalgoE8EjNS0_10empty_typeEbEEZZNS1_14partition_implILS5_8ELb0ES3_jN6thrust23THRUST_200600_302600_NS6detail15normal_iteratorINSA_10device_ptrIjEEEEPS6_PKS6_NS0_5tupleIJSF_S6_EEENSJ_IJSG_SG_EEENS0_18inequality_wrapperINSA_8equal_toIjEEEEPmJS6_EEE10hipError_tPvRmT3_T4_T5_T6_T7_T9_mT8_P12ihipStream_tbDpT10_ENKUlT_T0_E_clISt17integral_constantIbLb0EES1A_EEDaS15_S16_EUlS15_E_NS1_11comp_targetILNS1_3genE5ELNS1_11target_archE942ELNS1_3gpuE9ELNS1_3repE0EEENS1_30default_config_static_selectorELNS0_4arch9wavefront6targetE1EEEvT1_ ; -- Begin function _ZN7rocprim17ROCPRIM_400000_NS6detail17trampoline_kernelINS0_14default_configENS1_25partition_config_selectorILNS1_17partition_subalgoE8EjNS0_10empty_typeEbEEZZNS1_14partition_implILS5_8ELb0ES3_jN6thrust23THRUST_200600_302600_NS6detail15normal_iteratorINSA_10device_ptrIjEEEEPS6_PKS6_NS0_5tupleIJSF_S6_EEENSJ_IJSG_SG_EEENS0_18inequality_wrapperINSA_8equal_toIjEEEEPmJS6_EEE10hipError_tPvRmT3_T4_T5_T6_T7_T9_mT8_P12ihipStream_tbDpT10_ENKUlT_T0_E_clISt17integral_constantIbLb0EES1A_EEDaS15_S16_EUlS15_E_NS1_11comp_targetILNS1_3genE5ELNS1_11target_archE942ELNS1_3gpuE9ELNS1_3repE0EEENS1_30default_config_static_selectorELNS0_4arch9wavefront6targetE1EEEvT1_
	.globl	_ZN7rocprim17ROCPRIM_400000_NS6detail17trampoline_kernelINS0_14default_configENS1_25partition_config_selectorILNS1_17partition_subalgoE8EjNS0_10empty_typeEbEEZZNS1_14partition_implILS5_8ELb0ES3_jN6thrust23THRUST_200600_302600_NS6detail15normal_iteratorINSA_10device_ptrIjEEEEPS6_PKS6_NS0_5tupleIJSF_S6_EEENSJ_IJSG_SG_EEENS0_18inequality_wrapperINSA_8equal_toIjEEEEPmJS6_EEE10hipError_tPvRmT3_T4_T5_T6_T7_T9_mT8_P12ihipStream_tbDpT10_ENKUlT_T0_E_clISt17integral_constantIbLb0EES1A_EEDaS15_S16_EUlS15_E_NS1_11comp_targetILNS1_3genE5ELNS1_11target_archE942ELNS1_3gpuE9ELNS1_3repE0EEENS1_30default_config_static_selectorELNS0_4arch9wavefront6targetE1EEEvT1_
	.p2align	8
	.type	_ZN7rocprim17ROCPRIM_400000_NS6detail17trampoline_kernelINS0_14default_configENS1_25partition_config_selectorILNS1_17partition_subalgoE8EjNS0_10empty_typeEbEEZZNS1_14partition_implILS5_8ELb0ES3_jN6thrust23THRUST_200600_302600_NS6detail15normal_iteratorINSA_10device_ptrIjEEEEPS6_PKS6_NS0_5tupleIJSF_S6_EEENSJ_IJSG_SG_EEENS0_18inequality_wrapperINSA_8equal_toIjEEEEPmJS6_EEE10hipError_tPvRmT3_T4_T5_T6_T7_T9_mT8_P12ihipStream_tbDpT10_ENKUlT_T0_E_clISt17integral_constantIbLb0EES1A_EEDaS15_S16_EUlS15_E_NS1_11comp_targetILNS1_3genE5ELNS1_11target_archE942ELNS1_3gpuE9ELNS1_3repE0EEENS1_30default_config_static_selectorELNS0_4arch9wavefront6targetE1EEEvT1_,@function
_ZN7rocprim17ROCPRIM_400000_NS6detail17trampoline_kernelINS0_14default_configENS1_25partition_config_selectorILNS1_17partition_subalgoE8EjNS0_10empty_typeEbEEZZNS1_14partition_implILS5_8ELb0ES3_jN6thrust23THRUST_200600_302600_NS6detail15normal_iteratorINSA_10device_ptrIjEEEEPS6_PKS6_NS0_5tupleIJSF_S6_EEENSJ_IJSG_SG_EEENS0_18inequality_wrapperINSA_8equal_toIjEEEEPmJS6_EEE10hipError_tPvRmT3_T4_T5_T6_T7_T9_mT8_P12ihipStream_tbDpT10_ENKUlT_T0_E_clISt17integral_constantIbLb0EES1A_EEDaS15_S16_EUlS15_E_NS1_11comp_targetILNS1_3genE5ELNS1_11target_archE942ELNS1_3gpuE9ELNS1_3repE0EEENS1_30default_config_static_selectorELNS0_4arch9wavefront6targetE1EEEvT1_: ; @_ZN7rocprim17ROCPRIM_400000_NS6detail17trampoline_kernelINS0_14default_configENS1_25partition_config_selectorILNS1_17partition_subalgoE8EjNS0_10empty_typeEbEEZZNS1_14partition_implILS5_8ELb0ES3_jN6thrust23THRUST_200600_302600_NS6detail15normal_iteratorINSA_10device_ptrIjEEEEPS6_PKS6_NS0_5tupleIJSF_S6_EEENSJ_IJSG_SG_EEENS0_18inequality_wrapperINSA_8equal_toIjEEEEPmJS6_EEE10hipError_tPvRmT3_T4_T5_T6_T7_T9_mT8_P12ihipStream_tbDpT10_ENKUlT_T0_E_clISt17integral_constantIbLb0EES1A_EEDaS15_S16_EUlS15_E_NS1_11comp_targetILNS1_3genE5ELNS1_11target_archE942ELNS1_3gpuE9ELNS1_3repE0EEENS1_30default_config_static_selectorELNS0_4arch9wavefront6targetE1EEEvT1_
; %bb.0:
	.section	.rodata,"a",@progbits
	.p2align	6, 0x0
	.amdhsa_kernel _ZN7rocprim17ROCPRIM_400000_NS6detail17trampoline_kernelINS0_14default_configENS1_25partition_config_selectorILNS1_17partition_subalgoE8EjNS0_10empty_typeEbEEZZNS1_14partition_implILS5_8ELb0ES3_jN6thrust23THRUST_200600_302600_NS6detail15normal_iteratorINSA_10device_ptrIjEEEEPS6_PKS6_NS0_5tupleIJSF_S6_EEENSJ_IJSG_SG_EEENS0_18inequality_wrapperINSA_8equal_toIjEEEEPmJS6_EEE10hipError_tPvRmT3_T4_T5_T6_T7_T9_mT8_P12ihipStream_tbDpT10_ENKUlT_T0_E_clISt17integral_constantIbLb0EES1A_EEDaS15_S16_EUlS15_E_NS1_11comp_targetILNS1_3genE5ELNS1_11target_archE942ELNS1_3gpuE9ELNS1_3repE0EEENS1_30default_config_static_selectorELNS0_4arch9wavefront6targetE1EEEvT1_
		.amdhsa_group_segment_fixed_size 0
		.amdhsa_private_segment_fixed_size 0
		.amdhsa_kernarg_size 112
		.amdhsa_user_sgpr_count 6
		.amdhsa_user_sgpr_private_segment_buffer 1
		.amdhsa_user_sgpr_dispatch_ptr 0
		.amdhsa_user_sgpr_queue_ptr 0
		.amdhsa_user_sgpr_kernarg_segment_ptr 1
		.amdhsa_user_sgpr_dispatch_id 0
		.amdhsa_user_sgpr_flat_scratch_init 0
		.amdhsa_user_sgpr_private_segment_size 0
		.amdhsa_uses_dynamic_stack 0
		.amdhsa_system_sgpr_private_segment_wavefront_offset 0
		.amdhsa_system_sgpr_workgroup_id_x 1
		.amdhsa_system_sgpr_workgroup_id_y 0
		.amdhsa_system_sgpr_workgroup_id_z 0
		.amdhsa_system_sgpr_workgroup_info 0
		.amdhsa_system_vgpr_workitem_id 0
		.amdhsa_next_free_vgpr 1
		.amdhsa_next_free_sgpr 0
		.amdhsa_reserve_vcc 0
		.amdhsa_reserve_flat_scratch 0
		.amdhsa_float_round_mode_32 0
		.amdhsa_float_round_mode_16_64 0
		.amdhsa_float_denorm_mode_32 3
		.amdhsa_float_denorm_mode_16_64 3
		.amdhsa_dx10_clamp 1
		.amdhsa_ieee_mode 1
		.amdhsa_fp16_overflow 0
		.amdhsa_exception_fp_ieee_invalid_op 0
		.amdhsa_exception_fp_denorm_src 0
		.amdhsa_exception_fp_ieee_div_zero 0
		.amdhsa_exception_fp_ieee_overflow 0
		.amdhsa_exception_fp_ieee_underflow 0
		.amdhsa_exception_fp_ieee_inexact 0
		.amdhsa_exception_int_div_zero 0
	.end_amdhsa_kernel
	.section	.text._ZN7rocprim17ROCPRIM_400000_NS6detail17trampoline_kernelINS0_14default_configENS1_25partition_config_selectorILNS1_17partition_subalgoE8EjNS0_10empty_typeEbEEZZNS1_14partition_implILS5_8ELb0ES3_jN6thrust23THRUST_200600_302600_NS6detail15normal_iteratorINSA_10device_ptrIjEEEEPS6_PKS6_NS0_5tupleIJSF_S6_EEENSJ_IJSG_SG_EEENS0_18inequality_wrapperINSA_8equal_toIjEEEEPmJS6_EEE10hipError_tPvRmT3_T4_T5_T6_T7_T9_mT8_P12ihipStream_tbDpT10_ENKUlT_T0_E_clISt17integral_constantIbLb0EES1A_EEDaS15_S16_EUlS15_E_NS1_11comp_targetILNS1_3genE5ELNS1_11target_archE942ELNS1_3gpuE9ELNS1_3repE0EEENS1_30default_config_static_selectorELNS0_4arch9wavefront6targetE1EEEvT1_,"axG",@progbits,_ZN7rocprim17ROCPRIM_400000_NS6detail17trampoline_kernelINS0_14default_configENS1_25partition_config_selectorILNS1_17partition_subalgoE8EjNS0_10empty_typeEbEEZZNS1_14partition_implILS5_8ELb0ES3_jN6thrust23THRUST_200600_302600_NS6detail15normal_iteratorINSA_10device_ptrIjEEEEPS6_PKS6_NS0_5tupleIJSF_S6_EEENSJ_IJSG_SG_EEENS0_18inequality_wrapperINSA_8equal_toIjEEEEPmJS6_EEE10hipError_tPvRmT3_T4_T5_T6_T7_T9_mT8_P12ihipStream_tbDpT10_ENKUlT_T0_E_clISt17integral_constantIbLb0EES1A_EEDaS15_S16_EUlS15_E_NS1_11comp_targetILNS1_3genE5ELNS1_11target_archE942ELNS1_3gpuE9ELNS1_3repE0EEENS1_30default_config_static_selectorELNS0_4arch9wavefront6targetE1EEEvT1_,comdat
.Lfunc_end211:
	.size	_ZN7rocprim17ROCPRIM_400000_NS6detail17trampoline_kernelINS0_14default_configENS1_25partition_config_selectorILNS1_17partition_subalgoE8EjNS0_10empty_typeEbEEZZNS1_14partition_implILS5_8ELb0ES3_jN6thrust23THRUST_200600_302600_NS6detail15normal_iteratorINSA_10device_ptrIjEEEEPS6_PKS6_NS0_5tupleIJSF_S6_EEENSJ_IJSG_SG_EEENS0_18inequality_wrapperINSA_8equal_toIjEEEEPmJS6_EEE10hipError_tPvRmT3_T4_T5_T6_T7_T9_mT8_P12ihipStream_tbDpT10_ENKUlT_T0_E_clISt17integral_constantIbLb0EES1A_EEDaS15_S16_EUlS15_E_NS1_11comp_targetILNS1_3genE5ELNS1_11target_archE942ELNS1_3gpuE9ELNS1_3repE0EEENS1_30default_config_static_selectorELNS0_4arch9wavefront6targetE1EEEvT1_, .Lfunc_end211-_ZN7rocprim17ROCPRIM_400000_NS6detail17trampoline_kernelINS0_14default_configENS1_25partition_config_selectorILNS1_17partition_subalgoE8EjNS0_10empty_typeEbEEZZNS1_14partition_implILS5_8ELb0ES3_jN6thrust23THRUST_200600_302600_NS6detail15normal_iteratorINSA_10device_ptrIjEEEEPS6_PKS6_NS0_5tupleIJSF_S6_EEENSJ_IJSG_SG_EEENS0_18inequality_wrapperINSA_8equal_toIjEEEEPmJS6_EEE10hipError_tPvRmT3_T4_T5_T6_T7_T9_mT8_P12ihipStream_tbDpT10_ENKUlT_T0_E_clISt17integral_constantIbLb0EES1A_EEDaS15_S16_EUlS15_E_NS1_11comp_targetILNS1_3genE5ELNS1_11target_archE942ELNS1_3gpuE9ELNS1_3repE0EEENS1_30default_config_static_selectorELNS0_4arch9wavefront6targetE1EEEvT1_
                                        ; -- End function
	.set _ZN7rocprim17ROCPRIM_400000_NS6detail17trampoline_kernelINS0_14default_configENS1_25partition_config_selectorILNS1_17partition_subalgoE8EjNS0_10empty_typeEbEEZZNS1_14partition_implILS5_8ELb0ES3_jN6thrust23THRUST_200600_302600_NS6detail15normal_iteratorINSA_10device_ptrIjEEEEPS6_PKS6_NS0_5tupleIJSF_S6_EEENSJ_IJSG_SG_EEENS0_18inequality_wrapperINSA_8equal_toIjEEEEPmJS6_EEE10hipError_tPvRmT3_T4_T5_T6_T7_T9_mT8_P12ihipStream_tbDpT10_ENKUlT_T0_E_clISt17integral_constantIbLb0EES1A_EEDaS15_S16_EUlS15_E_NS1_11comp_targetILNS1_3genE5ELNS1_11target_archE942ELNS1_3gpuE9ELNS1_3repE0EEENS1_30default_config_static_selectorELNS0_4arch9wavefront6targetE1EEEvT1_.num_vgpr, 0
	.set _ZN7rocprim17ROCPRIM_400000_NS6detail17trampoline_kernelINS0_14default_configENS1_25partition_config_selectorILNS1_17partition_subalgoE8EjNS0_10empty_typeEbEEZZNS1_14partition_implILS5_8ELb0ES3_jN6thrust23THRUST_200600_302600_NS6detail15normal_iteratorINSA_10device_ptrIjEEEEPS6_PKS6_NS0_5tupleIJSF_S6_EEENSJ_IJSG_SG_EEENS0_18inequality_wrapperINSA_8equal_toIjEEEEPmJS6_EEE10hipError_tPvRmT3_T4_T5_T6_T7_T9_mT8_P12ihipStream_tbDpT10_ENKUlT_T0_E_clISt17integral_constantIbLb0EES1A_EEDaS15_S16_EUlS15_E_NS1_11comp_targetILNS1_3genE5ELNS1_11target_archE942ELNS1_3gpuE9ELNS1_3repE0EEENS1_30default_config_static_selectorELNS0_4arch9wavefront6targetE1EEEvT1_.num_agpr, 0
	.set _ZN7rocprim17ROCPRIM_400000_NS6detail17trampoline_kernelINS0_14default_configENS1_25partition_config_selectorILNS1_17partition_subalgoE8EjNS0_10empty_typeEbEEZZNS1_14partition_implILS5_8ELb0ES3_jN6thrust23THRUST_200600_302600_NS6detail15normal_iteratorINSA_10device_ptrIjEEEEPS6_PKS6_NS0_5tupleIJSF_S6_EEENSJ_IJSG_SG_EEENS0_18inequality_wrapperINSA_8equal_toIjEEEEPmJS6_EEE10hipError_tPvRmT3_T4_T5_T6_T7_T9_mT8_P12ihipStream_tbDpT10_ENKUlT_T0_E_clISt17integral_constantIbLb0EES1A_EEDaS15_S16_EUlS15_E_NS1_11comp_targetILNS1_3genE5ELNS1_11target_archE942ELNS1_3gpuE9ELNS1_3repE0EEENS1_30default_config_static_selectorELNS0_4arch9wavefront6targetE1EEEvT1_.numbered_sgpr, 0
	.set _ZN7rocprim17ROCPRIM_400000_NS6detail17trampoline_kernelINS0_14default_configENS1_25partition_config_selectorILNS1_17partition_subalgoE8EjNS0_10empty_typeEbEEZZNS1_14partition_implILS5_8ELb0ES3_jN6thrust23THRUST_200600_302600_NS6detail15normal_iteratorINSA_10device_ptrIjEEEEPS6_PKS6_NS0_5tupleIJSF_S6_EEENSJ_IJSG_SG_EEENS0_18inequality_wrapperINSA_8equal_toIjEEEEPmJS6_EEE10hipError_tPvRmT3_T4_T5_T6_T7_T9_mT8_P12ihipStream_tbDpT10_ENKUlT_T0_E_clISt17integral_constantIbLb0EES1A_EEDaS15_S16_EUlS15_E_NS1_11comp_targetILNS1_3genE5ELNS1_11target_archE942ELNS1_3gpuE9ELNS1_3repE0EEENS1_30default_config_static_selectorELNS0_4arch9wavefront6targetE1EEEvT1_.num_named_barrier, 0
	.set _ZN7rocprim17ROCPRIM_400000_NS6detail17trampoline_kernelINS0_14default_configENS1_25partition_config_selectorILNS1_17partition_subalgoE8EjNS0_10empty_typeEbEEZZNS1_14partition_implILS5_8ELb0ES3_jN6thrust23THRUST_200600_302600_NS6detail15normal_iteratorINSA_10device_ptrIjEEEEPS6_PKS6_NS0_5tupleIJSF_S6_EEENSJ_IJSG_SG_EEENS0_18inequality_wrapperINSA_8equal_toIjEEEEPmJS6_EEE10hipError_tPvRmT3_T4_T5_T6_T7_T9_mT8_P12ihipStream_tbDpT10_ENKUlT_T0_E_clISt17integral_constantIbLb0EES1A_EEDaS15_S16_EUlS15_E_NS1_11comp_targetILNS1_3genE5ELNS1_11target_archE942ELNS1_3gpuE9ELNS1_3repE0EEENS1_30default_config_static_selectorELNS0_4arch9wavefront6targetE1EEEvT1_.private_seg_size, 0
	.set _ZN7rocprim17ROCPRIM_400000_NS6detail17trampoline_kernelINS0_14default_configENS1_25partition_config_selectorILNS1_17partition_subalgoE8EjNS0_10empty_typeEbEEZZNS1_14partition_implILS5_8ELb0ES3_jN6thrust23THRUST_200600_302600_NS6detail15normal_iteratorINSA_10device_ptrIjEEEEPS6_PKS6_NS0_5tupleIJSF_S6_EEENSJ_IJSG_SG_EEENS0_18inequality_wrapperINSA_8equal_toIjEEEEPmJS6_EEE10hipError_tPvRmT3_T4_T5_T6_T7_T9_mT8_P12ihipStream_tbDpT10_ENKUlT_T0_E_clISt17integral_constantIbLb0EES1A_EEDaS15_S16_EUlS15_E_NS1_11comp_targetILNS1_3genE5ELNS1_11target_archE942ELNS1_3gpuE9ELNS1_3repE0EEENS1_30default_config_static_selectorELNS0_4arch9wavefront6targetE1EEEvT1_.uses_vcc, 0
	.set _ZN7rocprim17ROCPRIM_400000_NS6detail17trampoline_kernelINS0_14default_configENS1_25partition_config_selectorILNS1_17partition_subalgoE8EjNS0_10empty_typeEbEEZZNS1_14partition_implILS5_8ELb0ES3_jN6thrust23THRUST_200600_302600_NS6detail15normal_iteratorINSA_10device_ptrIjEEEEPS6_PKS6_NS0_5tupleIJSF_S6_EEENSJ_IJSG_SG_EEENS0_18inequality_wrapperINSA_8equal_toIjEEEEPmJS6_EEE10hipError_tPvRmT3_T4_T5_T6_T7_T9_mT8_P12ihipStream_tbDpT10_ENKUlT_T0_E_clISt17integral_constantIbLb0EES1A_EEDaS15_S16_EUlS15_E_NS1_11comp_targetILNS1_3genE5ELNS1_11target_archE942ELNS1_3gpuE9ELNS1_3repE0EEENS1_30default_config_static_selectorELNS0_4arch9wavefront6targetE1EEEvT1_.uses_flat_scratch, 0
	.set _ZN7rocprim17ROCPRIM_400000_NS6detail17trampoline_kernelINS0_14default_configENS1_25partition_config_selectorILNS1_17partition_subalgoE8EjNS0_10empty_typeEbEEZZNS1_14partition_implILS5_8ELb0ES3_jN6thrust23THRUST_200600_302600_NS6detail15normal_iteratorINSA_10device_ptrIjEEEEPS6_PKS6_NS0_5tupleIJSF_S6_EEENSJ_IJSG_SG_EEENS0_18inequality_wrapperINSA_8equal_toIjEEEEPmJS6_EEE10hipError_tPvRmT3_T4_T5_T6_T7_T9_mT8_P12ihipStream_tbDpT10_ENKUlT_T0_E_clISt17integral_constantIbLb0EES1A_EEDaS15_S16_EUlS15_E_NS1_11comp_targetILNS1_3genE5ELNS1_11target_archE942ELNS1_3gpuE9ELNS1_3repE0EEENS1_30default_config_static_selectorELNS0_4arch9wavefront6targetE1EEEvT1_.has_dyn_sized_stack, 0
	.set _ZN7rocprim17ROCPRIM_400000_NS6detail17trampoline_kernelINS0_14default_configENS1_25partition_config_selectorILNS1_17partition_subalgoE8EjNS0_10empty_typeEbEEZZNS1_14partition_implILS5_8ELb0ES3_jN6thrust23THRUST_200600_302600_NS6detail15normal_iteratorINSA_10device_ptrIjEEEEPS6_PKS6_NS0_5tupleIJSF_S6_EEENSJ_IJSG_SG_EEENS0_18inequality_wrapperINSA_8equal_toIjEEEEPmJS6_EEE10hipError_tPvRmT3_T4_T5_T6_T7_T9_mT8_P12ihipStream_tbDpT10_ENKUlT_T0_E_clISt17integral_constantIbLb0EES1A_EEDaS15_S16_EUlS15_E_NS1_11comp_targetILNS1_3genE5ELNS1_11target_archE942ELNS1_3gpuE9ELNS1_3repE0EEENS1_30default_config_static_selectorELNS0_4arch9wavefront6targetE1EEEvT1_.has_recursion, 0
	.set _ZN7rocprim17ROCPRIM_400000_NS6detail17trampoline_kernelINS0_14default_configENS1_25partition_config_selectorILNS1_17partition_subalgoE8EjNS0_10empty_typeEbEEZZNS1_14partition_implILS5_8ELb0ES3_jN6thrust23THRUST_200600_302600_NS6detail15normal_iteratorINSA_10device_ptrIjEEEEPS6_PKS6_NS0_5tupleIJSF_S6_EEENSJ_IJSG_SG_EEENS0_18inequality_wrapperINSA_8equal_toIjEEEEPmJS6_EEE10hipError_tPvRmT3_T4_T5_T6_T7_T9_mT8_P12ihipStream_tbDpT10_ENKUlT_T0_E_clISt17integral_constantIbLb0EES1A_EEDaS15_S16_EUlS15_E_NS1_11comp_targetILNS1_3genE5ELNS1_11target_archE942ELNS1_3gpuE9ELNS1_3repE0EEENS1_30default_config_static_selectorELNS0_4arch9wavefront6targetE1EEEvT1_.has_indirect_call, 0
	.section	.AMDGPU.csdata,"",@progbits
; Kernel info:
; codeLenInByte = 0
; TotalNumSgprs: 4
; NumVgprs: 0
; ScratchSize: 0
; MemoryBound: 0
; FloatMode: 240
; IeeeMode: 1
; LDSByteSize: 0 bytes/workgroup (compile time only)
; SGPRBlocks: 0
; VGPRBlocks: 0
; NumSGPRsForWavesPerEU: 4
; NumVGPRsForWavesPerEU: 1
; Occupancy: 10
; WaveLimiterHint : 0
; COMPUTE_PGM_RSRC2:SCRATCH_EN: 0
; COMPUTE_PGM_RSRC2:USER_SGPR: 6
; COMPUTE_PGM_RSRC2:TRAP_HANDLER: 0
; COMPUTE_PGM_RSRC2:TGID_X_EN: 1
; COMPUTE_PGM_RSRC2:TGID_Y_EN: 0
; COMPUTE_PGM_RSRC2:TGID_Z_EN: 0
; COMPUTE_PGM_RSRC2:TIDIG_COMP_CNT: 0
	.section	.text._ZN7rocprim17ROCPRIM_400000_NS6detail17trampoline_kernelINS0_14default_configENS1_25partition_config_selectorILNS1_17partition_subalgoE8EjNS0_10empty_typeEbEEZZNS1_14partition_implILS5_8ELb0ES3_jN6thrust23THRUST_200600_302600_NS6detail15normal_iteratorINSA_10device_ptrIjEEEEPS6_PKS6_NS0_5tupleIJSF_S6_EEENSJ_IJSG_SG_EEENS0_18inequality_wrapperINSA_8equal_toIjEEEEPmJS6_EEE10hipError_tPvRmT3_T4_T5_T6_T7_T9_mT8_P12ihipStream_tbDpT10_ENKUlT_T0_E_clISt17integral_constantIbLb0EES1A_EEDaS15_S16_EUlS15_E_NS1_11comp_targetILNS1_3genE4ELNS1_11target_archE910ELNS1_3gpuE8ELNS1_3repE0EEENS1_30default_config_static_selectorELNS0_4arch9wavefront6targetE1EEEvT1_,"axG",@progbits,_ZN7rocprim17ROCPRIM_400000_NS6detail17trampoline_kernelINS0_14default_configENS1_25partition_config_selectorILNS1_17partition_subalgoE8EjNS0_10empty_typeEbEEZZNS1_14partition_implILS5_8ELb0ES3_jN6thrust23THRUST_200600_302600_NS6detail15normal_iteratorINSA_10device_ptrIjEEEEPS6_PKS6_NS0_5tupleIJSF_S6_EEENSJ_IJSG_SG_EEENS0_18inequality_wrapperINSA_8equal_toIjEEEEPmJS6_EEE10hipError_tPvRmT3_T4_T5_T6_T7_T9_mT8_P12ihipStream_tbDpT10_ENKUlT_T0_E_clISt17integral_constantIbLb0EES1A_EEDaS15_S16_EUlS15_E_NS1_11comp_targetILNS1_3genE4ELNS1_11target_archE910ELNS1_3gpuE8ELNS1_3repE0EEENS1_30default_config_static_selectorELNS0_4arch9wavefront6targetE1EEEvT1_,comdat
	.protected	_ZN7rocprim17ROCPRIM_400000_NS6detail17trampoline_kernelINS0_14default_configENS1_25partition_config_selectorILNS1_17partition_subalgoE8EjNS0_10empty_typeEbEEZZNS1_14partition_implILS5_8ELb0ES3_jN6thrust23THRUST_200600_302600_NS6detail15normal_iteratorINSA_10device_ptrIjEEEEPS6_PKS6_NS0_5tupleIJSF_S6_EEENSJ_IJSG_SG_EEENS0_18inequality_wrapperINSA_8equal_toIjEEEEPmJS6_EEE10hipError_tPvRmT3_T4_T5_T6_T7_T9_mT8_P12ihipStream_tbDpT10_ENKUlT_T0_E_clISt17integral_constantIbLb0EES1A_EEDaS15_S16_EUlS15_E_NS1_11comp_targetILNS1_3genE4ELNS1_11target_archE910ELNS1_3gpuE8ELNS1_3repE0EEENS1_30default_config_static_selectorELNS0_4arch9wavefront6targetE1EEEvT1_ ; -- Begin function _ZN7rocprim17ROCPRIM_400000_NS6detail17trampoline_kernelINS0_14default_configENS1_25partition_config_selectorILNS1_17partition_subalgoE8EjNS0_10empty_typeEbEEZZNS1_14partition_implILS5_8ELb0ES3_jN6thrust23THRUST_200600_302600_NS6detail15normal_iteratorINSA_10device_ptrIjEEEEPS6_PKS6_NS0_5tupleIJSF_S6_EEENSJ_IJSG_SG_EEENS0_18inequality_wrapperINSA_8equal_toIjEEEEPmJS6_EEE10hipError_tPvRmT3_T4_T5_T6_T7_T9_mT8_P12ihipStream_tbDpT10_ENKUlT_T0_E_clISt17integral_constantIbLb0EES1A_EEDaS15_S16_EUlS15_E_NS1_11comp_targetILNS1_3genE4ELNS1_11target_archE910ELNS1_3gpuE8ELNS1_3repE0EEENS1_30default_config_static_selectorELNS0_4arch9wavefront6targetE1EEEvT1_
	.globl	_ZN7rocprim17ROCPRIM_400000_NS6detail17trampoline_kernelINS0_14default_configENS1_25partition_config_selectorILNS1_17partition_subalgoE8EjNS0_10empty_typeEbEEZZNS1_14partition_implILS5_8ELb0ES3_jN6thrust23THRUST_200600_302600_NS6detail15normal_iteratorINSA_10device_ptrIjEEEEPS6_PKS6_NS0_5tupleIJSF_S6_EEENSJ_IJSG_SG_EEENS0_18inequality_wrapperINSA_8equal_toIjEEEEPmJS6_EEE10hipError_tPvRmT3_T4_T5_T6_T7_T9_mT8_P12ihipStream_tbDpT10_ENKUlT_T0_E_clISt17integral_constantIbLb0EES1A_EEDaS15_S16_EUlS15_E_NS1_11comp_targetILNS1_3genE4ELNS1_11target_archE910ELNS1_3gpuE8ELNS1_3repE0EEENS1_30default_config_static_selectorELNS0_4arch9wavefront6targetE1EEEvT1_
	.p2align	8
	.type	_ZN7rocprim17ROCPRIM_400000_NS6detail17trampoline_kernelINS0_14default_configENS1_25partition_config_selectorILNS1_17partition_subalgoE8EjNS0_10empty_typeEbEEZZNS1_14partition_implILS5_8ELb0ES3_jN6thrust23THRUST_200600_302600_NS6detail15normal_iteratorINSA_10device_ptrIjEEEEPS6_PKS6_NS0_5tupleIJSF_S6_EEENSJ_IJSG_SG_EEENS0_18inequality_wrapperINSA_8equal_toIjEEEEPmJS6_EEE10hipError_tPvRmT3_T4_T5_T6_T7_T9_mT8_P12ihipStream_tbDpT10_ENKUlT_T0_E_clISt17integral_constantIbLb0EES1A_EEDaS15_S16_EUlS15_E_NS1_11comp_targetILNS1_3genE4ELNS1_11target_archE910ELNS1_3gpuE8ELNS1_3repE0EEENS1_30default_config_static_selectorELNS0_4arch9wavefront6targetE1EEEvT1_,@function
_ZN7rocprim17ROCPRIM_400000_NS6detail17trampoline_kernelINS0_14default_configENS1_25partition_config_selectorILNS1_17partition_subalgoE8EjNS0_10empty_typeEbEEZZNS1_14partition_implILS5_8ELb0ES3_jN6thrust23THRUST_200600_302600_NS6detail15normal_iteratorINSA_10device_ptrIjEEEEPS6_PKS6_NS0_5tupleIJSF_S6_EEENSJ_IJSG_SG_EEENS0_18inequality_wrapperINSA_8equal_toIjEEEEPmJS6_EEE10hipError_tPvRmT3_T4_T5_T6_T7_T9_mT8_P12ihipStream_tbDpT10_ENKUlT_T0_E_clISt17integral_constantIbLb0EES1A_EEDaS15_S16_EUlS15_E_NS1_11comp_targetILNS1_3genE4ELNS1_11target_archE910ELNS1_3gpuE8ELNS1_3repE0EEENS1_30default_config_static_selectorELNS0_4arch9wavefront6targetE1EEEvT1_: ; @_ZN7rocprim17ROCPRIM_400000_NS6detail17trampoline_kernelINS0_14default_configENS1_25partition_config_selectorILNS1_17partition_subalgoE8EjNS0_10empty_typeEbEEZZNS1_14partition_implILS5_8ELb0ES3_jN6thrust23THRUST_200600_302600_NS6detail15normal_iteratorINSA_10device_ptrIjEEEEPS6_PKS6_NS0_5tupleIJSF_S6_EEENSJ_IJSG_SG_EEENS0_18inequality_wrapperINSA_8equal_toIjEEEEPmJS6_EEE10hipError_tPvRmT3_T4_T5_T6_T7_T9_mT8_P12ihipStream_tbDpT10_ENKUlT_T0_E_clISt17integral_constantIbLb0EES1A_EEDaS15_S16_EUlS15_E_NS1_11comp_targetILNS1_3genE4ELNS1_11target_archE910ELNS1_3gpuE8ELNS1_3repE0EEENS1_30default_config_static_selectorELNS0_4arch9wavefront6targetE1EEEvT1_
; %bb.0:
	.section	.rodata,"a",@progbits
	.p2align	6, 0x0
	.amdhsa_kernel _ZN7rocprim17ROCPRIM_400000_NS6detail17trampoline_kernelINS0_14default_configENS1_25partition_config_selectorILNS1_17partition_subalgoE8EjNS0_10empty_typeEbEEZZNS1_14partition_implILS5_8ELb0ES3_jN6thrust23THRUST_200600_302600_NS6detail15normal_iteratorINSA_10device_ptrIjEEEEPS6_PKS6_NS0_5tupleIJSF_S6_EEENSJ_IJSG_SG_EEENS0_18inequality_wrapperINSA_8equal_toIjEEEEPmJS6_EEE10hipError_tPvRmT3_T4_T5_T6_T7_T9_mT8_P12ihipStream_tbDpT10_ENKUlT_T0_E_clISt17integral_constantIbLb0EES1A_EEDaS15_S16_EUlS15_E_NS1_11comp_targetILNS1_3genE4ELNS1_11target_archE910ELNS1_3gpuE8ELNS1_3repE0EEENS1_30default_config_static_selectorELNS0_4arch9wavefront6targetE1EEEvT1_
		.amdhsa_group_segment_fixed_size 0
		.amdhsa_private_segment_fixed_size 0
		.amdhsa_kernarg_size 112
		.amdhsa_user_sgpr_count 6
		.amdhsa_user_sgpr_private_segment_buffer 1
		.amdhsa_user_sgpr_dispatch_ptr 0
		.amdhsa_user_sgpr_queue_ptr 0
		.amdhsa_user_sgpr_kernarg_segment_ptr 1
		.amdhsa_user_sgpr_dispatch_id 0
		.amdhsa_user_sgpr_flat_scratch_init 0
		.amdhsa_user_sgpr_private_segment_size 0
		.amdhsa_uses_dynamic_stack 0
		.amdhsa_system_sgpr_private_segment_wavefront_offset 0
		.amdhsa_system_sgpr_workgroup_id_x 1
		.amdhsa_system_sgpr_workgroup_id_y 0
		.amdhsa_system_sgpr_workgroup_id_z 0
		.amdhsa_system_sgpr_workgroup_info 0
		.amdhsa_system_vgpr_workitem_id 0
		.amdhsa_next_free_vgpr 1
		.amdhsa_next_free_sgpr 0
		.amdhsa_reserve_vcc 0
		.amdhsa_reserve_flat_scratch 0
		.amdhsa_float_round_mode_32 0
		.amdhsa_float_round_mode_16_64 0
		.amdhsa_float_denorm_mode_32 3
		.amdhsa_float_denorm_mode_16_64 3
		.amdhsa_dx10_clamp 1
		.amdhsa_ieee_mode 1
		.amdhsa_fp16_overflow 0
		.amdhsa_exception_fp_ieee_invalid_op 0
		.amdhsa_exception_fp_denorm_src 0
		.amdhsa_exception_fp_ieee_div_zero 0
		.amdhsa_exception_fp_ieee_overflow 0
		.amdhsa_exception_fp_ieee_underflow 0
		.amdhsa_exception_fp_ieee_inexact 0
		.amdhsa_exception_int_div_zero 0
	.end_amdhsa_kernel
	.section	.text._ZN7rocprim17ROCPRIM_400000_NS6detail17trampoline_kernelINS0_14default_configENS1_25partition_config_selectorILNS1_17partition_subalgoE8EjNS0_10empty_typeEbEEZZNS1_14partition_implILS5_8ELb0ES3_jN6thrust23THRUST_200600_302600_NS6detail15normal_iteratorINSA_10device_ptrIjEEEEPS6_PKS6_NS0_5tupleIJSF_S6_EEENSJ_IJSG_SG_EEENS0_18inequality_wrapperINSA_8equal_toIjEEEEPmJS6_EEE10hipError_tPvRmT3_T4_T5_T6_T7_T9_mT8_P12ihipStream_tbDpT10_ENKUlT_T0_E_clISt17integral_constantIbLb0EES1A_EEDaS15_S16_EUlS15_E_NS1_11comp_targetILNS1_3genE4ELNS1_11target_archE910ELNS1_3gpuE8ELNS1_3repE0EEENS1_30default_config_static_selectorELNS0_4arch9wavefront6targetE1EEEvT1_,"axG",@progbits,_ZN7rocprim17ROCPRIM_400000_NS6detail17trampoline_kernelINS0_14default_configENS1_25partition_config_selectorILNS1_17partition_subalgoE8EjNS0_10empty_typeEbEEZZNS1_14partition_implILS5_8ELb0ES3_jN6thrust23THRUST_200600_302600_NS6detail15normal_iteratorINSA_10device_ptrIjEEEEPS6_PKS6_NS0_5tupleIJSF_S6_EEENSJ_IJSG_SG_EEENS0_18inequality_wrapperINSA_8equal_toIjEEEEPmJS6_EEE10hipError_tPvRmT3_T4_T5_T6_T7_T9_mT8_P12ihipStream_tbDpT10_ENKUlT_T0_E_clISt17integral_constantIbLb0EES1A_EEDaS15_S16_EUlS15_E_NS1_11comp_targetILNS1_3genE4ELNS1_11target_archE910ELNS1_3gpuE8ELNS1_3repE0EEENS1_30default_config_static_selectorELNS0_4arch9wavefront6targetE1EEEvT1_,comdat
.Lfunc_end212:
	.size	_ZN7rocprim17ROCPRIM_400000_NS6detail17trampoline_kernelINS0_14default_configENS1_25partition_config_selectorILNS1_17partition_subalgoE8EjNS0_10empty_typeEbEEZZNS1_14partition_implILS5_8ELb0ES3_jN6thrust23THRUST_200600_302600_NS6detail15normal_iteratorINSA_10device_ptrIjEEEEPS6_PKS6_NS0_5tupleIJSF_S6_EEENSJ_IJSG_SG_EEENS0_18inequality_wrapperINSA_8equal_toIjEEEEPmJS6_EEE10hipError_tPvRmT3_T4_T5_T6_T7_T9_mT8_P12ihipStream_tbDpT10_ENKUlT_T0_E_clISt17integral_constantIbLb0EES1A_EEDaS15_S16_EUlS15_E_NS1_11comp_targetILNS1_3genE4ELNS1_11target_archE910ELNS1_3gpuE8ELNS1_3repE0EEENS1_30default_config_static_selectorELNS0_4arch9wavefront6targetE1EEEvT1_, .Lfunc_end212-_ZN7rocprim17ROCPRIM_400000_NS6detail17trampoline_kernelINS0_14default_configENS1_25partition_config_selectorILNS1_17partition_subalgoE8EjNS0_10empty_typeEbEEZZNS1_14partition_implILS5_8ELb0ES3_jN6thrust23THRUST_200600_302600_NS6detail15normal_iteratorINSA_10device_ptrIjEEEEPS6_PKS6_NS0_5tupleIJSF_S6_EEENSJ_IJSG_SG_EEENS0_18inequality_wrapperINSA_8equal_toIjEEEEPmJS6_EEE10hipError_tPvRmT3_T4_T5_T6_T7_T9_mT8_P12ihipStream_tbDpT10_ENKUlT_T0_E_clISt17integral_constantIbLb0EES1A_EEDaS15_S16_EUlS15_E_NS1_11comp_targetILNS1_3genE4ELNS1_11target_archE910ELNS1_3gpuE8ELNS1_3repE0EEENS1_30default_config_static_selectorELNS0_4arch9wavefront6targetE1EEEvT1_
                                        ; -- End function
	.set _ZN7rocprim17ROCPRIM_400000_NS6detail17trampoline_kernelINS0_14default_configENS1_25partition_config_selectorILNS1_17partition_subalgoE8EjNS0_10empty_typeEbEEZZNS1_14partition_implILS5_8ELb0ES3_jN6thrust23THRUST_200600_302600_NS6detail15normal_iteratorINSA_10device_ptrIjEEEEPS6_PKS6_NS0_5tupleIJSF_S6_EEENSJ_IJSG_SG_EEENS0_18inequality_wrapperINSA_8equal_toIjEEEEPmJS6_EEE10hipError_tPvRmT3_T4_T5_T6_T7_T9_mT8_P12ihipStream_tbDpT10_ENKUlT_T0_E_clISt17integral_constantIbLb0EES1A_EEDaS15_S16_EUlS15_E_NS1_11comp_targetILNS1_3genE4ELNS1_11target_archE910ELNS1_3gpuE8ELNS1_3repE0EEENS1_30default_config_static_selectorELNS0_4arch9wavefront6targetE1EEEvT1_.num_vgpr, 0
	.set _ZN7rocprim17ROCPRIM_400000_NS6detail17trampoline_kernelINS0_14default_configENS1_25partition_config_selectorILNS1_17partition_subalgoE8EjNS0_10empty_typeEbEEZZNS1_14partition_implILS5_8ELb0ES3_jN6thrust23THRUST_200600_302600_NS6detail15normal_iteratorINSA_10device_ptrIjEEEEPS6_PKS6_NS0_5tupleIJSF_S6_EEENSJ_IJSG_SG_EEENS0_18inequality_wrapperINSA_8equal_toIjEEEEPmJS6_EEE10hipError_tPvRmT3_T4_T5_T6_T7_T9_mT8_P12ihipStream_tbDpT10_ENKUlT_T0_E_clISt17integral_constantIbLb0EES1A_EEDaS15_S16_EUlS15_E_NS1_11comp_targetILNS1_3genE4ELNS1_11target_archE910ELNS1_3gpuE8ELNS1_3repE0EEENS1_30default_config_static_selectorELNS0_4arch9wavefront6targetE1EEEvT1_.num_agpr, 0
	.set _ZN7rocprim17ROCPRIM_400000_NS6detail17trampoline_kernelINS0_14default_configENS1_25partition_config_selectorILNS1_17partition_subalgoE8EjNS0_10empty_typeEbEEZZNS1_14partition_implILS5_8ELb0ES3_jN6thrust23THRUST_200600_302600_NS6detail15normal_iteratorINSA_10device_ptrIjEEEEPS6_PKS6_NS0_5tupleIJSF_S6_EEENSJ_IJSG_SG_EEENS0_18inequality_wrapperINSA_8equal_toIjEEEEPmJS6_EEE10hipError_tPvRmT3_T4_T5_T6_T7_T9_mT8_P12ihipStream_tbDpT10_ENKUlT_T0_E_clISt17integral_constantIbLb0EES1A_EEDaS15_S16_EUlS15_E_NS1_11comp_targetILNS1_3genE4ELNS1_11target_archE910ELNS1_3gpuE8ELNS1_3repE0EEENS1_30default_config_static_selectorELNS0_4arch9wavefront6targetE1EEEvT1_.numbered_sgpr, 0
	.set _ZN7rocprim17ROCPRIM_400000_NS6detail17trampoline_kernelINS0_14default_configENS1_25partition_config_selectorILNS1_17partition_subalgoE8EjNS0_10empty_typeEbEEZZNS1_14partition_implILS5_8ELb0ES3_jN6thrust23THRUST_200600_302600_NS6detail15normal_iteratorINSA_10device_ptrIjEEEEPS6_PKS6_NS0_5tupleIJSF_S6_EEENSJ_IJSG_SG_EEENS0_18inequality_wrapperINSA_8equal_toIjEEEEPmJS6_EEE10hipError_tPvRmT3_T4_T5_T6_T7_T9_mT8_P12ihipStream_tbDpT10_ENKUlT_T0_E_clISt17integral_constantIbLb0EES1A_EEDaS15_S16_EUlS15_E_NS1_11comp_targetILNS1_3genE4ELNS1_11target_archE910ELNS1_3gpuE8ELNS1_3repE0EEENS1_30default_config_static_selectorELNS0_4arch9wavefront6targetE1EEEvT1_.num_named_barrier, 0
	.set _ZN7rocprim17ROCPRIM_400000_NS6detail17trampoline_kernelINS0_14default_configENS1_25partition_config_selectorILNS1_17partition_subalgoE8EjNS0_10empty_typeEbEEZZNS1_14partition_implILS5_8ELb0ES3_jN6thrust23THRUST_200600_302600_NS6detail15normal_iteratorINSA_10device_ptrIjEEEEPS6_PKS6_NS0_5tupleIJSF_S6_EEENSJ_IJSG_SG_EEENS0_18inequality_wrapperINSA_8equal_toIjEEEEPmJS6_EEE10hipError_tPvRmT3_T4_T5_T6_T7_T9_mT8_P12ihipStream_tbDpT10_ENKUlT_T0_E_clISt17integral_constantIbLb0EES1A_EEDaS15_S16_EUlS15_E_NS1_11comp_targetILNS1_3genE4ELNS1_11target_archE910ELNS1_3gpuE8ELNS1_3repE0EEENS1_30default_config_static_selectorELNS0_4arch9wavefront6targetE1EEEvT1_.private_seg_size, 0
	.set _ZN7rocprim17ROCPRIM_400000_NS6detail17trampoline_kernelINS0_14default_configENS1_25partition_config_selectorILNS1_17partition_subalgoE8EjNS0_10empty_typeEbEEZZNS1_14partition_implILS5_8ELb0ES3_jN6thrust23THRUST_200600_302600_NS6detail15normal_iteratorINSA_10device_ptrIjEEEEPS6_PKS6_NS0_5tupleIJSF_S6_EEENSJ_IJSG_SG_EEENS0_18inequality_wrapperINSA_8equal_toIjEEEEPmJS6_EEE10hipError_tPvRmT3_T4_T5_T6_T7_T9_mT8_P12ihipStream_tbDpT10_ENKUlT_T0_E_clISt17integral_constantIbLb0EES1A_EEDaS15_S16_EUlS15_E_NS1_11comp_targetILNS1_3genE4ELNS1_11target_archE910ELNS1_3gpuE8ELNS1_3repE0EEENS1_30default_config_static_selectorELNS0_4arch9wavefront6targetE1EEEvT1_.uses_vcc, 0
	.set _ZN7rocprim17ROCPRIM_400000_NS6detail17trampoline_kernelINS0_14default_configENS1_25partition_config_selectorILNS1_17partition_subalgoE8EjNS0_10empty_typeEbEEZZNS1_14partition_implILS5_8ELb0ES3_jN6thrust23THRUST_200600_302600_NS6detail15normal_iteratorINSA_10device_ptrIjEEEEPS6_PKS6_NS0_5tupleIJSF_S6_EEENSJ_IJSG_SG_EEENS0_18inequality_wrapperINSA_8equal_toIjEEEEPmJS6_EEE10hipError_tPvRmT3_T4_T5_T6_T7_T9_mT8_P12ihipStream_tbDpT10_ENKUlT_T0_E_clISt17integral_constantIbLb0EES1A_EEDaS15_S16_EUlS15_E_NS1_11comp_targetILNS1_3genE4ELNS1_11target_archE910ELNS1_3gpuE8ELNS1_3repE0EEENS1_30default_config_static_selectorELNS0_4arch9wavefront6targetE1EEEvT1_.uses_flat_scratch, 0
	.set _ZN7rocprim17ROCPRIM_400000_NS6detail17trampoline_kernelINS0_14default_configENS1_25partition_config_selectorILNS1_17partition_subalgoE8EjNS0_10empty_typeEbEEZZNS1_14partition_implILS5_8ELb0ES3_jN6thrust23THRUST_200600_302600_NS6detail15normal_iteratorINSA_10device_ptrIjEEEEPS6_PKS6_NS0_5tupleIJSF_S6_EEENSJ_IJSG_SG_EEENS0_18inequality_wrapperINSA_8equal_toIjEEEEPmJS6_EEE10hipError_tPvRmT3_T4_T5_T6_T7_T9_mT8_P12ihipStream_tbDpT10_ENKUlT_T0_E_clISt17integral_constantIbLb0EES1A_EEDaS15_S16_EUlS15_E_NS1_11comp_targetILNS1_3genE4ELNS1_11target_archE910ELNS1_3gpuE8ELNS1_3repE0EEENS1_30default_config_static_selectorELNS0_4arch9wavefront6targetE1EEEvT1_.has_dyn_sized_stack, 0
	.set _ZN7rocprim17ROCPRIM_400000_NS6detail17trampoline_kernelINS0_14default_configENS1_25partition_config_selectorILNS1_17partition_subalgoE8EjNS0_10empty_typeEbEEZZNS1_14partition_implILS5_8ELb0ES3_jN6thrust23THRUST_200600_302600_NS6detail15normal_iteratorINSA_10device_ptrIjEEEEPS6_PKS6_NS0_5tupleIJSF_S6_EEENSJ_IJSG_SG_EEENS0_18inequality_wrapperINSA_8equal_toIjEEEEPmJS6_EEE10hipError_tPvRmT3_T4_T5_T6_T7_T9_mT8_P12ihipStream_tbDpT10_ENKUlT_T0_E_clISt17integral_constantIbLb0EES1A_EEDaS15_S16_EUlS15_E_NS1_11comp_targetILNS1_3genE4ELNS1_11target_archE910ELNS1_3gpuE8ELNS1_3repE0EEENS1_30default_config_static_selectorELNS0_4arch9wavefront6targetE1EEEvT1_.has_recursion, 0
	.set _ZN7rocprim17ROCPRIM_400000_NS6detail17trampoline_kernelINS0_14default_configENS1_25partition_config_selectorILNS1_17partition_subalgoE8EjNS0_10empty_typeEbEEZZNS1_14partition_implILS5_8ELb0ES3_jN6thrust23THRUST_200600_302600_NS6detail15normal_iteratorINSA_10device_ptrIjEEEEPS6_PKS6_NS0_5tupleIJSF_S6_EEENSJ_IJSG_SG_EEENS0_18inequality_wrapperINSA_8equal_toIjEEEEPmJS6_EEE10hipError_tPvRmT3_T4_T5_T6_T7_T9_mT8_P12ihipStream_tbDpT10_ENKUlT_T0_E_clISt17integral_constantIbLb0EES1A_EEDaS15_S16_EUlS15_E_NS1_11comp_targetILNS1_3genE4ELNS1_11target_archE910ELNS1_3gpuE8ELNS1_3repE0EEENS1_30default_config_static_selectorELNS0_4arch9wavefront6targetE1EEEvT1_.has_indirect_call, 0
	.section	.AMDGPU.csdata,"",@progbits
; Kernel info:
; codeLenInByte = 0
; TotalNumSgprs: 4
; NumVgprs: 0
; ScratchSize: 0
; MemoryBound: 0
; FloatMode: 240
; IeeeMode: 1
; LDSByteSize: 0 bytes/workgroup (compile time only)
; SGPRBlocks: 0
; VGPRBlocks: 0
; NumSGPRsForWavesPerEU: 4
; NumVGPRsForWavesPerEU: 1
; Occupancy: 10
; WaveLimiterHint : 0
; COMPUTE_PGM_RSRC2:SCRATCH_EN: 0
; COMPUTE_PGM_RSRC2:USER_SGPR: 6
; COMPUTE_PGM_RSRC2:TRAP_HANDLER: 0
; COMPUTE_PGM_RSRC2:TGID_X_EN: 1
; COMPUTE_PGM_RSRC2:TGID_Y_EN: 0
; COMPUTE_PGM_RSRC2:TGID_Z_EN: 0
; COMPUTE_PGM_RSRC2:TIDIG_COMP_CNT: 0
	.section	.text._ZN7rocprim17ROCPRIM_400000_NS6detail17trampoline_kernelINS0_14default_configENS1_25partition_config_selectorILNS1_17partition_subalgoE8EjNS0_10empty_typeEbEEZZNS1_14partition_implILS5_8ELb0ES3_jN6thrust23THRUST_200600_302600_NS6detail15normal_iteratorINSA_10device_ptrIjEEEEPS6_PKS6_NS0_5tupleIJSF_S6_EEENSJ_IJSG_SG_EEENS0_18inequality_wrapperINSA_8equal_toIjEEEEPmJS6_EEE10hipError_tPvRmT3_T4_T5_T6_T7_T9_mT8_P12ihipStream_tbDpT10_ENKUlT_T0_E_clISt17integral_constantIbLb0EES1A_EEDaS15_S16_EUlS15_E_NS1_11comp_targetILNS1_3genE3ELNS1_11target_archE908ELNS1_3gpuE7ELNS1_3repE0EEENS1_30default_config_static_selectorELNS0_4arch9wavefront6targetE1EEEvT1_,"axG",@progbits,_ZN7rocprim17ROCPRIM_400000_NS6detail17trampoline_kernelINS0_14default_configENS1_25partition_config_selectorILNS1_17partition_subalgoE8EjNS0_10empty_typeEbEEZZNS1_14partition_implILS5_8ELb0ES3_jN6thrust23THRUST_200600_302600_NS6detail15normal_iteratorINSA_10device_ptrIjEEEEPS6_PKS6_NS0_5tupleIJSF_S6_EEENSJ_IJSG_SG_EEENS0_18inequality_wrapperINSA_8equal_toIjEEEEPmJS6_EEE10hipError_tPvRmT3_T4_T5_T6_T7_T9_mT8_P12ihipStream_tbDpT10_ENKUlT_T0_E_clISt17integral_constantIbLb0EES1A_EEDaS15_S16_EUlS15_E_NS1_11comp_targetILNS1_3genE3ELNS1_11target_archE908ELNS1_3gpuE7ELNS1_3repE0EEENS1_30default_config_static_selectorELNS0_4arch9wavefront6targetE1EEEvT1_,comdat
	.protected	_ZN7rocprim17ROCPRIM_400000_NS6detail17trampoline_kernelINS0_14default_configENS1_25partition_config_selectorILNS1_17partition_subalgoE8EjNS0_10empty_typeEbEEZZNS1_14partition_implILS5_8ELb0ES3_jN6thrust23THRUST_200600_302600_NS6detail15normal_iteratorINSA_10device_ptrIjEEEEPS6_PKS6_NS0_5tupleIJSF_S6_EEENSJ_IJSG_SG_EEENS0_18inequality_wrapperINSA_8equal_toIjEEEEPmJS6_EEE10hipError_tPvRmT3_T4_T5_T6_T7_T9_mT8_P12ihipStream_tbDpT10_ENKUlT_T0_E_clISt17integral_constantIbLb0EES1A_EEDaS15_S16_EUlS15_E_NS1_11comp_targetILNS1_3genE3ELNS1_11target_archE908ELNS1_3gpuE7ELNS1_3repE0EEENS1_30default_config_static_selectorELNS0_4arch9wavefront6targetE1EEEvT1_ ; -- Begin function _ZN7rocprim17ROCPRIM_400000_NS6detail17trampoline_kernelINS0_14default_configENS1_25partition_config_selectorILNS1_17partition_subalgoE8EjNS0_10empty_typeEbEEZZNS1_14partition_implILS5_8ELb0ES3_jN6thrust23THRUST_200600_302600_NS6detail15normal_iteratorINSA_10device_ptrIjEEEEPS6_PKS6_NS0_5tupleIJSF_S6_EEENSJ_IJSG_SG_EEENS0_18inequality_wrapperINSA_8equal_toIjEEEEPmJS6_EEE10hipError_tPvRmT3_T4_T5_T6_T7_T9_mT8_P12ihipStream_tbDpT10_ENKUlT_T0_E_clISt17integral_constantIbLb0EES1A_EEDaS15_S16_EUlS15_E_NS1_11comp_targetILNS1_3genE3ELNS1_11target_archE908ELNS1_3gpuE7ELNS1_3repE0EEENS1_30default_config_static_selectorELNS0_4arch9wavefront6targetE1EEEvT1_
	.globl	_ZN7rocprim17ROCPRIM_400000_NS6detail17trampoline_kernelINS0_14default_configENS1_25partition_config_selectorILNS1_17partition_subalgoE8EjNS0_10empty_typeEbEEZZNS1_14partition_implILS5_8ELb0ES3_jN6thrust23THRUST_200600_302600_NS6detail15normal_iteratorINSA_10device_ptrIjEEEEPS6_PKS6_NS0_5tupleIJSF_S6_EEENSJ_IJSG_SG_EEENS0_18inequality_wrapperINSA_8equal_toIjEEEEPmJS6_EEE10hipError_tPvRmT3_T4_T5_T6_T7_T9_mT8_P12ihipStream_tbDpT10_ENKUlT_T0_E_clISt17integral_constantIbLb0EES1A_EEDaS15_S16_EUlS15_E_NS1_11comp_targetILNS1_3genE3ELNS1_11target_archE908ELNS1_3gpuE7ELNS1_3repE0EEENS1_30default_config_static_selectorELNS0_4arch9wavefront6targetE1EEEvT1_
	.p2align	8
	.type	_ZN7rocprim17ROCPRIM_400000_NS6detail17trampoline_kernelINS0_14default_configENS1_25partition_config_selectorILNS1_17partition_subalgoE8EjNS0_10empty_typeEbEEZZNS1_14partition_implILS5_8ELb0ES3_jN6thrust23THRUST_200600_302600_NS6detail15normal_iteratorINSA_10device_ptrIjEEEEPS6_PKS6_NS0_5tupleIJSF_S6_EEENSJ_IJSG_SG_EEENS0_18inequality_wrapperINSA_8equal_toIjEEEEPmJS6_EEE10hipError_tPvRmT3_T4_T5_T6_T7_T9_mT8_P12ihipStream_tbDpT10_ENKUlT_T0_E_clISt17integral_constantIbLb0EES1A_EEDaS15_S16_EUlS15_E_NS1_11comp_targetILNS1_3genE3ELNS1_11target_archE908ELNS1_3gpuE7ELNS1_3repE0EEENS1_30default_config_static_selectorELNS0_4arch9wavefront6targetE1EEEvT1_,@function
_ZN7rocprim17ROCPRIM_400000_NS6detail17trampoline_kernelINS0_14default_configENS1_25partition_config_selectorILNS1_17partition_subalgoE8EjNS0_10empty_typeEbEEZZNS1_14partition_implILS5_8ELb0ES3_jN6thrust23THRUST_200600_302600_NS6detail15normal_iteratorINSA_10device_ptrIjEEEEPS6_PKS6_NS0_5tupleIJSF_S6_EEENSJ_IJSG_SG_EEENS0_18inequality_wrapperINSA_8equal_toIjEEEEPmJS6_EEE10hipError_tPvRmT3_T4_T5_T6_T7_T9_mT8_P12ihipStream_tbDpT10_ENKUlT_T0_E_clISt17integral_constantIbLb0EES1A_EEDaS15_S16_EUlS15_E_NS1_11comp_targetILNS1_3genE3ELNS1_11target_archE908ELNS1_3gpuE7ELNS1_3repE0EEENS1_30default_config_static_selectorELNS0_4arch9wavefront6targetE1EEEvT1_: ; @_ZN7rocprim17ROCPRIM_400000_NS6detail17trampoline_kernelINS0_14default_configENS1_25partition_config_selectorILNS1_17partition_subalgoE8EjNS0_10empty_typeEbEEZZNS1_14partition_implILS5_8ELb0ES3_jN6thrust23THRUST_200600_302600_NS6detail15normal_iteratorINSA_10device_ptrIjEEEEPS6_PKS6_NS0_5tupleIJSF_S6_EEENSJ_IJSG_SG_EEENS0_18inequality_wrapperINSA_8equal_toIjEEEEPmJS6_EEE10hipError_tPvRmT3_T4_T5_T6_T7_T9_mT8_P12ihipStream_tbDpT10_ENKUlT_T0_E_clISt17integral_constantIbLb0EES1A_EEDaS15_S16_EUlS15_E_NS1_11comp_targetILNS1_3genE3ELNS1_11target_archE908ELNS1_3gpuE7ELNS1_3repE0EEENS1_30default_config_static_selectorELNS0_4arch9wavefront6targetE1EEEvT1_
; %bb.0:
	.section	.rodata,"a",@progbits
	.p2align	6, 0x0
	.amdhsa_kernel _ZN7rocprim17ROCPRIM_400000_NS6detail17trampoline_kernelINS0_14default_configENS1_25partition_config_selectorILNS1_17partition_subalgoE8EjNS0_10empty_typeEbEEZZNS1_14partition_implILS5_8ELb0ES3_jN6thrust23THRUST_200600_302600_NS6detail15normal_iteratorINSA_10device_ptrIjEEEEPS6_PKS6_NS0_5tupleIJSF_S6_EEENSJ_IJSG_SG_EEENS0_18inequality_wrapperINSA_8equal_toIjEEEEPmJS6_EEE10hipError_tPvRmT3_T4_T5_T6_T7_T9_mT8_P12ihipStream_tbDpT10_ENKUlT_T0_E_clISt17integral_constantIbLb0EES1A_EEDaS15_S16_EUlS15_E_NS1_11comp_targetILNS1_3genE3ELNS1_11target_archE908ELNS1_3gpuE7ELNS1_3repE0EEENS1_30default_config_static_selectorELNS0_4arch9wavefront6targetE1EEEvT1_
		.amdhsa_group_segment_fixed_size 0
		.amdhsa_private_segment_fixed_size 0
		.amdhsa_kernarg_size 112
		.amdhsa_user_sgpr_count 6
		.amdhsa_user_sgpr_private_segment_buffer 1
		.amdhsa_user_sgpr_dispatch_ptr 0
		.amdhsa_user_sgpr_queue_ptr 0
		.amdhsa_user_sgpr_kernarg_segment_ptr 1
		.amdhsa_user_sgpr_dispatch_id 0
		.amdhsa_user_sgpr_flat_scratch_init 0
		.amdhsa_user_sgpr_private_segment_size 0
		.amdhsa_uses_dynamic_stack 0
		.amdhsa_system_sgpr_private_segment_wavefront_offset 0
		.amdhsa_system_sgpr_workgroup_id_x 1
		.amdhsa_system_sgpr_workgroup_id_y 0
		.amdhsa_system_sgpr_workgroup_id_z 0
		.amdhsa_system_sgpr_workgroup_info 0
		.amdhsa_system_vgpr_workitem_id 0
		.amdhsa_next_free_vgpr 1
		.amdhsa_next_free_sgpr 0
		.amdhsa_reserve_vcc 0
		.amdhsa_reserve_flat_scratch 0
		.amdhsa_float_round_mode_32 0
		.amdhsa_float_round_mode_16_64 0
		.amdhsa_float_denorm_mode_32 3
		.amdhsa_float_denorm_mode_16_64 3
		.amdhsa_dx10_clamp 1
		.amdhsa_ieee_mode 1
		.amdhsa_fp16_overflow 0
		.amdhsa_exception_fp_ieee_invalid_op 0
		.amdhsa_exception_fp_denorm_src 0
		.amdhsa_exception_fp_ieee_div_zero 0
		.amdhsa_exception_fp_ieee_overflow 0
		.amdhsa_exception_fp_ieee_underflow 0
		.amdhsa_exception_fp_ieee_inexact 0
		.amdhsa_exception_int_div_zero 0
	.end_amdhsa_kernel
	.section	.text._ZN7rocprim17ROCPRIM_400000_NS6detail17trampoline_kernelINS0_14default_configENS1_25partition_config_selectorILNS1_17partition_subalgoE8EjNS0_10empty_typeEbEEZZNS1_14partition_implILS5_8ELb0ES3_jN6thrust23THRUST_200600_302600_NS6detail15normal_iteratorINSA_10device_ptrIjEEEEPS6_PKS6_NS0_5tupleIJSF_S6_EEENSJ_IJSG_SG_EEENS0_18inequality_wrapperINSA_8equal_toIjEEEEPmJS6_EEE10hipError_tPvRmT3_T4_T5_T6_T7_T9_mT8_P12ihipStream_tbDpT10_ENKUlT_T0_E_clISt17integral_constantIbLb0EES1A_EEDaS15_S16_EUlS15_E_NS1_11comp_targetILNS1_3genE3ELNS1_11target_archE908ELNS1_3gpuE7ELNS1_3repE0EEENS1_30default_config_static_selectorELNS0_4arch9wavefront6targetE1EEEvT1_,"axG",@progbits,_ZN7rocprim17ROCPRIM_400000_NS6detail17trampoline_kernelINS0_14default_configENS1_25partition_config_selectorILNS1_17partition_subalgoE8EjNS0_10empty_typeEbEEZZNS1_14partition_implILS5_8ELb0ES3_jN6thrust23THRUST_200600_302600_NS6detail15normal_iteratorINSA_10device_ptrIjEEEEPS6_PKS6_NS0_5tupleIJSF_S6_EEENSJ_IJSG_SG_EEENS0_18inequality_wrapperINSA_8equal_toIjEEEEPmJS6_EEE10hipError_tPvRmT3_T4_T5_T6_T7_T9_mT8_P12ihipStream_tbDpT10_ENKUlT_T0_E_clISt17integral_constantIbLb0EES1A_EEDaS15_S16_EUlS15_E_NS1_11comp_targetILNS1_3genE3ELNS1_11target_archE908ELNS1_3gpuE7ELNS1_3repE0EEENS1_30default_config_static_selectorELNS0_4arch9wavefront6targetE1EEEvT1_,comdat
.Lfunc_end213:
	.size	_ZN7rocprim17ROCPRIM_400000_NS6detail17trampoline_kernelINS0_14default_configENS1_25partition_config_selectorILNS1_17partition_subalgoE8EjNS0_10empty_typeEbEEZZNS1_14partition_implILS5_8ELb0ES3_jN6thrust23THRUST_200600_302600_NS6detail15normal_iteratorINSA_10device_ptrIjEEEEPS6_PKS6_NS0_5tupleIJSF_S6_EEENSJ_IJSG_SG_EEENS0_18inequality_wrapperINSA_8equal_toIjEEEEPmJS6_EEE10hipError_tPvRmT3_T4_T5_T6_T7_T9_mT8_P12ihipStream_tbDpT10_ENKUlT_T0_E_clISt17integral_constantIbLb0EES1A_EEDaS15_S16_EUlS15_E_NS1_11comp_targetILNS1_3genE3ELNS1_11target_archE908ELNS1_3gpuE7ELNS1_3repE0EEENS1_30default_config_static_selectorELNS0_4arch9wavefront6targetE1EEEvT1_, .Lfunc_end213-_ZN7rocprim17ROCPRIM_400000_NS6detail17trampoline_kernelINS0_14default_configENS1_25partition_config_selectorILNS1_17partition_subalgoE8EjNS0_10empty_typeEbEEZZNS1_14partition_implILS5_8ELb0ES3_jN6thrust23THRUST_200600_302600_NS6detail15normal_iteratorINSA_10device_ptrIjEEEEPS6_PKS6_NS0_5tupleIJSF_S6_EEENSJ_IJSG_SG_EEENS0_18inequality_wrapperINSA_8equal_toIjEEEEPmJS6_EEE10hipError_tPvRmT3_T4_T5_T6_T7_T9_mT8_P12ihipStream_tbDpT10_ENKUlT_T0_E_clISt17integral_constantIbLb0EES1A_EEDaS15_S16_EUlS15_E_NS1_11comp_targetILNS1_3genE3ELNS1_11target_archE908ELNS1_3gpuE7ELNS1_3repE0EEENS1_30default_config_static_selectorELNS0_4arch9wavefront6targetE1EEEvT1_
                                        ; -- End function
	.set _ZN7rocprim17ROCPRIM_400000_NS6detail17trampoline_kernelINS0_14default_configENS1_25partition_config_selectorILNS1_17partition_subalgoE8EjNS0_10empty_typeEbEEZZNS1_14partition_implILS5_8ELb0ES3_jN6thrust23THRUST_200600_302600_NS6detail15normal_iteratorINSA_10device_ptrIjEEEEPS6_PKS6_NS0_5tupleIJSF_S6_EEENSJ_IJSG_SG_EEENS0_18inequality_wrapperINSA_8equal_toIjEEEEPmJS6_EEE10hipError_tPvRmT3_T4_T5_T6_T7_T9_mT8_P12ihipStream_tbDpT10_ENKUlT_T0_E_clISt17integral_constantIbLb0EES1A_EEDaS15_S16_EUlS15_E_NS1_11comp_targetILNS1_3genE3ELNS1_11target_archE908ELNS1_3gpuE7ELNS1_3repE0EEENS1_30default_config_static_selectorELNS0_4arch9wavefront6targetE1EEEvT1_.num_vgpr, 0
	.set _ZN7rocprim17ROCPRIM_400000_NS6detail17trampoline_kernelINS0_14default_configENS1_25partition_config_selectorILNS1_17partition_subalgoE8EjNS0_10empty_typeEbEEZZNS1_14partition_implILS5_8ELb0ES3_jN6thrust23THRUST_200600_302600_NS6detail15normal_iteratorINSA_10device_ptrIjEEEEPS6_PKS6_NS0_5tupleIJSF_S6_EEENSJ_IJSG_SG_EEENS0_18inequality_wrapperINSA_8equal_toIjEEEEPmJS6_EEE10hipError_tPvRmT3_T4_T5_T6_T7_T9_mT8_P12ihipStream_tbDpT10_ENKUlT_T0_E_clISt17integral_constantIbLb0EES1A_EEDaS15_S16_EUlS15_E_NS1_11comp_targetILNS1_3genE3ELNS1_11target_archE908ELNS1_3gpuE7ELNS1_3repE0EEENS1_30default_config_static_selectorELNS0_4arch9wavefront6targetE1EEEvT1_.num_agpr, 0
	.set _ZN7rocprim17ROCPRIM_400000_NS6detail17trampoline_kernelINS0_14default_configENS1_25partition_config_selectorILNS1_17partition_subalgoE8EjNS0_10empty_typeEbEEZZNS1_14partition_implILS5_8ELb0ES3_jN6thrust23THRUST_200600_302600_NS6detail15normal_iteratorINSA_10device_ptrIjEEEEPS6_PKS6_NS0_5tupleIJSF_S6_EEENSJ_IJSG_SG_EEENS0_18inequality_wrapperINSA_8equal_toIjEEEEPmJS6_EEE10hipError_tPvRmT3_T4_T5_T6_T7_T9_mT8_P12ihipStream_tbDpT10_ENKUlT_T0_E_clISt17integral_constantIbLb0EES1A_EEDaS15_S16_EUlS15_E_NS1_11comp_targetILNS1_3genE3ELNS1_11target_archE908ELNS1_3gpuE7ELNS1_3repE0EEENS1_30default_config_static_selectorELNS0_4arch9wavefront6targetE1EEEvT1_.numbered_sgpr, 0
	.set _ZN7rocprim17ROCPRIM_400000_NS6detail17trampoline_kernelINS0_14default_configENS1_25partition_config_selectorILNS1_17partition_subalgoE8EjNS0_10empty_typeEbEEZZNS1_14partition_implILS5_8ELb0ES3_jN6thrust23THRUST_200600_302600_NS6detail15normal_iteratorINSA_10device_ptrIjEEEEPS6_PKS6_NS0_5tupleIJSF_S6_EEENSJ_IJSG_SG_EEENS0_18inequality_wrapperINSA_8equal_toIjEEEEPmJS6_EEE10hipError_tPvRmT3_T4_T5_T6_T7_T9_mT8_P12ihipStream_tbDpT10_ENKUlT_T0_E_clISt17integral_constantIbLb0EES1A_EEDaS15_S16_EUlS15_E_NS1_11comp_targetILNS1_3genE3ELNS1_11target_archE908ELNS1_3gpuE7ELNS1_3repE0EEENS1_30default_config_static_selectorELNS0_4arch9wavefront6targetE1EEEvT1_.num_named_barrier, 0
	.set _ZN7rocprim17ROCPRIM_400000_NS6detail17trampoline_kernelINS0_14default_configENS1_25partition_config_selectorILNS1_17partition_subalgoE8EjNS0_10empty_typeEbEEZZNS1_14partition_implILS5_8ELb0ES3_jN6thrust23THRUST_200600_302600_NS6detail15normal_iteratorINSA_10device_ptrIjEEEEPS6_PKS6_NS0_5tupleIJSF_S6_EEENSJ_IJSG_SG_EEENS0_18inequality_wrapperINSA_8equal_toIjEEEEPmJS6_EEE10hipError_tPvRmT3_T4_T5_T6_T7_T9_mT8_P12ihipStream_tbDpT10_ENKUlT_T0_E_clISt17integral_constantIbLb0EES1A_EEDaS15_S16_EUlS15_E_NS1_11comp_targetILNS1_3genE3ELNS1_11target_archE908ELNS1_3gpuE7ELNS1_3repE0EEENS1_30default_config_static_selectorELNS0_4arch9wavefront6targetE1EEEvT1_.private_seg_size, 0
	.set _ZN7rocprim17ROCPRIM_400000_NS6detail17trampoline_kernelINS0_14default_configENS1_25partition_config_selectorILNS1_17partition_subalgoE8EjNS0_10empty_typeEbEEZZNS1_14partition_implILS5_8ELb0ES3_jN6thrust23THRUST_200600_302600_NS6detail15normal_iteratorINSA_10device_ptrIjEEEEPS6_PKS6_NS0_5tupleIJSF_S6_EEENSJ_IJSG_SG_EEENS0_18inequality_wrapperINSA_8equal_toIjEEEEPmJS6_EEE10hipError_tPvRmT3_T4_T5_T6_T7_T9_mT8_P12ihipStream_tbDpT10_ENKUlT_T0_E_clISt17integral_constantIbLb0EES1A_EEDaS15_S16_EUlS15_E_NS1_11comp_targetILNS1_3genE3ELNS1_11target_archE908ELNS1_3gpuE7ELNS1_3repE0EEENS1_30default_config_static_selectorELNS0_4arch9wavefront6targetE1EEEvT1_.uses_vcc, 0
	.set _ZN7rocprim17ROCPRIM_400000_NS6detail17trampoline_kernelINS0_14default_configENS1_25partition_config_selectorILNS1_17partition_subalgoE8EjNS0_10empty_typeEbEEZZNS1_14partition_implILS5_8ELb0ES3_jN6thrust23THRUST_200600_302600_NS6detail15normal_iteratorINSA_10device_ptrIjEEEEPS6_PKS6_NS0_5tupleIJSF_S6_EEENSJ_IJSG_SG_EEENS0_18inequality_wrapperINSA_8equal_toIjEEEEPmJS6_EEE10hipError_tPvRmT3_T4_T5_T6_T7_T9_mT8_P12ihipStream_tbDpT10_ENKUlT_T0_E_clISt17integral_constantIbLb0EES1A_EEDaS15_S16_EUlS15_E_NS1_11comp_targetILNS1_3genE3ELNS1_11target_archE908ELNS1_3gpuE7ELNS1_3repE0EEENS1_30default_config_static_selectorELNS0_4arch9wavefront6targetE1EEEvT1_.uses_flat_scratch, 0
	.set _ZN7rocprim17ROCPRIM_400000_NS6detail17trampoline_kernelINS0_14default_configENS1_25partition_config_selectorILNS1_17partition_subalgoE8EjNS0_10empty_typeEbEEZZNS1_14partition_implILS5_8ELb0ES3_jN6thrust23THRUST_200600_302600_NS6detail15normal_iteratorINSA_10device_ptrIjEEEEPS6_PKS6_NS0_5tupleIJSF_S6_EEENSJ_IJSG_SG_EEENS0_18inequality_wrapperINSA_8equal_toIjEEEEPmJS6_EEE10hipError_tPvRmT3_T4_T5_T6_T7_T9_mT8_P12ihipStream_tbDpT10_ENKUlT_T0_E_clISt17integral_constantIbLb0EES1A_EEDaS15_S16_EUlS15_E_NS1_11comp_targetILNS1_3genE3ELNS1_11target_archE908ELNS1_3gpuE7ELNS1_3repE0EEENS1_30default_config_static_selectorELNS0_4arch9wavefront6targetE1EEEvT1_.has_dyn_sized_stack, 0
	.set _ZN7rocprim17ROCPRIM_400000_NS6detail17trampoline_kernelINS0_14default_configENS1_25partition_config_selectorILNS1_17partition_subalgoE8EjNS0_10empty_typeEbEEZZNS1_14partition_implILS5_8ELb0ES3_jN6thrust23THRUST_200600_302600_NS6detail15normal_iteratorINSA_10device_ptrIjEEEEPS6_PKS6_NS0_5tupleIJSF_S6_EEENSJ_IJSG_SG_EEENS0_18inequality_wrapperINSA_8equal_toIjEEEEPmJS6_EEE10hipError_tPvRmT3_T4_T5_T6_T7_T9_mT8_P12ihipStream_tbDpT10_ENKUlT_T0_E_clISt17integral_constantIbLb0EES1A_EEDaS15_S16_EUlS15_E_NS1_11comp_targetILNS1_3genE3ELNS1_11target_archE908ELNS1_3gpuE7ELNS1_3repE0EEENS1_30default_config_static_selectorELNS0_4arch9wavefront6targetE1EEEvT1_.has_recursion, 0
	.set _ZN7rocprim17ROCPRIM_400000_NS6detail17trampoline_kernelINS0_14default_configENS1_25partition_config_selectorILNS1_17partition_subalgoE8EjNS0_10empty_typeEbEEZZNS1_14partition_implILS5_8ELb0ES3_jN6thrust23THRUST_200600_302600_NS6detail15normal_iteratorINSA_10device_ptrIjEEEEPS6_PKS6_NS0_5tupleIJSF_S6_EEENSJ_IJSG_SG_EEENS0_18inequality_wrapperINSA_8equal_toIjEEEEPmJS6_EEE10hipError_tPvRmT3_T4_T5_T6_T7_T9_mT8_P12ihipStream_tbDpT10_ENKUlT_T0_E_clISt17integral_constantIbLb0EES1A_EEDaS15_S16_EUlS15_E_NS1_11comp_targetILNS1_3genE3ELNS1_11target_archE908ELNS1_3gpuE7ELNS1_3repE0EEENS1_30default_config_static_selectorELNS0_4arch9wavefront6targetE1EEEvT1_.has_indirect_call, 0
	.section	.AMDGPU.csdata,"",@progbits
; Kernel info:
; codeLenInByte = 0
; TotalNumSgprs: 4
; NumVgprs: 0
; ScratchSize: 0
; MemoryBound: 0
; FloatMode: 240
; IeeeMode: 1
; LDSByteSize: 0 bytes/workgroup (compile time only)
; SGPRBlocks: 0
; VGPRBlocks: 0
; NumSGPRsForWavesPerEU: 4
; NumVGPRsForWavesPerEU: 1
; Occupancy: 10
; WaveLimiterHint : 0
; COMPUTE_PGM_RSRC2:SCRATCH_EN: 0
; COMPUTE_PGM_RSRC2:USER_SGPR: 6
; COMPUTE_PGM_RSRC2:TRAP_HANDLER: 0
; COMPUTE_PGM_RSRC2:TGID_X_EN: 1
; COMPUTE_PGM_RSRC2:TGID_Y_EN: 0
; COMPUTE_PGM_RSRC2:TGID_Z_EN: 0
; COMPUTE_PGM_RSRC2:TIDIG_COMP_CNT: 0
	.section	.text._ZN7rocprim17ROCPRIM_400000_NS6detail17trampoline_kernelINS0_14default_configENS1_25partition_config_selectorILNS1_17partition_subalgoE8EjNS0_10empty_typeEbEEZZNS1_14partition_implILS5_8ELb0ES3_jN6thrust23THRUST_200600_302600_NS6detail15normal_iteratorINSA_10device_ptrIjEEEEPS6_PKS6_NS0_5tupleIJSF_S6_EEENSJ_IJSG_SG_EEENS0_18inequality_wrapperINSA_8equal_toIjEEEEPmJS6_EEE10hipError_tPvRmT3_T4_T5_T6_T7_T9_mT8_P12ihipStream_tbDpT10_ENKUlT_T0_E_clISt17integral_constantIbLb0EES1A_EEDaS15_S16_EUlS15_E_NS1_11comp_targetILNS1_3genE2ELNS1_11target_archE906ELNS1_3gpuE6ELNS1_3repE0EEENS1_30default_config_static_selectorELNS0_4arch9wavefront6targetE1EEEvT1_,"axG",@progbits,_ZN7rocprim17ROCPRIM_400000_NS6detail17trampoline_kernelINS0_14default_configENS1_25partition_config_selectorILNS1_17partition_subalgoE8EjNS0_10empty_typeEbEEZZNS1_14partition_implILS5_8ELb0ES3_jN6thrust23THRUST_200600_302600_NS6detail15normal_iteratorINSA_10device_ptrIjEEEEPS6_PKS6_NS0_5tupleIJSF_S6_EEENSJ_IJSG_SG_EEENS0_18inequality_wrapperINSA_8equal_toIjEEEEPmJS6_EEE10hipError_tPvRmT3_T4_T5_T6_T7_T9_mT8_P12ihipStream_tbDpT10_ENKUlT_T0_E_clISt17integral_constantIbLb0EES1A_EEDaS15_S16_EUlS15_E_NS1_11comp_targetILNS1_3genE2ELNS1_11target_archE906ELNS1_3gpuE6ELNS1_3repE0EEENS1_30default_config_static_selectorELNS0_4arch9wavefront6targetE1EEEvT1_,comdat
	.protected	_ZN7rocprim17ROCPRIM_400000_NS6detail17trampoline_kernelINS0_14default_configENS1_25partition_config_selectorILNS1_17partition_subalgoE8EjNS0_10empty_typeEbEEZZNS1_14partition_implILS5_8ELb0ES3_jN6thrust23THRUST_200600_302600_NS6detail15normal_iteratorINSA_10device_ptrIjEEEEPS6_PKS6_NS0_5tupleIJSF_S6_EEENSJ_IJSG_SG_EEENS0_18inequality_wrapperINSA_8equal_toIjEEEEPmJS6_EEE10hipError_tPvRmT3_T4_T5_T6_T7_T9_mT8_P12ihipStream_tbDpT10_ENKUlT_T0_E_clISt17integral_constantIbLb0EES1A_EEDaS15_S16_EUlS15_E_NS1_11comp_targetILNS1_3genE2ELNS1_11target_archE906ELNS1_3gpuE6ELNS1_3repE0EEENS1_30default_config_static_selectorELNS0_4arch9wavefront6targetE1EEEvT1_ ; -- Begin function _ZN7rocprim17ROCPRIM_400000_NS6detail17trampoline_kernelINS0_14default_configENS1_25partition_config_selectorILNS1_17partition_subalgoE8EjNS0_10empty_typeEbEEZZNS1_14partition_implILS5_8ELb0ES3_jN6thrust23THRUST_200600_302600_NS6detail15normal_iteratorINSA_10device_ptrIjEEEEPS6_PKS6_NS0_5tupleIJSF_S6_EEENSJ_IJSG_SG_EEENS0_18inequality_wrapperINSA_8equal_toIjEEEEPmJS6_EEE10hipError_tPvRmT3_T4_T5_T6_T7_T9_mT8_P12ihipStream_tbDpT10_ENKUlT_T0_E_clISt17integral_constantIbLb0EES1A_EEDaS15_S16_EUlS15_E_NS1_11comp_targetILNS1_3genE2ELNS1_11target_archE906ELNS1_3gpuE6ELNS1_3repE0EEENS1_30default_config_static_selectorELNS0_4arch9wavefront6targetE1EEEvT1_
	.globl	_ZN7rocprim17ROCPRIM_400000_NS6detail17trampoline_kernelINS0_14default_configENS1_25partition_config_selectorILNS1_17partition_subalgoE8EjNS0_10empty_typeEbEEZZNS1_14partition_implILS5_8ELb0ES3_jN6thrust23THRUST_200600_302600_NS6detail15normal_iteratorINSA_10device_ptrIjEEEEPS6_PKS6_NS0_5tupleIJSF_S6_EEENSJ_IJSG_SG_EEENS0_18inequality_wrapperINSA_8equal_toIjEEEEPmJS6_EEE10hipError_tPvRmT3_T4_T5_T6_T7_T9_mT8_P12ihipStream_tbDpT10_ENKUlT_T0_E_clISt17integral_constantIbLb0EES1A_EEDaS15_S16_EUlS15_E_NS1_11comp_targetILNS1_3genE2ELNS1_11target_archE906ELNS1_3gpuE6ELNS1_3repE0EEENS1_30default_config_static_selectorELNS0_4arch9wavefront6targetE1EEEvT1_
	.p2align	8
	.type	_ZN7rocprim17ROCPRIM_400000_NS6detail17trampoline_kernelINS0_14default_configENS1_25partition_config_selectorILNS1_17partition_subalgoE8EjNS0_10empty_typeEbEEZZNS1_14partition_implILS5_8ELb0ES3_jN6thrust23THRUST_200600_302600_NS6detail15normal_iteratorINSA_10device_ptrIjEEEEPS6_PKS6_NS0_5tupleIJSF_S6_EEENSJ_IJSG_SG_EEENS0_18inequality_wrapperINSA_8equal_toIjEEEEPmJS6_EEE10hipError_tPvRmT3_T4_T5_T6_T7_T9_mT8_P12ihipStream_tbDpT10_ENKUlT_T0_E_clISt17integral_constantIbLb0EES1A_EEDaS15_S16_EUlS15_E_NS1_11comp_targetILNS1_3genE2ELNS1_11target_archE906ELNS1_3gpuE6ELNS1_3repE0EEENS1_30default_config_static_selectorELNS0_4arch9wavefront6targetE1EEEvT1_,@function
_ZN7rocprim17ROCPRIM_400000_NS6detail17trampoline_kernelINS0_14default_configENS1_25partition_config_selectorILNS1_17partition_subalgoE8EjNS0_10empty_typeEbEEZZNS1_14partition_implILS5_8ELb0ES3_jN6thrust23THRUST_200600_302600_NS6detail15normal_iteratorINSA_10device_ptrIjEEEEPS6_PKS6_NS0_5tupleIJSF_S6_EEENSJ_IJSG_SG_EEENS0_18inequality_wrapperINSA_8equal_toIjEEEEPmJS6_EEE10hipError_tPvRmT3_T4_T5_T6_T7_T9_mT8_P12ihipStream_tbDpT10_ENKUlT_T0_E_clISt17integral_constantIbLb0EES1A_EEDaS15_S16_EUlS15_E_NS1_11comp_targetILNS1_3genE2ELNS1_11target_archE906ELNS1_3gpuE6ELNS1_3repE0EEENS1_30default_config_static_selectorELNS0_4arch9wavefront6targetE1EEEvT1_: ; @_ZN7rocprim17ROCPRIM_400000_NS6detail17trampoline_kernelINS0_14default_configENS1_25partition_config_selectorILNS1_17partition_subalgoE8EjNS0_10empty_typeEbEEZZNS1_14partition_implILS5_8ELb0ES3_jN6thrust23THRUST_200600_302600_NS6detail15normal_iteratorINSA_10device_ptrIjEEEEPS6_PKS6_NS0_5tupleIJSF_S6_EEENSJ_IJSG_SG_EEENS0_18inequality_wrapperINSA_8equal_toIjEEEEPmJS6_EEE10hipError_tPvRmT3_T4_T5_T6_T7_T9_mT8_P12ihipStream_tbDpT10_ENKUlT_T0_E_clISt17integral_constantIbLb0EES1A_EEDaS15_S16_EUlS15_E_NS1_11comp_targetILNS1_3genE2ELNS1_11target_archE906ELNS1_3gpuE6ELNS1_3repE0EEENS1_30default_config_static_selectorELNS0_4arch9wavefront6targetE1EEEvT1_
; %bb.0:
	s_load_dwordx4 s[0:3], s[4:5], 0x8
	s_load_dwordx4 s[36:39], s[4:5], 0x40
	s_load_dwordx2 s[8:9], s[4:5], 0x50
	s_load_dword s12, s[4:5], 0x68
	v_lshrrev_b32_e32 v18, 3, v0
	s_waitcnt lgkmcnt(0)
	s_lshl_b64 s[10:11], s[2:3], 2
	s_add_u32 s13, s0, s10
	s_addc_u32 s14, s1, s11
	s_add_i32 s15, s12, -1
	s_lshl_b32 s0, s15, 12
	s_lshl_b32 s10, s6, 12
	s_add_i32 s7, s2, s0
	s_lshl_b32 s0, s12, 12
	s_add_u32 s0, s2, s0
	s_addc_u32 s1, s3, 0
	v_mov_b32_e32 v2, s1
	v_mov_b32_e32 v1, s0
	v_cmp_le_u64_e32 vcc, s[8:9], v[1:2]
	s_cmp_eq_u32 s6, s15
	s_load_dwordx2 s[38:39], s[38:39], 0x0
	s_cselect_b64 s[40:41], -1, 0
	s_mov_b32 s11, 0
	s_and_b64 s[44:45], s[40:41], vcc
	s_xor_b64 s[42:43], s[44:45], -1
	s_lshl_b64 s[10:11], s[10:11], 2
	s_add_u32 s9, s13, s10
	s_mov_b64 s[0:1], -1
	s_addc_u32 s10, s14, s11
	s_and_b64 vcc, exec, s[42:43]
	s_cbranch_vccz .LBB214_2
; %bb.1:
	v_lshlrev_b32_e32 v5, 2, v0
	v_mov_b32_e32 v2, s10
	v_add_co_u32_e32 v1, vcc, s9, v5
	v_addc_co_u32_e32 v2, vcc, 0, v2, vcc
	v_add_co_u32_e32 v3, vcc, 0x1000, v1
	v_addc_co_u32_e32 v4, vcc, 0, v2, vcc
	flat_load_dword v6, v[1:2]
	flat_load_dword v7, v[1:2] offset:1024
	flat_load_dword v8, v[1:2] offset:2048
	;; [unrolled: 1-line block ×3, first 2 shown]
	flat_load_dword v10, v[3:4]
	flat_load_dword v11, v[3:4] offset:1024
	flat_load_dword v12, v[3:4] offset:2048
	;; [unrolled: 1-line block ×3, first 2 shown]
	v_add_co_u32_e32 v3, vcc, 0x2000, v1
	v_addc_co_u32_e32 v4, vcc, 0, v2, vcc
	flat_load_dword v14, v[3:4]
	flat_load_dword v15, v[3:4] offset:1024
	flat_load_dword v16, v[3:4] offset:2048
	;; [unrolled: 1-line block ×3, first 2 shown]
	v_add_co_u32_e32 v1, vcc, 0x3000, v1
	v_addc_co_u32_e32 v2, vcc, 0, v2, vcc
	flat_load_dword v3, v[1:2]
	flat_load_dword v4, v[1:2] offset:1024
	flat_load_dword v19, v[1:2] offset:2048
	;; [unrolled: 1-line block ×3, first 2 shown]
	v_or_b32_e32 v2, 0x100, v0
	v_or_b32_e32 v21, 0x200, v0
	;; [unrolled: 1-line block ×9, first 2 shown]
	v_and_b32_e32 v1, 28, v18
	v_lshrrev_b32_e32 v2, 3, v2
	v_lshrrev_b32_e32 v21, 3, v21
	;; [unrolled: 1-line block ×9, first 2 shown]
	v_or_b32_e32 v29, 0xa00, v0
	v_add_u32_e32 v1, v1, v5
	v_and_b32_e32 v2, 60, v2
	v_and_b32_e32 v21, 0x5c, v21
	;; [unrolled: 1-line block ×9, first 2 shown]
	v_add_u32_e32 v2, v2, v5
	v_add_u32_e32 v21, v21, v5
	;; [unrolled: 1-line block ×9, first 2 shown]
	s_mov_b64 s[0:1], 0
	s_waitcnt vmcnt(0) lgkmcnt(0)
	ds_write_b32 v1, v6
	ds_write_b32 v2, v7 offset:1024
	ds_write_b32 v21, v8 offset:2048
	;; [unrolled: 1-line block ×9, first 2 shown]
	v_lshrrev_b32_e32 v1, 3, v29
	v_and_b32_e32 v1, 0x15c, v1
	v_add_u32_e32 v1, v1, v5
	ds_write_b32 v1, v16 offset:10240
	v_or_b32_e32 v1, 0xb00, v0
	v_lshrrev_b32_e32 v1, 3, v1
	v_and_b32_e32 v1, 0x17c, v1
	v_add_u32_e32 v1, v1, v5
	ds_write_b32 v1, v17 offset:11264
	v_or_b32_e32 v1, 0xc00, v0
	v_lshrrev_b32_e32 v1, 3, v1
	v_and_b32_e32 v1, 0x19c, v1
	v_add_u32_e32 v1, v1, v5
	ds_write_b32 v1, v3 offset:12288
	v_or_b32_e32 v1, 0xd00, v0
	v_lshrrev_b32_e32 v1, 3, v1
	v_and_b32_e32 v1, 0x1bc, v1
	v_add_u32_e32 v1, v1, v5
	ds_write_b32 v1, v4 offset:13312
	v_or_b32_e32 v1, 0xe00, v0
	v_lshrrev_b32_e32 v1, 3, v1
	v_and_b32_e32 v1, 0x1dc, v1
	v_add_u32_e32 v1, v1, v5
	ds_write_b32 v1, v19 offset:14336
	v_or_b32_e32 v1, 0xf00, v0
	v_lshrrev_b32_e32 v1, 3, v1
	v_and_b32_e32 v1, 0x1fc, v1
	v_add_u32_e32 v1, v1, v5
	ds_write_b32 v1, v20 offset:15360
	s_waitcnt lgkmcnt(0)
	s_barrier
.LBB214_2:
	s_andn2_b64 vcc, exec, s[0:1]
	s_sub_i32 s7, s8, s7
	s_cbranch_vccnz .LBB214_36
; %bb.3:
	v_mov_b32_e32 v1, 0
	v_cmp_gt_u32_e32 vcc, s7, v0
	v_mov_b32_e32 v2, v1
	v_mov_b32_e32 v3, v1
	;; [unrolled: 1-line block ×15, first 2 shown]
	s_and_saveexec_b64 s[0:1], vcc
	s_cbranch_execz .LBB214_5
; %bb.4:
	v_lshlrev_b32_e32 v2, 2, v0
	v_mov_b32_e32 v3, s10
	v_add_co_u32_e32 v2, vcc, s9, v2
	v_addc_co_u32_e32 v3, vcc, 0, v3, vcc
	flat_load_dword v2, v[2:3]
	v_mov_b32_e32 v3, v1
	v_mov_b32_e32 v4, v1
	;; [unrolled: 1-line block ×15, first 2 shown]
	s_waitcnt vmcnt(0) lgkmcnt(0)
	v_mov_b32_e32 v1, v2
	v_mov_b32_e32 v2, v3
	;; [unrolled: 1-line block ×16, first 2 shown]
.LBB214_5:
	s_or_b64 exec, exec, s[0:1]
	v_or_b32_e32 v17, 0x100, v0
	v_cmp_gt_u32_e32 vcc, s7, v17
	s_and_saveexec_b64 s[0:1], vcc
	s_cbranch_execz .LBB214_7
; %bb.6:
	v_lshlrev_b32_e32 v2, 2, v0
	v_mov_b32_e32 v20, s10
	v_add_co_u32_e32 v19, vcc, s9, v2
	v_addc_co_u32_e32 v20, vcc, 0, v20, vcc
	flat_load_dword v2, v[19:20] offset:1024
.LBB214_7:
	s_or_b64 exec, exec, s[0:1]
	v_or_b32_e32 v19, 0x200, v0
	v_cmp_gt_u32_e32 vcc, s7, v19
	s_and_saveexec_b64 s[0:1], vcc
	s_cbranch_execz .LBB214_9
; %bb.8:
	v_lshlrev_b32_e32 v3, 2, v0
	v_mov_b32_e32 v21, s10
	v_add_co_u32_e32 v20, vcc, s9, v3
	v_addc_co_u32_e32 v21, vcc, 0, v21, vcc
	flat_load_dword v3, v[20:21] offset:2048
.LBB214_9:
	;; [unrolled: 12-line block ×3, first 2 shown]
	s_or_b64 exec, exec, s[0:1]
	v_or_b32_e32 v21, 0x400, v0
	v_cmp_gt_u32_e32 vcc, s7, v21
	s_and_saveexec_b64 s[0:1], vcc
	s_cbranch_execz .LBB214_13
; %bb.12:
	v_lshlrev_b32_e32 v5, 2, v21
	v_mov_b32_e32 v23, s10
	v_add_co_u32_e32 v22, vcc, s9, v5
	v_addc_co_u32_e32 v23, vcc, 0, v23, vcc
	flat_load_dword v5, v[22:23]
.LBB214_13:
	s_or_b64 exec, exec, s[0:1]
	v_or_b32_e32 v22, 0x500, v0
	v_cmp_gt_u32_e32 vcc, s7, v22
	s_and_saveexec_b64 s[0:1], vcc
	s_cbranch_execz .LBB214_15
; %bb.14:
	v_lshlrev_b32_e32 v6, 2, v22
	v_mov_b32_e32 v24, s10
	v_add_co_u32_e32 v23, vcc, s9, v6
	v_addc_co_u32_e32 v24, vcc, 0, v24, vcc
	flat_load_dword v6, v[23:24]
.LBB214_15:
	;; [unrolled: 12-line block ×12, first 2 shown]
	s_or_b64 exec, exec, s[0:1]
	v_and_b32_e32 v18, 28, v18
	v_lshlrev_b32_e32 v33, 2, v0
	v_add_u32_e32 v18, v18, v33
	ds_write_b32 v18, v1
	v_lshrrev_b32_e32 v1, 3, v17
	v_and_b32_e32 v1, 60, v1
	v_add_u32_e32 v1, v1, v33
	s_waitcnt vmcnt(0) lgkmcnt(0)
	ds_write_b32 v1, v2 offset:1024
	v_lshrrev_b32_e32 v1, 3, v19
	v_and_b32_e32 v1, 0x7c, v1
	v_add_u32_e32 v1, v1, v33
	ds_write_b32 v1, v3 offset:2048
	v_lshrrev_b32_e32 v1, 3, v20
	v_and_b32_e32 v1, 0x7c, v1
	v_add_u32_e32 v1, v1, v33
	;; [unrolled: 4-line block ×14, first 2 shown]
	ds_write_b32 v1, v16 offset:15360
	s_waitcnt lgkmcnt(0)
	s_barrier
.LBB214_36:
	v_lshlrev_b32_e32 v1, 1, v0
	v_and_b32_e32 v1, 0x1fc, v1
	v_lshl_add_u32 v1, v0, 6, v1
	s_waitcnt lgkmcnt(0)
	ds_read2_b32 v[15:16], v1 offset1:1
	ds_read2_b32 v[13:14], v1 offset0:2 offset1:3
	ds_read2_b32 v[11:12], v1 offset0:4 offset1:5
	;; [unrolled: 1-line block ×7, first 2 shown]
	s_cmp_lg_u32 s6, 0
	s_cselect_b64 s[46:47], -1, 0
	s_cmp_lg_u64 s[2:3], 0
	s_cselect_b64 s[0:1], -1, 0
	s_or_b64 s[0:1], s[46:47], s[0:1]
	v_lshlrev_b32_e32 v17, 4, v0
	s_mov_b64 s[50:51], 0
	s_and_b64 vcc, exec, s[0:1]
	s_waitcnt lgkmcnt(0)
	s_barrier
	s_cbranch_vccz .LBB214_41
; %bb.37:
	v_mov_b32_e32 v19, s10
	v_add_co_u32_e64 v18, vcc, -4, s9
	v_addc_co_u32_e32 v19, vcc, -1, v19, vcc
	flat_load_dword v18, v[18:19]
	v_lshlrev_b32_e32 v19, 2, v0
	s_and_b64 vcc, exec, s[42:43]
	ds_write_b32 v19, v2
	s_cbranch_vccz .LBB214_42
; %bb.38:
	v_cmp_ne_u32_e32 vcc, 0, v0
	s_waitcnt vmcnt(0) lgkmcnt(0)
	v_mov_b32_e32 v20, v18
	s_barrier
	s_and_saveexec_b64 s[0:1], vcc
; %bb.39:
	v_add_u32_e32 v20, -4, v19
	ds_read_b32 v20, v20
; %bb.40:
	s_or_b64 exec, exec, s[0:1]
	v_cmp_ne_u32_e32 vcc, v1, v2
	v_cndmask_b32_e64 v51, 0, 1, vcc
	v_cmp_ne_u32_e32 vcc, v4, v1
	v_cndmask_b32_e64 v52, 0, 1, vcc
	;; [unrolled: 2-line block ×15, first 2 shown]
	s_waitcnt lgkmcnt(0)
	v_cmp_ne_u32_e64 s[48:49], v20, v15
	s_branch .LBB214_46
.LBB214_41:
                                        ; implicit-def: $sgpr48_sgpr49
                                        ; implicit-def: $vgpr51
                                        ; implicit-def: $vgpr52
                                        ; implicit-def: $vgpr53
                                        ; implicit-def: $vgpr54
                                        ; implicit-def: $vgpr55
                                        ; implicit-def: $vgpr56
                                        ; implicit-def: $vgpr57
                                        ; implicit-def: $vgpr58
                                        ; implicit-def: $vgpr59
                                        ; implicit-def: $vgpr65
                                        ; implicit-def: $vgpr64
                                        ; implicit-def: $vgpr63
                                        ; implicit-def: $vgpr62
                                        ; implicit-def: $vgpr61
                                        ; implicit-def: $vgpr60
	s_branch .LBB214_47
.LBB214_42:
                                        ; implicit-def: $sgpr48_sgpr49
                                        ; implicit-def: $vgpr51
                                        ; implicit-def: $vgpr52
                                        ; implicit-def: $vgpr53
                                        ; implicit-def: $vgpr54
                                        ; implicit-def: $vgpr55
                                        ; implicit-def: $vgpr56
                                        ; implicit-def: $vgpr57
                                        ; implicit-def: $vgpr58
                                        ; implicit-def: $vgpr59
                                        ; implicit-def: $vgpr65
                                        ; implicit-def: $vgpr64
                                        ; implicit-def: $vgpr63
                                        ; implicit-def: $vgpr62
                                        ; implicit-def: $vgpr61
                                        ; implicit-def: $vgpr60
	s_cbranch_execz .LBB214_46
; %bb.43:
	v_cmp_ne_u32_e32 vcc, 0, v0
	s_waitcnt vmcnt(0) lgkmcnt(0)
	s_barrier
	s_and_saveexec_b64 s[0:1], vcc
; %bb.44:
	v_add_u32_e32 v18, -4, v19
	ds_read_b32 v18, v18
; %bb.45:
	s_or_b64 exec, exec, s[0:1]
	v_or_b32_e32 v19, 15, v17
	v_cmp_gt_u32_e32 vcc, s7, v19
	v_cmp_ne_u32_e64 s[0:1], v1, v2
	s_and_b64 s[0:1], vcc, s[0:1]
	v_or_b32_e32 v19, 14, v17
	v_cndmask_b32_e64 v51, 0, 1, s[0:1]
	v_cmp_gt_u32_e32 vcc, s7, v19
	v_cmp_ne_u32_e64 s[0:1], v4, v1
	s_and_b64 s[0:1], vcc, s[0:1]
	v_or_b32_e32 v19, 13, v17
	v_cndmask_b32_e64 v52, 0, 1, s[0:1]
	;; [unrolled: 5-line block ×14, first 2 shown]
	v_cmp_gt_u32_e32 vcc, s7, v19
	v_cmp_ne_u32_e64 s[0:1], v15, v16
	s_and_b64 s[0:1], vcc, s[0:1]
	v_cndmask_b32_e64 v65, 0, 1, s[0:1]
	v_cmp_gt_u32_e32 vcc, s7, v17
	s_waitcnt lgkmcnt(0)
	v_cmp_ne_u32_e64 s[0:1], v18, v15
	s_and_b64 s[48:49], vcc, s[0:1]
.LBB214_46:
	s_mov_b64 s[50:51], -1
	s_cbranch_execnz .LBB214_55
.LBB214_47:
	s_waitcnt vmcnt(0) lgkmcnt(0)
	v_lshlrev_b32_e32 v18, 2, v0
	s_and_b64 vcc, exec, s[42:43]
	v_cmp_ne_u32_e64 s[0:1], v1, v2
	v_cmp_ne_u32_e64 s[2:3], v4, v1
	;; [unrolled: 1-line block ×15, first 2 shown]
	ds_write_b32 v18, v2
	s_cbranch_vccz .LBB214_51
; %bb.48:
	v_cmp_ne_u32_e32 vcc, 0, v0
	s_waitcnt lgkmcnt(0)
	s_barrier
                                        ; implicit-def: $sgpr48_sgpr49
	s_and_saveexec_b64 s[52:53], vcc
	s_xor_b64 s[52:53], exec, s[52:53]
	s_cbranch_execz .LBB214_50
; %bb.49:
	v_add_u32_e32 v19, -4, v18
	ds_read_b32 v19, v19
	s_or_b64 s[50:51], s[50:51], exec
	s_waitcnt lgkmcnt(0)
	v_cmp_ne_u32_e64 s[48:49], v19, v15
.LBB214_50:
	s_or_b64 exec, exec, s[52:53]
	v_cndmask_b32_e64 v51, 0, 1, s[0:1]
	v_cndmask_b32_e64 v52, 0, 1, s[2:3]
	;; [unrolled: 1-line block ×15, first 2 shown]
	s_branch .LBB214_55
.LBB214_51:
                                        ; implicit-def: $sgpr48_sgpr49
                                        ; implicit-def: $vgpr51
                                        ; implicit-def: $vgpr52
                                        ; implicit-def: $vgpr53
                                        ; implicit-def: $vgpr54
                                        ; implicit-def: $vgpr55
                                        ; implicit-def: $vgpr56
                                        ; implicit-def: $vgpr57
                                        ; implicit-def: $vgpr58
                                        ; implicit-def: $vgpr59
                                        ; implicit-def: $vgpr65
                                        ; implicit-def: $vgpr64
                                        ; implicit-def: $vgpr63
                                        ; implicit-def: $vgpr62
                                        ; implicit-def: $vgpr61
                                        ; implicit-def: $vgpr60
	s_cbranch_execz .LBB214_55
; %bb.52:
	v_or_b32_e32 v19, 15, v17
	v_cmp_gt_u32_e32 vcc, s7, v19
	v_cmp_ne_u32_e64 s[0:1], v1, v2
	v_or_b32_e32 v19, 14, v17
	s_and_b64 s[2:3], vcc, s[0:1]
	v_cmp_gt_u32_e32 vcc, s7, v19
	v_cmp_ne_u32_e64 s[0:1], v4, v1
	v_or_b32_e32 v19, 13, v17
	s_and_b64 s[8:9], vcc, s[0:1]
	v_cmp_gt_u32_e32 vcc, s7, v19
	v_cmp_ne_u32_e64 s[0:1], v3, v4
	v_or_b32_e32 v19, 12, v17
	s_and_b64 s[10:11], vcc, s[0:1]
	v_cmp_gt_u32_e32 vcc, s7, v19
	v_cmp_ne_u32_e64 s[0:1], v6, v3
	v_or_b32_e32 v19, 11, v17
	s_and_b64 s[12:13], vcc, s[0:1]
	v_cmp_gt_u32_e32 vcc, s7, v19
	v_cmp_ne_u32_e64 s[0:1], v5, v6
	v_or_b32_e32 v19, 10, v17
	s_and_b64 s[14:15], vcc, s[0:1]
	v_cmp_gt_u32_e32 vcc, s7, v19
	v_cmp_ne_u32_e64 s[0:1], v8, v5
	v_or_b32_e32 v19, 9, v17
	s_and_b64 s[16:17], vcc, s[0:1]
	v_cmp_gt_u32_e32 vcc, s7, v19
	v_cmp_ne_u32_e64 s[0:1], v7, v8
	v_or_b32_e32 v19, 8, v17
	s_and_b64 s[18:19], vcc, s[0:1]
	v_cmp_gt_u32_e32 vcc, s7, v19
	v_cmp_ne_u32_e64 s[0:1], v10, v7
	v_or_b32_e32 v19, 7, v17
	s_and_b64 s[20:21], vcc, s[0:1]
	v_cmp_gt_u32_e32 vcc, s7, v19
	v_cmp_ne_u32_e64 s[0:1], v9, v10
	v_or_b32_e32 v19, 6, v17
	s_and_b64 s[22:23], vcc, s[0:1]
	v_cmp_gt_u32_e32 vcc, s7, v19
	v_cmp_ne_u32_e64 s[0:1], v12, v9
	v_or_b32_e32 v19, 5, v17
	s_and_b64 s[24:25], vcc, s[0:1]
	v_cmp_gt_u32_e32 vcc, s7, v19
	v_cmp_ne_u32_e64 s[0:1], v11, v12
	v_or_b32_e32 v19, 4, v17
	s_and_b64 s[26:27], vcc, s[0:1]
	v_cmp_gt_u32_e32 vcc, s7, v19
	v_cmp_ne_u32_e64 s[0:1], v14, v11
	v_or_b32_e32 v19, 3, v17
	s_and_b64 s[28:29], vcc, s[0:1]
	v_cmp_gt_u32_e32 vcc, s7, v19
	v_cmp_ne_u32_e64 s[0:1], v13, v14
	v_or_b32_e32 v19, 2, v17
	s_and_b64 s[30:31], vcc, s[0:1]
	v_cmp_gt_u32_e32 vcc, s7, v19
	v_cmp_ne_u32_e64 s[0:1], v16, v13
	v_or_b32_e32 v19, 1, v17
	s_and_b64 s[34:35], vcc, s[0:1]
	v_cmp_gt_u32_e32 vcc, s7, v19
	v_cmp_ne_u32_e64 s[0:1], v15, v16
	s_and_b64 s[52:53], vcc, s[0:1]
	v_cmp_ne_u32_e32 vcc, 0, v0
	s_waitcnt lgkmcnt(0)
	s_barrier
                                        ; implicit-def: $sgpr48_sgpr49
	s_and_saveexec_b64 s[54:55], vcc
	s_cbranch_execz .LBB214_54
; %bb.53:
	v_add_u32_e32 v18, -4, v18
	ds_read_b32 v18, v18
	v_cmp_gt_u32_e32 vcc, s7, v17
	s_or_b64 s[50:51], s[50:51], exec
	s_waitcnt lgkmcnt(0)
	v_cmp_ne_u32_e64 s[0:1], v18, v15
	s_and_b64 s[48:49], vcc, s[0:1]
.LBB214_54:
	s_or_b64 exec, exec, s[54:55]
	v_cndmask_b32_e64 v51, 0, 1, s[2:3]
	v_cndmask_b32_e64 v52, 0, 1, s[8:9]
	;; [unrolled: 1-line block ×15, first 2 shown]
.LBB214_55:
	v_mov_b32_e32 v28, 1
	s_and_saveexec_b64 s[0:1], s[50:51]
; %bb.56:
	v_cndmask_b32_e64 v28, 0, 1, s[48:49]
; %bb.57:
	s_or_b64 exec, exec, s[0:1]
	s_load_dwordx2 s[22:23], s[4:5], 0x60
	s_andn2_b64 vcc, exec, s[44:45]
	s_cbranch_vccnz .LBB214_59
; %bb.58:
	v_cmp_gt_u32_e32 vcc, s7, v17
	s_waitcnt vmcnt(0) lgkmcnt(0)
	v_or_b32_e32 v18, 1, v17
	v_cndmask_b32_e32 v28, 0, v28, vcc
	v_cmp_gt_u32_e32 vcc, s7, v18
	v_or_b32_e32 v18, 2, v17
	v_cndmask_b32_e32 v65, 0, v65, vcc
	v_cmp_gt_u32_e32 vcc, s7, v18
	;; [unrolled: 3-line block ×15, first 2 shown]
	v_cndmask_b32_e32 v51, 0, v51, vcc
.LBB214_59:
	v_and_b32_e32 v37, 0xff, v63
	v_and_b32_e32 v39, 0xff, v62
	s_waitcnt vmcnt(0) lgkmcnt(0)
	v_add_u32_sdwa v18, v61, v60 dst_sel:DWORD dst_unused:UNUSED_PAD src0_sel:BYTE_0 src1_sel:BYTE_0
	v_and_b32_e32 v33, 0xff, v65
	v_and_b32_e32 v35, 0xff, v64
	v_add3_u32 v18, v18, v39, v37
	v_and_b32_e32 v31, 0xffff, v28
	v_and_b32_e32 v27, 0xff, v59
	v_add3_u32 v18, v18, v35, v33
	;; [unrolled: 3-line block ×6, first 2 shown]
	v_add3_u32 v44, v18, v40, v17
	v_mbcnt_lo_u32_b32 v17, -1, 0
	v_mbcnt_hi_u32_b32 v41, -1, v17
	v_and_b32_e32 v17, 15, v41
	v_cmp_eq_u32_e64 s[14:15], 0, v17
	v_cmp_lt_u32_e64 s[12:13], 1, v17
	v_cmp_lt_u32_e64 s[10:11], 3, v17
	;; [unrolled: 1-line block ×3, first 2 shown]
	v_and_b32_e32 v17, 16, v41
	v_cmp_eq_u32_e64 s[18:19], 0, v17
	v_or_b32_e32 v17, 63, v0
	v_cmp_lt_u32_e64 s[0:1], 31, v41
	v_lshrrev_b32_e32 v42, 6, v0
	v_cmp_eq_u32_e64 s[2:3], v0, v17
	s_and_b64 vcc, exec, s[46:47]
	s_barrier
	s_cbranch_vccz .LBB214_81
; %bb.60:
	v_mov_b32_dpp v17, v44 row_shr:1 row_mask:0xf bank_mask:0xf
	v_cndmask_b32_e64 v17, v17, 0, s[14:15]
	v_add_u32_e32 v17, v17, v44
	s_nop 1
	v_mov_b32_dpp v18, v17 row_shr:2 row_mask:0xf bank_mask:0xf
	v_cndmask_b32_e64 v18, 0, v18, s[12:13]
	v_add_u32_e32 v17, v17, v18
	s_nop 1
	;; [unrolled: 4-line block ×4, first 2 shown]
	v_mov_b32_dpp v18, v17 row_bcast:15 row_mask:0xf bank_mask:0xf
	v_cndmask_b32_e64 v18, v18, 0, s[18:19]
	v_add_u32_e32 v17, v17, v18
	s_nop 1
	v_mov_b32_dpp v18, v17 row_bcast:31 row_mask:0xf bank_mask:0xf
	v_cndmask_b32_e64 v18, 0, v18, s[0:1]
	v_add_u32_e32 v17, v17, v18
	s_and_saveexec_b64 s[16:17], s[2:3]
; %bb.61:
	v_lshlrev_b32_e32 v18, 2, v42
	ds_write_b32 v18, v17
; %bb.62:
	s_or_b64 exec, exec, s[16:17]
	v_cmp_gt_u32_e32 vcc, 4, v0
	s_waitcnt lgkmcnt(0)
	s_barrier
	s_and_saveexec_b64 s[16:17], vcc
	s_cbranch_execz .LBB214_64
; %bb.63:
	v_lshlrev_b32_e32 v18, 2, v0
	ds_read_b32 v19, v18
	v_and_b32_e32 v20, 3, v41
	v_cmp_ne_u32_e32 vcc, 0, v20
	s_waitcnt lgkmcnt(0)
	v_mov_b32_dpp v21, v19 row_shr:1 row_mask:0xf bank_mask:0xf
	v_cndmask_b32_e32 v21, 0, v21, vcc
	v_add_u32_e32 v19, v21, v19
	v_cmp_lt_u32_e32 vcc, 1, v20
	s_nop 0
	v_mov_b32_dpp v21, v19 row_shr:2 row_mask:0xf bank_mask:0xf
	v_cndmask_b32_e32 v20, 0, v21, vcc
	v_add_u32_e32 v19, v19, v20
	ds_write_b32 v18, v19
.LBB214_64:
	s_or_b64 exec, exec, s[16:17]
	v_cmp_gt_u32_e32 vcc, 64, v0
	v_cmp_lt_u32_e64 s[16:17], 63, v0
	s_waitcnt lgkmcnt(0)
	s_barrier
                                        ; implicit-def: $vgpr43
	s_and_saveexec_b64 s[20:21], s[16:17]
	s_cbranch_execz .LBB214_66
; %bb.65:
	v_lshl_add_u32 v18, v42, 2, -4
	ds_read_b32 v43, v18
	s_waitcnt lgkmcnt(0)
	v_add_u32_e32 v17, v43, v17
.LBB214_66:
	s_or_b64 exec, exec, s[20:21]
	v_subrev_co_u32_e64 v18, s[16:17], 1, v41
	v_and_b32_e32 v19, 64, v41
	v_cmp_lt_i32_e64 s[20:21], v18, v19
	v_cndmask_b32_e64 v18, v18, v41, s[20:21]
	v_lshlrev_b32_e32 v18, 2, v18
	ds_bpermute_b32 v45, v18, v17
	s_and_saveexec_b64 s[20:21], vcc
	s_cbranch_execz .LBB214_86
; %bb.67:
	v_mov_b32_e32 v23, 0
	ds_read_b32 v17, v23 offset:12
	s_and_saveexec_b64 s[24:25], s[16:17]
	s_cbranch_execz .LBB214_69
; %bb.68:
	s_add_i32 s26, s6, 64
	s_mov_b32 s27, 0
	s_lshl_b64 s[26:27], s[26:27], 3
	s_add_u32 s26, s22, s26
	v_mov_b32_e32 v18, 1
	s_addc_u32 s27, s23, s27
	s_waitcnt lgkmcnt(0)
	global_store_dwordx2 v23, v[17:18], s[26:27]
.LBB214_69:
	s_or_b64 exec, exec, s[24:25]
	v_xad_u32 v19, v41, -1, s6
	v_add_u32_e32 v22, 64, v19
	v_lshlrev_b64 v[20:21], 3, v[22:23]
	v_mov_b32_e32 v18, s23
	v_add_co_u32_e32 v24, vcc, s22, v20
	v_addc_co_u32_e32 v25, vcc, v18, v21, vcc
	global_load_dwordx2 v[21:22], v[24:25], off glc
	s_waitcnt vmcnt(0)
	v_cmp_eq_u16_sdwa s[26:27], v22, v23 src0_sel:BYTE_0 src1_sel:DWORD
	s_and_saveexec_b64 s[24:25], s[26:27]
	s_cbranch_execz .LBB214_73
; %bb.70:
	s_mov_b64 s[26:27], 0
	v_mov_b32_e32 v18, 0
.LBB214_71:                             ; =>This Inner Loop Header: Depth=1
	global_load_dwordx2 v[21:22], v[24:25], off glc
	s_waitcnt vmcnt(0)
	v_cmp_ne_u16_sdwa s[28:29], v22, v18 src0_sel:BYTE_0 src1_sel:DWORD
	s_or_b64 s[26:27], s[28:29], s[26:27]
	s_andn2_b64 exec, exec, s[26:27]
	s_cbranch_execnz .LBB214_71
; %bb.72:
	s_or_b64 exec, exec, s[26:27]
.LBB214_73:
	s_or_b64 exec, exec, s[24:25]
	v_and_b32_e32 v47, 63, v41
	v_mov_b32_e32 v46, 2
	v_lshlrev_b64 v[23:24], v41, -1
	v_cmp_ne_u32_e32 vcc, 63, v47
	v_cmp_eq_u16_sdwa s[24:25], v22, v46 src0_sel:BYTE_0 src1_sel:DWORD
	v_addc_co_u32_e32 v25, vcc, 0, v41, vcc
	v_and_b32_e32 v18, s25, v24
	v_lshlrev_b32_e32 v48, 2, v25
	v_or_b32_e32 v18, 0x80000000, v18
	ds_bpermute_b32 v25, v48, v21
	v_and_b32_e32 v20, s24, v23
	v_ffbl_b32_e32 v18, v18
	v_add_u32_e32 v18, 32, v18
	v_ffbl_b32_e32 v20, v20
	v_min_u32_e32 v18, v20, v18
	v_cmp_lt_u32_e32 vcc, v47, v18
	s_waitcnt lgkmcnt(0)
	v_cndmask_b32_e32 v20, 0, v25, vcc
	v_cmp_gt_u32_e32 vcc, 62, v47
	v_add_u32_e32 v20, v20, v21
	v_cndmask_b32_e64 v21, 0, 2, vcc
	v_add_lshl_u32 v49, v21, v41, 2
	ds_bpermute_b32 v21, v49, v20
	v_add_u32_e32 v50, 2, v47
	v_cmp_le_u32_e32 vcc, v50, v18
	v_add_u32_e32 v67, 4, v47
	v_add_u32_e32 v69, 8, v47
	s_waitcnt lgkmcnt(0)
	v_cndmask_b32_e32 v21, 0, v21, vcc
	v_cmp_gt_u32_e32 vcc, 60, v47
	v_add_u32_e32 v20, v20, v21
	v_cndmask_b32_e64 v21, 0, 4, vcc
	v_add_lshl_u32 v66, v21, v41, 2
	ds_bpermute_b32 v21, v66, v20
	v_cmp_le_u32_e32 vcc, v67, v18
	v_add_u32_e32 v71, 16, v47
	v_add_u32_e32 v73, 32, v47
	s_waitcnt lgkmcnt(0)
	v_cndmask_b32_e32 v21, 0, v21, vcc
	v_cmp_gt_u32_e32 vcc, 56, v47
	v_add_u32_e32 v20, v20, v21
	v_cndmask_b32_e64 v21, 0, 8, vcc
	v_add_lshl_u32 v68, v21, v41, 2
	ds_bpermute_b32 v21, v68, v20
	v_cmp_le_u32_e32 vcc, v69, v18
	s_waitcnt lgkmcnt(0)
	v_cndmask_b32_e32 v21, 0, v21, vcc
	v_cmp_gt_u32_e32 vcc, 48, v47
	v_add_u32_e32 v20, v20, v21
	v_cndmask_b32_e64 v21, 0, 16, vcc
	v_add_lshl_u32 v70, v21, v41, 2
	ds_bpermute_b32 v21, v70, v20
	v_cmp_le_u32_e32 vcc, v71, v18
	s_waitcnt lgkmcnt(0)
	v_cndmask_b32_e32 v21, 0, v21, vcc
	v_add_u32_e32 v20, v20, v21
	v_mov_b32_e32 v21, 0x80
	v_lshl_or_b32 v72, v41, 2, v21
	ds_bpermute_b32 v21, v72, v20
	v_cmp_le_u32_e32 vcc, v73, v18
	s_waitcnt lgkmcnt(0)
	v_cndmask_b32_e32 v18, 0, v21, vcc
	v_add_u32_e32 v21, v20, v18
	v_mov_b32_e32 v20, 0
	s_branch .LBB214_76
.LBB214_74:                             ;   in Loop: Header=BB214_76 Depth=1
	s_or_b64 exec, exec, s[24:25]
	v_cmp_eq_u16_sdwa s[24:25], v22, v46 src0_sel:BYTE_0 src1_sel:DWORD
	v_and_b32_e32 v25, s25, v24
	v_or_b32_e32 v25, 0x80000000, v25
	ds_bpermute_b32 v74, v48, v21
	v_and_b32_e32 v26, s24, v23
	v_ffbl_b32_e32 v25, v25
	v_add_u32_e32 v25, 32, v25
	v_ffbl_b32_e32 v26, v26
	v_min_u32_e32 v25, v26, v25
	v_cmp_lt_u32_e32 vcc, v47, v25
	s_waitcnt lgkmcnt(0)
	v_cndmask_b32_e32 v26, 0, v74, vcc
	v_add_u32_e32 v21, v26, v21
	ds_bpermute_b32 v26, v49, v21
	v_cmp_le_u32_e32 vcc, v50, v25
	v_subrev_u32_e32 v19, 64, v19
	s_mov_b64 s[24:25], 0
	s_waitcnt lgkmcnt(0)
	v_cndmask_b32_e32 v26, 0, v26, vcc
	v_add_u32_e32 v21, v21, v26
	ds_bpermute_b32 v26, v66, v21
	v_cmp_le_u32_e32 vcc, v67, v25
	s_waitcnt lgkmcnt(0)
	v_cndmask_b32_e32 v26, 0, v26, vcc
	v_add_u32_e32 v21, v21, v26
	ds_bpermute_b32 v26, v68, v21
	v_cmp_le_u32_e32 vcc, v69, v25
	;; [unrolled: 5-line block ×4, first 2 shown]
	s_waitcnt lgkmcnt(0)
	v_cndmask_b32_e32 v25, 0, v26, vcc
	v_add3_u32 v21, v25, v18, v21
.LBB214_75:                             ;   in Loop: Header=BB214_76 Depth=1
	s_and_b64 vcc, exec, s[24:25]
	s_cbranch_vccnz .LBB214_82
.LBB214_76:                             ; =>This Loop Header: Depth=1
                                        ;     Child Loop BB214_79 Depth 2
	v_cmp_ne_u16_sdwa s[24:25], v22, v46 src0_sel:BYTE_0 src1_sel:DWORD
	v_mov_b32_e32 v18, v21
	s_cmp_lg_u64 s[24:25], exec
	s_mov_b64 s[24:25], -1
                                        ; implicit-def: $vgpr21
                                        ; implicit-def: $vgpr22
	s_cbranch_scc1 .LBB214_75
; %bb.77:                               ;   in Loop: Header=BB214_76 Depth=1
	v_lshlrev_b64 v[21:22], 3, v[19:20]
	v_mov_b32_e32 v26, s23
	v_add_co_u32_e32 v25, vcc, s22, v21
	v_addc_co_u32_e32 v26, vcc, v26, v22, vcc
	global_load_dwordx2 v[21:22], v[25:26], off glc
	s_waitcnt vmcnt(0)
	v_cmp_eq_u16_sdwa s[26:27], v22, v20 src0_sel:BYTE_0 src1_sel:DWORD
	s_and_saveexec_b64 s[24:25], s[26:27]
	s_cbranch_execz .LBB214_74
; %bb.78:                               ;   in Loop: Header=BB214_76 Depth=1
	s_mov_b64 s[26:27], 0
.LBB214_79:                             ;   Parent Loop BB214_76 Depth=1
                                        ; =>  This Inner Loop Header: Depth=2
	global_load_dwordx2 v[21:22], v[25:26], off glc
	s_waitcnt vmcnt(0)
	v_cmp_ne_u16_sdwa s[28:29], v22, v20 src0_sel:BYTE_0 src1_sel:DWORD
	s_or_b64 s[26:27], s[28:29], s[26:27]
	s_andn2_b64 exec, exec, s[26:27]
	s_cbranch_execnz .LBB214_79
; %bb.80:                               ;   in Loop: Header=BB214_76 Depth=1
	s_or_b64 exec, exec, s[26:27]
	s_branch .LBB214_74
.LBB214_81:
                                        ; implicit-def: $vgpr18
                                        ; implicit-def: $vgpr43
	s_load_dwordx2 s[4:5], s[4:5], 0x28
	s_cbranch_execnz .LBB214_87
	s_branch .LBB214_96
.LBB214_82:
	s_and_saveexec_b64 s[24:25], s[16:17]
	s_cbranch_execz .LBB214_84
; %bb.83:
	s_add_i32 s6, s6, 64
	s_mov_b32 s7, 0
	s_lshl_b64 s[6:7], s[6:7], 3
	s_add_u32 s6, s22, s6
	v_add_u32_e32 v19, v18, v17
	v_mov_b32_e32 v20, 2
	s_addc_u32 s7, s23, s7
	v_mov_b32_e32 v21, 0
	global_store_dwordx2 v21, v[19:20], s[6:7]
	ds_write_b64 v21, v[17:18] offset:16896
.LBB214_84:
	s_or_b64 exec, exec, s[24:25]
	v_cmp_eq_u32_e32 vcc, 0, v0
	s_and_b64 exec, exec, vcc
; %bb.85:
	v_mov_b32_e32 v17, 0
	ds_write_b32 v17, v18 offset:12
.LBB214_86:
	s_or_b64 exec, exec, s[20:21]
	v_mov_b32_e32 v17, 0
	s_waitcnt vmcnt(0) lgkmcnt(0)
	s_barrier
	ds_read_b32 v20, v17 offset:12
	s_waitcnt lgkmcnt(0)
	s_barrier
	ds_read_b64 v[17:18], v17 offset:16896
	v_cndmask_b32_e64 v19, v45, v43, s[16:17]
	v_cmp_ne_u32_e32 vcc, 0, v0
	v_cndmask_b32_e32 v19, 0, v19, vcc
	v_add_u32_e32 v43, v20, v19
	s_load_dwordx2 s[4:5], s[4:5], 0x28
	s_branch .LBB214_96
.LBB214_87:
	s_waitcnt lgkmcnt(0)
	v_mov_b32_dpp v17, v44 row_shr:1 row_mask:0xf bank_mask:0xf
	v_cndmask_b32_e64 v17, v17, 0, s[14:15]
	v_add_u32_e32 v17, v17, v44
	s_nop 1
	v_mov_b32_dpp v18, v17 row_shr:2 row_mask:0xf bank_mask:0xf
	v_cndmask_b32_e64 v18, 0, v18, s[12:13]
	v_add_u32_e32 v17, v17, v18
	s_nop 1
	;; [unrolled: 4-line block ×4, first 2 shown]
	v_mov_b32_dpp v18, v17 row_bcast:15 row_mask:0xf bank_mask:0xf
	v_cndmask_b32_e64 v18, v18, 0, s[18:19]
	v_add_u32_e32 v17, v17, v18
	s_nop 1
	v_mov_b32_dpp v18, v17 row_bcast:31 row_mask:0xf bank_mask:0xf
	v_cndmask_b32_e64 v18, 0, v18, s[0:1]
	v_add_u32_e32 v17, v17, v18
	s_and_saveexec_b64 s[0:1], s[2:3]
; %bb.88:
	v_lshlrev_b32_e32 v18, 2, v42
	ds_write_b32 v18, v17
; %bb.89:
	s_or_b64 exec, exec, s[0:1]
	v_cmp_gt_u32_e32 vcc, 4, v0
	s_waitcnt lgkmcnt(0)
	s_barrier
	s_and_saveexec_b64 s[0:1], vcc
	s_cbranch_execz .LBB214_91
; %bb.90:
	v_lshlrev_b32_e32 v18, 2, v0
	ds_read_b32 v19, v18
	v_and_b32_e32 v20, 3, v41
	v_cmp_ne_u32_e32 vcc, 0, v20
	s_waitcnt lgkmcnt(0)
	v_mov_b32_dpp v21, v19 row_shr:1 row_mask:0xf bank_mask:0xf
	v_cndmask_b32_e32 v21, 0, v21, vcc
	v_add_u32_e32 v19, v21, v19
	v_cmp_lt_u32_e32 vcc, 1, v20
	s_nop 0
	v_mov_b32_dpp v21, v19 row_shr:2 row_mask:0xf bank_mask:0xf
	v_cndmask_b32_e32 v20, 0, v21, vcc
	v_add_u32_e32 v19, v19, v20
	ds_write_b32 v18, v19
.LBB214_91:
	s_or_b64 exec, exec, s[0:1]
	v_cmp_lt_u32_e32 vcc, 63, v0
	v_mov_b32_e32 v18, 0
	v_mov_b32_e32 v19, 0
	s_waitcnt lgkmcnt(0)
	s_barrier
	s_and_saveexec_b64 s[0:1], vcc
; %bb.92:
	v_lshl_add_u32 v19, v42, 2, -4
	ds_read_b32 v19, v19
; %bb.93:
	s_or_b64 exec, exec, s[0:1]
	v_subrev_co_u32_e32 v20, vcc, 1, v41
	v_and_b32_e32 v21, 64, v41
	v_cmp_lt_i32_e64 s[0:1], v20, v21
	v_cndmask_b32_e64 v20, v20, v41, s[0:1]
	s_waitcnt lgkmcnt(0)
	v_add_u32_e32 v17, v19, v17
	v_lshlrev_b32_e32 v20, 2, v20
	ds_bpermute_b32 v20, v20, v17
	ds_read_b32 v17, v18 offset:12
	v_cmp_eq_u32_e64 s[0:1], 0, v0
	s_and_saveexec_b64 s[2:3], s[0:1]
	s_cbranch_execz .LBB214_95
; %bb.94:
	v_mov_b32_e32 v21, 0
	v_mov_b32_e32 v18, 2
	s_waitcnt lgkmcnt(0)
	global_store_dwordx2 v21, v[17:18], s[22:23] offset:512
.LBB214_95:
	s_or_b64 exec, exec, s[2:3]
	s_waitcnt lgkmcnt(1)
	v_cndmask_b32_e32 v18, v20, v19, vcc
	v_cndmask_b32_e64 v43, v18, 0, s[0:1]
	s_waitcnt vmcnt(0) lgkmcnt(0)
	s_barrier
	v_mov_b32_e32 v18, 0
.LBB214_96:
	v_add_u32_e32 v49, v43, v31
	v_add_u32_e32 v47, v49, v33
	;; [unrolled: 1-line block ×5, first 2 shown]
	v_add_u32_sdwa v37, v39, v61 dst_sel:DWORD dst_unused:UNUSED_PAD src0_sel:DWORD src1_sel:BYTE_0
	v_add_u32_sdwa v35, v37, v60 dst_sel:DWORD dst_unused:UNUSED_PAD src0_sel:DWORD src1_sel:BYTE_0
	v_add_u32_e32 v33, v35, v27
	v_add_u32_e32 v31, v33, v29
	;; [unrolled: 1-line block ×6, first 2 shown]
	s_movk_i32 s2, 0x101
	v_add_u32_e32 v21, v23, v38
	s_waitcnt lgkmcnt(0)
	v_cmp_gt_u32_e32 vcc, s2, v17
	v_add_u32_e32 v19, v21, v40
	s_mov_b64 s[0:1], -1
	v_and_b32_e32 v66, 1, v28
	s_cbranch_vccnz .LBB214_100
; %bb.97:
	s_and_b64 vcc, exec, s[0:1]
	s_cbranch_vccnz .LBB214_133
.LBB214_98:
	v_cmp_eq_u32_e32 vcc, 0, v0
	s_and_b64 s[0:1], vcc, s[40:41]
	s_and_saveexec_b64 s[2:3], s[0:1]
	s_cbranch_execnz .LBB214_169
.LBB214_99:
	s_endpgm
.LBB214_100:
	v_add_u32_e32 v20, v18, v17
	s_lshl_b64 s[0:1], s[38:39], 2
	s_add_u32 s2, s4, s0
	v_cmp_lt_u32_e32 vcc, v43, v20
	s_addc_u32 s3, s5, s1
	s_or_b64 s[0:1], s[42:43], vcc
	v_cmp_eq_u32_e32 vcc, 1, v66
	s_and_b64 s[6:7], s[0:1], vcc
	s_and_saveexec_b64 s[0:1], s[6:7]
	s_cbranch_execz .LBB214_102
; %bb.101:
	v_mov_b32_e32 v44, 0
	v_lshlrev_b64 v[67:68], 2, v[43:44]
	v_mov_b32_e32 v22, s3
	v_add_co_u32_e32 v67, vcc, s2, v67
	v_addc_co_u32_e32 v68, vcc, v22, v68, vcc
	global_store_dword v[67:68], v15, off
.LBB214_102:
	s_or_b64 exec, exec, s[0:1]
	v_cmp_lt_u32_e32 vcc, v49, v20
	v_and_b32_e32 v22, 1, v65
	s_or_b64 s[0:1], s[42:43], vcc
	v_cmp_eq_u32_e32 vcc, 1, v22
	s_and_b64 s[6:7], s[0:1], vcc
	s_and_saveexec_b64 s[0:1], s[6:7]
	s_cbranch_execz .LBB214_104
; %bb.103:
	v_mov_b32_e32 v50, 0
	v_lshlrev_b64 v[67:68], 2, v[49:50]
	v_mov_b32_e32 v22, s3
	v_add_co_u32_e32 v67, vcc, s2, v67
	v_addc_co_u32_e32 v68, vcc, v22, v68, vcc
	global_store_dword v[67:68], v16, off
.LBB214_104:
	s_or_b64 exec, exec, s[0:1]
	v_cmp_lt_u32_e32 vcc, v47, v20
	v_and_b32_e32 v22, 1, v64
	;; [unrolled: 16-line block ×15, first 2 shown]
	s_or_b64 s[0:1], s[42:43], vcc
	v_cmp_eq_u32_e32 vcc, 1, v20
	s_and_b64 s[6:7], s[0:1], vcc
	s_and_saveexec_b64 s[0:1], s[6:7]
	s_cbranch_execz .LBB214_132
; %bb.131:
	v_mov_b32_e32 v20, 0
	v_lshlrev_b64 v[67:68], 2, v[19:20]
	v_mov_b32_e32 v20, s3
	v_add_co_u32_e32 v67, vcc, s2, v67
	v_addc_co_u32_e32 v68, vcc, v20, v68, vcc
	global_store_dword v[67:68], v2, off
.LBB214_132:
	s_or_b64 exec, exec, s[0:1]
	s_branch .LBB214_98
.LBB214_133:
	v_cmp_eq_u32_e32 vcc, 1, v66
	s_and_saveexec_b64 s[0:1], vcc
; %bb.134:
	v_sub_u32_e32 v20, v43, v18
	v_lshlrev_b32_e32 v20, 2, v20
	ds_write_b32 v20, v15
; %bb.135:
	s_or_b64 exec, exec, s[0:1]
	v_and_b32_e32 v15, 1, v65
	v_cmp_eq_u32_e32 vcc, 1, v15
	s_and_saveexec_b64 s[0:1], vcc
; %bb.136:
	v_sub_u32_e32 v15, v49, v18
	v_lshlrev_b32_e32 v15, 2, v15
	ds_write_b32 v15, v16
; %bb.137:
	s_or_b64 exec, exec, s[0:1]
	v_and_b32_e32 v15, 1, v64
	;; [unrolled: 9-line block ×15, first 2 shown]
	v_cmp_eq_u32_e32 vcc, 1, v1
	s_and_saveexec_b64 s[0:1], vcc
; %bb.164:
	v_sub_u32_e32 v1, v19, v18
	v_lshlrev_b32_e32 v1, 2, v1
	ds_write_b32 v1, v2
; %bb.165:
	s_or_b64 exec, exec, s[0:1]
	v_cmp_lt_u32_e32 vcc, v0, v17
	s_waitcnt vmcnt(0) lgkmcnt(0)
	s_barrier
	s_and_saveexec_b64 s[2:3], vcc
	s_cbranch_execz .LBB214_168
; %bb.166:
	v_mov_b32_e32 v2, 0
	v_mov_b32_e32 v1, v18
	s_lshl_b64 s[0:1], s[38:39], 2
	s_add_u32 s0, s4, s0
	v_lshlrev_b64 v[3:4], 2, v[1:2]
	s_addc_u32 s1, s5, s1
	v_mov_b32_e32 v1, s1
	v_add_co_u32_e32 v3, vcc, s0, v3
	v_addc_co_u32_e32 v4, vcc, v1, v4, vcc
	v_lshlrev_b32_e32 v5, 2, v0
	s_mov_b64 s[4:5], 0
	v_mov_b32_e32 v1, v0
.LBB214_167:                            ; =>This Inner Loop Header: Depth=1
	ds_read_b32 v8, v5
	v_lshlrev_b64 v[6:7], 2, v[1:2]
	v_add_u32_e32 v1, 0x100, v1
	v_cmp_ge_u32_e32 vcc, v1, v17
	v_add_co_u32_e64 v6, s[0:1], v3, v6
	v_add_u32_e32 v5, 0x400, v5
	v_addc_co_u32_e64 v7, s[0:1], v4, v7, s[0:1]
	s_or_b64 s[4:5], vcc, s[4:5]
	s_waitcnt lgkmcnt(0)
	global_store_dword v[6:7], v8, off
	s_andn2_b64 exec, exec, s[4:5]
	s_cbranch_execnz .LBB214_167
.LBB214_168:
	s_or_b64 exec, exec, s[2:3]
	v_cmp_eq_u32_e32 vcc, 0, v0
	s_and_b64 s[0:1], vcc, s[40:41]
	s_and_saveexec_b64 s[2:3], s[0:1]
	s_cbranch_execz .LBB214_99
.LBB214_169:
	v_mov_b32_e32 v0, s39
	v_add_co_u32_e32 v1, vcc, s38, v17
	v_addc_co_u32_e32 v3, vcc, 0, v0, vcc
	v_add_co_u32_e32 v0, vcc, v1, v18
	v_mov_b32_e32 v2, 0
	v_addc_co_u32_e32 v1, vcc, 0, v3, vcc
	global_store_dwordx2 v2, v[0:1], s[36:37]
	s_endpgm
	.section	.rodata,"a",@progbits
	.p2align	6, 0x0
	.amdhsa_kernel _ZN7rocprim17ROCPRIM_400000_NS6detail17trampoline_kernelINS0_14default_configENS1_25partition_config_selectorILNS1_17partition_subalgoE8EjNS0_10empty_typeEbEEZZNS1_14partition_implILS5_8ELb0ES3_jN6thrust23THRUST_200600_302600_NS6detail15normal_iteratorINSA_10device_ptrIjEEEEPS6_PKS6_NS0_5tupleIJSF_S6_EEENSJ_IJSG_SG_EEENS0_18inequality_wrapperINSA_8equal_toIjEEEEPmJS6_EEE10hipError_tPvRmT3_T4_T5_T6_T7_T9_mT8_P12ihipStream_tbDpT10_ENKUlT_T0_E_clISt17integral_constantIbLb0EES1A_EEDaS15_S16_EUlS15_E_NS1_11comp_targetILNS1_3genE2ELNS1_11target_archE906ELNS1_3gpuE6ELNS1_3repE0EEENS1_30default_config_static_selectorELNS0_4arch9wavefront6targetE1EEEvT1_
		.amdhsa_group_segment_fixed_size 16904
		.amdhsa_private_segment_fixed_size 0
		.amdhsa_kernarg_size 112
		.amdhsa_user_sgpr_count 6
		.amdhsa_user_sgpr_private_segment_buffer 1
		.amdhsa_user_sgpr_dispatch_ptr 0
		.amdhsa_user_sgpr_queue_ptr 0
		.amdhsa_user_sgpr_kernarg_segment_ptr 1
		.amdhsa_user_sgpr_dispatch_id 0
		.amdhsa_user_sgpr_flat_scratch_init 0
		.amdhsa_user_sgpr_private_segment_size 0
		.amdhsa_uses_dynamic_stack 0
		.amdhsa_system_sgpr_private_segment_wavefront_offset 0
		.amdhsa_system_sgpr_workgroup_id_x 1
		.amdhsa_system_sgpr_workgroup_id_y 0
		.amdhsa_system_sgpr_workgroup_id_z 0
		.amdhsa_system_sgpr_workgroup_info 0
		.amdhsa_system_vgpr_workitem_id 0
		.amdhsa_next_free_vgpr 75
		.amdhsa_next_free_sgpr 98
		.amdhsa_reserve_vcc 1
		.amdhsa_reserve_flat_scratch 0
		.amdhsa_float_round_mode_32 0
		.amdhsa_float_round_mode_16_64 0
		.amdhsa_float_denorm_mode_32 3
		.amdhsa_float_denorm_mode_16_64 3
		.amdhsa_dx10_clamp 1
		.amdhsa_ieee_mode 1
		.amdhsa_fp16_overflow 0
		.amdhsa_exception_fp_ieee_invalid_op 0
		.amdhsa_exception_fp_denorm_src 0
		.amdhsa_exception_fp_ieee_div_zero 0
		.amdhsa_exception_fp_ieee_overflow 0
		.amdhsa_exception_fp_ieee_underflow 0
		.amdhsa_exception_fp_ieee_inexact 0
		.amdhsa_exception_int_div_zero 0
	.end_amdhsa_kernel
	.section	.text._ZN7rocprim17ROCPRIM_400000_NS6detail17trampoline_kernelINS0_14default_configENS1_25partition_config_selectorILNS1_17partition_subalgoE8EjNS0_10empty_typeEbEEZZNS1_14partition_implILS5_8ELb0ES3_jN6thrust23THRUST_200600_302600_NS6detail15normal_iteratorINSA_10device_ptrIjEEEEPS6_PKS6_NS0_5tupleIJSF_S6_EEENSJ_IJSG_SG_EEENS0_18inequality_wrapperINSA_8equal_toIjEEEEPmJS6_EEE10hipError_tPvRmT3_T4_T5_T6_T7_T9_mT8_P12ihipStream_tbDpT10_ENKUlT_T0_E_clISt17integral_constantIbLb0EES1A_EEDaS15_S16_EUlS15_E_NS1_11comp_targetILNS1_3genE2ELNS1_11target_archE906ELNS1_3gpuE6ELNS1_3repE0EEENS1_30default_config_static_selectorELNS0_4arch9wavefront6targetE1EEEvT1_,"axG",@progbits,_ZN7rocprim17ROCPRIM_400000_NS6detail17trampoline_kernelINS0_14default_configENS1_25partition_config_selectorILNS1_17partition_subalgoE8EjNS0_10empty_typeEbEEZZNS1_14partition_implILS5_8ELb0ES3_jN6thrust23THRUST_200600_302600_NS6detail15normal_iteratorINSA_10device_ptrIjEEEEPS6_PKS6_NS0_5tupleIJSF_S6_EEENSJ_IJSG_SG_EEENS0_18inequality_wrapperINSA_8equal_toIjEEEEPmJS6_EEE10hipError_tPvRmT3_T4_T5_T6_T7_T9_mT8_P12ihipStream_tbDpT10_ENKUlT_T0_E_clISt17integral_constantIbLb0EES1A_EEDaS15_S16_EUlS15_E_NS1_11comp_targetILNS1_3genE2ELNS1_11target_archE906ELNS1_3gpuE6ELNS1_3repE0EEENS1_30default_config_static_selectorELNS0_4arch9wavefront6targetE1EEEvT1_,comdat
.Lfunc_end214:
	.size	_ZN7rocprim17ROCPRIM_400000_NS6detail17trampoline_kernelINS0_14default_configENS1_25partition_config_selectorILNS1_17partition_subalgoE8EjNS0_10empty_typeEbEEZZNS1_14partition_implILS5_8ELb0ES3_jN6thrust23THRUST_200600_302600_NS6detail15normal_iteratorINSA_10device_ptrIjEEEEPS6_PKS6_NS0_5tupleIJSF_S6_EEENSJ_IJSG_SG_EEENS0_18inequality_wrapperINSA_8equal_toIjEEEEPmJS6_EEE10hipError_tPvRmT3_T4_T5_T6_T7_T9_mT8_P12ihipStream_tbDpT10_ENKUlT_T0_E_clISt17integral_constantIbLb0EES1A_EEDaS15_S16_EUlS15_E_NS1_11comp_targetILNS1_3genE2ELNS1_11target_archE906ELNS1_3gpuE6ELNS1_3repE0EEENS1_30default_config_static_selectorELNS0_4arch9wavefront6targetE1EEEvT1_, .Lfunc_end214-_ZN7rocprim17ROCPRIM_400000_NS6detail17trampoline_kernelINS0_14default_configENS1_25partition_config_selectorILNS1_17partition_subalgoE8EjNS0_10empty_typeEbEEZZNS1_14partition_implILS5_8ELb0ES3_jN6thrust23THRUST_200600_302600_NS6detail15normal_iteratorINSA_10device_ptrIjEEEEPS6_PKS6_NS0_5tupleIJSF_S6_EEENSJ_IJSG_SG_EEENS0_18inequality_wrapperINSA_8equal_toIjEEEEPmJS6_EEE10hipError_tPvRmT3_T4_T5_T6_T7_T9_mT8_P12ihipStream_tbDpT10_ENKUlT_T0_E_clISt17integral_constantIbLb0EES1A_EEDaS15_S16_EUlS15_E_NS1_11comp_targetILNS1_3genE2ELNS1_11target_archE906ELNS1_3gpuE6ELNS1_3repE0EEENS1_30default_config_static_selectorELNS0_4arch9wavefront6targetE1EEEvT1_
                                        ; -- End function
	.set _ZN7rocprim17ROCPRIM_400000_NS6detail17trampoline_kernelINS0_14default_configENS1_25partition_config_selectorILNS1_17partition_subalgoE8EjNS0_10empty_typeEbEEZZNS1_14partition_implILS5_8ELb0ES3_jN6thrust23THRUST_200600_302600_NS6detail15normal_iteratorINSA_10device_ptrIjEEEEPS6_PKS6_NS0_5tupleIJSF_S6_EEENSJ_IJSG_SG_EEENS0_18inequality_wrapperINSA_8equal_toIjEEEEPmJS6_EEE10hipError_tPvRmT3_T4_T5_T6_T7_T9_mT8_P12ihipStream_tbDpT10_ENKUlT_T0_E_clISt17integral_constantIbLb0EES1A_EEDaS15_S16_EUlS15_E_NS1_11comp_targetILNS1_3genE2ELNS1_11target_archE906ELNS1_3gpuE6ELNS1_3repE0EEENS1_30default_config_static_selectorELNS0_4arch9wavefront6targetE1EEEvT1_.num_vgpr, 75
	.set _ZN7rocprim17ROCPRIM_400000_NS6detail17trampoline_kernelINS0_14default_configENS1_25partition_config_selectorILNS1_17partition_subalgoE8EjNS0_10empty_typeEbEEZZNS1_14partition_implILS5_8ELb0ES3_jN6thrust23THRUST_200600_302600_NS6detail15normal_iteratorINSA_10device_ptrIjEEEEPS6_PKS6_NS0_5tupleIJSF_S6_EEENSJ_IJSG_SG_EEENS0_18inequality_wrapperINSA_8equal_toIjEEEEPmJS6_EEE10hipError_tPvRmT3_T4_T5_T6_T7_T9_mT8_P12ihipStream_tbDpT10_ENKUlT_T0_E_clISt17integral_constantIbLb0EES1A_EEDaS15_S16_EUlS15_E_NS1_11comp_targetILNS1_3genE2ELNS1_11target_archE906ELNS1_3gpuE6ELNS1_3repE0EEENS1_30default_config_static_selectorELNS0_4arch9wavefront6targetE1EEEvT1_.num_agpr, 0
	.set _ZN7rocprim17ROCPRIM_400000_NS6detail17trampoline_kernelINS0_14default_configENS1_25partition_config_selectorILNS1_17partition_subalgoE8EjNS0_10empty_typeEbEEZZNS1_14partition_implILS5_8ELb0ES3_jN6thrust23THRUST_200600_302600_NS6detail15normal_iteratorINSA_10device_ptrIjEEEEPS6_PKS6_NS0_5tupleIJSF_S6_EEENSJ_IJSG_SG_EEENS0_18inequality_wrapperINSA_8equal_toIjEEEEPmJS6_EEE10hipError_tPvRmT3_T4_T5_T6_T7_T9_mT8_P12ihipStream_tbDpT10_ENKUlT_T0_E_clISt17integral_constantIbLb0EES1A_EEDaS15_S16_EUlS15_E_NS1_11comp_targetILNS1_3genE2ELNS1_11target_archE906ELNS1_3gpuE6ELNS1_3repE0EEENS1_30default_config_static_selectorELNS0_4arch9wavefront6targetE1EEEvT1_.numbered_sgpr, 56
	.set _ZN7rocprim17ROCPRIM_400000_NS6detail17trampoline_kernelINS0_14default_configENS1_25partition_config_selectorILNS1_17partition_subalgoE8EjNS0_10empty_typeEbEEZZNS1_14partition_implILS5_8ELb0ES3_jN6thrust23THRUST_200600_302600_NS6detail15normal_iteratorINSA_10device_ptrIjEEEEPS6_PKS6_NS0_5tupleIJSF_S6_EEENSJ_IJSG_SG_EEENS0_18inequality_wrapperINSA_8equal_toIjEEEEPmJS6_EEE10hipError_tPvRmT3_T4_T5_T6_T7_T9_mT8_P12ihipStream_tbDpT10_ENKUlT_T0_E_clISt17integral_constantIbLb0EES1A_EEDaS15_S16_EUlS15_E_NS1_11comp_targetILNS1_3genE2ELNS1_11target_archE906ELNS1_3gpuE6ELNS1_3repE0EEENS1_30default_config_static_selectorELNS0_4arch9wavefront6targetE1EEEvT1_.num_named_barrier, 0
	.set _ZN7rocprim17ROCPRIM_400000_NS6detail17trampoline_kernelINS0_14default_configENS1_25partition_config_selectorILNS1_17partition_subalgoE8EjNS0_10empty_typeEbEEZZNS1_14partition_implILS5_8ELb0ES3_jN6thrust23THRUST_200600_302600_NS6detail15normal_iteratorINSA_10device_ptrIjEEEEPS6_PKS6_NS0_5tupleIJSF_S6_EEENSJ_IJSG_SG_EEENS0_18inequality_wrapperINSA_8equal_toIjEEEEPmJS6_EEE10hipError_tPvRmT3_T4_T5_T6_T7_T9_mT8_P12ihipStream_tbDpT10_ENKUlT_T0_E_clISt17integral_constantIbLb0EES1A_EEDaS15_S16_EUlS15_E_NS1_11comp_targetILNS1_3genE2ELNS1_11target_archE906ELNS1_3gpuE6ELNS1_3repE0EEENS1_30default_config_static_selectorELNS0_4arch9wavefront6targetE1EEEvT1_.private_seg_size, 0
	.set _ZN7rocprim17ROCPRIM_400000_NS6detail17trampoline_kernelINS0_14default_configENS1_25partition_config_selectorILNS1_17partition_subalgoE8EjNS0_10empty_typeEbEEZZNS1_14partition_implILS5_8ELb0ES3_jN6thrust23THRUST_200600_302600_NS6detail15normal_iteratorINSA_10device_ptrIjEEEEPS6_PKS6_NS0_5tupleIJSF_S6_EEENSJ_IJSG_SG_EEENS0_18inequality_wrapperINSA_8equal_toIjEEEEPmJS6_EEE10hipError_tPvRmT3_T4_T5_T6_T7_T9_mT8_P12ihipStream_tbDpT10_ENKUlT_T0_E_clISt17integral_constantIbLb0EES1A_EEDaS15_S16_EUlS15_E_NS1_11comp_targetILNS1_3genE2ELNS1_11target_archE906ELNS1_3gpuE6ELNS1_3repE0EEENS1_30default_config_static_selectorELNS0_4arch9wavefront6targetE1EEEvT1_.uses_vcc, 1
	.set _ZN7rocprim17ROCPRIM_400000_NS6detail17trampoline_kernelINS0_14default_configENS1_25partition_config_selectorILNS1_17partition_subalgoE8EjNS0_10empty_typeEbEEZZNS1_14partition_implILS5_8ELb0ES3_jN6thrust23THRUST_200600_302600_NS6detail15normal_iteratorINSA_10device_ptrIjEEEEPS6_PKS6_NS0_5tupleIJSF_S6_EEENSJ_IJSG_SG_EEENS0_18inequality_wrapperINSA_8equal_toIjEEEEPmJS6_EEE10hipError_tPvRmT3_T4_T5_T6_T7_T9_mT8_P12ihipStream_tbDpT10_ENKUlT_T0_E_clISt17integral_constantIbLb0EES1A_EEDaS15_S16_EUlS15_E_NS1_11comp_targetILNS1_3genE2ELNS1_11target_archE906ELNS1_3gpuE6ELNS1_3repE0EEENS1_30default_config_static_selectorELNS0_4arch9wavefront6targetE1EEEvT1_.uses_flat_scratch, 0
	.set _ZN7rocprim17ROCPRIM_400000_NS6detail17trampoline_kernelINS0_14default_configENS1_25partition_config_selectorILNS1_17partition_subalgoE8EjNS0_10empty_typeEbEEZZNS1_14partition_implILS5_8ELb0ES3_jN6thrust23THRUST_200600_302600_NS6detail15normal_iteratorINSA_10device_ptrIjEEEEPS6_PKS6_NS0_5tupleIJSF_S6_EEENSJ_IJSG_SG_EEENS0_18inequality_wrapperINSA_8equal_toIjEEEEPmJS6_EEE10hipError_tPvRmT3_T4_T5_T6_T7_T9_mT8_P12ihipStream_tbDpT10_ENKUlT_T0_E_clISt17integral_constantIbLb0EES1A_EEDaS15_S16_EUlS15_E_NS1_11comp_targetILNS1_3genE2ELNS1_11target_archE906ELNS1_3gpuE6ELNS1_3repE0EEENS1_30default_config_static_selectorELNS0_4arch9wavefront6targetE1EEEvT1_.has_dyn_sized_stack, 0
	.set _ZN7rocprim17ROCPRIM_400000_NS6detail17trampoline_kernelINS0_14default_configENS1_25partition_config_selectorILNS1_17partition_subalgoE8EjNS0_10empty_typeEbEEZZNS1_14partition_implILS5_8ELb0ES3_jN6thrust23THRUST_200600_302600_NS6detail15normal_iteratorINSA_10device_ptrIjEEEEPS6_PKS6_NS0_5tupleIJSF_S6_EEENSJ_IJSG_SG_EEENS0_18inequality_wrapperINSA_8equal_toIjEEEEPmJS6_EEE10hipError_tPvRmT3_T4_T5_T6_T7_T9_mT8_P12ihipStream_tbDpT10_ENKUlT_T0_E_clISt17integral_constantIbLb0EES1A_EEDaS15_S16_EUlS15_E_NS1_11comp_targetILNS1_3genE2ELNS1_11target_archE906ELNS1_3gpuE6ELNS1_3repE0EEENS1_30default_config_static_selectorELNS0_4arch9wavefront6targetE1EEEvT1_.has_recursion, 0
	.set _ZN7rocprim17ROCPRIM_400000_NS6detail17trampoline_kernelINS0_14default_configENS1_25partition_config_selectorILNS1_17partition_subalgoE8EjNS0_10empty_typeEbEEZZNS1_14partition_implILS5_8ELb0ES3_jN6thrust23THRUST_200600_302600_NS6detail15normal_iteratorINSA_10device_ptrIjEEEEPS6_PKS6_NS0_5tupleIJSF_S6_EEENSJ_IJSG_SG_EEENS0_18inequality_wrapperINSA_8equal_toIjEEEEPmJS6_EEE10hipError_tPvRmT3_T4_T5_T6_T7_T9_mT8_P12ihipStream_tbDpT10_ENKUlT_T0_E_clISt17integral_constantIbLb0EES1A_EEDaS15_S16_EUlS15_E_NS1_11comp_targetILNS1_3genE2ELNS1_11target_archE906ELNS1_3gpuE6ELNS1_3repE0EEENS1_30default_config_static_selectorELNS0_4arch9wavefront6targetE1EEEvT1_.has_indirect_call, 0
	.section	.AMDGPU.csdata,"",@progbits
; Kernel info:
; codeLenInByte = 8048
; TotalNumSgprs: 60
; NumVgprs: 75
; ScratchSize: 0
; MemoryBound: 0
; FloatMode: 240
; IeeeMode: 1
; LDSByteSize: 16904 bytes/workgroup (compile time only)
; SGPRBlocks: 12
; VGPRBlocks: 18
; NumSGPRsForWavesPerEU: 102
; NumVGPRsForWavesPerEU: 75
; Occupancy: 3
; WaveLimiterHint : 1
; COMPUTE_PGM_RSRC2:SCRATCH_EN: 0
; COMPUTE_PGM_RSRC2:USER_SGPR: 6
; COMPUTE_PGM_RSRC2:TRAP_HANDLER: 0
; COMPUTE_PGM_RSRC2:TGID_X_EN: 1
; COMPUTE_PGM_RSRC2:TGID_Y_EN: 0
; COMPUTE_PGM_RSRC2:TGID_Z_EN: 0
; COMPUTE_PGM_RSRC2:TIDIG_COMP_CNT: 0
	.section	.text._ZN7rocprim17ROCPRIM_400000_NS6detail17trampoline_kernelINS0_14default_configENS1_25partition_config_selectorILNS1_17partition_subalgoE8EjNS0_10empty_typeEbEEZZNS1_14partition_implILS5_8ELb0ES3_jN6thrust23THRUST_200600_302600_NS6detail15normal_iteratorINSA_10device_ptrIjEEEEPS6_PKS6_NS0_5tupleIJSF_S6_EEENSJ_IJSG_SG_EEENS0_18inequality_wrapperINSA_8equal_toIjEEEEPmJS6_EEE10hipError_tPvRmT3_T4_T5_T6_T7_T9_mT8_P12ihipStream_tbDpT10_ENKUlT_T0_E_clISt17integral_constantIbLb0EES1A_EEDaS15_S16_EUlS15_E_NS1_11comp_targetILNS1_3genE10ELNS1_11target_archE1200ELNS1_3gpuE4ELNS1_3repE0EEENS1_30default_config_static_selectorELNS0_4arch9wavefront6targetE1EEEvT1_,"axG",@progbits,_ZN7rocprim17ROCPRIM_400000_NS6detail17trampoline_kernelINS0_14default_configENS1_25partition_config_selectorILNS1_17partition_subalgoE8EjNS0_10empty_typeEbEEZZNS1_14partition_implILS5_8ELb0ES3_jN6thrust23THRUST_200600_302600_NS6detail15normal_iteratorINSA_10device_ptrIjEEEEPS6_PKS6_NS0_5tupleIJSF_S6_EEENSJ_IJSG_SG_EEENS0_18inequality_wrapperINSA_8equal_toIjEEEEPmJS6_EEE10hipError_tPvRmT3_T4_T5_T6_T7_T9_mT8_P12ihipStream_tbDpT10_ENKUlT_T0_E_clISt17integral_constantIbLb0EES1A_EEDaS15_S16_EUlS15_E_NS1_11comp_targetILNS1_3genE10ELNS1_11target_archE1200ELNS1_3gpuE4ELNS1_3repE0EEENS1_30default_config_static_selectorELNS0_4arch9wavefront6targetE1EEEvT1_,comdat
	.protected	_ZN7rocprim17ROCPRIM_400000_NS6detail17trampoline_kernelINS0_14default_configENS1_25partition_config_selectorILNS1_17partition_subalgoE8EjNS0_10empty_typeEbEEZZNS1_14partition_implILS5_8ELb0ES3_jN6thrust23THRUST_200600_302600_NS6detail15normal_iteratorINSA_10device_ptrIjEEEEPS6_PKS6_NS0_5tupleIJSF_S6_EEENSJ_IJSG_SG_EEENS0_18inequality_wrapperINSA_8equal_toIjEEEEPmJS6_EEE10hipError_tPvRmT3_T4_T5_T6_T7_T9_mT8_P12ihipStream_tbDpT10_ENKUlT_T0_E_clISt17integral_constantIbLb0EES1A_EEDaS15_S16_EUlS15_E_NS1_11comp_targetILNS1_3genE10ELNS1_11target_archE1200ELNS1_3gpuE4ELNS1_3repE0EEENS1_30default_config_static_selectorELNS0_4arch9wavefront6targetE1EEEvT1_ ; -- Begin function _ZN7rocprim17ROCPRIM_400000_NS6detail17trampoline_kernelINS0_14default_configENS1_25partition_config_selectorILNS1_17partition_subalgoE8EjNS0_10empty_typeEbEEZZNS1_14partition_implILS5_8ELb0ES3_jN6thrust23THRUST_200600_302600_NS6detail15normal_iteratorINSA_10device_ptrIjEEEEPS6_PKS6_NS0_5tupleIJSF_S6_EEENSJ_IJSG_SG_EEENS0_18inequality_wrapperINSA_8equal_toIjEEEEPmJS6_EEE10hipError_tPvRmT3_T4_T5_T6_T7_T9_mT8_P12ihipStream_tbDpT10_ENKUlT_T0_E_clISt17integral_constantIbLb0EES1A_EEDaS15_S16_EUlS15_E_NS1_11comp_targetILNS1_3genE10ELNS1_11target_archE1200ELNS1_3gpuE4ELNS1_3repE0EEENS1_30default_config_static_selectorELNS0_4arch9wavefront6targetE1EEEvT1_
	.globl	_ZN7rocprim17ROCPRIM_400000_NS6detail17trampoline_kernelINS0_14default_configENS1_25partition_config_selectorILNS1_17partition_subalgoE8EjNS0_10empty_typeEbEEZZNS1_14partition_implILS5_8ELb0ES3_jN6thrust23THRUST_200600_302600_NS6detail15normal_iteratorINSA_10device_ptrIjEEEEPS6_PKS6_NS0_5tupleIJSF_S6_EEENSJ_IJSG_SG_EEENS0_18inequality_wrapperINSA_8equal_toIjEEEEPmJS6_EEE10hipError_tPvRmT3_T4_T5_T6_T7_T9_mT8_P12ihipStream_tbDpT10_ENKUlT_T0_E_clISt17integral_constantIbLb0EES1A_EEDaS15_S16_EUlS15_E_NS1_11comp_targetILNS1_3genE10ELNS1_11target_archE1200ELNS1_3gpuE4ELNS1_3repE0EEENS1_30default_config_static_selectorELNS0_4arch9wavefront6targetE1EEEvT1_
	.p2align	8
	.type	_ZN7rocprim17ROCPRIM_400000_NS6detail17trampoline_kernelINS0_14default_configENS1_25partition_config_selectorILNS1_17partition_subalgoE8EjNS0_10empty_typeEbEEZZNS1_14partition_implILS5_8ELb0ES3_jN6thrust23THRUST_200600_302600_NS6detail15normal_iteratorINSA_10device_ptrIjEEEEPS6_PKS6_NS0_5tupleIJSF_S6_EEENSJ_IJSG_SG_EEENS0_18inequality_wrapperINSA_8equal_toIjEEEEPmJS6_EEE10hipError_tPvRmT3_T4_T5_T6_T7_T9_mT8_P12ihipStream_tbDpT10_ENKUlT_T0_E_clISt17integral_constantIbLb0EES1A_EEDaS15_S16_EUlS15_E_NS1_11comp_targetILNS1_3genE10ELNS1_11target_archE1200ELNS1_3gpuE4ELNS1_3repE0EEENS1_30default_config_static_selectorELNS0_4arch9wavefront6targetE1EEEvT1_,@function
_ZN7rocprim17ROCPRIM_400000_NS6detail17trampoline_kernelINS0_14default_configENS1_25partition_config_selectorILNS1_17partition_subalgoE8EjNS0_10empty_typeEbEEZZNS1_14partition_implILS5_8ELb0ES3_jN6thrust23THRUST_200600_302600_NS6detail15normal_iteratorINSA_10device_ptrIjEEEEPS6_PKS6_NS0_5tupleIJSF_S6_EEENSJ_IJSG_SG_EEENS0_18inequality_wrapperINSA_8equal_toIjEEEEPmJS6_EEE10hipError_tPvRmT3_T4_T5_T6_T7_T9_mT8_P12ihipStream_tbDpT10_ENKUlT_T0_E_clISt17integral_constantIbLb0EES1A_EEDaS15_S16_EUlS15_E_NS1_11comp_targetILNS1_3genE10ELNS1_11target_archE1200ELNS1_3gpuE4ELNS1_3repE0EEENS1_30default_config_static_selectorELNS0_4arch9wavefront6targetE1EEEvT1_: ; @_ZN7rocprim17ROCPRIM_400000_NS6detail17trampoline_kernelINS0_14default_configENS1_25partition_config_selectorILNS1_17partition_subalgoE8EjNS0_10empty_typeEbEEZZNS1_14partition_implILS5_8ELb0ES3_jN6thrust23THRUST_200600_302600_NS6detail15normal_iteratorINSA_10device_ptrIjEEEEPS6_PKS6_NS0_5tupleIJSF_S6_EEENSJ_IJSG_SG_EEENS0_18inequality_wrapperINSA_8equal_toIjEEEEPmJS6_EEE10hipError_tPvRmT3_T4_T5_T6_T7_T9_mT8_P12ihipStream_tbDpT10_ENKUlT_T0_E_clISt17integral_constantIbLb0EES1A_EEDaS15_S16_EUlS15_E_NS1_11comp_targetILNS1_3genE10ELNS1_11target_archE1200ELNS1_3gpuE4ELNS1_3repE0EEENS1_30default_config_static_selectorELNS0_4arch9wavefront6targetE1EEEvT1_
; %bb.0:
	.section	.rodata,"a",@progbits
	.p2align	6, 0x0
	.amdhsa_kernel _ZN7rocprim17ROCPRIM_400000_NS6detail17trampoline_kernelINS0_14default_configENS1_25partition_config_selectorILNS1_17partition_subalgoE8EjNS0_10empty_typeEbEEZZNS1_14partition_implILS5_8ELb0ES3_jN6thrust23THRUST_200600_302600_NS6detail15normal_iteratorINSA_10device_ptrIjEEEEPS6_PKS6_NS0_5tupleIJSF_S6_EEENSJ_IJSG_SG_EEENS0_18inequality_wrapperINSA_8equal_toIjEEEEPmJS6_EEE10hipError_tPvRmT3_T4_T5_T6_T7_T9_mT8_P12ihipStream_tbDpT10_ENKUlT_T0_E_clISt17integral_constantIbLb0EES1A_EEDaS15_S16_EUlS15_E_NS1_11comp_targetILNS1_3genE10ELNS1_11target_archE1200ELNS1_3gpuE4ELNS1_3repE0EEENS1_30default_config_static_selectorELNS0_4arch9wavefront6targetE1EEEvT1_
		.amdhsa_group_segment_fixed_size 0
		.amdhsa_private_segment_fixed_size 0
		.amdhsa_kernarg_size 112
		.amdhsa_user_sgpr_count 6
		.amdhsa_user_sgpr_private_segment_buffer 1
		.amdhsa_user_sgpr_dispatch_ptr 0
		.amdhsa_user_sgpr_queue_ptr 0
		.amdhsa_user_sgpr_kernarg_segment_ptr 1
		.amdhsa_user_sgpr_dispatch_id 0
		.amdhsa_user_sgpr_flat_scratch_init 0
		.amdhsa_user_sgpr_private_segment_size 0
		.amdhsa_uses_dynamic_stack 0
		.amdhsa_system_sgpr_private_segment_wavefront_offset 0
		.amdhsa_system_sgpr_workgroup_id_x 1
		.amdhsa_system_sgpr_workgroup_id_y 0
		.amdhsa_system_sgpr_workgroup_id_z 0
		.amdhsa_system_sgpr_workgroup_info 0
		.amdhsa_system_vgpr_workitem_id 0
		.amdhsa_next_free_vgpr 1
		.amdhsa_next_free_sgpr 0
		.amdhsa_reserve_vcc 0
		.amdhsa_reserve_flat_scratch 0
		.amdhsa_float_round_mode_32 0
		.amdhsa_float_round_mode_16_64 0
		.amdhsa_float_denorm_mode_32 3
		.amdhsa_float_denorm_mode_16_64 3
		.amdhsa_dx10_clamp 1
		.amdhsa_ieee_mode 1
		.amdhsa_fp16_overflow 0
		.amdhsa_exception_fp_ieee_invalid_op 0
		.amdhsa_exception_fp_denorm_src 0
		.amdhsa_exception_fp_ieee_div_zero 0
		.amdhsa_exception_fp_ieee_overflow 0
		.amdhsa_exception_fp_ieee_underflow 0
		.amdhsa_exception_fp_ieee_inexact 0
		.amdhsa_exception_int_div_zero 0
	.end_amdhsa_kernel
	.section	.text._ZN7rocprim17ROCPRIM_400000_NS6detail17trampoline_kernelINS0_14default_configENS1_25partition_config_selectorILNS1_17partition_subalgoE8EjNS0_10empty_typeEbEEZZNS1_14partition_implILS5_8ELb0ES3_jN6thrust23THRUST_200600_302600_NS6detail15normal_iteratorINSA_10device_ptrIjEEEEPS6_PKS6_NS0_5tupleIJSF_S6_EEENSJ_IJSG_SG_EEENS0_18inequality_wrapperINSA_8equal_toIjEEEEPmJS6_EEE10hipError_tPvRmT3_T4_T5_T6_T7_T9_mT8_P12ihipStream_tbDpT10_ENKUlT_T0_E_clISt17integral_constantIbLb0EES1A_EEDaS15_S16_EUlS15_E_NS1_11comp_targetILNS1_3genE10ELNS1_11target_archE1200ELNS1_3gpuE4ELNS1_3repE0EEENS1_30default_config_static_selectorELNS0_4arch9wavefront6targetE1EEEvT1_,"axG",@progbits,_ZN7rocprim17ROCPRIM_400000_NS6detail17trampoline_kernelINS0_14default_configENS1_25partition_config_selectorILNS1_17partition_subalgoE8EjNS0_10empty_typeEbEEZZNS1_14partition_implILS5_8ELb0ES3_jN6thrust23THRUST_200600_302600_NS6detail15normal_iteratorINSA_10device_ptrIjEEEEPS6_PKS6_NS0_5tupleIJSF_S6_EEENSJ_IJSG_SG_EEENS0_18inequality_wrapperINSA_8equal_toIjEEEEPmJS6_EEE10hipError_tPvRmT3_T4_T5_T6_T7_T9_mT8_P12ihipStream_tbDpT10_ENKUlT_T0_E_clISt17integral_constantIbLb0EES1A_EEDaS15_S16_EUlS15_E_NS1_11comp_targetILNS1_3genE10ELNS1_11target_archE1200ELNS1_3gpuE4ELNS1_3repE0EEENS1_30default_config_static_selectorELNS0_4arch9wavefront6targetE1EEEvT1_,comdat
.Lfunc_end215:
	.size	_ZN7rocprim17ROCPRIM_400000_NS6detail17trampoline_kernelINS0_14default_configENS1_25partition_config_selectorILNS1_17partition_subalgoE8EjNS0_10empty_typeEbEEZZNS1_14partition_implILS5_8ELb0ES3_jN6thrust23THRUST_200600_302600_NS6detail15normal_iteratorINSA_10device_ptrIjEEEEPS6_PKS6_NS0_5tupleIJSF_S6_EEENSJ_IJSG_SG_EEENS0_18inequality_wrapperINSA_8equal_toIjEEEEPmJS6_EEE10hipError_tPvRmT3_T4_T5_T6_T7_T9_mT8_P12ihipStream_tbDpT10_ENKUlT_T0_E_clISt17integral_constantIbLb0EES1A_EEDaS15_S16_EUlS15_E_NS1_11comp_targetILNS1_3genE10ELNS1_11target_archE1200ELNS1_3gpuE4ELNS1_3repE0EEENS1_30default_config_static_selectorELNS0_4arch9wavefront6targetE1EEEvT1_, .Lfunc_end215-_ZN7rocprim17ROCPRIM_400000_NS6detail17trampoline_kernelINS0_14default_configENS1_25partition_config_selectorILNS1_17partition_subalgoE8EjNS0_10empty_typeEbEEZZNS1_14partition_implILS5_8ELb0ES3_jN6thrust23THRUST_200600_302600_NS6detail15normal_iteratorINSA_10device_ptrIjEEEEPS6_PKS6_NS0_5tupleIJSF_S6_EEENSJ_IJSG_SG_EEENS0_18inequality_wrapperINSA_8equal_toIjEEEEPmJS6_EEE10hipError_tPvRmT3_T4_T5_T6_T7_T9_mT8_P12ihipStream_tbDpT10_ENKUlT_T0_E_clISt17integral_constantIbLb0EES1A_EEDaS15_S16_EUlS15_E_NS1_11comp_targetILNS1_3genE10ELNS1_11target_archE1200ELNS1_3gpuE4ELNS1_3repE0EEENS1_30default_config_static_selectorELNS0_4arch9wavefront6targetE1EEEvT1_
                                        ; -- End function
	.set _ZN7rocprim17ROCPRIM_400000_NS6detail17trampoline_kernelINS0_14default_configENS1_25partition_config_selectorILNS1_17partition_subalgoE8EjNS0_10empty_typeEbEEZZNS1_14partition_implILS5_8ELb0ES3_jN6thrust23THRUST_200600_302600_NS6detail15normal_iteratorINSA_10device_ptrIjEEEEPS6_PKS6_NS0_5tupleIJSF_S6_EEENSJ_IJSG_SG_EEENS0_18inequality_wrapperINSA_8equal_toIjEEEEPmJS6_EEE10hipError_tPvRmT3_T4_T5_T6_T7_T9_mT8_P12ihipStream_tbDpT10_ENKUlT_T0_E_clISt17integral_constantIbLb0EES1A_EEDaS15_S16_EUlS15_E_NS1_11comp_targetILNS1_3genE10ELNS1_11target_archE1200ELNS1_3gpuE4ELNS1_3repE0EEENS1_30default_config_static_selectorELNS0_4arch9wavefront6targetE1EEEvT1_.num_vgpr, 0
	.set _ZN7rocprim17ROCPRIM_400000_NS6detail17trampoline_kernelINS0_14default_configENS1_25partition_config_selectorILNS1_17partition_subalgoE8EjNS0_10empty_typeEbEEZZNS1_14partition_implILS5_8ELb0ES3_jN6thrust23THRUST_200600_302600_NS6detail15normal_iteratorINSA_10device_ptrIjEEEEPS6_PKS6_NS0_5tupleIJSF_S6_EEENSJ_IJSG_SG_EEENS0_18inequality_wrapperINSA_8equal_toIjEEEEPmJS6_EEE10hipError_tPvRmT3_T4_T5_T6_T7_T9_mT8_P12ihipStream_tbDpT10_ENKUlT_T0_E_clISt17integral_constantIbLb0EES1A_EEDaS15_S16_EUlS15_E_NS1_11comp_targetILNS1_3genE10ELNS1_11target_archE1200ELNS1_3gpuE4ELNS1_3repE0EEENS1_30default_config_static_selectorELNS0_4arch9wavefront6targetE1EEEvT1_.num_agpr, 0
	.set _ZN7rocprim17ROCPRIM_400000_NS6detail17trampoline_kernelINS0_14default_configENS1_25partition_config_selectorILNS1_17partition_subalgoE8EjNS0_10empty_typeEbEEZZNS1_14partition_implILS5_8ELb0ES3_jN6thrust23THRUST_200600_302600_NS6detail15normal_iteratorINSA_10device_ptrIjEEEEPS6_PKS6_NS0_5tupleIJSF_S6_EEENSJ_IJSG_SG_EEENS0_18inequality_wrapperINSA_8equal_toIjEEEEPmJS6_EEE10hipError_tPvRmT3_T4_T5_T6_T7_T9_mT8_P12ihipStream_tbDpT10_ENKUlT_T0_E_clISt17integral_constantIbLb0EES1A_EEDaS15_S16_EUlS15_E_NS1_11comp_targetILNS1_3genE10ELNS1_11target_archE1200ELNS1_3gpuE4ELNS1_3repE0EEENS1_30default_config_static_selectorELNS0_4arch9wavefront6targetE1EEEvT1_.numbered_sgpr, 0
	.set _ZN7rocprim17ROCPRIM_400000_NS6detail17trampoline_kernelINS0_14default_configENS1_25partition_config_selectorILNS1_17partition_subalgoE8EjNS0_10empty_typeEbEEZZNS1_14partition_implILS5_8ELb0ES3_jN6thrust23THRUST_200600_302600_NS6detail15normal_iteratorINSA_10device_ptrIjEEEEPS6_PKS6_NS0_5tupleIJSF_S6_EEENSJ_IJSG_SG_EEENS0_18inequality_wrapperINSA_8equal_toIjEEEEPmJS6_EEE10hipError_tPvRmT3_T4_T5_T6_T7_T9_mT8_P12ihipStream_tbDpT10_ENKUlT_T0_E_clISt17integral_constantIbLb0EES1A_EEDaS15_S16_EUlS15_E_NS1_11comp_targetILNS1_3genE10ELNS1_11target_archE1200ELNS1_3gpuE4ELNS1_3repE0EEENS1_30default_config_static_selectorELNS0_4arch9wavefront6targetE1EEEvT1_.num_named_barrier, 0
	.set _ZN7rocprim17ROCPRIM_400000_NS6detail17trampoline_kernelINS0_14default_configENS1_25partition_config_selectorILNS1_17partition_subalgoE8EjNS0_10empty_typeEbEEZZNS1_14partition_implILS5_8ELb0ES3_jN6thrust23THRUST_200600_302600_NS6detail15normal_iteratorINSA_10device_ptrIjEEEEPS6_PKS6_NS0_5tupleIJSF_S6_EEENSJ_IJSG_SG_EEENS0_18inequality_wrapperINSA_8equal_toIjEEEEPmJS6_EEE10hipError_tPvRmT3_T4_T5_T6_T7_T9_mT8_P12ihipStream_tbDpT10_ENKUlT_T0_E_clISt17integral_constantIbLb0EES1A_EEDaS15_S16_EUlS15_E_NS1_11comp_targetILNS1_3genE10ELNS1_11target_archE1200ELNS1_3gpuE4ELNS1_3repE0EEENS1_30default_config_static_selectorELNS0_4arch9wavefront6targetE1EEEvT1_.private_seg_size, 0
	.set _ZN7rocprim17ROCPRIM_400000_NS6detail17trampoline_kernelINS0_14default_configENS1_25partition_config_selectorILNS1_17partition_subalgoE8EjNS0_10empty_typeEbEEZZNS1_14partition_implILS5_8ELb0ES3_jN6thrust23THRUST_200600_302600_NS6detail15normal_iteratorINSA_10device_ptrIjEEEEPS6_PKS6_NS0_5tupleIJSF_S6_EEENSJ_IJSG_SG_EEENS0_18inequality_wrapperINSA_8equal_toIjEEEEPmJS6_EEE10hipError_tPvRmT3_T4_T5_T6_T7_T9_mT8_P12ihipStream_tbDpT10_ENKUlT_T0_E_clISt17integral_constantIbLb0EES1A_EEDaS15_S16_EUlS15_E_NS1_11comp_targetILNS1_3genE10ELNS1_11target_archE1200ELNS1_3gpuE4ELNS1_3repE0EEENS1_30default_config_static_selectorELNS0_4arch9wavefront6targetE1EEEvT1_.uses_vcc, 0
	.set _ZN7rocprim17ROCPRIM_400000_NS6detail17trampoline_kernelINS0_14default_configENS1_25partition_config_selectorILNS1_17partition_subalgoE8EjNS0_10empty_typeEbEEZZNS1_14partition_implILS5_8ELb0ES3_jN6thrust23THRUST_200600_302600_NS6detail15normal_iteratorINSA_10device_ptrIjEEEEPS6_PKS6_NS0_5tupleIJSF_S6_EEENSJ_IJSG_SG_EEENS0_18inequality_wrapperINSA_8equal_toIjEEEEPmJS6_EEE10hipError_tPvRmT3_T4_T5_T6_T7_T9_mT8_P12ihipStream_tbDpT10_ENKUlT_T0_E_clISt17integral_constantIbLb0EES1A_EEDaS15_S16_EUlS15_E_NS1_11comp_targetILNS1_3genE10ELNS1_11target_archE1200ELNS1_3gpuE4ELNS1_3repE0EEENS1_30default_config_static_selectorELNS0_4arch9wavefront6targetE1EEEvT1_.uses_flat_scratch, 0
	.set _ZN7rocprim17ROCPRIM_400000_NS6detail17trampoline_kernelINS0_14default_configENS1_25partition_config_selectorILNS1_17partition_subalgoE8EjNS0_10empty_typeEbEEZZNS1_14partition_implILS5_8ELb0ES3_jN6thrust23THRUST_200600_302600_NS6detail15normal_iteratorINSA_10device_ptrIjEEEEPS6_PKS6_NS0_5tupleIJSF_S6_EEENSJ_IJSG_SG_EEENS0_18inequality_wrapperINSA_8equal_toIjEEEEPmJS6_EEE10hipError_tPvRmT3_T4_T5_T6_T7_T9_mT8_P12ihipStream_tbDpT10_ENKUlT_T0_E_clISt17integral_constantIbLb0EES1A_EEDaS15_S16_EUlS15_E_NS1_11comp_targetILNS1_3genE10ELNS1_11target_archE1200ELNS1_3gpuE4ELNS1_3repE0EEENS1_30default_config_static_selectorELNS0_4arch9wavefront6targetE1EEEvT1_.has_dyn_sized_stack, 0
	.set _ZN7rocprim17ROCPRIM_400000_NS6detail17trampoline_kernelINS0_14default_configENS1_25partition_config_selectorILNS1_17partition_subalgoE8EjNS0_10empty_typeEbEEZZNS1_14partition_implILS5_8ELb0ES3_jN6thrust23THRUST_200600_302600_NS6detail15normal_iteratorINSA_10device_ptrIjEEEEPS6_PKS6_NS0_5tupleIJSF_S6_EEENSJ_IJSG_SG_EEENS0_18inequality_wrapperINSA_8equal_toIjEEEEPmJS6_EEE10hipError_tPvRmT3_T4_T5_T6_T7_T9_mT8_P12ihipStream_tbDpT10_ENKUlT_T0_E_clISt17integral_constantIbLb0EES1A_EEDaS15_S16_EUlS15_E_NS1_11comp_targetILNS1_3genE10ELNS1_11target_archE1200ELNS1_3gpuE4ELNS1_3repE0EEENS1_30default_config_static_selectorELNS0_4arch9wavefront6targetE1EEEvT1_.has_recursion, 0
	.set _ZN7rocprim17ROCPRIM_400000_NS6detail17trampoline_kernelINS0_14default_configENS1_25partition_config_selectorILNS1_17partition_subalgoE8EjNS0_10empty_typeEbEEZZNS1_14partition_implILS5_8ELb0ES3_jN6thrust23THRUST_200600_302600_NS6detail15normal_iteratorINSA_10device_ptrIjEEEEPS6_PKS6_NS0_5tupleIJSF_S6_EEENSJ_IJSG_SG_EEENS0_18inequality_wrapperINSA_8equal_toIjEEEEPmJS6_EEE10hipError_tPvRmT3_T4_T5_T6_T7_T9_mT8_P12ihipStream_tbDpT10_ENKUlT_T0_E_clISt17integral_constantIbLb0EES1A_EEDaS15_S16_EUlS15_E_NS1_11comp_targetILNS1_3genE10ELNS1_11target_archE1200ELNS1_3gpuE4ELNS1_3repE0EEENS1_30default_config_static_selectorELNS0_4arch9wavefront6targetE1EEEvT1_.has_indirect_call, 0
	.section	.AMDGPU.csdata,"",@progbits
; Kernel info:
; codeLenInByte = 0
; TotalNumSgprs: 4
; NumVgprs: 0
; ScratchSize: 0
; MemoryBound: 0
; FloatMode: 240
; IeeeMode: 1
; LDSByteSize: 0 bytes/workgroup (compile time only)
; SGPRBlocks: 0
; VGPRBlocks: 0
; NumSGPRsForWavesPerEU: 4
; NumVGPRsForWavesPerEU: 1
; Occupancy: 10
; WaveLimiterHint : 0
; COMPUTE_PGM_RSRC2:SCRATCH_EN: 0
; COMPUTE_PGM_RSRC2:USER_SGPR: 6
; COMPUTE_PGM_RSRC2:TRAP_HANDLER: 0
; COMPUTE_PGM_RSRC2:TGID_X_EN: 1
; COMPUTE_PGM_RSRC2:TGID_Y_EN: 0
; COMPUTE_PGM_RSRC2:TGID_Z_EN: 0
; COMPUTE_PGM_RSRC2:TIDIG_COMP_CNT: 0
	.section	.text._ZN7rocprim17ROCPRIM_400000_NS6detail17trampoline_kernelINS0_14default_configENS1_25partition_config_selectorILNS1_17partition_subalgoE8EjNS0_10empty_typeEbEEZZNS1_14partition_implILS5_8ELb0ES3_jN6thrust23THRUST_200600_302600_NS6detail15normal_iteratorINSA_10device_ptrIjEEEEPS6_PKS6_NS0_5tupleIJSF_S6_EEENSJ_IJSG_SG_EEENS0_18inequality_wrapperINSA_8equal_toIjEEEEPmJS6_EEE10hipError_tPvRmT3_T4_T5_T6_T7_T9_mT8_P12ihipStream_tbDpT10_ENKUlT_T0_E_clISt17integral_constantIbLb0EES1A_EEDaS15_S16_EUlS15_E_NS1_11comp_targetILNS1_3genE9ELNS1_11target_archE1100ELNS1_3gpuE3ELNS1_3repE0EEENS1_30default_config_static_selectorELNS0_4arch9wavefront6targetE1EEEvT1_,"axG",@progbits,_ZN7rocprim17ROCPRIM_400000_NS6detail17trampoline_kernelINS0_14default_configENS1_25partition_config_selectorILNS1_17partition_subalgoE8EjNS0_10empty_typeEbEEZZNS1_14partition_implILS5_8ELb0ES3_jN6thrust23THRUST_200600_302600_NS6detail15normal_iteratorINSA_10device_ptrIjEEEEPS6_PKS6_NS0_5tupleIJSF_S6_EEENSJ_IJSG_SG_EEENS0_18inequality_wrapperINSA_8equal_toIjEEEEPmJS6_EEE10hipError_tPvRmT3_T4_T5_T6_T7_T9_mT8_P12ihipStream_tbDpT10_ENKUlT_T0_E_clISt17integral_constantIbLb0EES1A_EEDaS15_S16_EUlS15_E_NS1_11comp_targetILNS1_3genE9ELNS1_11target_archE1100ELNS1_3gpuE3ELNS1_3repE0EEENS1_30default_config_static_selectorELNS0_4arch9wavefront6targetE1EEEvT1_,comdat
	.protected	_ZN7rocprim17ROCPRIM_400000_NS6detail17trampoline_kernelINS0_14default_configENS1_25partition_config_selectorILNS1_17partition_subalgoE8EjNS0_10empty_typeEbEEZZNS1_14partition_implILS5_8ELb0ES3_jN6thrust23THRUST_200600_302600_NS6detail15normal_iteratorINSA_10device_ptrIjEEEEPS6_PKS6_NS0_5tupleIJSF_S6_EEENSJ_IJSG_SG_EEENS0_18inequality_wrapperINSA_8equal_toIjEEEEPmJS6_EEE10hipError_tPvRmT3_T4_T5_T6_T7_T9_mT8_P12ihipStream_tbDpT10_ENKUlT_T0_E_clISt17integral_constantIbLb0EES1A_EEDaS15_S16_EUlS15_E_NS1_11comp_targetILNS1_3genE9ELNS1_11target_archE1100ELNS1_3gpuE3ELNS1_3repE0EEENS1_30default_config_static_selectorELNS0_4arch9wavefront6targetE1EEEvT1_ ; -- Begin function _ZN7rocprim17ROCPRIM_400000_NS6detail17trampoline_kernelINS0_14default_configENS1_25partition_config_selectorILNS1_17partition_subalgoE8EjNS0_10empty_typeEbEEZZNS1_14partition_implILS5_8ELb0ES3_jN6thrust23THRUST_200600_302600_NS6detail15normal_iteratorINSA_10device_ptrIjEEEEPS6_PKS6_NS0_5tupleIJSF_S6_EEENSJ_IJSG_SG_EEENS0_18inequality_wrapperINSA_8equal_toIjEEEEPmJS6_EEE10hipError_tPvRmT3_T4_T5_T6_T7_T9_mT8_P12ihipStream_tbDpT10_ENKUlT_T0_E_clISt17integral_constantIbLb0EES1A_EEDaS15_S16_EUlS15_E_NS1_11comp_targetILNS1_3genE9ELNS1_11target_archE1100ELNS1_3gpuE3ELNS1_3repE0EEENS1_30default_config_static_selectorELNS0_4arch9wavefront6targetE1EEEvT1_
	.globl	_ZN7rocprim17ROCPRIM_400000_NS6detail17trampoline_kernelINS0_14default_configENS1_25partition_config_selectorILNS1_17partition_subalgoE8EjNS0_10empty_typeEbEEZZNS1_14partition_implILS5_8ELb0ES3_jN6thrust23THRUST_200600_302600_NS6detail15normal_iteratorINSA_10device_ptrIjEEEEPS6_PKS6_NS0_5tupleIJSF_S6_EEENSJ_IJSG_SG_EEENS0_18inequality_wrapperINSA_8equal_toIjEEEEPmJS6_EEE10hipError_tPvRmT3_T4_T5_T6_T7_T9_mT8_P12ihipStream_tbDpT10_ENKUlT_T0_E_clISt17integral_constantIbLb0EES1A_EEDaS15_S16_EUlS15_E_NS1_11comp_targetILNS1_3genE9ELNS1_11target_archE1100ELNS1_3gpuE3ELNS1_3repE0EEENS1_30default_config_static_selectorELNS0_4arch9wavefront6targetE1EEEvT1_
	.p2align	8
	.type	_ZN7rocprim17ROCPRIM_400000_NS6detail17trampoline_kernelINS0_14default_configENS1_25partition_config_selectorILNS1_17partition_subalgoE8EjNS0_10empty_typeEbEEZZNS1_14partition_implILS5_8ELb0ES3_jN6thrust23THRUST_200600_302600_NS6detail15normal_iteratorINSA_10device_ptrIjEEEEPS6_PKS6_NS0_5tupleIJSF_S6_EEENSJ_IJSG_SG_EEENS0_18inequality_wrapperINSA_8equal_toIjEEEEPmJS6_EEE10hipError_tPvRmT3_T4_T5_T6_T7_T9_mT8_P12ihipStream_tbDpT10_ENKUlT_T0_E_clISt17integral_constantIbLb0EES1A_EEDaS15_S16_EUlS15_E_NS1_11comp_targetILNS1_3genE9ELNS1_11target_archE1100ELNS1_3gpuE3ELNS1_3repE0EEENS1_30default_config_static_selectorELNS0_4arch9wavefront6targetE1EEEvT1_,@function
_ZN7rocprim17ROCPRIM_400000_NS6detail17trampoline_kernelINS0_14default_configENS1_25partition_config_selectorILNS1_17partition_subalgoE8EjNS0_10empty_typeEbEEZZNS1_14partition_implILS5_8ELb0ES3_jN6thrust23THRUST_200600_302600_NS6detail15normal_iteratorINSA_10device_ptrIjEEEEPS6_PKS6_NS0_5tupleIJSF_S6_EEENSJ_IJSG_SG_EEENS0_18inequality_wrapperINSA_8equal_toIjEEEEPmJS6_EEE10hipError_tPvRmT3_T4_T5_T6_T7_T9_mT8_P12ihipStream_tbDpT10_ENKUlT_T0_E_clISt17integral_constantIbLb0EES1A_EEDaS15_S16_EUlS15_E_NS1_11comp_targetILNS1_3genE9ELNS1_11target_archE1100ELNS1_3gpuE3ELNS1_3repE0EEENS1_30default_config_static_selectorELNS0_4arch9wavefront6targetE1EEEvT1_: ; @_ZN7rocprim17ROCPRIM_400000_NS6detail17trampoline_kernelINS0_14default_configENS1_25partition_config_selectorILNS1_17partition_subalgoE8EjNS0_10empty_typeEbEEZZNS1_14partition_implILS5_8ELb0ES3_jN6thrust23THRUST_200600_302600_NS6detail15normal_iteratorINSA_10device_ptrIjEEEEPS6_PKS6_NS0_5tupleIJSF_S6_EEENSJ_IJSG_SG_EEENS0_18inequality_wrapperINSA_8equal_toIjEEEEPmJS6_EEE10hipError_tPvRmT3_T4_T5_T6_T7_T9_mT8_P12ihipStream_tbDpT10_ENKUlT_T0_E_clISt17integral_constantIbLb0EES1A_EEDaS15_S16_EUlS15_E_NS1_11comp_targetILNS1_3genE9ELNS1_11target_archE1100ELNS1_3gpuE3ELNS1_3repE0EEENS1_30default_config_static_selectorELNS0_4arch9wavefront6targetE1EEEvT1_
; %bb.0:
	.section	.rodata,"a",@progbits
	.p2align	6, 0x0
	.amdhsa_kernel _ZN7rocprim17ROCPRIM_400000_NS6detail17trampoline_kernelINS0_14default_configENS1_25partition_config_selectorILNS1_17partition_subalgoE8EjNS0_10empty_typeEbEEZZNS1_14partition_implILS5_8ELb0ES3_jN6thrust23THRUST_200600_302600_NS6detail15normal_iteratorINSA_10device_ptrIjEEEEPS6_PKS6_NS0_5tupleIJSF_S6_EEENSJ_IJSG_SG_EEENS0_18inequality_wrapperINSA_8equal_toIjEEEEPmJS6_EEE10hipError_tPvRmT3_T4_T5_T6_T7_T9_mT8_P12ihipStream_tbDpT10_ENKUlT_T0_E_clISt17integral_constantIbLb0EES1A_EEDaS15_S16_EUlS15_E_NS1_11comp_targetILNS1_3genE9ELNS1_11target_archE1100ELNS1_3gpuE3ELNS1_3repE0EEENS1_30default_config_static_selectorELNS0_4arch9wavefront6targetE1EEEvT1_
		.amdhsa_group_segment_fixed_size 0
		.amdhsa_private_segment_fixed_size 0
		.amdhsa_kernarg_size 112
		.amdhsa_user_sgpr_count 6
		.amdhsa_user_sgpr_private_segment_buffer 1
		.amdhsa_user_sgpr_dispatch_ptr 0
		.amdhsa_user_sgpr_queue_ptr 0
		.amdhsa_user_sgpr_kernarg_segment_ptr 1
		.amdhsa_user_sgpr_dispatch_id 0
		.amdhsa_user_sgpr_flat_scratch_init 0
		.amdhsa_user_sgpr_private_segment_size 0
		.amdhsa_uses_dynamic_stack 0
		.amdhsa_system_sgpr_private_segment_wavefront_offset 0
		.amdhsa_system_sgpr_workgroup_id_x 1
		.amdhsa_system_sgpr_workgroup_id_y 0
		.amdhsa_system_sgpr_workgroup_id_z 0
		.amdhsa_system_sgpr_workgroup_info 0
		.amdhsa_system_vgpr_workitem_id 0
		.amdhsa_next_free_vgpr 1
		.amdhsa_next_free_sgpr 0
		.amdhsa_reserve_vcc 0
		.amdhsa_reserve_flat_scratch 0
		.amdhsa_float_round_mode_32 0
		.amdhsa_float_round_mode_16_64 0
		.amdhsa_float_denorm_mode_32 3
		.amdhsa_float_denorm_mode_16_64 3
		.amdhsa_dx10_clamp 1
		.amdhsa_ieee_mode 1
		.amdhsa_fp16_overflow 0
		.amdhsa_exception_fp_ieee_invalid_op 0
		.amdhsa_exception_fp_denorm_src 0
		.amdhsa_exception_fp_ieee_div_zero 0
		.amdhsa_exception_fp_ieee_overflow 0
		.amdhsa_exception_fp_ieee_underflow 0
		.amdhsa_exception_fp_ieee_inexact 0
		.amdhsa_exception_int_div_zero 0
	.end_amdhsa_kernel
	.section	.text._ZN7rocprim17ROCPRIM_400000_NS6detail17trampoline_kernelINS0_14default_configENS1_25partition_config_selectorILNS1_17partition_subalgoE8EjNS0_10empty_typeEbEEZZNS1_14partition_implILS5_8ELb0ES3_jN6thrust23THRUST_200600_302600_NS6detail15normal_iteratorINSA_10device_ptrIjEEEEPS6_PKS6_NS0_5tupleIJSF_S6_EEENSJ_IJSG_SG_EEENS0_18inequality_wrapperINSA_8equal_toIjEEEEPmJS6_EEE10hipError_tPvRmT3_T4_T5_T6_T7_T9_mT8_P12ihipStream_tbDpT10_ENKUlT_T0_E_clISt17integral_constantIbLb0EES1A_EEDaS15_S16_EUlS15_E_NS1_11comp_targetILNS1_3genE9ELNS1_11target_archE1100ELNS1_3gpuE3ELNS1_3repE0EEENS1_30default_config_static_selectorELNS0_4arch9wavefront6targetE1EEEvT1_,"axG",@progbits,_ZN7rocprim17ROCPRIM_400000_NS6detail17trampoline_kernelINS0_14default_configENS1_25partition_config_selectorILNS1_17partition_subalgoE8EjNS0_10empty_typeEbEEZZNS1_14partition_implILS5_8ELb0ES3_jN6thrust23THRUST_200600_302600_NS6detail15normal_iteratorINSA_10device_ptrIjEEEEPS6_PKS6_NS0_5tupleIJSF_S6_EEENSJ_IJSG_SG_EEENS0_18inequality_wrapperINSA_8equal_toIjEEEEPmJS6_EEE10hipError_tPvRmT3_T4_T5_T6_T7_T9_mT8_P12ihipStream_tbDpT10_ENKUlT_T0_E_clISt17integral_constantIbLb0EES1A_EEDaS15_S16_EUlS15_E_NS1_11comp_targetILNS1_3genE9ELNS1_11target_archE1100ELNS1_3gpuE3ELNS1_3repE0EEENS1_30default_config_static_selectorELNS0_4arch9wavefront6targetE1EEEvT1_,comdat
.Lfunc_end216:
	.size	_ZN7rocprim17ROCPRIM_400000_NS6detail17trampoline_kernelINS0_14default_configENS1_25partition_config_selectorILNS1_17partition_subalgoE8EjNS0_10empty_typeEbEEZZNS1_14partition_implILS5_8ELb0ES3_jN6thrust23THRUST_200600_302600_NS6detail15normal_iteratorINSA_10device_ptrIjEEEEPS6_PKS6_NS0_5tupleIJSF_S6_EEENSJ_IJSG_SG_EEENS0_18inequality_wrapperINSA_8equal_toIjEEEEPmJS6_EEE10hipError_tPvRmT3_T4_T5_T6_T7_T9_mT8_P12ihipStream_tbDpT10_ENKUlT_T0_E_clISt17integral_constantIbLb0EES1A_EEDaS15_S16_EUlS15_E_NS1_11comp_targetILNS1_3genE9ELNS1_11target_archE1100ELNS1_3gpuE3ELNS1_3repE0EEENS1_30default_config_static_selectorELNS0_4arch9wavefront6targetE1EEEvT1_, .Lfunc_end216-_ZN7rocprim17ROCPRIM_400000_NS6detail17trampoline_kernelINS0_14default_configENS1_25partition_config_selectorILNS1_17partition_subalgoE8EjNS0_10empty_typeEbEEZZNS1_14partition_implILS5_8ELb0ES3_jN6thrust23THRUST_200600_302600_NS6detail15normal_iteratorINSA_10device_ptrIjEEEEPS6_PKS6_NS0_5tupleIJSF_S6_EEENSJ_IJSG_SG_EEENS0_18inequality_wrapperINSA_8equal_toIjEEEEPmJS6_EEE10hipError_tPvRmT3_T4_T5_T6_T7_T9_mT8_P12ihipStream_tbDpT10_ENKUlT_T0_E_clISt17integral_constantIbLb0EES1A_EEDaS15_S16_EUlS15_E_NS1_11comp_targetILNS1_3genE9ELNS1_11target_archE1100ELNS1_3gpuE3ELNS1_3repE0EEENS1_30default_config_static_selectorELNS0_4arch9wavefront6targetE1EEEvT1_
                                        ; -- End function
	.set _ZN7rocprim17ROCPRIM_400000_NS6detail17trampoline_kernelINS0_14default_configENS1_25partition_config_selectorILNS1_17partition_subalgoE8EjNS0_10empty_typeEbEEZZNS1_14partition_implILS5_8ELb0ES3_jN6thrust23THRUST_200600_302600_NS6detail15normal_iteratorINSA_10device_ptrIjEEEEPS6_PKS6_NS0_5tupleIJSF_S6_EEENSJ_IJSG_SG_EEENS0_18inequality_wrapperINSA_8equal_toIjEEEEPmJS6_EEE10hipError_tPvRmT3_T4_T5_T6_T7_T9_mT8_P12ihipStream_tbDpT10_ENKUlT_T0_E_clISt17integral_constantIbLb0EES1A_EEDaS15_S16_EUlS15_E_NS1_11comp_targetILNS1_3genE9ELNS1_11target_archE1100ELNS1_3gpuE3ELNS1_3repE0EEENS1_30default_config_static_selectorELNS0_4arch9wavefront6targetE1EEEvT1_.num_vgpr, 0
	.set _ZN7rocprim17ROCPRIM_400000_NS6detail17trampoline_kernelINS0_14default_configENS1_25partition_config_selectorILNS1_17partition_subalgoE8EjNS0_10empty_typeEbEEZZNS1_14partition_implILS5_8ELb0ES3_jN6thrust23THRUST_200600_302600_NS6detail15normal_iteratorINSA_10device_ptrIjEEEEPS6_PKS6_NS0_5tupleIJSF_S6_EEENSJ_IJSG_SG_EEENS0_18inequality_wrapperINSA_8equal_toIjEEEEPmJS6_EEE10hipError_tPvRmT3_T4_T5_T6_T7_T9_mT8_P12ihipStream_tbDpT10_ENKUlT_T0_E_clISt17integral_constantIbLb0EES1A_EEDaS15_S16_EUlS15_E_NS1_11comp_targetILNS1_3genE9ELNS1_11target_archE1100ELNS1_3gpuE3ELNS1_3repE0EEENS1_30default_config_static_selectorELNS0_4arch9wavefront6targetE1EEEvT1_.num_agpr, 0
	.set _ZN7rocprim17ROCPRIM_400000_NS6detail17trampoline_kernelINS0_14default_configENS1_25partition_config_selectorILNS1_17partition_subalgoE8EjNS0_10empty_typeEbEEZZNS1_14partition_implILS5_8ELb0ES3_jN6thrust23THRUST_200600_302600_NS6detail15normal_iteratorINSA_10device_ptrIjEEEEPS6_PKS6_NS0_5tupleIJSF_S6_EEENSJ_IJSG_SG_EEENS0_18inequality_wrapperINSA_8equal_toIjEEEEPmJS6_EEE10hipError_tPvRmT3_T4_T5_T6_T7_T9_mT8_P12ihipStream_tbDpT10_ENKUlT_T0_E_clISt17integral_constantIbLb0EES1A_EEDaS15_S16_EUlS15_E_NS1_11comp_targetILNS1_3genE9ELNS1_11target_archE1100ELNS1_3gpuE3ELNS1_3repE0EEENS1_30default_config_static_selectorELNS0_4arch9wavefront6targetE1EEEvT1_.numbered_sgpr, 0
	.set _ZN7rocprim17ROCPRIM_400000_NS6detail17trampoline_kernelINS0_14default_configENS1_25partition_config_selectorILNS1_17partition_subalgoE8EjNS0_10empty_typeEbEEZZNS1_14partition_implILS5_8ELb0ES3_jN6thrust23THRUST_200600_302600_NS6detail15normal_iteratorINSA_10device_ptrIjEEEEPS6_PKS6_NS0_5tupleIJSF_S6_EEENSJ_IJSG_SG_EEENS0_18inequality_wrapperINSA_8equal_toIjEEEEPmJS6_EEE10hipError_tPvRmT3_T4_T5_T6_T7_T9_mT8_P12ihipStream_tbDpT10_ENKUlT_T0_E_clISt17integral_constantIbLb0EES1A_EEDaS15_S16_EUlS15_E_NS1_11comp_targetILNS1_3genE9ELNS1_11target_archE1100ELNS1_3gpuE3ELNS1_3repE0EEENS1_30default_config_static_selectorELNS0_4arch9wavefront6targetE1EEEvT1_.num_named_barrier, 0
	.set _ZN7rocprim17ROCPRIM_400000_NS6detail17trampoline_kernelINS0_14default_configENS1_25partition_config_selectorILNS1_17partition_subalgoE8EjNS0_10empty_typeEbEEZZNS1_14partition_implILS5_8ELb0ES3_jN6thrust23THRUST_200600_302600_NS6detail15normal_iteratorINSA_10device_ptrIjEEEEPS6_PKS6_NS0_5tupleIJSF_S6_EEENSJ_IJSG_SG_EEENS0_18inequality_wrapperINSA_8equal_toIjEEEEPmJS6_EEE10hipError_tPvRmT3_T4_T5_T6_T7_T9_mT8_P12ihipStream_tbDpT10_ENKUlT_T0_E_clISt17integral_constantIbLb0EES1A_EEDaS15_S16_EUlS15_E_NS1_11comp_targetILNS1_3genE9ELNS1_11target_archE1100ELNS1_3gpuE3ELNS1_3repE0EEENS1_30default_config_static_selectorELNS0_4arch9wavefront6targetE1EEEvT1_.private_seg_size, 0
	.set _ZN7rocprim17ROCPRIM_400000_NS6detail17trampoline_kernelINS0_14default_configENS1_25partition_config_selectorILNS1_17partition_subalgoE8EjNS0_10empty_typeEbEEZZNS1_14partition_implILS5_8ELb0ES3_jN6thrust23THRUST_200600_302600_NS6detail15normal_iteratorINSA_10device_ptrIjEEEEPS6_PKS6_NS0_5tupleIJSF_S6_EEENSJ_IJSG_SG_EEENS0_18inequality_wrapperINSA_8equal_toIjEEEEPmJS6_EEE10hipError_tPvRmT3_T4_T5_T6_T7_T9_mT8_P12ihipStream_tbDpT10_ENKUlT_T0_E_clISt17integral_constantIbLb0EES1A_EEDaS15_S16_EUlS15_E_NS1_11comp_targetILNS1_3genE9ELNS1_11target_archE1100ELNS1_3gpuE3ELNS1_3repE0EEENS1_30default_config_static_selectorELNS0_4arch9wavefront6targetE1EEEvT1_.uses_vcc, 0
	.set _ZN7rocprim17ROCPRIM_400000_NS6detail17trampoline_kernelINS0_14default_configENS1_25partition_config_selectorILNS1_17partition_subalgoE8EjNS0_10empty_typeEbEEZZNS1_14partition_implILS5_8ELb0ES3_jN6thrust23THRUST_200600_302600_NS6detail15normal_iteratorINSA_10device_ptrIjEEEEPS6_PKS6_NS0_5tupleIJSF_S6_EEENSJ_IJSG_SG_EEENS0_18inequality_wrapperINSA_8equal_toIjEEEEPmJS6_EEE10hipError_tPvRmT3_T4_T5_T6_T7_T9_mT8_P12ihipStream_tbDpT10_ENKUlT_T0_E_clISt17integral_constantIbLb0EES1A_EEDaS15_S16_EUlS15_E_NS1_11comp_targetILNS1_3genE9ELNS1_11target_archE1100ELNS1_3gpuE3ELNS1_3repE0EEENS1_30default_config_static_selectorELNS0_4arch9wavefront6targetE1EEEvT1_.uses_flat_scratch, 0
	.set _ZN7rocprim17ROCPRIM_400000_NS6detail17trampoline_kernelINS0_14default_configENS1_25partition_config_selectorILNS1_17partition_subalgoE8EjNS0_10empty_typeEbEEZZNS1_14partition_implILS5_8ELb0ES3_jN6thrust23THRUST_200600_302600_NS6detail15normal_iteratorINSA_10device_ptrIjEEEEPS6_PKS6_NS0_5tupleIJSF_S6_EEENSJ_IJSG_SG_EEENS0_18inequality_wrapperINSA_8equal_toIjEEEEPmJS6_EEE10hipError_tPvRmT3_T4_T5_T6_T7_T9_mT8_P12ihipStream_tbDpT10_ENKUlT_T0_E_clISt17integral_constantIbLb0EES1A_EEDaS15_S16_EUlS15_E_NS1_11comp_targetILNS1_3genE9ELNS1_11target_archE1100ELNS1_3gpuE3ELNS1_3repE0EEENS1_30default_config_static_selectorELNS0_4arch9wavefront6targetE1EEEvT1_.has_dyn_sized_stack, 0
	.set _ZN7rocprim17ROCPRIM_400000_NS6detail17trampoline_kernelINS0_14default_configENS1_25partition_config_selectorILNS1_17partition_subalgoE8EjNS0_10empty_typeEbEEZZNS1_14partition_implILS5_8ELb0ES3_jN6thrust23THRUST_200600_302600_NS6detail15normal_iteratorINSA_10device_ptrIjEEEEPS6_PKS6_NS0_5tupleIJSF_S6_EEENSJ_IJSG_SG_EEENS0_18inequality_wrapperINSA_8equal_toIjEEEEPmJS6_EEE10hipError_tPvRmT3_T4_T5_T6_T7_T9_mT8_P12ihipStream_tbDpT10_ENKUlT_T0_E_clISt17integral_constantIbLb0EES1A_EEDaS15_S16_EUlS15_E_NS1_11comp_targetILNS1_3genE9ELNS1_11target_archE1100ELNS1_3gpuE3ELNS1_3repE0EEENS1_30default_config_static_selectorELNS0_4arch9wavefront6targetE1EEEvT1_.has_recursion, 0
	.set _ZN7rocprim17ROCPRIM_400000_NS6detail17trampoline_kernelINS0_14default_configENS1_25partition_config_selectorILNS1_17partition_subalgoE8EjNS0_10empty_typeEbEEZZNS1_14partition_implILS5_8ELb0ES3_jN6thrust23THRUST_200600_302600_NS6detail15normal_iteratorINSA_10device_ptrIjEEEEPS6_PKS6_NS0_5tupleIJSF_S6_EEENSJ_IJSG_SG_EEENS0_18inequality_wrapperINSA_8equal_toIjEEEEPmJS6_EEE10hipError_tPvRmT3_T4_T5_T6_T7_T9_mT8_P12ihipStream_tbDpT10_ENKUlT_T0_E_clISt17integral_constantIbLb0EES1A_EEDaS15_S16_EUlS15_E_NS1_11comp_targetILNS1_3genE9ELNS1_11target_archE1100ELNS1_3gpuE3ELNS1_3repE0EEENS1_30default_config_static_selectorELNS0_4arch9wavefront6targetE1EEEvT1_.has_indirect_call, 0
	.section	.AMDGPU.csdata,"",@progbits
; Kernel info:
; codeLenInByte = 0
; TotalNumSgprs: 4
; NumVgprs: 0
; ScratchSize: 0
; MemoryBound: 0
; FloatMode: 240
; IeeeMode: 1
; LDSByteSize: 0 bytes/workgroup (compile time only)
; SGPRBlocks: 0
; VGPRBlocks: 0
; NumSGPRsForWavesPerEU: 4
; NumVGPRsForWavesPerEU: 1
; Occupancy: 10
; WaveLimiterHint : 0
; COMPUTE_PGM_RSRC2:SCRATCH_EN: 0
; COMPUTE_PGM_RSRC2:USER_SGPR: 6
; COMPUTE_PGM_RSRC2:TRAP_HANDLER: 0
; COMPUTE_PGM_RSRC2:TGID_X_EN: 1
; COMPUTE_PGM_RSRC2:TGID_Y_EN: 0
; COMPUTE_PGM_RSRC2:TGID_Z_EN: 0
; COMPUTE_PGM_RSRC2:TIDIG_COMP_CNT: 0
	.section	.text._ZN7rocprim17ROCPRIM_400000_NS6detail17trampoline_kernelINS0_14default_configENS1_25partition_config_selectorILNS1_17partition_subalgoE8EjNS0_10empty_typeEbEEZZNS1_14partition_implILS5_8ELb0ES3_jN6thrust23THRUST_200600_302600_NS6detail15normal_iteratorINSA_10device_ptrIjEEEEPS6_PKS6_NS0_5tupleIJSF_S6_EEENSJ_IJSG_SG_EEENS0_18inequality_wrapperINSA_8equal_toIjEEEEPmJS6_EEE10hipError_tPvRmT3_T4_T5_T6_T7_T9_mT8_P12ihipStream_tbDpT10_ENKUlT_T0_E_clISt17integral_constantIbLb0EES1A_EEDaS15_S16_EUlS15_E_NS1_11comp_targetILNS1_3genE8ELNS1_11target_archE1030ELNS1_3gpuE2ELNS1_3repE0EEENS1_30default_config_static_selectorELNS0_4arch9wavefront6targetE1EEEvT1_,"axG",@progbits,_ZN7rocprim17ROCPRIM_400000_NS6detail17trampoline_kernelINS0_14default_configENS1_25partition_config_selectorILNS1_17partition_subalgoE8EjNS0_10empty_typeEbEEZZNS1_14partition_implILS5_8ELb0ES3_jN6thrust23THRUST_200600_302600_NS6detail15normal_iteratorINSA_10device_ptrIjEEEEPS6_PKS6_NS0_5tupleIJSF_S6_EEENSJ_IJSG_SG_EEENS0_18inequality_wrapperINSA_8equal_toIjEEEEPmJS6_EEE10hipError_tPvRmT3_T4_T5_T6_T7_T9_mT8_P12ihipStream_tbDpT10_ENKUlT_T0_E_clISt17integral_constantIbLb0EES1A_EEDaS15_S16_EUlS15_E_NS1_11comp_targetILNS1_3genE8ELNS1_11target_archE1030ELNS1_3gpuE2ELNS1_3repE0EEENS1_30default_config_static_selectorELNS0_4arch9wavefront6targetE1EEEvT1_,comdat
	.protected	_ZN7rocprim17ROCPRIM_400000_NS6detail17trampoline_kernelINS0_14default_configENS1_25partition_config_selectorILNS1_17partition_subalgoE8EjNS0_10empty_typeEbEEZZNS1_14partition_implILS5_8ELb0ES3_jN6thrust23THRUST_200600_302600_NS6detail15normal_iteratorINSA_10device_ptrIjEEEEPS6_PKS6_NS0_5tupleIJSF_S6_EEENSJ_IJSG_SG_EEENS0_18inequality_wrapperINSA_8equal_toIjEEEEPmJS6_EEE10hipError_tPvRmT3_T4_T5_T6_T7_T9_mT8_P12ihipStream_tbDpT10_ENKUlT_T0_E_clISt17integral_constantIbLb0EES1A_EEDaS15_S16_EUlS15_E_NS1_11comp_targetILNS1_3genE8ELNS1_11target_archE1030ELNS1_3gpuE2ELNS1_3repE0EEENS1_30default_config_static_selectorELNS0_4arch9wavefront6targetE1EEEvT1_ ; -- Begin function _ZN7rocprim17ROCPRIM_400000_NS6detail17trampoline_kernelINS0_14default_configENS1_25partition_config_selectorILNS1_17partition_subalgoE8EjNS0_10empty_typeEbEEZZNS1_14partition_implILS5_8ELb0ES3_jN6thrust23THRUST_200600_302600_NS6detail15normal_iteratorINSA_10device_ptrIjEEEEPS6_PKS6_NS0_5tupleIJSF_S6_EEENSJ_IJSG_SG_EEENS0_18inequality_wrapperINSA_8equal_toIjEEEEPmJS6_EEE10hipError_tPvRmT3_T4_T5_T6_T7_T9_mT8_P12ihipStream_tbDpT10_ENKUlT_T0_E_clISt17integral_constantIbLb0EES1A_EEDaS15_S16_EUlS15_E_NS1_11comp_targetILNS1_3genE8ELNS1_11target_archE1030ELNS1_3gpuE2ELNS1_3repE0EEENS1_30default_config_static_selectorELNS0_4arch9wavefront6targetE1EEEvT1_
	.globl	_ZN7rocprim17ROCPRIM_400000_NS6detail17trampoline_kernelINS0_14default_configENS1_25partition_config_selectorILNS1_17partition_subalgoE8EjNS0_10empty_typeEbEEZZNS1_14partition_implILS5_8ELb0ES3_jN6thrust23THRUST_200600_302600_NS6detail15normal_iteratorINSA_10device_ptrIjEEEEPS6_PKS6_NS0_5tupleIJSF_S6_EEENSJ_IJSG_SG_EEENS0_18inequality_wrapperINSA_8equal_toIjEEEEPmJS6_EEE10hipError_tPvRmT3_T4_T5_T6_T7_T9_mT8_P12ihipStream_tbDpT10_ENKUlT_T0_E_clISt17integral_constantIbLb0EES1A_EEDaS15_S16_EUlS15_E_NS1_11comp_targetILNS1_3genE8ELNS1_11target_archE1030ELNS1_3gpuE2ELNS1_3repE0EEENS1_30default_config_static_selectorELNS0_4arch9wavefront6targetE1EEEvT1_
	.p2align	8
	.type	_ZN7rocprim17ROCPRIM_400000_NS6detail17trampoline_kernelINS0_14default_configENS1_25partition_config_selectorILNS1_17partition_subalgoE8EjNS0_10empty_typeEbEEZZNS1_14partition_implILS5_8ELb0ES3_jN6thrust23THRUST_200600_302600_NS6detail15normal_iteratorINSA_10device_ptrIjEEEEPS6_PKS6_NS0_5tupleIJSF_S6_EEENSJ_IJSG_SG_EEENS0_18inequality_wrapperINSA_8equal_toIjEEEEPmJS6_EEE10hipError_tPvRmT3_T4_T5_T6_T7_T9_mT8_P12ihipStream_tbDpT10_ENKUlT_T0_E_clISt17integral_constantIbLb0EES1A_EEDaS15_S16_EUlS15_E_NS1_11comp_targetILNS1_3genE8ELNS1_11target_archE1030ELNS1_3gpuE2ELNS1_3repE0EEENS1_30default_config_static_selectorELNS0_4arch9wavefront6targetE1EEEvT1_,@function
_ZN7rocprim17ROCPRIM_400000_NS6detail17trampoline_kernelINS0_14default_configENS1_25partition_config_selectorILNS1_17partition_subalgoE8EjNS0_10empty_typeEbEEZZNS1_14partition_implILS5_8ELb0ES3_jN6thrust23THRUST_200600_302600_NS6detail15normal_iteratorINSA_10device_ptrIjEEEEPS6_PKS6_NS0_5tupleIJSF_S6_EEENSJ_IJSG_SG_EEENS0_18inequality_wrapperINSA_8equal_toIjEEEEPmJS6_EEE10hipError_tPvRmT3_T4_T5_T6_T7_T9_mT8_P12ihipStream_tbDpT10_ENKUlT_T0_E_clISt17integral_constantIbLb0EES1A_EEDaS15_S16_EUlS15_E_NS1_11comp_targetILNS1_3genE8ELNS1_11target_archE1030ELNS1_3gpuE2ELNS1_3repE0EEENS1_30default_config_static_selectorELNS0_4arch9wavefront6targetE1EEEvT1_: ; @_ZN7rocprim17ROCPRIM_400000_NS6detail17trampoline_kernelINS0_14default_configENS1_25partition_config_selectorILNS1_17partition_subalgoE8EjNS0_10empty_typeEbEEZZNS1_14partition_implILS5_8ELb0ES3_jN6thrust23THRUST_200600_302600_NS6detail15normal_iteratorINSA_10device_ptrIjEEEEPS6_PKS6_NS0_5tupleIJSF_S6_EEENSJ_IJSG_SG_EEENS0_18inequality_wrapperINSA_8equal_toIjEEEEPmJS6_EEE10hipError_tPvRmT3_T4_T5_T6_T7_T9_mT8_P12ihipStream_tbDpT10_ENKUlT_T0_E_clISt17integral_constantIbLb0EES1A_EEDaS15_S16_EUlS15_E_NS1_11comp_targetILNS1_3genE8ELNS1_11target_archE1030ELNS1_3gpuE2ELNS1_3repE0EEENS1_30default_config_static_selectorELNS0_4arch9wavefront6targetE1EEEvT1_
; %bb.0:
	.section	.rodata,"a",@progbits
	.p2align	6, 0x0
	.amdhsa_kernel _ZN7rocprim17ROCPRIM_400000_NS6detail17trampoline_kernelINS0_14default_configENS1_25partition_config_selectorILNS1_17partition_subalgoE8EjNS0_10empty_typeEbEEZZNS1_14partition_implILS5_8ELb0ES3_jN6thrust23THRUST_200600_302600_NS6detail15normal_iteratorINSA_10device_ptrIjEEEEPS6_PKS6_NS0_5tupleIJSF_S6_EEENSJ_IJSG_SG_EEENS0_18inequality_wrapperINSA_8equal_toIjEEEEPmJS6_EEE10hipError_tPvRmT3_T4_T5_T6_T7_T9_mT8_P12ihipStream_tbDpT10_ENKUlT_T0_E_clISt17integral_constantIbLb0EES1A_EEDaS15_S16_EUlS15_E_NS1_11comp_targetILNS1_3genE8ELNS1_11target_archE1030ELNS1_3gpuE2ELNS1_3repE0EEENS1_30default_config_static_selectorELNS0_4arch9wavefront6targetE1EEEvT1_
		.amdhsa_group_segment_fixed_size 0
		.amdhsa_private_segment_fixed_size 0
		.amdhsa_kernarg_size 112
		.amdhsa_user_sgpr_count 6
		.amdhsa_user_sgpr_private_segment_buffer 1
		.amdhsa_user_sgpr_dispatch_ptr 0
		.amdhsa_user_sgpr_queue_ptr 0
		.amdhsa_user_sgpr_kernarg_segment_ptr 1
		.amdhsa_user_sgpr_dispatch_id 0
		.amdhsa_user_sgpr_flat_scratch_init 0
		.amdhsa_user_sgpr_private_segment_size 0
		.amdhsa_uses_dynamic_stack 0
		.amdhsa_system_sgpr_private_segment_wavefront_offset 0
		.amdhsa_system_sgpr_workgroup_id_x 1
		.amdhsa_system_sgpr_workgroup_id_y 0
		.amdhsa_system_sgpr_workgroup_id_z 0
		.amdhsa_system_sgpr_workgroup_info 0
		.amdhsa_system_vgpr_workitem_id 0
		.amdhsa_next_free_vgpr 1
		.amdhsa_next_free_sgpr 0
		.amdhsa_reserve_vcc 0
		.amdhsa_reserve_flat_scratch 0
		.amdhsa_float_round_mode_32 0
		.amdhsa_float_round_mode_16_64 0
		.amdhsa_float_denorm_mode_32 3
		.amdhsa_float_denorm_mode_16_64 3
		.amdhsa_dx10_clamp 1
		.amdhsa_ieee_mode 1
		.amdhsa_fp16_overflow 0
		.amdhsa_exception_fp_ieee_invalid_op 0
		.amdhsa_exception_fp_denorm_src 0
		.amdhsa_exception_fp_ieee_div_zero 0
		.amdhsa_exception_fp_ieee_overflow 0
		.amdhsa_exception_fp_ieee_underflow 0
		.amdhsa_exception_fp_ieee_inexact 0
		.amdhsa_exception_int_div_zero 0
	.end_amdhsa_kernel
	.section	.text._ZN7rocprim17ROCPRIM_400000_NS6detail17trampoline_kernelINS0_14default_configENS1_25partition_config_selectorILNS1_17partition_subalgoE8EjNS0_10empty_typeEbEEZZNS1_14partition_implILS5_8ELb0ES3_jN6thrust23THRUST_200600_302600_NS6detail15normal_iteratorINSA_10device_ptrIjEEEEPS6_PKS6_NS0_5tupleIJSF_S6_EEENSJ_IJSG_SG_EEENS0_18inequality_wrapperINSA_8equal_toIjEEEEPmJS6_EEE10hipError_tPvRmT3_T4_T5_T6_T7_T9_mT8_P12ihipStream_tbDpT10_ENKUlT_T0_E_clISt17integral_constantIbLb0EES1A_EEDaS15_S16_EUlS15_E_NS1_11comp_targetILNS1_3genE8ELNS1_11target_archE1030ELNS1_3gpuE2ELNS1_3repE0EEENS1_30default_config_static_selectorELNS0_4arch9wavefront6targetE1EEEvT1_,"axG",@progbits,_ZN7rocprim17ROCPRIM_400000_NS6detail17trampoline_kernelINS0_14default_configENS1_25partition_config_selectorILNS1_17partition_subalgoE8EjNS0_10empty_typeEbEEZZNS1_14partition_implILS5_8ELb0ES3_jN6thrust23THRUST_200600_302600_NS6detail15normal_iteratorINSA_10device_ptrIjEEEEPS6_PKS6_NS0_5tupleIJSF_S6_EEENSJ_IJSG_SG_EEENS0_18inequality_wrapperINSA_8equal_toIjEEEEPmJS6_EEE10hipError_tPvRmT3_T4_T5_T6_T7_T9_mT8_P12ihipStream_tbDpT10_ENKUlT_T0_E_clISt17integral_constantIbLb0EES1A_EEDaS15_S16_EUlS15_E_NS1_11comp_targetILNS1_3genE8ELNS1_11target_archE1030ELNS1_3gpuE2ELNS1_3repE0EEENS1_30default_config_static_selectorELNS0_4arch9wavefront6targetE1EEEvT1_,comdat
.Lfunc_end217:
	.size	_ZN7rocprim17ROCPRIM_400000_NS6detail17trampoline_kernelINS0_14default_configENS1_25partition_config_selectorILNS1_17partition_subalgoE8EjNS0_10empty_typeEbEEZZNS1_14partition_implILS5_8ELb0ES3_jN6thrust23THRUST_200600_302600_NS6detail15normal_iteratorINSA_10device_ptrIjEEEEPS6_PKS6_NS0_5tupleIJSF_S6_EEENSJ_IJSG_SG_EEENS0_18inequality_wrapperINSA_8equal_toIjEEEEPmJS6_EEE10hipError_tPvRmT3_T4_T5_T6_T7_T9_mT8_P12ihipStream_tbDpT10_ENKUlT_T0_E_clISt17integral_constantIbLb0EES1A_EEDaS15_S16_EUlS15_E_NS1_11comp_targetILNS1_3genE8ELNS1_11target_archE1030ELNS1_3gpuE2ELNS1_3repE0EEENS1_30default_config_static_selectorELNS0_4arch9wavefront6targetE1EEEvT1_, .Lfunc_end217-_ZN7rocprim17ROCPRIM_400000_NS6detail17trampoline_kernelINS0_14default_configENS1_25partition_config_selectorILNS1_17partition_subalgoE8EjNS0_10empty_typeEbEEZZNS1_14partition_implILS5_8ELb0ES3_jN6thrust23THRUST_200600_302600_NS6detail15normal_iteratorINSA_10device_ptrIjEEEEPS6_PKS6_NS0_5tupleIJSF_S6_EEENSJ_IJSG_SG_EEENS0_18inequality_wrapperINSA_8equal_toIjEEEEPmJS6_EEE10hipError_tPvRmT3_T4_T5_T6_T7_T9_mT8_P12ihipStream_tbDpT10_ENKUlT_T0_E_clISt17integral_constantIbLb0EES1A_EEDaS15_S16_EUlS15_E_NS1_11comp_targetILNS1_3genE8ELNS1_11target_archE1030ELNS1_3gpuE2ELNS1_3repE0EEENS1_30default_config_static_selectorELNS0_4arch9wavefront6targetE1EEEvT1_
                                        ; -- End function
	.set _ZN7rocprim17ROCPRIM_400000_NS6detail17trampoline_kernelINS0_14default_configENS1_25partition_config_selectorILNS1_17partition_subalgoE8EjNS0_10empty_typeEbEEZZNS1_14partition_implILS5_8ELb0ES3_jN6thrust23THRUST_200600_302600_NS6detail15normal_iteratorINSA_10device_ptrIjEEEEPS6_PKS6_NS0_5tupleIJSF_S6_EEENSJ_IJSG_SG_EEENS0_18inequality_wrapperINSA_8equal_toIjEEEEPmJS6_EEE10hipError_tPvRmT3_T4_T5_T6_T7_T9_mT8_P12ihipStream_tbDpT10_ENKUlT_T0_E_clISt17integral_constantIbLb0EES1A_EEDaS15_S16_EUlS15_E_NS1_11comp_targetILNS1_3genE8ELNS1_11target_archE1030ELNS1_3gpuE2ELNS1_3repE0EEENS1_30default_config_static_selectorELNS0_4arch9wavefront6targetE1EEEvT1_.num_vgpr, 0
	.set _ZN7rocprim17ROCPRIM_400000_NS6detail17trampoline_kernelINS0_14default_configENS1_25partition_config_selectorILNS1_17partition_subalgoE8EjNS0_10empty_typeEbEEZZNS1_14partition_implILS5_8ELb0ES3_jN6thrust23THRUST_200600_302600_NS6detail15normal_iteratorINSA_10device_ptrIjEEEEPS6_PKS6_NS0_5tupleIJSF_S6_EEENSJ_IJSG_SG_EEENS0_18inequality_wrapperINSA_8equal_toIjEEEEPmJS6_EEE10hipError_tPvRmT3_T4_T5_T6_T7_T9_mT8_P12ihipStream_tbDpT10_ENKUlT_T0_E_clISt17integral_constantIbLb0EES1A_EEDaS15_S16_EUlS15_E_NS1_11comp_targetILNS1_3genE8ELNS1_11target_archE1030ELNS1_3gpuE2ELNS1_3repE0EEENS1_30default_config_static_selectorELNS0_4arch9wavefront6targetE1EEEvT1_.num_agpr, 0
	.set _ZN7rocprim17ROCPRIM_400000_NS6detail17trampoline_kernelINS0_14default_configENS1_25partition_config_selectorILNS1_17partition_subalgoE8EjNS0_10empty_typeEbEEZZNS1_14partition_implILS5_8ELb0ES3_jN6thrust23THRUST_200600_302600_NS6detail15normal_iteratorINSA_10device_ptrIjEEEEPS6_PKS6_NS0_5tupleIJSF_S6_EEENSJ_IJSG_SG_EEENS0_18inequality_wrapperINSA_8equal_toIjEEEEPmJS6_EEE10hipError_tPvRmT3_T4_T5_T6_T7_T9_mT8_P12ihipStream_tbDpT10_ENKUlT_T0_E_clISt17integral_constantIbLb0EES1A_EEDaS15_S16_EUlS15_E_NS1_11comp_targetILNS1_3genE8ELNS1_11target_archE1030ELNS1_3gpuE2ELNS1_3repE0EEENS1_30default_config_static_selectorELNS0_4arch9wavefront6targetE1EEEvT1_.numbered_sgpr, 0
	.set _ZN7rocprim17ROCPRIM_400000_NS6detail17trampoline_kernelINS0_14default_configENS1_25partition_config_selectorILNS1_17partition_subalgoE8EjNS0_10empty_typeEbEEZZNS1_14partition_implILS5_8ELb0ES3_jN6thrust23THRUST_200600_302600_NS6detail15normal_iteratorINSA_10device_ptrIjEEEEPS6_PKS6_NS0_5tupleIJSF_S6_EEENSJ_IJSG_SG_EEENS0_18inequality_wrapperINSA_8equal_toIjEEEEPmJS6_EEE10hipError_tPvRmT3_T4_T5_T6_T7_T9_mT8_P12ihipStream_tbDpT10_ENKUlT_T0_E_clISt17integral_constantIbLb0EES1A_EEDaS15_S16_EUlS15_E_NS1_11comp_targetILNS1_3genE8ELNS1_11target_archE1030ELNS1_3gpuE2ELNS1_3repE0EEENS1_30default_config_static_selectorELNS0_4arch9wavefront6targetE1EEEvT1_.num_named_barrier, 0
	.set _ZN7rocprim17ROCPRIM_400000_NS6detail17trampoline_kernelINS0_14default_configENS1_25partition_config_selectorILNS1_17partition_subalgoE8EjNS0_10empty_typeEbEEZZNS1_14partition_implILS5_8ELb0ES3_jN6thrust23THRUST_200600_302600_NS6detail15normal_iteratorINSA_10device_ptrIjEEEEPS6_PKS6_NS0_5tupleIJSF_S6_EEENSJ_IJSG_SG_EEENS0_18inequality_wrapperINSA_8equal_toIjEEEEPmJS6_EEE10hipError_tPvRmT3_T4_T5_T6_T7_T9_mT8_P12ihipStream_tbDpT10_ENKUlT_T0_E_clISt17integral_constantIbLb0EES1A_EEDaS15_S16_EUlS15_E_NS1_11comp_targetILNS1_3genE8ELNS1_11target_archE1030ELNS1_3gpuE2ELNS1_3repE0EEENS1_30default_config_static_selectorELNS0_4arch9wavefront6targetE1EEEvT1_.private_seg_size, 0
	.set _ZN7rocprim17ROCPRIM_400000_NS6detail17trampoline_kernelINS0_14default_configENS1_25partition_config_selectorILNS1_17partition_subalgoE8EjNS0_10empty_typeEbEEZZNS1_14partition_implILS5_8ELb0ES3_jN6thrust23THRUST_200600_302600_NS6detail15normal_iteratorINSA_10device_ptrIjEEEEPS6_PKS6_NS0_5tupleIJSF_S6_EEENSJ_IJSG_SG_EEENS0_18inequality_wrapperINSA_8equal_toIjEEEEPmJS6_EEE10hipError_tPvRmT3_T4_T5_T6_T7_T9_mT8_P12ihipStream_tbDpT10_ENKUlT_T0_E_clISt17integral_constantIbLb0EES1A_EEDaS15_S16_EUlS15_E_NS1_11comp_targetILNS1_3genE8ELNS1_11target_archE1030ELNS1_3gpuE2ELNS1_3repE0EEENS1_30default_config_static_selectorELNS0_4arch9wavefront6targetE1EEEvT1_.uses_vcc, 0
	.set _ZN7rocprim17ROCPRIM_400000_NS6detail17trampoline_kernelINS0_14default_configENS1_25partition_config_selectorILNS1_17partition_subalgoE8EjNS0_10empty_typeEbEEZZNS1_14partition_implILS5_8ELb0ES3_jN6thrust23THRUST_200600_302600_NS6detail15normal_iteratorINSA_10device_ptrIjEEEEPS6_PKS6_NS0_5tupleIJSF_S6_EEENSJ_IJSG_SG_EEENS0_18inequality_wrapperINSA_8equal_toIjEEEEPmJS6_EEE10hipError_tPvRmT3_T4_T5_T6_T7_T9_mT8_P12ihipStream_tbDpT10_ENKUlT_T0_E_clISt17integral_constantIbLb0EES1A_EEDaS15_S16_EUlS15_E_NS1_11comp_targetILNS1_3genE8ELNS1_11target_archE1030ELNS1_3gpuE2ELNS1_3repE0EEENS1_30default_config_static_selectorELNS0_4arch9wavefront6targetE1EEEvT1_.uses_flat_scratch, 0
	.set _ZN7rocprim17ROCPRIM_400000_NS6detail17trampoline_kernelINS0_14default_configENS1_25partition_config_selectorILNS1_17partition_subalgoE8EjNS0_10empty_typeEbEEZZNS1_14partition_implILS5_8ELb0ES3_jN6thrust23THRUST_200600_302600_NS6detail15normal_iteratorINSA_10device_ptrIjEEEEPS6_PKS6_NS0_5tupleIJSF_S6_EEENSJ_IJSG_SG_EEENS0_18inequality_wrapperINSA_8equal_toIjEEEEPmJS6_EEE10hipError_tPvRmT3_T4_T5_T6_T7_T9_mT8_P12ihipStream_tbDpT10_ENKUlT_T0_E_clISt17integral_constantIbLb0EES1A_EEDaS15_S16_EUlS15_E_NS1_11comp_targetILNS1_3genE8ELNS1_11target_archE1030ELNS1_3gpuE2ELNS1_3repE0EEENS1_30default_config_static_selectorELNS0_4arch9wavefront6targetE1EEEvT1_.has_dyn_sized_stack, 0
	.set _ZN7rocprim17ROCPRIM_400000_NS6detail17trampoline_kernelINS0_14default_configENS1_25partition_config_selectorILNS1_17partition_subalgoE8EjNS0_10empty_typeEbEEZZNS1_14partition_implILS5_8ELb0ES3_jN6thrust23THRUST_200600_302600_NS6detail15normal_iteratorINSA_10device_ptrIjEEEEPS6_PKS6_NS0_5tupleIJSF_S6_EEENSJ_IJSG_SG_EEENS0_18inequality_wrapperINSA_8equal_toIjEEEEPmJS6_EEE10hipError_tPvRmT3_T4_T5_T6_T7_T9_mT8_P12ihipStream_tbDpT10_ENKUlT_T0_E_clISt17integral_constantIbLb0EES1A_EEDaS15_S16_EUlS15_E_NS1_11comp_targetILNS1_3genE8ELNS1_11target_archE1030ELNS1_3gpuE2ELNS1_3repE0EEENS1_30default_config_static_selectorELNS0_4arch9wavefront6targetE1EEEvT1_.has_recursion, 0
	.set _ZN7rocprim17ROCPRIM_400000_NS6detail17trampoline_kernelINS0_14default_configENS1_25partition_config_selectorILNS1_17partition_subalgoE8EjNS0_10empty_typeEbEEZZNS1_14partition_implILS5_8ELb0ES3_jN6thrust23THRUST_200600_302600_NS6detail15normal_iteratorINSA_10device_ptrIjEEEEPS6_PKS6_NS0_5tupleIJSF_S6_EEENSJ_IJSG_SG_EEENS0_18inequality_wrapperINSA_8equal_toIjEEEEPmJS6_EEE10hipError_tPvRmT3_T4_T5_T6_T7_T9_mT8_P12ihipStream_tbDpT10_ENKUlT_T0_E_clISt17integral_constantIbLb0EES1A_EEDaS15_S16_EUlS15_E_NS1_11comp_targetILNS1_3genE8ELNS1_11target_archE1030ELNS1_3gpuE2ELNS1_3repE0EEENS1_30default_config_static_selectorELNS0_4arch9wavefront6targetE1EEEvT1_.has_indirect_call, 0
	.section	.AMDGPU.csdata,"",@progbits
; Kernel info:
; codeLenInByte = 0
; TotalNumSgprs: 4
; NumVgprs: 0
; ScratchSize: 0
; MemoryBound: 0
; FloatMode: 240
; IeeeMode: 1
; LDSByteSize: 0 bytes/workgroup (compile time only)
; SGPRBlocks: 0
; VGPRBlocks: 0
; NumSGPRsForWavesPerEU: 4
; NumVGPRsForWavesPerEU: 1
; Occupancy: 10
; WaveLimiterHint : 0
; COMPUTE_PGM_RSRC2:SCRATCH_EN: 0
; COMPUTE_PGM_RSRC2:USER_SGPR: 6
; COMPUTE_PGM_RSRC2:TRAP_HANDLER: 0
; COMPUTE_PGM_RSRC2:TGID_X_EN: 1
; COMPUTE_PGM_RSRC2:TGID_Y_EN: 0
; COMPUTE_PGM_RSRC2:TGID_Z_EN: 0
; COMPUTE_PGM_RSRC2:TIDIG_COMP_CNT: 0
	.section	.text._ZN7rocprim17ROCPRIM_400000_NS6detail17trampoline_kernelINS0_14default_configENS1_25partition_config_selectorILNS1_17partition_subalgoE8EjNS0_10empty_typeEbEEZZNS1_14partition_implILS5_8ELb0ES3_jN6thrust23THRUST_200600_302600_NS6detail15normal_iteratorINSA_10device_ptrIjEEEEPS6_PKS6_NS0_5tupleIJSF_S6_EEENSJ_IJSG_SG_EEENS0_18inequality_wrapperINSA_8equal_toIjEEEEPmJS6_EEE10hipError_tPvRmT3_T4_T5_T6_T7_T9_mT8_P12ihipStream_tbDpT10_ENKUlT_T0_E_clISt17integral_constantIbLb1EES1A_EEDaS15_S16_EUlS15_E_NS1_11comp_targetILNS1_3genE0ELNS1_11target_archE4294967295ELNS1_3gpuE0ELNS1_3repE0EEENS1_30default_config_static_selectorELNS0_4arch9wavefront6targetE1EEEvT1_,"axG",@progbits,_ZN7rocprim17ROCPRIM_400000_NS6detail17trampoline_kernelINS0_14default_configENS1_25partition_config_selectorILNS1_17partition_subalgoE8EjNS0_10empty_typeEbEEZZNS1_14partition_implILS5_8ELb0ES3_jN6thrust23THRUST_200600_302600_NS6detail15normal_iteratorINSA_10device_ptrIjEEEEPS6_PKS6_NS0_5tupleIJSF_S6_EEENSJ_IJSG_SG_EEENS0_18inequality_wrapperINSA_8equal_toIjEEEEPmJS6_EEE10hipError_tPvRmT3_T4_T5_T6_T7_T9_mT8_P12ihipStream_tbDpT10_ENKUlT_T0_E_clISt17integral_constantIbLb1EES1A_EEDaS15_S16_EUlS15_E_NS1_11comp_targetILNS1_3genE0ELNS1_11target_archE4294967295ELNS1_3gpuE0ELNS1_3repE0EEENS1_30default_config_static_selectorELNS0_4arch9wavefront6targetE1EEEvT1_,comdat
	.protected	_ZN7rocprim17ROCPRIM_400000_NS6detail17trampoline_kernelINS0_14default_configENS1_25partition_config_selectorILNS1_17partition_subalgoE8EjNS0_10empty_typeEbEEZZNS1_14partition_implILS5_8ELb0ES3_jN6thrust23THRUST_200600_302600_NS6detail15normal_iteratorINSA_10device_ptrIjEEEEPS6_PKS6_NS0_5tupleIJSF_S6_EEENSJ_IJSG_SG_EEENS0_18inequality_wrapperINSA_8equal_toIjEEEEPmJS6_EEE10hipError_tPvRmT3_T4_T5_T6_T7_T9_mT8_P12ihipStream_tbDpT10_ENKUlT_T0_E_clISt17integral_constantIbLb1EES1A_EEDaS15_S16_EUlS15_E_NS1_11comp_targetILNS1_3genE0ELNS1_11target_archE4294967295ELNS1_3gpuE0ELNS1_3repE0EEENS1_30default_config_static_selectorELNS0_4arch9wavefront6targetE1EEEvT1_ ; -- Begin function _ZN7rocprim17ROCPRIM_400000_NS6detail17trampoline_kernelINS0_14default_configENS1_25partition_config_selectorILNS1_17partition_subalgoE8EjNS0_10empty_typeEbEEZZNS1_14partition_implILS5_8ELb0ES3_jN6thrust23THRUST_200600_302600_NS6detail15normal_iteratorINSA_10device_ptrIjEEEEPS6_PKS6_NS0_5tupleIJSF_S6_EEENSJ_IJSG_SG_EEENS0_18inequality_wrapperINSA_8equal_toIjEEEEPmJS6_EEE10hipError_tPvRmT3_T4_T5_T6_T7_T9_mT8_P12ihipStream_tbDpT10_ENKUlT_T0_E_clISt17integral_constantIbLb1EES1A_EEDaS15_S16_EUlS15_E_NS1_11comp_targetILNS1_3genE0ELNS1_11target_archE4294967295ELNS1_3gpuE0ELNS1_3repE0EEENS1_30default_config_static_selectorELNS0_4arch9wavefront6targetE1EEEvT1_
	.globl	_ZN7rocprim17ROCPRIM_400000_NS6detail17trampoline_kernelINS0_14default_configENS1_25partition_config_selectorILNS1_17partition_subalgoE8EjNS0_10empty_typeEbEEZZNS1_14partition_implILS5_8ELb0ES3_jN6thrust23THRUST_200600_302600_NS6detail15normal_iteratorINSA_10device_ptrIjEEEEPS6_PKS6_NS0_5tupleIJSF_S6_EEENSJ_IJSG_SG_EEENS0_18inequality_wrapperINSA_8equal_toIjEEEEPmJS6_EEE10hipError_tPvRmT3_T4_T5_T6_T7_T9_mT8_P12ihipStream_tbDpT10_ENKUlT_T0_E_clISt17integral_constantIbLb1EES1A_EEDaS15_S16_EUlS15_E_NS1_11comp_targetILNS1_3genE0ELNS1_11target_archE4294967295ELNS1_3gpuE0ELNS1_3repE0EEENS1_30default_config_static_selectorELNS0_4arch9wavefront6targetE1EEEvT1_
	.p2align	8
	.type	_ZN7rocprim17ROCPRIM_400000_NS6detail17trampoline_kernelINS0_14default_configENS1_25partition_config_selectorILNS1_17partition_subalgoE8EjNS0_10empty_typeEbEEZZNS1_14partition_implILS5_8ELb0ES3_jN6thrust23THRUST_200600_302600_NS6detail15normal_iteratorINSA_10device_ptrIjEEEEPS6_PKS6_NS0_5tupleIJSF_S6_EEENSJ_IJSG_SG_EEENS0_18inequality_wrapperINSA_8equal_toIjEEEEPmJS6_EEE10hipError_tPvRmT3_T4_T5_T6_T7_T9_mT8_P12ihipStream_tbDpT10_ENKUlT_T0_E_clISt17integral_constantIbLb1EES1A_EEDaS15_S16_EUlS15_E_NS1_11comp_targetILNS1_3genE0ELNS1_11target_archE4294967295ELNS1_3gpuE0ELNS1_3repE0EEENS1_30default_config_static_selectorELNS0_4arch9wavefront6targetE1EEEvT1_,@function
_ZN7rocprim17ROCPRIM_400000_NS6detail17trampoline_kernelINS0_14default_configENS1_25partition_config_selectorILNS1_17partition_subalgoE8EjNS0_10empty_typeEbEEZZNS1_14partition_implILS5_8ELb0ES3_jN6thrust23THRUST_200600_302600_NS6detail15normal_iteratorINSA_10device_ptrIjEEEEPS6_PKS6_NS0_5tupleIJSF_S6_EEENSJ_IJSG_SG_EEENS0_18inequality_wrapperINSA_8equal_toIjEEEEPmJS6_EEE10hipError_tPvRmT3_T4_T5_T6_T7_T9_mT8_P12ihipStream_tbDpT10_ENKUlT_T0_E_clISt17integral_constantIbLb1EES1A_EEDaS15_S16_EUlS15_E_NS1_11comp_targetILNS1_3genE0ELNS1_11target_archE4294967295ELNS1_3gpuE0ELNS1_3repE0EEENS1_30default_config_static_selectorELNS0_4arch9wavefront6targetE1EEEvT1_: ; @_ZN7rocprim17ROCPRIM_400000_NS6detail17trampoline_kernelINS0_14default_configENS1_25partition_config_selectorILNS1_17partition_subalgoE8EjNS0_10empty_typeEbEEZZNS1_14partition_implILS5_8ELb0ES3_jN6thrust23THRUST_200600_302600_NS6detail15normal_iteratorINSA_10device_ptrIjEEEEPS6_PKS6_NS0_5tupleIJSF_S6_EEENSJ_IJSG_SG_EEENS0_18inequality_wrapperINSA_8equal_toIjEEEEPmJS6_EEE10hipError_tPvRmT3_T4_T5_T6_T7_T9_mT8_P12ihipStream_tbDpT10_ENKUlT_T0_E_clISt17integral_constantIbLb1EES1A_EEDaS15_S16_EUlS15_E_NS1_11comp_targetILNS1_3genE0ELNS1_11target_archE4294967295ELNS1_3gpuE0ELNS1_3repE0EEENS1_30default_config_static_selectorELNS0_4arch9wavefront6targetE1EEEvT1_
; %bb.0:
	.section	.rodata,"a",@progbits
	.p2align	6, 0x0
	.amdhsa_kernel _ZN7rocprim17ROCPRIM_400000_NS6detail17trampoline_kernelINS0_14default_configENS1_25partition_config_selectorILNS1_17partition_subalgoE8EjNS0_10empty_typeEbEEZZNS1_14partition_implILS5_8ELb0ES3_jN6thrust23THRUST_200600_302600_NS6detail15normal_iteratorINSA_10device_ptrIjEEEEPS6_PKS6_NS0_5tupleIJSF_S6_EEENSJ_IJSG_SG_EEENS0_18inequality_wrapperINSA_8equal_toIjEEEEPmJS6_EEE10hipError_tPvRmT3_T4_T5_T6_T7_T9_mT8_P12ihipStream_tbDpT10_ENKUlT_T0_E_clISt17integral_constantIbLb1EES1A_EEDaS15_S16_EUlS15_E_NS1_11comp_targetILNS1_3genE0ELNS1_11target_archE4294967295ELNS1_3gpuE0ELNS1_3repE0EEENS1_30default_config_static_selectorELNS0_4arch9wavefront6targetE1EEEvT1_
		.amdhsa_group_segment_fixed_size 0
		.amdhsa_private_segment_fixed_size 0
		.amdhsa_kernarg_size 128
		.amdhsa_user_sgpr_count 6
		.amdhsa_user_sgpr_private_segment_buffer 1
		.amdhsa_user_sgpr_dispatch_ptr 0
		.amdhsa_user_sgpr_queue_ptr 0
		.amdhsa_user_sgpr_kernarg_segment_ptr 1
		.amdhsa_user_sgpr_dispatch_id 0
		.amdhsa_user_sgpr_flat_scratch_init 0
		.amdhsa_user_sgpr_private_segment_size 0
		.amdhsa_uses_dynamic_stack 0
		.amdhsa_system_sgpr_private_segment_wavefront_offset 0
		.amdhsa_system_sgpr_workgroup_id_x 1
		.amdhsa_system_sgpr_workgroup_id_y 0
		.amdhsa_system_sgpr_workgroup_id_z 0
		.amdhsa_system_sgpr_workgroup_info 0
		.amdhsa_system_vgpr_workitem_id 0
		.amdhsa_next_free_vgpr 1
		.amdhsa_next_free_sgpr 0
		.amdhsa_reserve_vcc 0
		.amdhsa_reserve_flat_scratch 0
		.amdhsa_float_round_mode_32 0
		.amdhsa_float_round_mode_16_64 0
		.amdhsa_float_denorm_mode_32 3
		.amdhsa_float_denorm_mode_16_64 3
		.amdhsa_dx10_clamp 1
		.amdhsa_ieee_mode 1
		.amdhsa_fp16_overflow 0
		.amdhsa_exception_fp_ieee_invalid_op 0
		.amdhsa_exception_fp_denorm_src 0
		.amdhsa_exception_fp_ieee_div_zero 0
		.amdhsa_exception_fp_ieee_overflow 0
		.amdhsa_exception_fp_ieee_underflow 0
		.amdhsa_exception_fp_ieee_inexact 0
		.amdhsa_exception_int_div_zero 0
	.end_amdhsa_kernel
	.section	.text._ZN7rocprim17ROCPRIM_400000_NS6detail17trampoline_kernelINS0_14default_configENS1_25partition_config_selectorILNS1_17partition_subalgoE8EjNS0_10empty_typeEbEEZZNS1_14partition_implILS5_8ELb0ES3_jN6thrust23THRUST_200600_302600_NS6detail15normal_iteratorINSA_10device_ptrIjEEEEPS6_PKS6_NS0_5tupleIJSF_S6_EEENSJ_IJSG_SG_EEENS0_18inequality_wrapperINSA_8equal_toIjEEEEPmJS6_EEE10hipError_tPvRmT3_T4_T5_T6_T7_T9_mT8_P12ihipStream_tbDpT10_ENKUlT_T0_E_clISt17integral_constantIbLb1EES1A_EEDaS15_S16_EUlS15_E_NS1_11comp_targetILNS1_3genE0ELNS1_11target_archE4294967295ELNS1_3gpuE0ELNS1_3repE0EEENS1_30default_config_static_selectorELNS0_4arch9wavefront6targetE1EEEvT1_,"axG",@progbits,_ZN7rocprim17ROCPRIM_400000_NS6detail17trampoline_kernelINS0_14default_configENS1_25partition_config_selectorILNS1_17partition_subalgoE8EjNS0_10empty_typeEbEEZZNS1_14partition_implILS5_8ELb0ES3_jN6thrust23THRUST_200600_302600_NS6detail15normal_iteratorINSA_10device_ptrIjEEEEPS6_PKS6_NS0_5tupleIJSF_S6_EEENSJ_IJSG_SG_EEENS0_18inequality_wrapperINSA_8equal_toIjEEEEPmJS6_EEE10hipError_tPvRmT3_T4_T5_T6_T7_T9_mT8_P12ihipStream_tbDpT10_ENKUlT_T0_E_clISt17integral_constantIbLb1EES1A_EEDaS15_S16_EUlS15_E_NS1_11comp_targetILNS1_3genE0ELNS1_11target_archE4294967295ELNS1_3gpuE0ELNS1_3repE0EEENS1_30default_config_static_selectorELNS0_4arch9wavefront6targetE1EEEvT1_,comdat
.Lfunc_end218:
	.size	_ZN7rocprim17ROCPRIM_400000_NS6detail17trampoline_kernelINS0_14default_configENS1_25partition_config_selectorILNS1_17partition_subalgoE8EjNS0_10empty_typeEbEEZZNS1_14partition_implILS5_8ELb0ES3_jN6thrust23THRUST_200600_302600_NS6detail15normal_iteratorINSA_10device_ptrIjEEEEPS6_PKS6_NS0_5tupleIJSF_S6_EEENSJ_IJSG_SG_EEENS0_18inequality_wrapperINSA_8equal_toIjEEEEPmJS6_EEE10hipError_tPvRmT3_T4_T5_T6_T7_T9_mT8_P12ihipStream_tbDpT10_ENKUlT_T0_E_clISt17integral_constantIbLb1EES1A_EEDaS15_S16_EUlS15_E_NS1_11comp_targetILNS1_3genE0ELNS1_11target_archE4294967295ELNS1_3gpuE0ELNS1_3repE0EEENS1_30default_config_static_selectorELNS0_4arch9wavefront6targetE1EEEvT1_, .Lfunc_end218-_ZN7rocprim17ROCPRIM_400000_NS6detail17trampoline_kernelINS0_14default_configENS1_25partition_config_selectorILNS1_17partition_subalgoE8EjNS0_10empty_typeEbEEZZNS1_14partition_implILS5_8ELb0ES3_jN6thrust23THRUST_200600_302600_NS6detail15normal_iteratorINSA_10device_ptrIjEEEEPS6_PKS6_NS0_5tupleIJSF_S6_EEENSJ_IJSG_SG_EEENS0_18inequality_wrapperINSA_8equal_toIjEEEEPmJS6_EEE10hipError_tPvRmT3_T4_T5_T6_T7_T9_mT8_P12ihipStream_tbDpT10_ENKUlT_T0_E_clISt17integral_constantIbLb1EES1A_EEDaS15_S16_EUlS15_E_NS1_11comp_targetILNS1_3genE0ELNS1_11target_archE4294967295ELNS1_3gpuE0ELNS1_3repE0EEENS1_30default_config_static_selectorELNS0_4arch9wavefront6targetE1EEEvT1_
                                        ; -- End function
	.set _ZN7rocprim17ROCPRIM_400000_NS6detail17trampoline_kernelINS0_14default_configENS1_25partition_config_selectorILNS1_17partition_subalgoE8EjNS0_10empty_typeEbEEZZNS1_14partition_implILS5_8ELb0ES3_jN6thrust23THRUST_200600_302600_NS6detail15normal_iteratorINSA_10device_ptrIjEEEEPS6_PKS6_NS0_5tupleIJSF_S6_EEENSJ_IJSG_SG_EEENS0_18inequality_wrapperINSA_8equal_toIjEEEEPmJS6_EEE10hipError_tPvRmT3_T4_T5_T6_T7_T9_mT8_P12ihipStream_tbDpT10_ENKUlT_T0_E_clISt17integral_constantIbLb1EES1A_EEDaS15_S16_EUlS15_E_NS1_11comp_targetILNS1_3genE0ELNS1_11target_archE4294967295ELNS1_3gpuE0ELNS1_3repE0EEENS1_30default_config_static_selectorELNS0_4arch9wavefront6targetE1EEEvT1_.num_vgpr, 0
	.set _ZN7rocprim17ROCPRIM_400000_NS6detail17trampoline_kernelINS0_14default_configENS1_25partition_config_selectorILNS1_17partition_subalgoE8EjNS0_10empty_typeEbEEZZNS1_14partition_implILS5_8ELb0ES3_jN6thrust23THRUST_200600_302600_NS6detail15normal_iteratorINSA_10device_ptrIjEEEEPS6_PKS6_NS0_5tupleIJSF_S6_EEENSJ_IJSG_SG_EEENS0_18inequality_wrapperINSA_8equal_toIjEEEEPmJS6_EEE10hipError_tPvRmT3_T4_T5_T6_T7_T9_mT8_P12ihipStream_tbDpT10_ENKUlT_T0_E_clISt17integral_constantIbLb1EES1A_EEDaS15_S16_EUlS15_E_NS1_11comp_targetILNS1_3genE0ELNS1_11target_archE4294967295ELNS1_3gpuE0ELNS1_3repE0EEENS1_30default_config_static_selectorELNS0_4arch9wavefront6targetE1EEEvT1_.num_agpr, 0
	.set _ZN7rocprim17ROCPRIM_400000_NS6detail17trampoline_kernelINS0_14default_configENS1_25partition_config_selectorILNS1_17partition_subalgoE8EjNS0_10empty_typeEbEEZZNS1_14partition_implILS5_8ELb0ES3_jN6thrust23THRUST_200600_302600_NS6detail15normal_iteratorINSA_10device_ptrIjEEEEPS6_PKS6_NS0_5tupleIJSF_S6_EEENSJ_IJSG_SG_EEENS0_18inequality_wrapperINSA_8equal_toIjEEEEPmJS6_EEE10hipError_tPvRmT3_T4_T5_T6_T7_T9_mT8_P12ihipStream_tbDpT10_ENKUlT_T0_E_clISt17integral_constantIbLb1EES1A_EEDaS15_S16_EUlS15_E_NS1_11comp_targetILNS1_3genE0ELNS1_11target_archE4294967295ELNS1_3gpuE0ELNS1_3repE0EEENS1_30default_config_static_selectorELNS0_4arch9wavefront6targetE1EEEvT1_.numbered_sgpr, 0
	.set _ZN7rocprim17ROCPRIM_400000_NS6detail17trampoline_kernelINS0_14default_configENS1_25partition_config_selectorILNS1_17partition_subalgoE8EjNS0_10empty_typeEbEEZZNS1_14partition_implILS5_8ELb0ES3_jN6thrust23THRUST_200600_302600_NS6detail15normal_iteratorINSA_10device_ptrIjEEEEPS6_PKS6_NS0_5tupleIJSF_S6_EEENSJ_IJSG_SG_EEENS0_18inequality_wrapperINSA_8equal_toIjEEEEPmJS6_EEE10hipError_tPvRmT3_T4_T5_T6_T7_T9_mT8_P12ihipStream_tbDpT10_ENKUlT_T0_E_clISt17integral_constantIbLb1EES1A_EEDaS15_S16_EUlS15_E_NS1_11comp_targetILNS1_3genE0ELNS1_11target_archE4294967295ELNS1_3gpuE0ELNS1_3repE0EEENS1_30default_config_static_selectorELNS0_4arch9wavefront6targetE1EEEvT1_.num_named_barrier, 0
	.set _ZN7rocprim17ROCPRIM_400000_NS6detail17trampoline_kernelINS0_14default_configENS1_25partition_config_selectorILNS1_17partition_subalgoE8EjNS0_10empty_typeEbEEZZNS1_14partition_implILS5_8ELb0ES3_jN6thrust23THRUST_200600_302600_NS6detail15normal_iteratorINSA_10device_ptrIjEEEEPS6_PKS6_NS0_5tupleIJSF_S6_EEENSJ_IJSG_SG_EEENS0_18inequality_wrapperINSA_8equal_toIjEEEEPmJS6_EEE10hipError_tPvRmT3_T4_T5_T6_T7_T9_mT8_P12ihipStream_tbDpT10_ENKUlT_T0_E_clISt17integral_constantIbLb1EES1A_EEDaS15_S16_EUlS15_E_NS1_11comp_targetILNS1_3genE0ELNS1_11target_archE4294967295ELNS1_3gpuE0ELNS1_3repE0EEENS1_30default_config_static_selectorELNS0_4arch9wavefront6targetE1EEEvT1_.private_seg_size, 0
	.set _ZN7rocprim17ROCPRIM_400000_NS6detail17trampoline_kernelINS0_14default_configENS1_25partition_config_selectorILNS1_17partition_subalgoE8EjNS0_10empty_typeEbEEZZNS1_14partition_implILS5_8ELb0ES3_jN6thrust23THRUST_200600_302600_NS6detail15normal_iteratorINSA_10device_ptrIjEEEEPS6_PKS6_NS0_5tupleIJSF_S6_EEENSJ_IJSG_SG_EEENS0_18inequality_wrapperINSA_8equal_toIjEEEEPmJS6_EEE10hipError_tPvRmT3_T4_T5_T6_T7_T9_mT8_P12ihipStream_tbDpT10_ENKUlT_T0_E_clISt17integral_constantIbLb1EES1A_EEDaS15_S16_EUlS15_E_NS1_11comp_targetILNS1_3genE0ELNS1_11target_archE4294967295ELNS1_3gpuE0ELNS1_3repE0EEENS1_30default_config_static_selectorELNS0_4arch9wavefront6targetE1EEEvT1_.uses_vcc, 0
	.set _ZN7rocprim17ROCPRIM_400000_NS6detail17trampoline_kernelINS0_14default_configENS1_25partition_config_selectorILNS1_17partition_subalgoE8EjNS0_10empty_typeEbEEZZNS1_14partition_implILS5_8ELb0ES3_jN6thrust23THRUST_200600_302600_NS6detail15normal_iteratorINSA_10device_ptrIjEEEEPS6_PKS6_NS0_5tupleIJSF_S6_EEENSJ_IJSG_SG_EEENS0_18inequality_wrapperINSA_8equal_toIjEEEEPmJS6_EEE10hipError_tPvRmT3_T4_T5_T6_T7_T9_mT8_P12ihipStream_tbDpT10_ENKUlT_T0_E_clISt17integral_constantIbLb1EES1A_EEDaS15_S16_EUlS15_E_NS1_11comp_targetILNS1_3genE0ELNS1_11target_archE4294967295ELNS1_3gpuE0ELNS1_3repE0EEENS1_30default_config_static_selectorELNS0_4arch9wavefront6targetE1EEEvT1_.uses_flat_scratch, 0
	.set _ZN7rocprim17ROCPRIM_400000_NS6detail17trampoline_kernelINS0_14default_configENS1_25partition_config_selectorILNS1_17partition_subalgoE8EjNS0_10empty_typeEbEEZZNS1_14partition_implILS5_8ELb0ES3_jN6thrust23THRUST_200600_302600_NS6detail15normal_iteratorINSA_10device_ptrIjEEEEPS6_PKS6_NS0_5tupleIJSF_S6_EEENSJ_IJSG_SG_EEENS0_18inequality_wrapperINSA_8equal_toIjEEEEPmJS6_EEE10hipError_tPvRmT3_T4_T5_T6_T7_T9_mT8_P12ihipStream_tbDpT10_ENKUlT_T0_E_clISt17integral_constantIbLb1EES1A_EEDaS15_S16_EUlS15_E_NS1_11comp_targetILNS1_3genE0ELNS1_11target_archE4294967295ELNS1_3gpuE0ELNS1_3repE0EEENS1_30default_config_static_selectorELNS0_4arch9wavefront6targetE1EEEvT1_.has_dyn_sized_stack, 0
	.set _ZN7rocprim17ROCPRIM_400000_NS6detail17trampoline_kernelINS0_14default_configENS1_25partition_config_selectorILNS1_17partition_subalgoE8EjNS0_10empty_typeEbEEZZNS1_14partition_implILS5_8ELb0ES3_jN6thrust23THRUST_200600_302600_NS6detail15normal_iteratorINSA_10device_ptrIjEEEEPS6_PKS6_NS0_5tupleIJSF_S6_EEENSJ_IJSG_SG_EEENS0_18inequality_wrapperINSA_8equal_toIjEEEEPmJS6_EEE10hipError_tPvRmT3_T4_T5_T6_T7_T9_mT8_P12ihipStream_tbDpT10_ENKUlT_T0_E_clISt17integral_constantIbLb1EES1A_EEDaS15_S16_EUlS15_E_NS1_11comp_targetILNS1_3genE0ELNS1_11target_archE4294967295ELNS1_3gpuE0ELNS1_3repE0EEENS1_30default_config_static_selectorELNS0_4arch9wavefront6targetE1EEEvT1_.has_recursion, 0
	.set _ZN7rocprim17ROCPRIM_400000_NS6detail17trampoline_kernelINS0_14default_configENS1_25partition_config_selectorILNS1_17partition_subalgoE8EjNS0_10empty_typeEbEEZZNS1_14partition_implILS5_8ELb0ES3_jN6thrust23THRUST_200600_302600_NS6detail15normal_iteratorINSA_10device_ptrIjEEEEPS6_PKS6_NS0_5tupleIJSF_S6_EEENSJ_IJSG_SG_EEENS0_18inequality_wrapperINSA_8equal_toIjEEEEPmJS6_EEE10hipError_tPvRmT3_T4_T5_T6_T7_T9_mT8_P12ihipStream_tbDpT10_ENKUlT_T0_E_clISt17integral_constantIbLb1EES1A_EEDaS15_S16_EUlS15_E_NS1_11comp_targetILNS1_3genE0ELNS1_11target_archE4294967295ELNS1_3gpuE0ELNS1_3repE0EEENS1_30default_config_static_selectorELNS0_4arch9wavefront6targetE1EEEvT1_.has_indirect_call, 0
	.section	.AMDGPU.csdata,"",@progbits
; Kernel info:
; codeLenInByte = 0
; TotalNumSgprs: 4
; NumVgprs: 0
; ScratchSize: 0
; MemoryBound: 0
; FloatMode: 240
; IeeeMode: 1
; LDSByteSize: 0 bytes/workgroup (compile time only)
; SGPRBlocks: 0
; VGPRBlocks: 0
; NumSGPRsForWavesPerEU: 4
; NumVGPRsForWavesPerEU: 1
; Occupancy: 10
; WaveLimiterHint : 0
; COMPUTE_PGM_RSRC2:SCRATCH_EN: 0
; COMPUTE_PGM_RSRC2:USER_SGPR: 6
; COMPUTE_PGM_RSRC2:TRAP_HANDLER: 0
; COMPUTE_PGM_RSRC2:TGID_X_EN: 1
; COMPUTE_PGM_RSRC2:TGID_Y_EN: 0
; COMPUTE_PGM_RSRC2:TGID_Z_EN: 0
; COMPUTE_PGM_RSRC2:TIDIG_COMP_CNT: 0
	.section	.text._ZN7rocprim17ROCPRIM_400000_NS6detail17trampoline_kernelINS0_14default_configENS1_25partition_config_selectorILNS1_17partition_subalgoE8EjNS0_10empty_typeEbEEZZNS1_14partition_implILS5_8ELb0ES3_jN6thrust23THRUST_200600_302600_NS6detail15normal_iteratorINSA_10device_ptrIjEEEEPS6_PKS6_NS0_5tupleIJSF_S6_EEENSJ_IJSG_SG_EEENS0_18inequality_wrapperINSA_8equal_toIjEEEEPmJS6_EEE10hipError_tPvRmT3_T4_T5_T6_T7_T9_mT8_P12ihipStream_tbDpT10_ENKUlT_T0_E_clISt17integral_constantIbLb1EES1A_EEDaS15_S16_EUlS15_E_NS1_11comp_targetILNS1_3genE5ELNS1_11target_archE942ELNS1_3gpuE9ELNS1_3repE0EEENS1_30default_config_static_selectorELNS0_4arch9wavefront6targetE1EEEvT1_,"axG",@progbits,_ZN7rocprim17ROCPRIM_400000_NS6detail17trampoline_kernelINS0_14default_configENS1_25partition_config_selectorILNS1_17partition_subalgoE8EjNS0_10empty_typeEbEEZZNS1_14partition_implILS5_8ELb0ES3_jN6thrust23THRUST_200600_302600_NS6detail15normal_iteratorINSA_10device_ptrIjEEEEPS6_PKS6_NS0_5tupleIJSF_S6_EEENSJ_IJSG_SG_EEENS0_18inequality_wrapperINSA_8equal_toIjEEEEPmJS6_EEE10hipError_tPvRmT3_T4_T5_T6_T7_T9_mT8_P12ihipStream_tbDpT10_ENKUlT_T0_E_clISt17integral_constantIbLb1EES1A_EEDaS15_S16_EUlS15_E_NS1_11comp_targetILNS1_3genE5ELNS1_11target_archE942ELNS1_3gpuE9ELNS1_3repE0EEENS1_30default_config_static_selectorELNS0_4arch9wavefront6targetE1EEEvT1_,comdat
	.protected	_ZN7rocprim17ROCPRIM_400000_NS6detail17trampoline_kernelINS0_14default_configENS1_25partition_config_selectorILNS1_17partition_subalgoE8EjNS0_10empty_typeEbEEZZNS1_14partition_implILS5_8ELb0ES3_jN6thrust23THRUST_200600_302600_NS6detail15normal_iteratorINSA_10device_ptrIjEEEEPS6_PKS6_NS0_5tupleIJSF_S6_EEENSJ_IJSG_SG_EEENS0_18inequality_wrapperINSA_8equal_toIjEEEEPmJS6_EEE10hipError_tPvRmT3_T4_T5_T6_T7_T9_mT8_P12ihipStream_tbDpT10_ENKUlT_T0_E_clISt17integral_constantIbLb1EES1A_EEDaS15_S16_EUlS15_E_NS1_11comp_targetILNS1_3genE5ELNS1_11target_archE942ELNS1_3gpuE9ELNS1_3repE0EEENS1_30default_config_static_selectorELNS0_4arch9wavefront6targetE1EEEvT1_ ; -- Begin function _ZN7rocprim17ROCPRIM_400000_NS6detail17trampoline_kernelINS0_14default_configENS1_25partition_config_selectorILNS1_17partition_subalgoE8EjNS0_10empty_typeEbEEZZNS1_14partition_implILS5_8ELb0ES3_jN6thrust23THRUST_200600_302600_NS6detail15normal_iteratorINSA_10device_ptrIjEEEEPS6_PKS6_NS0_5tupleIJSF_S6_EEENSJ_IJSG_SG_EEENS0_18inequality_wrapperINSA_8equal_toIjEEEEPmJS6_EEE10hipError_tPvRmT3_T4_T5_T6_T7_T9_mT8_P12ihipStream_tbDpT10_ENKUlT_T0_E_clISt17integral_constantIbLb1EES1A_EEDaS15_S16_EUlS15_E_NS1_11comp_targetILNS1_3genE5ELNS1_11target_archE942ELNS1_3gpuE9ELNS1_3repE0EEENS1_30default_config_static_selectorELNS0_4arch9wavefront6targetE1EEEvT1_
	.globl	_ZN7rocprim17ROCPRIM_400000_NS6detail17trampoline_kernelINS0_14default_configENS1_25partition_config_selectorILNS1_17partition_subalgoE8EjNS0_10empty_typeEbEEZZNS1_14partition_implILS5_8ELb0ES3_jN6thrust23THRUST_200600_302600_NS6detail15normal_iteratorINSA_10device_ptrIjEEEEPS6_PKS6_NS0_5tupleIJSF_S6_EEENSJ_IJSG_SG_EEENS0_18inequality_wrapperINSA_8equal_toIjEEEEPmJS6_EEE10hipError_tPvRmT3_T4_T5_T6_T7_T9_mT8_P12ihipStream_tbDpT10_ENKUlT_T0_E_clISt17integral_constantIbLb1EES1A_EEDaS15_S16_EUlS15_E_NS1_11comp_targetILNS1_3genE5ELNS1_11target_archE942ELNS1_3gpuE9ELNS1_3repE0EEENS1_30default_config_static_selectorELNS0_4arch9wavefront6targetE1EEEvT1_
	.p2align	8
	.type	_ZN7rocprim17ROCPRIM_400000_NS6detail17trampoline_kernelINS0_14default_configENS1_25partition_config_selectorILNS1_17partition_subalgoE8EjNS0_10empty_typeEbEEZZNS1_14partition_implILS5_8ELb0ES3_jN6thrust23THRUST_200600_302600_NS6detail15normal_iteratorINSA_10device_ptrIjEEEEPS6_PKS6_NS0_5tupleIJSF_S6_EEENSJ_IJSG_SG_EEENS0_18inequality_wrapperINSA_8equal_toIjEEEEPmJS6_EEE10hipError_tPvRmT3_T4_T5_T6_T7_T9_mT8_P12ihipStream_tbDpT10_ENKUlT_T0_E_clISt17integral_constantIbLb1EES1A_EEDaS15_S16_EUlS15_E_NS1_11comp_targetILNS1_3genE5ELNS1_11target_archE942ELNS1_3gpuE9ELNS1_3repE0EEENS1_30default_config_static_selectorELNS0_4arch9wavefront6targetE1EEEvT1_,@function
_ZN7rocprim17ROCPRIM_400000_NS6detail17trampoline_kernelINS0_14default_configENS1_25partition_config_selectorILNS1_17partition_subalgoE8EjNS0_10empty_typeEbEEZZNS1_14partition_implILS5_8ELb0ES3_jN6thrust23THRUST_200600_302600_NS6detail15normal_iteratorINSA_10device_ptrIjEEEEPS6_PKS6_NS0_5tupleIJSF_S6_EEENSJ_IJSG_SG_EEENS0_18inequality_wrapperINSA_8equal_toIjEEEEPmJS6_EEE10hipError_tPvRmT3_T4_T5_T6_T7_T9_mT8_P12ihipStream_tbDpT10_ENKUlT_T0_E_clISt17integral_constantIbLb1EES1A_EEDaS15_S16_EUlS15_E_NS1_11comp_targetILNS1_3genE5ELNS1_11target_archE942ELNS1_3gpuE9ELNS1_3repE0EEENS1_30default_config_static_selectorELNS0_4arch9wavefront6targetE1EEEvT1_: ; @_ZN7rocprim17ROCPRIM_400000_NS6detail17trampoline_kernelINS0_14default_configENS1_25partition_config_selectorILNS1_17partition_subalgoE8EjNS0_10empty_typeEbEEZZNS1_14partition_implILS5_8ELb0ES3_jN6thrust23THRUST_200600_302600_NS6detail15normal_iteratorINSA_10device_ptrIjEEEEPS6_PKS6_NS0_5tupleIJSF_S6_EEENSJ_IJSG_SG_EEENS0_18inequality_wrapperINSA_8equal_toIjEEEEPmJS6_EEE10hipError_tPvRmT3_T4_T5_T6_T7_T9_mT8_P12ihipStream_tbDpT10_ENKUlT_T0_E_clISt17integral_constantIbLb1EES1A_EEDaS15_S16_EUlS15_E_NS1_11comp_targetILNS1_3genE5ELNS1_11target_archE942ELNS1_3gpuE9ELNS1_3repE0EEENS1_30default_config_static_selectorELNS0_4arch9wavefront6targetE1EEEvT1_
; %bb.0:
	.section	.rodata,"a",@progbits
	.p2align	6, 0x0
	.amdhsa_kernel _ZN7rocprim17ROCPRIM_400000_NS6detail17trampoline_kernelINS0_14default_configENS1_25partition_config_selectorILNS1_17partition_subalgoE8EjNS0_10empty_typeEbEEZZNS1_14partition_implILS5_8ELb0ES3_jN6thrust23THRUST_200600_302600_NS6detail15normal_iteratorINSA_10device_ptrIjEEEEPS6_PKS6_NS0_5tupleIJSF_S6_EEENSJ_IJSG_SG_EEENS0_18inequality_wrapperINSA_8equal_toIjEEEEPmJS6_EEE10hipError_tPvRmT3_T4_T5_T6_T7_T9_mT8_P12ihipStream_tbDpT10_ENKUlT_T0_E_clISt17integral_constantIbLb1EES1A_EEDaS15_S16_EUlS15_E_NS1_11comp_targetILNS1_3genE5ELNS1_11target_archE942ELNS1_3gpuE9ELNS1_3repE0EEENS1_30default_config_static_selectorELNS0_4arch9wavefront6targetE1EEEvT1_
		.amdhsa_group_segment_fixed_size 0
		.amdhsa_private_segment_fixed_size 0
		.amdhsa_kernarg_size 128
		.amdhsa_user_sgpr_count 6
		.amdhsa_user_sgpr_private_segment_buffer 1
		.amdhsa_user_sgpr_dispatch_ptr 0
		.amdhsa_user_sgpr_queue_ptr 0
		.amdhsa_user_sgpr_kernarg_segment_ptr 1
		.amdhsa_user_sgpr_dispatch_id 0
		.amdhsa_user_sgpr_flat_scratch_init 0
		.amdhsa_user_sgpr_private_segment_size 0
		.amdhsa_uses_dynamic_stack 0
		.amdhsa_system_sgpr_private_segment_wavefront_offset 0
		.amdhsa_system_sgpr_workgroup_id_x 1
		.amdhsa_system_sgpr_workgroup_id_y 0
		.amdhsa_system_sgpr_workgroup_id_z 0
		.amdhsa_system_sgpr_workgroup_info 0
		.amdhsa_system_vgpr_workitem_id 0
		.amdhsa_next_free_vgpr 1
		.amdhsa_next_free_sgpr 0
		.amdhsa_reserve_vcc 0
		.amdhsa_reserve_flat_scratch 0
		.amdhsa_float_round_mode_32 0
		.amdhsa_float_round_mode_16_64 0
		.amdhsa_float_denorm_mode_32 3
		.amdhsa_float_denorm_mode_16_64 3
		.amdhsa_dx10_clamp 1
		.amdhsa_ieee_mode 1
		.amdhsa_fp16_overflow 0
		.amdhsa_exception_fp_ieee_invalid_op 0
		.amdhsa_exception_fp_denorm_src 0
		.amdhsa_exception_fp_ieee_div_zero 0
		.amdhsa_exception_fp_ieee_overflow 0
		.amdhsa_exception_fp_ieee_underflow 0
		.amdhsa_exception_fp_ieee_inexact 0
		.amdhsa_exception_int_div_zero 0
	.end_amdhsa_kernel
	.section	.text._ZN7rocprim17ROCPRIM_400000_NS6detail17trampoline_kernelINS0_14default_configENS1_25partition_config_selectorILNS1_17partition_subalgoE8EjNS0_10empty_typeEbEEZZNS1_14partition_implILS5_8ELb0ES3_jN6thrust23THRUST_200600_302600_NS6detail15normal_iteratorINSA_10device_ptrIjEEEEPS6_PKS6_NS0_5tupleIJSF_S6_EEENSJ_IJSG_SG_EEENS0_18inequality_wrapperINSA_8equal_toIjEEEEPmJS6_EEE10hipError_tPvRmT3_T4_T5_T6_T7_T9_mT8_P12ihipStream_tbDpT10_ENKUlT_T0_E_clISt17integral_constantIbLb1EES1A_EEDaS15_S16_EUlS15_E_NS1_11comp_targetILNS1_3genE5ELNS1_11target_archE942ELNS1_3gpuE9ELNS1_3repE0EEENS1_30default_config_static_selectorELNS0_4arch9wavefront6targetE1EEEvT1_,"axG",@progbits,_ZN7rocprim17ROCPRIM_400000_NS6detail17trampoline_kernelINS0_14default_configENS1_25partition_config_selectorILNS1_17partition_subalgoE8EjNS0_10empty_typeEbEEZZNS1_14partition_implILS5_8ELb0ES3_jN6thrust23THRUST_200600_302600_NS6detail15normal_iteratorINSA_10device_ptrIjEEEEPS6_PKS6_NS0_5tupleIJSF_S6_EEENSJ_IJSG_SG_EEENS0_18inequality_wrapperINSA_8equal_toIjEEEEPmJS6_EEE10hipError_tPvRmT3_T4_T5_T6_T7_T9_mT8_P12ihipStream_tbDpT10_ENKUlT_T0_E_clISt17integral_constantIbLb1EES1A_EEDaS15_S16_EUlS15_E_NS1_11comp_targetILNS1_3genE5ELNS1_11target_archE942ELNS1_3gpuE9ELNS1_3repE0EEENS1_30default_config_static_selectorELNS0_4arch9wavefront6targetE1EEEvT1_,comdat
.Lfunc_end219:
	.size	_ZN7rocprim17ROCPRIM_400000_NS6detail17trampoline_kernelINS0_14default_configENS1_25partition_config_selectorILNS1_17partition_subalgoE8EjNS0_10empty_typeEbEEZZNS1_14partition_implILS5_8ELb0ES3_jN6thrust23THRUST_200600_302600_NS6detail15normal_iteratorINSA_10device_ptrIjEEEEPS6_PKS6_NS0_5tupleIJSF_S6_EEENSJ_IJSG_SG_EEENS0_18inequality_wrapperINSA_8equal_toIjEEEEPmJS6_EEE10hipError_tPvRmT3_T4_T5_T6_T7_T9_mT8_P12ihipStream_tbDpT10_ENKUlT_T0_E_clISt17integral_constantIbLb1EES1A_EEDaS15_S16_EUlS15_E_NS1_11comp_targetILNS1_3genE5ELNS1_11target_archE942ELNS1_3gpuE9ELNS1_3repE0EEENS1_30default_config_static_selectorELNS0_4arch9wavefront6targetE1EEEvT1_, .Lfunc_end219-_ZN7rocprim17ROCPRIM_400000_NS6detail17trampoline_kernelINS0_14default_configENS1_25partition_config_selectorILNS1_17partition_subalgoE8EjNS0_10empty_typeEbEEZZNS1_14partition_implILS5_8ELb0ES3_jN6thrust23THRUST_200600_302600_NS6detail15normal_iteratorINSA_10device_ptrIjEEEEPS6_PKS6_NS0_5tupleIJSF_S6_EEENSJ_IJSG_SG_EEENS0_18inequality_wrapperINSA_8equal_toIjEEEEPmJS6_EEE10hipError_tPvRmT3_T4_T5_T6_T7_T9_mT8_P12ihipStream_tbDpT10_ENKUlT_T0_E_clISt17integral_constantIbLb1EES1A_EEDaS15_S16_EUlS15_E_NS1_11comp_targetILNS1_3genE5ELNS1_11target_archE942ELNS1_3gpuE9ELNS1_3repE0EEENS1_30default_config_static_selectorELNS0_4arch9wavefront6targetE1EEEvT1_
                                        ; -- End function
	.set _ZN7rocprim17ROCPRIM_400000_NS6detail17trampoline_kernelINS0_14default_configENS1_25partition_config_selectorILNS1_17partition_subalgoE8EjNS0_10empty_typeEbEEZZNS1_14partition_implILS5_8ELb0ES3_jN6thrust23THRUST_200600_302600_NS6detail15normal_iteratorINSA_10device_ptrIjEEEEPS6_PKS6_NS0_5tupleIJSF_S6_EEENSJ_IJSG_SG_EEENS0_18inequality_wrapperINSA_8equal_toIjEEEEPmJS6_EEE10hipError_tPvRmT3_T4_T5_T6_T7_T9_mT8_P12ihipStream_tbDpT10_ENKUlT_T0_E_clISt17integral_constantIbLb1EES1A_EEDaS15_S16_EUlS15_E_NS1_11comp_targetILNS1_3genE5ELNS1_11target_archE942ELNS1_3gpuE9ELNS1_3repE0EEENS1_30default_config_static_selectorELNS0_4arch9wavefront6targetE1EEEvT1_.num_vgpr, 0
	.set _ZN7rocprim17ROCPRIM_400000_NS6detail17trampoline_kernelINS0_14default_configENS1_25partition_config_selectorILNS1_17partition_subalgoE8EjNS0_10empty_typeEbEEZZNS1_14partition_implILS5_8ELb0ES3_jN6thrust23THRUST_200600_302600_NS6detail15normal_iteratorINSA_10device_ptrIjEEEEPS6_PKS6_NS0_5tupleIJSF_S6_EEENSJ_IJSG_SG_EEENS0_18inequality_wrapperINSA_8equal_toIjEEEEPmJS6_EEE10hipError_tPvRmT3_T4_T5_T6_T7_T9_mT8_P12ihipStream_tbDpT10_ENKUlT_T0_E_clISt17integral_constantIbLb1EES1A_EEDaS15_S16_EUlS15_E_NS1_11comp_targetILNS1_3genE5ELNS1_11target_archE942ELNS1_3gpuE9ELNS1_3repE0EEENS1_30default_config_static_selectorELNS0_4arch9wavefront6targetE1EEEvT1_.num_agpr, 0
	.set _ZN7rocprim17ROCPRIM_400000_NS6detail17trampoline_kernelINS0_14default_configENS1_25partition_config_selectorILNS1_17partition_subalgoE8EjNS0_10empty_typeEbEEZZNS1_14partition_implILS5_8ELb0ES3_jN6thrust23THRUST_200600_302600_NS6detail15normal_iteratorINSA_10device_ptrIjEEEEPS6_PKS6_NS0_5tupleIJSF_S6_EEENSJ_IJSG_SG_EEENS0_18inequality_wrapperINSA_8equal_toIjEEEEPmJS6_EEE10hipError_tPvRmT3_T4_T5_T6_T7_T9_mT8_P12ihipStream_tbDpT10_ENKUlT_T0_E_clISt17integral_constantIbLb1EES1A_EEDaS15_S16_EUlS15_E_NS1_11comp_targetILNS1_3genE5ELNS1_11target_archE942ELNS1_3gpuE9ELNS1_3repE0EEENS1_30default_config_static_selectorELNS0_4arch9wavefront6targetE1EEEvT1_.numbered_sgpr, 0
	.set _ZN7rocprim17ROCPRIM_400000_NS6detail17trampoline_kernelINS0_14default_configENS1_25partition_config_selectorILNS1_17partition_subalgoE8EjNS0_10empty_typeEbEEZZNS1_14partition_implILS5_8ELb0ES3_jN6thrust23THRUST_200600_302600_NS6detail15normal_iteratorINSA_10device_ptrIjEEEEPS6_PKS6_NS0_5tupleIJSF_S6_EEENSJ_IJSG_SG_EEENS0_18inequality_wrapperINSA_8equal_toIjEEEEPmJS6_EEE10hipError_tPvRmT3_T4_T5_T6_T7_T9_mT8_P12ihipStream_tbDpT10_ENKUlT_T0_E_clISt17integral_constantIbLb1EES1A_EEDaS15_S16_EUlS15_E_NS1_11comp_targetILNS1_3genE5ELNS1_11target_archE942ELNS1_3gpuE9ELNS1_3repE0EEENS1_30default_config_static_selectorELNS0_4arch9wavefront6targetE1EEEvT1_.num_named_barrier, 0
	.set _ZN7rocprim17ROCPRIM_400000_NS6detail17trampoline_kernelINS0_14default_configENS1_25partition_config_selectorILNS1_17partition_subalgoE8EjNS0_10empty_typeEbEEZZNS1_14partition_implILS5_8ELb0ES3_jN6thrust23THRUST_200600_302600_NS6detail15normal_iteratorINSA_10device_ptrIjEEEEPS6_PKS6_NS0_5tupleIJSF_S6_EEENSJ_IJSG_SG_EEENS0_18inequality_wrapperINSA_8equal_toIjEEEEPmJS6_EEE10hipError_tPvRmT3_T4_T5_T6_T7_T9_mT8_P12ihipStream_tbDpT10_ENKUlT_T0_E_clISt17integral_constantIbLb1EES1A_EEDaS15_S16_EUlS15_E_NS1_11comp_targetILNS1_3genE5ELNS1_11target_archE942ELNS1_3gpuE9ELNS1_3repE0EEENS1_30default_config_static_selectorELNS0_4arch9wavefront6targetE1EEEvT1_.private_seg_size, 0
	.set _ZN7rocprim17ROCPRIM_400000_NS6detail17trampoline_kernelINS0_14default_configENS1_25partition_config_selectorILNS1_17partition_subalgoE8EjNS0_10empty_typeEbEEZZNS1_14partition_implILS5_8ELb0ES3_jN6thrust23THRUST_200600_302600_NS6detail15normal_iteratorINSA_10device_ptrIjEEEEPS6_PKS6_NS0_5tupleIJSF_S6_EEENSJ_IJSG_SG_EEENS0_18inequality_wrapperINSA_8equal_toIjEEEEPmJS6_EEE10hipError_tPvRmT3_T4_T5_T6_T7_T9_mT8_P12ihipStream_tbDpT10_ENKUlT_T0_E_clISt17integral_constantIbLb1EES1A_EEDaS15_S16_EUlS15_E_NS1_11comp_targetILNS1_3genE5ELNS1_11target_archE942ELNS1_3gpuE9ELNS1_3repE0EEENS1_30default_config_static_selectorELNS0_4arch9wavefront6targetE1EEEvT1_.uses_vcc, 0
	.set _ZN7rocprim17ROCPRIM_400000_NS6detail17trampoline_kernelINS0_14default_configENS1_25partition_config_selectorILNS1_17partition_subalgoE8EjNS0_10empty_typeEbEEZZNS1_14partition_implILS5_8ELb0ES3_jN6thrust23THRUST_200600_302600_NS6detail15normal_iteratorINSA_10device_ptrIjEEEEPS6_PKS6_NS0_5tupleIJSF_S6_EEENSJ_IJSG_SG_EEENS0_18inequality_wrapperINSA_8equal_toIjEEEEPmJS6_EEE10hipError_tPvRmT3_T4_T5_T6_T7_T9_mT8_P12ihipStream_tbDpT10_ENKUlT_T0_E_clISt17integral_constantIbLb1EES1A_EEDaS15_S16_EUlS15_E_NS1_11comp_targetILNS1_3genE5ELNS1_11target_archE942ELNS1_3gpuE9ELNS1_3repE0EEENS1_30default_config_static_selectorELNS0_4arch9wavefront6targetE1EEEvT1_.uses_flat_scratch, 0
	.set _ZN7rocprim17ROCPRIM_400000_NS6detail17trampoline_kernelINS0_14default_configENS1_25partition_config_selectorILNS1_17partition_subalgoE8EjNS0_10empty_typeEbEEZZNS1_14partition_implILS5_8ELb0ES3_jN6thrust23THRUST_200600_302600_NS6detail15normal_iteratorINSA_10device_ptrIjEEEEPS6_PKS6_NS0_5tupleIJSF_S6_EEENSJ_IJSG_SG_EEENS0_18inequality_wrapperINSA_8equal_toIjEEEEPmJS6_EEE10hipError_tPvRmT3_T4_T5_T6_T7_T9_mT8_P12ihipStream_tbDpT10_ENKUlT_T0_E_clISt17integral_constantIbLb1EES1A_EEDaS15_S16_EUlS15_E_NS1_11comp_targetILNS1_3genE5ELNS1_11target_archE942ELNS1_3gpuE9ELNS1_3repE0EEENS1_30default_config_static_selectorELNS0_4arch9wavefront6targetE1EEEvT1_.has_dyn_sized_stack, 0
	.set _ZN7rocprim17ROCPRIM_400000_NS6detail17trampoline_kernelINS0_14default_configENS1_25partition_config_selectorILNS1_17partition_subalgoE8EjNS0_10empty_typeEbEEZZNS1_14partition_implILS5_8ELb0ES3_jN6thrust23THRUST_200600_302600_NS6detail15normal_iteratorINSA_10device_ptrIjEEEEPS6_PKS6_NS0_5tupleIJSF_S6_EEENSJ_IJSG_SG_EEENS0_18inequality_wrapperINSA_8equal_toIjEEEEPmJS6_EEE10hipError_tPvRmT3_T4_T5_T6_T7_T9_mT8_P12ihipStream_tbDpT10_ENKUlT_T0_E_clISt17integral_constantIbLb1EES1A_EEDaS15_S16_EUlS15_E_NS1_11comp_targetILNS1_3genE5ELNS1_11target_archE942ELNS1_3gpuE9ELNS1_3repE0EEENS1_30default_config_static_selectorELNS0_4arch9wavefront6targetE1EEEvT1_.has_recursion, 0
	.set _ZN7rocprim17ROCPRIM_400000_NS6detail17trampoline_kernelINS0_14default_configENS1_25partition_config_selectorILNS1_17partition_subalgoE8EjNS0_10empty_typeEbEEZZNS1_14partition_implILS5_8ELb0ES3_jN6thrust23THRUST_200600_302600_NS6detail15normal_iteratorINSA_10device_ptrIjEEEEPS6_PKS6_NS0_5tupleIJSF_S6_EEENSJ_IJSG_SG_EEENS0_18inequality_wrapperINSA_8equal_toIjEEEEPmJS6_EEE10hipError_tPvRmT3_T4_T5_T6_T7_T9_mT8_P12ihipStream_tbDpT10_ENKUlT_T0_E_clISt17integral_constantIbLb1EES1A_EEDaS15_S16_EUlS15_E_NS1_11comp_targetILNS1_3genE5ELNS1_11target_archE942ELNS1_3gpuE9ELNS1_3repE0EEENS1_30default_config_static_selectorELNS0_4arch9wavefront6targetE1EEEvT1_.has_indirect_call, 0
	.section	.AMDGPU.csdata,"",@progbits
; Kernel info:
; codeLenInByte = 0
; TotalNumSgprs: 4
; NumVgprs: 0
; ScratchSize: 0
; MemoryBound: 0
; FloatMode: 240
; IeeeMode: 1
; LDSByteSize: 0 bytes/workgroup (compile time only)
; SGPRBlocks: 0
; VGPRBlocks: 0
; NumSGPRsForWavesPerEU: 4
; NumVGPRsForWavesPerEU: 1
; Occupancy: 10
; WaveLimiterHint : 0
; COMPUTE_PGM_RSRC2:SCRATCH_EN: 0
; COMPUTE_PGM_RSRC2:USER_SGPR: 6
; COMPUTE_PGM_RSRC2:TRAP_HANDLER: 0
; COMPUTE_PGM_RSRC2:TGID_X_EN: 1
; COMPUTE_PGM_RSRC2:TGID_Y_EN: 0
; COMPUTE_PGM_RSRC2:TGID_Z_EN: 0
; COMPUTE_PGM_RSRC2:TIDIG_COMP_CNT: 0
	.section	.text._ZN7rocprim17ROCPRIM_400000_NS6detail17trampoline_kernelINS0_14default_configENS1_25partition_config_selectorILNS1_17partition_subalgoE8EjNS0_10empty_typeEbEEZZNS1_14partition_implILS5_8ELb0ES3_jN6thrust23THRUST_200600_302600_NS6detail15normal_iteratorINSA_10device_ptrIjEEEEPS6_PKS6_NS0_5tupleIJSF_S6_EEENSJ_IJSG_SG_EEENS0_18inequality_wrapperINSA_8equal_toIjEEEEPmJS6_EEE10hipError_tPvRmT3_T4_T5_T6_T7_T9_mT8_P12ihipStream_tbDpT10_ENKUlT_T0_E_clISt17integral_constantIbLb1EES1A_EEDaS15_S16_EUlS15_E_NS1_11comp_targetILNS1_3genE4ELNS1_11target_archE910ELNS1_3gpuE8ELNS1_3repE0EEENS1_30default_config_static_selectorELNS0_4arch9wavefront6targetE1EEEvT1_,"axG",@progbits,_ZN7rocprim17ROCPRIM_400000_NS6detail17trampoline_kernelINS0_14default_configENS1_25partition_config_selectorILNS1_17partition_subalgoE8EjNS0_10empty_typeEbEEZZNS1_14partition_implILS5_8ELb0ES3_jN6thrust23THRUST_200600_302600_NS6detail15normal_iteratorINSA_10device_ptrIjEEEEPS6_PKS6_NS0_5tupleIJSF_S6_EEENSJ_IJSG_SG_EEENS0_18inequality_wrapperINSA_8equal_toIjEEEEPmJS6_EEE10hipError_tPvRmT3_T4_T5_T6_T7_T9_mT8_P12ihipStream_tbDpT10_ENKUlT_T0_E_clISt17integral_constantIbLb1EES1A_EEDaS15_S16_EUlS15_E_NS1_11comp_targetILNS1_3genE4ELNS1_11target_archE910ELNS1_3gpuE8ELNS1_3repE0EEENS1_30default_config_static_selectorELNS0_4arch9wavefront6targetE1EEEvT1_,comdat
	.protected	_ZN7rocprim17ROCPRIM_400000_NS6detail17trampoline_kernelINS0_14default_configENS1_25partition_config_selectorILNS1_17partition_subalgoE8EjNS0_10empty_typeEbEEZZNS1_14partition_implILS5_8ELb0ES3_jN6thrust23THRUST_200600_302600_NS6detail15normal_iteratorINSA_10device_ptrIjEEEEPS6_PKS6_NS0_5tupleIJSF_S6_EEENSJ_IJSG_SG_EEENS0_18inequality_wrapperINSA_8equal_toIjEEEEPmJS6_EEE10hipError_tPvRmT3_T4_T5_T6_T7_T9_mT8_P12ihipStream_tbDpT10_ENKUlT_T0_E_clISt17integral_constantIbLb1EES1A_EEDaS15_S16_EUlS15_E_NS1_11comp_targetILNS1_3genE4ELNS1_11target_archE910ELNS1_3gpuE8ELNS1_3repE0EEENS1_30default_config_static_selectorELNS0_4arch9wavefront6targetE1EEEvT1_ ; -- Begin function _ZN7rocprim17ROCPRIM_400000_NS6detail17trampoline_kernelINS0_14default_configENS1_25partition_config_selectorILNS1_17partition_subalgoE8EjNS0_10empty_typeEbEEZZNS1_14partition_implILS5_8ELb0ES3_jN6thrust23THRUST_200600_302600_NS6detail15normal_iteratorINSA_10device_ptrIjEEEEPS6_PKS6_NS0_5tupleIJSF_S6_EEENSJ_IJSG_SG_EEENS0_18inequality_wrapperINSA_8equal_toIjEEEEPmJS6_EEE10hipError_tPvRmT3_T4_T5_T6_T7_T9_mT8_P12ihipStream_tbDpT10_ENKUlT_T0_E_clISt17integral_constantIbLb1EES1A_EEDaS15_S16_EUlS15_E_NS1_11comp_targetILNS1_3genE4ELNS1_11target_archE910ELNS1_3gpuE8ELNS1_3repE0EEENS1_30default_config_static_selectorELNS0_4arch9wavefront6targetE1EEEvT1_
	.globl	_ZN7rocprim17ROCPRIM_400000_NS6detail17trampoline_kernelINS0_14default_configENS1_25partition_config_selectorILNS1_17partition_subalgoE8EjNS0_10empty_typeEbEEZZNS1_14partition_implILS5_8ELb0ES3_jN6thrust23THRUST_200600_302600_NS6detail15normal_iteratorINSA_10device_ptrIjEEEEPS6_PKS6_NS0_5tupleIJSF_S6_EEENSJ_IJSG_SG_EEENS0_18inequality_wrapperINSA_8equal_toIjEEEEPmJS6_EEE10hipError_tPvRmT3_T4_T5_T6_T7_T9_mT8_P12ihipStream_tbDpT10_ENKUlT_T0_E_clISt17integral_constantIbLb1EES1A_EEDaS15_S16_EUlS15_E_NS1_11comp_targetILNS1_3genE4ELNS1_11target_archE910ELNS1_3gpuE8ELNS1_3repE0EEENS1_30default_config_static_selectorELNS0_4arch9wavefront6targetE1EEEvT1_
	.p2align	8
	.type	_ZN7rocprim17ROCPRIM_400000_NS6detail17trampoline_kernelINS0_14default_configENS1_25partition_config_selectorILNS1_17partition_subalgoE8EjNS0_10empty_typeEbEEZZNS1_14partition_implILS5_8ELb0ES3_jN6thrust23THRUST_200600_302600_NS6detail15normal_iteratorINSA_10device_ptrIjEEEEPS6_PKS6_NS0_5tupleIJSF_S6_EEENSJ_IJSG_SG_EEENS0_18inequality_wrapperINSA_8equal_toIjEEEEPmJS6_EEE10hipError_tPvRmT3_T4_T5_T6_T7_T9_mT8_P12ihipStream_tbDpT10_ENKUlT_T0_E_clISt17integral_constantIbLb1EES1A_EEDaS15_S16_EUlS15_E_NS1_11comp_targetILNS1_3genE4ELNS1_11target_archE910ELNS1_3gpuE8ELNS1_3repE0EEENS1_30default_config_static_selectorELNS0_4arch9wavefront6targetE1EEEvT1_,@function
_ZN7rocprim17ROCPRIM_400000_NS6detail17trampoline_kernelINS0_14default_configENS1_25partition_config_selectorILNS1_17partition_subalgoE8EjNS0_10empty_typeEbEEZZNS1_14partition_implILS5_8ELb0ES3_jN6thrust23THRUST_200600_302600_NS6detail15normal_iteratorINSA_10device_ptrIjEEEEPS6_PKS6_NS0_5tupleIJSF_S6_EEENSJ_IJSG_SG_EEENS0_18inequality_wrapperINSA_8equal_toIjEEEEPmJS6_EEE10hipError_tPvRmT3_T4_T5_T6_T7_T9_mT8_P12ihipStream_tbDpT10_ENKUlT_T0_E_clISt17integral_constantIbLb1EES1A_EEDaS15_S16_EUlS15_E_NS1_11comp_targetILNS1_3genE4ELNS1_11target_archE910ELNS1_3gpuE8ELNS1_3repE0EEENS1_30default_config_static_selectorELNS0_4arch9wavefront6targetE1EEEvT1_: ; @_ZN7rocprim17ROCPRIM_400000_NS6detail17trampoline_kernelINS0_14default_configENS1_25partition_config_selectorILNS1_17partition_subalgoE8EjNS0_10empty_typeEbEEZZNS1_14partition_implILS5_8ELb0ES3_jN6thrust23THRUST_200600_302600_NS6detail15normal_iteratorINSA_10device_ptrIjEEEEPS6_PKS6_NS0_5tupleIJSF_S6_EEENSJ_IJSG_SG_EEENS0_18inequality_wrapperINSA_8equal_toIjEEEEPmJS6_EEE10hipError_tPvRmT3_T4_T5_T6_T7_T9_mT8_P12ihipStream_tbDpT10_ENKUlT_T0_E_clISt17integral_constantIbLb1EES1A_EEDaS15_S16_EUlS15_E_NS1_11comp_targetILNS1_3genE4ELNS1_11target_archE910ELNS1_3gpuE8ELNS1_3repE0EEENS1_30default_config_static_selectorELNS0_4arch9wavefront6targetE1EEEvT1_
; %bb.0:
	.section	.rodata,"a",@progbits
	.p2align	6, 0x0
	.amdhsa_kernel _ZN7rocprim17ROCPRIM_400000_NS6detail17trampoline_kernelINS0_14default_configENS1_25partition_config_selectorILNS1_17partition_subalgoE8EjNS0_10empty_typeEbEEZZNS1_14partition_implILS5_8ELb0ES3_jN6thrust23THRUST_200600_302600_NS6detail15normal_iteratorINSA_10device_ptrIjEEEEPS6_PKS6_NS0_5tupleIJSF_S6_EEENSJ_IJSG_SG_EEENS0_18inequality_wrapperINSA_8equal_toIjEEEEPmJS6_EEE10hipError_tPvRmT3_T4_T5_T6_T7_T9_mT8_P12ihipStream_tbDpT10_ENKUlT_T0_E_clISt17integral_constantIbLb1EES1A_EEDaS15_S16_EUlS15_E_NS1_11comp_targetILNS1_3genE4ELNS1_11target_archE910ELNS1_3gpuE8ELNS1_3repE0EEENS1_30default_config_static_selectorELNS0_4arch9wavefront6targetE1EEEvT1_
		.amdhsa_group_segment_fixed_size 0
		.amdhsa_private_segment_fixed_size 0
		.amdhsa_kernarg_size 128
		.amdhsa_user_sgpr_count 6
		.amdhsa_user_sgpr_private_segment_buffer 1
		.amdhsa_user_sgpr_dispatch_ptr 0
		.amdhsa_user_sgpr_queue_ptr 0
		.amdhsa_user_sgpr_kernarg_segment_ptr 1
		.amdhsa_user_sgpr_dispatch_id 0
		.amdhsa_user_sgpr_flat_scratch_init 0
		.amdhsa_user_sgpr_private_segment_size 0
		.amdhsa_uses_dynamic_stack 0
		.amdhsa_system_sgpr_private_segment_wavefront_offset 0
		.amdhsa_system_sgpr_workgroup_id_x 1
		.amdhsa_system_sgpr_workgroup_id_y 0
		.amdhsa_system_sgpr_workgroup_id_z 0
		.amdhsa_system_sgpr_workgroup_info 0
		.amdhsa_system_vgpr_workitem_id 0
		.amdhsa_next_free_vgpr 1
		.amdhsa_next_free_sgpr 0
		.amdhsa_reserve_vcc 0
		.amdhsa_reserve_flat_scratch 0
		.amdhsa_float_round_mode_32 0
		.amdhsa_float_round_mode_16_64 0
		.amdhsa_float_denorm_mode_32 3
		.amdhsa_float_denorm_mode_16_64 3
		.amdhsa_dx10_clamp 1
		.amdhsa_ieee_mode 1
		.amdhsa_fp16_overflow 0
		.amdhsa_exception_fp_ieee_invalid_op 0
		.amdhsa_exception_fp_denorm_src 0
		.amdhsa_exception_fp_ieee_div_zero 0
		.amdhsa_exception_fp_ieee_overflow 0
		.amdhsa_exception_fp_ieee_underflow 0
		.amdhsa_exception_fp_ieee_inexact 0
		.amdhsa_exception_int_div_zero 0
	.end_amdhsa_kernel
	.section	.text._ZN7rocprim17ROCPRIM_400000_NS6detail17trampoline_kernelINS0_14default_configENS1_25partition_config_selectorILNS1_17partition_subalgoE8EjNS0_10empty_typeEbEEZZNS1_14partition_implILS5_8ELb0ES3_jN6thrust23THRUST_200600_302600_NS6detail15normal_iteratorINSA_10device_ptrIjEEEEPS6_PKS6_NS0_5tupleIJSF_S6_EEENSJ_IJSG_SG_EEENS0_18inequality_wrapperINSA_8equal_toIjEEEEPmJS6_EEE10hipError_tPvRmT3_T4_T5_T6_T7_T9_mT8_P12ihipStream_tbDpT10_ENKUlT_T0_E_clISt17integral_constantIbLb1EES1A_EEDaS15_S16_EUlS15_E_NS1_11comp_targetILNS1_3genE4ELNS1_11target_archE910ELNS1_3gpuE8ELNS1_3repE0EEENS1_30default_config_static_selectorELNS0_4arch9wavefront6targetE1EEEvT1_,"axG",@progbits,_ZN7rocprim17ROCPRIM_400000_NS6detail17trampoline_kernelINS0_14default_configENS1_25partition_config_selectorILNS1_17partition_subalgoE8EjNS0_10empty_typeEbEEZZNS1_14partition_implILS5_8ELb0ES3_jN6thrust23THRUST_200600_302600_NS6detail15normal_iteratorINSA_10device_ptrIjEEEEPS6_PKS6_NS0_5tupleIJSF_S6_EEENSJ_IJSG_SG_EEENS0_18inequality_wrapperINSA_8equal_toIjEEEEPmJS6_EEE10hipError_tPvRmT3_T4_T5_T6_T7_T9_mT8_P12ihipStream_tbDpT10_ENKUlT_T0_E_clISt17integral_constantIbLb1EES1A_EEDaS15_S16_EUlS15_E_NS1_11comp_targetILNS1_3genE4ELNS1_11target_archE910ELNS1_3gpuE8ELNS1_3repE0EEENS1_30default_config_static_selectorELNS0_4arch9wavefront6targetE1EEEvT1_,comdat
.Lfunc_end220:
	.size	_ZN7rocprim17ROCPRIM_400000_NS6detail17trampoline_kernelINS0_14default_configENS1_25partition_config_selectorILNS1_17partition_subalgoE8EjNS0_10empty_typeEbEEZZNS1_14partition_implILS5_8ELb0ES3_jN6thrust23THRUST_200600_302600_NS6detail15normal_iteratorINSA_10device_ptrIjEEEEPS6_PKS6_NS0_5tupleIJSF_S6_EEENSJ_IJSG_SG_EEENS0_18inequality_wrapperINSA_8equal_toIjEEEEPmJS6_EEE10hipError_tPvRmT3_T4_T5_T6_T7_T9_mT8_P12ihipStream_tbDpT10_ENKUlT_T0_E_clISt17integral_constantIbLb1EES1A_EEDaS15_S16_EUlS15_E_NS1_11comp_targetILNS1_3genE4ELNS1_11target_archE910ELNS1_3gpuE8ELNS1_3repE0EEENS1_30default_config_static_selectorELNS0_4arch9wavefront6targetE1EEEvT1_, .Lfunc_end220-_ZN7rocprim17ROCPRIM_400000_NS6detail17trampoline_kernelINS0_14default_configENS1_25partition_config_selectorILNS1_17partition_subalgoE8EjNS0_10empty_typeEbEEZZNS1_14partition_implILS5_8ELb0ES3_jN6thrust23THRUST_200600_302600_NS6detail15normal_iteratorINSA_10device_ptrIjEEEEPS6_PKS6_NS0_5tupleIJSF_S6_EEENSJ_IJSG_SG_EEENS0_18inequality_wrapperINSA_8equal_toIjEEEEPmJS6_EEE10hipError_tPvRmT3_T4_T5_T6_T7_T9_mT8_P12ihipStream_tbDpT10_ENKUlT_T0_E_clISt17integral_constantIbLb1EES1A_EEDaS15_S16_EUlS15_E_NS1_11comp_targetILNS1_3genE4ELNS1_11target_archE910ELNS1_3gpuE8ELNS1_3repE0EEENS1_30default_config_static_selectorELNS0_4arch9wavefront6targetE1EEEvT1_
                                        ; -- End function
	.set _ZN7rocprim17ROCPRIM_400000_NS6detail17trampoline_kernelINS0_14default_configENS1_25partition_config_selectorILNS1_17partition_subalgoE8EjNS0_10empty_typeEbEEZZNS1_14partition_implILS5_8ELb0ES3_jN6thrust23THRUST_200600_302600_NS6detail15normal_iteratorINSA_10device_ptrIjEEEEPS6_PKS6_NS0_5tupleIJSF_S6_EEENSJ_IJSG_SG_EEENS0_18inequality_wrapperINSA_8equal_toIjEEEEPmJS6_EEE10hipError_tPvRmT3_T4_T5_T6_T7_T9_mT8_P12ihipStream_tbDpT10_ENKUlT_T0_E_clISt17integral_constantIbLb1EES1A_EEDaS15_S16_EUlS15_E_NS1_11comp_targetILNS1_3genE4ELNS1_11target_archE910ELNS1_3gpuE8ELNS1_3repE0EEENS1_30default_config_static_selectorELNS0_4arch9wavefront6targetE1EEEvT1_.num_vgpr, 0
	.set _ZN7rocprim17ROCPRIM_400000_NS6detail17trampoline_kernelINS0_14default_configENS1_25partition_config_selectorILNS1_17partition_subalgoE8EjNS0_10empty_typeEbEEZZNS1_14partition_implILS5_8ELb0ES3_jN6thrust23THRUST_200600_302600_NS6detail15normal_iteratorINSA_10device_ptrIjEEEEPS6_PKS6_NS0_5tupleIJSF_S6_EEENSJ_IJSG_SG_EEENS0_18inequality_wrapperINSA_8equal_toIjEEEEPmJS6_EEE10hipError_tPvRmT3_T4_T5_T6_T7_T9_mT8_P12ihipStream_tbDpT10_ENKUlT_T0_E_clISt17integral_constantIbLb1EES1A_EEDaS15_S16_EUlS15_E_NS1_11comp_targetILNS1_3genE4ELNS1_11target_archE910ELNS1_3gpuE8ELNS1_3repE0EEENS1_30default_config_static_selectorELNS0_4arch9wavefront6targetE1EEEvT1_.num_agpr, 0
	.set _ZN7rocprim17ROCPRIM_400000_NS6detail17trampoline_kernelINS0_14default_configENS1_25partition_config_selectorILNS1_17partition_subalgoE8EjNS0_10empty_typeEbEEZZNS1_14partition_implILS5_8ELb0ES3_jN6thrust23THRUST_200600_302600_NS6detail15normal_iteratorINSA_10device_ptrIjEEEEPS6_PKS6_NS0_5tupleIJSF_S6_EEENSJ_IJSG_SG_EEENS0_18inequality_wrapperINSA_8equal_toIjEEEEPmJS6_EEE10hipError_tPvRmT3_T4_T5_T6_T7_T9_mT8_P12ihipStream_tbDpT10_ENKUlT_T0_E_clISt17integral_constantIbLb1EES1A_EEDaS15_S16_EUlS15_E_NS1_11comp_targetILNS1_3genE4ELNS1_11target_archE910ELNS1_3gpuE8ELNS1_3repE0EEENS1_30default_config_static_selectorELNS0_4arch9wavefront6targetE1EEEvT1_.numbered_sgpr, 0
	.set _ZN7rocprim17ROCPRIM_400000_NS6detail17trampoline_kernelINS0_14default_configENS1_25partition_config_selectorILNS1_17partition_subalgoE8EjNS0_10empty_typeEbEEZZNS1_14partition_implILS5_8ELb0ES3_jN6thrust23THRUST_200600_302600_NS6detail15normal_iteratorINSA_10device_ptrIjEEEEPS6_PKS6_NS0_5tupleIJSF_S6_EEENSJ_IJSG_SG_EEENS0_18inequality_wrapperINSA_8equal_toIjEEEEPmJS6_EEE10hipError_tPvRmT3_T4_T5_T6_T7_T9_mT8_P12ihipStream_tbDpT10_ENKUlT_T0_E_clISt17integral_constantIbLb1EES1A_EEDaS15_S16_EUlS15_E_NS1_11comp_targetILNS1_3genE4ELNS1_11target_archE910ELNS1_3gpuE8ELNS1_3repE0EEENS1_30default_config_static_selectorELNS0_4arch9wavefront6targetE1EEEvT1_.num_named_barrier, 0
	.set _ZN7rocprim17ROCPRIM_400000_NS6detail17trampoline_kernelINS0_14default_configENS1_25partition_config_selectorILNS1_17partition_subalgoE8EjNS0_10empty_typeEbEEZZNS1_14partition_implILS5_8ELb0ES3_jN6thrust23THRUST_200600_302600_NS6detail15normal_iteratorINSA_10device_ptrIjEEEEPS6_PKS6_NS0_5tupleIJSF_S6_EEENSJ_IJSG_SG_EEENS0_18inequality_wrapperINSA_8equal_toIjEEEEPmJS6_EEE10hipError_tPvRmT3_T4_T5_T6_T7_T9_mT8_P12ihipStream_tbDpT10_ENKUlT_T0_E_clISt17integral_constantIbLb1EES1A_EEDaS15_S16_EUlS15_E_NS1_11comp_targetILNS1_3genE4ELNS1_11target_archE910ELNS1_3gpuE8ELNS1_3repE0EEENS1_30default_config_static_selectorELNS0_4arch9wavefront6targetE1EEEvT1_.private_seg_size, 0
	.set _ZN7rocprim17ROCPRIM_400000_NS6detail17trampoline_kernelINS0_14default_configENS1_25partition_config_selectorILNS1_17partition_subalgoE8EjNS0_10empty_typeEbEEZZNS1_14partition_implILS5_8ELb0ES3_jN6thrust23THRUST_200600_302600_NS6detail15normal_iteratorINSA_10device_ptrIjEEEEPS6_PKS6_NS0_5tupleIJSF_S6_EEENSJ_IJSG_SG_EEENS0_18inequality_wrapperINSA_8equal_toIjEEEEPmJS6_EEE10hipError_tPvRmT3_T4_T5_T6_T7_T9_mT8_P12ihipStream_tbDpT10_ENKUlT_T0_E_clISt17integral_constantIbLb1EES1A_EEDaS15_S16_EUlS15_E_NS1_11comp_targetILNS1_3genE4ELNS1_11target_archE910ELNS1_3gpuE8ELNS1_3repE0EEENS1_30default_config_static_selectorELNS0_4arch9wavefront6targetE1EEEvT1_.uses_vcc, 0
	.set _ZN7rocprim17ROCPRIM_400000_NS6detail17trampoline_kernelINS0_14default_configENS1_25partition_config_selectorILNS1_17partition_subalgoE8EjNS0_10empty_typeEbEEZZNS1_14partition_implILS5_8ELb0ES3_jN6thrust23THRUST_200600_302600_NS6detail15normal_iteratorINSA_10device_ptrIjEEEEPS6_PKS6_NS0_5tupleIJSF_S6_EEENSJ_IJSG_SG_EEENS0_18inequality_wrapperINSA_8equal_toIjEEEEPmJS6_EEE10hipError_tPvRmT3_T4_T5_T6_T7_T9_mT8_P12ihipStream_tbDpT10_ENKUlT_T0_E_clISt17integral_constantIbLb1EES1A_EEDaS15_S16_EUlS15_E_NS1_11comp_targetILNS1_3genE4ELNS1_11target_archE910ELNS1_3gpuE8ELNS1_3repE0EEENS1_30default_config_static_selectorELNS0_4arch9wavefront6targetE1EEEvT1_.uses_flat_scratch, 0
	.set _ZN7rocprim17ROCPRIM_400000_NS6detail17trampoline_kernelINS0_14default_configENS1_25partition_config_selectorILNS1_17partition_subalgoE8EjNS0_10empty_typeEbEEZZNS1_14partition_implILS5_8ELb0ES3_jN6thrust23THRUST_200600_302600_NS6detail15normal_iteratorINSA_10device_ptrIjEEEEPS6_PKS6_NS0_5tupleIJSF_S6_EEENSJ_IJSG_SG_EEENS0_18inequality_wrapperINSA_8equal_toIjEEEEPmJS6_EEE10hipError_tPvRmT3_T4_T5_T6_T7_T9_mT8_P12ihipStream_tbDpT10_ENKUlT_T0_E_clISt17integral_constantIbLb1EES1A_EEDaS15_S16_EUlS15_E_NS1_11comp_targetILNS1_3genE4ELNS1_11target_archE910ELNS1_3gpuE8ELNS1_3repE0EEENS1_30default_config_static_selectorELNS0_4arch9wavefront6targetE1EEEvT1_.has_dyn_sized_stack, 0
	.set _ZN7rocprim17ROCPRIM_400000_NS6detail17trampoline_kernelINS0_14default_configENS1_25partition_config_selectorILNS1_17partition_subalgoE8EjNS0_10empty_typeEbEEZZNS1_14partition_implILS5_8ELb0ES3_jN6thrust23THRUST_200600_302600_NS6detail15normal_iteratorINSA_10device_ptrIjEEEEPS6_PKS6_NS0_5tupleIJSF_S6_EEENSJ_IJSG_SG_EEENS0_18inequality_wrapperINSA_8equal_toIjEEEEPmJS6_EEE10hipError_tPvRmT3_T4_T5_T6_T7_T9_mT8_P12ihipStream_tbDpT10_ENKUlT_T0_E_clISt17integral_constantIbLb1EES1A_EEDaS15_S16_EUlS15_E_NS1_11comp_targetILNS1_3genE4ELNS1_11target_archE910ELNS1_3gpuE8ELNS1_3repE0EEENS1_30default_config_static_selectorELNS0_4arch9wavefront6targetE1EEEvT1_.has_recursion, 0
	.set _ZN7rocprim17ROCPRIM_400000_NS6detail17trampoline_kernelINS0_14default_configENS1_25partition_config_selectorILNS1_17partition_subalgoE8EjNS0_10empty_typeEbEEZZNS1_14partition_implILS5_8ELb0ES3_jN6thrust23THRUST_200600_302600_NS6detail15normal_iteratorINSA_10device_ptrIjEEEEPS6_PKS6_NS0_5tupleIJSF_S6_EEENSJ_IJSG_SG_EEENS0_18inequality_wrapperINSA_8equal_toIjEEEEPmJS6_EEE10hipError_tPvRmT3_T4_T5_T6_T7_T9_mT8_P12ihipStream_tbDpT10_ENKUlT_T0_E_clISt17integral_constantIbLb1EES1A_EEDaS15_S16_EUlS15_E_NS1_11comp_targetILNS1_3genE4ELNS1_11target_archE910ELNS1_3gpuE8ELNS1_3repE0EEENS1_30default_config_static_selectorELNS0_4arch9wavefront6targetE1EEEvT1_.has_indirect_call, 0
	.section	.AMDGPU.csdata,"",@progbits
; Kernel info:
; codeLenInByte = 0
; TotalNumSgprs: 4
; NumVgprs: 0
; ScratchSize: 0
; MemoryBound: 0
; FloatMode: 240
; IeeeMode: 1
; LDSByteSize: 0 bytes/workgroup (compile time only)
; SGPRBlocks: 0
; VGPRBlocks: 0
; NumSGPRsForWavesPerEU: 4
; NumVGPRsForWavesPerEU: 1
; Occupancy: 10
; WaveLimiterHint : 0
; COMPUTE_PGM_RSRC2:SCRATCH_EN: 0
; COMPUTE_PGM_RSRC2:USER_SGPR: 6
; COMPUTE_PGM_RSRC2:TRAP_HANDLER: 0
; COMPUTE_PGM_RSRC2:TGID_X_EN: 1
; COMPUTE_PGM_RSRC2:TGID_Y_EN: 0
; COMPUTE_PGM_RSRC2:TGID_Z_EN: 0
; COMPUTE_PGM_RSRC2:TIDIG_COMP_CNT: 0
	.section	.text._ZN7rocprim17ROCPRIM_400000_NS6detail17trampoline_kernelINS0_14default_configENS1_25partition_config_selectorILNS1_17partition_subalgoE8EjNS0_10empty_typeEbEEZZNS1_14partition_implILS5_8ELb0ES3_jN6thrust23THRUST_200600_302600_NS6detail15normal_iteratorINSA_10device_ptrIjEEEEPS6_PKS6_NS0_5tupleIJSF_S6_EEENSJ_IJSG_SG_EEENS0_18inequality_wrapperINSA_8equal_toIjEEEEPmJS6_EEE10hipError_tPvRmT3_T4_T5_T6_T7_T9_mT8_P12ihipStream_tbDpT10_ENKUlT_T0_E_clISt17integral_constantIbLb1EES1A_EEDaS15_S16_EUlS15_E_NS1_11comp_targetILNS1_3genE3ELNS1_11target_archE908ELNS1_3gpuE7ELNS1_3repE0EEENS1_30default_config_static_selectorELNS0_4arch9wavefront6targetE1EEEvT1_,"axG",@progbits,_ZN7rocprim17ROCPRIM_400000_NS6detail17trampoline_kernelINS0_14default_configENS1_25partition_config_selectorILNS1_17partition_subalgoE8EjNS0_10empty_typeEbEEZZNS1_14partition_implILS5_8ELb0ES3_jN6thrust23THRUST_200600_302600_NS6detail15normal_iteratorINSA_10device_ptrIjEEEEPS6_PKS6_NS0_5tupleIJSF_S6_EEENSJ_IJSG_SG_EEENS0_18inequality_wrapperINSA_8equal_toIjEEEEPmJS6_EEE10hipError_tPvRmT3_T4_T5_T6_T7_T9_mT8_P12ihipStream_tbDpT10_ENKUlT_T0_E_clISt17integral_constantIbLb1EES1A_EEDaS15_S16_EUlS15_E_NS1_11comp_targetILNS1_3genE3ELNS1_11target_archE908ELNS1_3gpuE7ELNS1_3repE0EEENS1_30default_config_static_selectorELNS0_4arch9wavefront6targetE1EEEvT1_,comdat
	.protected	_ZN7rocprim17ROCPRIM_400000_NS6detail17trampoline_kernelINS0_14default_configENS1_25partition_config_selectorILNS1_17partition_subalgoE8EjNS0_10empty_typeEbEEZZNS1_14partition_implILS5_8ELb0ES3_jN6thrust23THRUST_200600_302600_NS6detail15normal_iteratorINSA_10device_ptrIjEEEEPS6_PKS6_NS0_5tupleIJSF_S6_EEENSJ_IJSG_SG_EEENS0_18inequality_wrapperINSA_8equal_toIjEEEEPmJS6_EEE10hipError_tPvRmT3_T4_T5_T6_T7_T9_mT8_P12ihipStream_tbDpT10_ENKUlT_T0_E_clISt17integral_constantIbLb1EES1A_EEDaS15_S16_EUlS15_E_NS1_11comp_targetILNS1_3genE3ELNS1_11target_archE908ELNS1_3gpuE7ELNS1_3repE0EEENS1_30default_config_static_selectorELNS0_4arch9wavefront6targetE1EEEvT1_ ; -- Begin function _ZN7rocprim17ROCPRIM_400000_NS6detail17trampoline_kernelINS0_14default_configENS1_25partition_config_selectorILNS1_17partition_subalgoE8EjNS0_10empty_typeEbEEZZNS1_14partition_implILS5_8ELb0ES3_jN6thrust23THRUST_200600_302600_NS6detail15normal_iteratorINSA_10device_ptrIjEEEEPS6_PKS6_NS0_5tupleIJSF_S6_EEENSJ_IJSG_SG_EEENS0_18inequality_wrapperINSA_8equal_toIjEEEEPmJS6_EEE10hipError_tPvRmT3_T4_T5_T6_T7_T9_mT8_P12ihipStream_tbDpT10_ENKUlT_T0_E_clISt17integral_constantIbLb1EES1A_EEDaS15_S16_EUlS15_E_NS1_11comp_targetILNS1_3genE3ELNS1_11target_archE908ELNS1_3gpuE7ELNS1_3repE0EEENS1_30default_config_static_selectorELNS0_4arch9wavefront6targetE1EEEvT1_
	.globl	_ZN7rocprim17ROCPRIM_400000_NS6detail17trampoline_kernelINS0_14default_configENS1_25partition_config_selectorILNS1_17partition_subalgoE8EjNS0_10empty_typeEbEEZZNS1_14partition_implILS5_8ELb0ES3_jN6thrust23THRUST_200600_302600_NS6detail15normal_iteratorINSA_10device_ptrIjEEEEPS6_PKS6_NS0_5tupleIJSF_S6_EEENSJ_IJSG_SG_EEENS0_18inequality_wrapperINSA_8equal_toIjEEEEPmJS6_EEE10hipError_tPvRmT3_T4_T5_T6_T7_T9_mT8_P12ihipStream_tbDpT10_ENKUlT_T0_E_clISt17integral_constantIbLb1EES1A_EEDaS15_S16_EUlS15_E_NS1_11comp_targetILNS1_3genE3ELNS1_11target_archE908ELNS1_3gpuE7ELNS1_3repE0EEENS1_30default_config_static_selectorELNS0_4arch9wavefront6targetE1EEEvT1_
	.p2align	8
	.type	_ZN7rocprim17ROCPRIM_400000_NS6detail17trampoline_kernelINS0_14default_configENS1_25partition_config_selectorILNS1_17partition_subalgoE8EjNS0_10empty_typeEbEEZZNS1_14partition_implILS5_8ELb0ES3_jN6thrust23THRUST_200600_302600_NS6detail15normal_iteratorINSA_10device_ptrIjEEEEPS6_PKS6_NS0_5tupleIJSF_S6_EEENSJ_IJSG_SG_EEENS0_18inequality_wrapperINSA_8equal_toIjEEEEPmJS6_EEE10hipError_tPvRmT3_T4_T5_T6_T7_T9_mT8_P12ihipStream_tbDpT10_ENKUlT_T0_E_clISt17integral_constantIbLb1EES1A_EEDaS15_S16_EUlS15_E_NS1_11comp_targetILNS1_3genE3ELNS1_11target_archE908ELNS1_3gpuE7ELNS1_3repE0EEENS1_30default_config_static_selectorELNS0_4arch9wavefront6targetE1EEEvT1_,@function
_ZN7rocprim17ROCPRIM_400000_NS6detail17trampoline_kernelINS0_14default_configENS1_25partition_config_selectorILNS1_17partition_subalgoE8EjNS0_10empty_typeEbEEZZNS1_14partition_implILS5_8ELb0ES3_jN6thrust23THRUST_200600_302600_NS6detail15normal_iteratorINSA_10device_ptrIjEEEEPS6_PKS6_NS0_5tupleIJSF_S6_EEENSJ_IJSG_SG_EEENS0_18inequality_wrapperINSA_8equal_toIjEEEEPmJS6_EEE10hipError_tPvRmT3_T4_T5_T6_T7_T9_mT8_P12ihipStream_tbDpT10_ENKUlT_T0_E_clISt17integral_constantIbLb1EES1A_EEDaS15_S16_EUlS15_E_NS1_11comp_targetILNS1_3genE3ELNS1_11target_archE908ELNS1_3gpuE7ELNS1_3repE0EEENS1_30default_config_static_selectorELNS0_4arch9wavefront6targetE1EEEvT1_: ; @_ZN7rocprim17ROCPRIM_400000_NS6detail17trampoline_kernelINS0_14default_configENS1_25partition_config_selectorILNS1_17partition_subalgoE8EjNS0_10empty_typeEbEEZZNS1_14partition_implILS5_8ELb0ES3_jN6thrust23THRUST_200600_302600_NS6detail15normal_iteratorINSA_10device_ptrIjEEEEPS6_PKS6_NS0_5tupleIJSF_S6_EEENSJ_IJSG_SG_EEENS0_18inequality_wrapperINSA_8equal_toIjEEEEPmJS6_EEE10hipError_tPvRmT3_T4_T5_T6_T7_T9_mT8_P12ihipStream_tbDpT10_ENKUlT_T0_E_clISt17integral_constantIbLb1EES1A_EEDaS15_S16_EUlS15_E_NS1_11comp_targetILNS1_3genE3ELNS1_11target_archE908ELNS1_3gpuE7ELNS1_3repE0EEENS1_30default_config_static_selectorELNS0_4arch9wavefront6targetE1EEEvT1_
; %bb.0:
	.section	.rodata,"a",@progbits
	.p2align	6, 0x0
	.amdhsa_kernel _ZN7rocprim17ROCPRIM_400000_NS6detail17trampoline_kernelINS0_14default_configENS1_25partition_config_selectorILNS1_17partition_subalgoE8EjNS0_10empty_typeEbEEZZNS1_14partition_implILS5_8ELb0ES3_jN6thrust23THRUST_200600_302600_NS6detail15normal_iteratorINSA_10device_ptrIjEEEEPS6_PKS6_NS0_5tupleIJSF_S6_EEENSJ_IJSG_SG_EEENS0_18inequality_wrapperINSA_8equal_toIjEEEEPmJS6_EEE10hipError_tPvRmT3_T4_T5_T6_T7_T9_mT8_P12ihipStream_tbDpT10_ENKUlT_T0_E_clISt17integral_constantIbLb1EES1A_EEDaS15_S16_EUlS15_E_NS1_11comp_targetILNS1_3genE3ELNS1_11target_archE908ELNS1_3gpuE7ELNS1_3repE0EEENS1_30default_config_static_selectorELNS0_4arch9wavefront6targetE1EEEvT1_
		.amdhsa_group_segment_fixed_size 0
		.amdhsa_private_segment_fixed_size 0
		.amdhsa_kernarg_size 128
		.amdhsa_user_sgpr_count 6
		.amdhsa_user_sgpr_private_segment_buffer 1
		.amdhsa_user_sgpr_dispatch_ptr 0
		.amdhsa_user_sgpr_queue_ptr 0
		.amdhsa_user_sgpr_kernarg_segment_ptr 1
		.amdhsa_user_sgpr_dispatch_id 0
		.amdhsa_user_sgpr_flat_scratch_init 0
		.amdhsa_user_sgpr_private_segment_size 0
		.amdhsa_uses_dynamic_stack 0
		.amdhsa_system_sgpr_private_segment_wavefront_offset 0
		.amdhsa_system_sgpr_workgroup_id_x 1
		.amdhsa_system_sgpr_workgroup_id_y 0
		.amdhsa_system_sgpr_workgroup_id_z 0
		.amdhsa_system_sgpr_workgroup_info 0
		.amdhsa_system_vgpr_workitem_id 0
		.amdhsa_next_free_vgpr 1
		.amdhsa_next_free_sgpr 0
		.amdhsa_reserve_vcc 0
		.amdhsa_reserve_flat_scratch 0
		.amdhsa_float_round_mode_32 0
		.amdhsa_float_round_mode_16_64 0
		.amdhsa_float_denorm_mode_32 3
		.amdhsa_float_denorm_mode_16_64 3
		.amdhsa_dx10_clamp 1
		.amdhsa_ieee_mode 1
		.amdhsa_fp16_overflow 0
		.amdhsa_exception_fp_ieee_invalid_op 0
		.amdhsa_exception_fp_denorm_src 0
		.amdhsa_exception_fp_ieee_div_zero 0
		.amdhsa_exception_fp_ieee_overflow 0
		.amdhsa_exception_fp_ieee_underflow 0
		.amdhsa_exception_fp_ieee_inexact 0
		.amdhsa_exception_int_div_zero 0
	.end_amdhsa_kernel
	.section	.text._ZN7rocprim17ROCPRIM_400000_NS6detail17trampoline_kernelINS0_14default_configENS1_25partition_config_selectorILNS1_17partition_subalgoE8EjNS0_10empty_typeEbEEZZNS1_14partition_implILS5_8ELb0ES3_jN6thrust23THRUST_200600_302600_NS6detail15normal_iteratorINSA_10device_ptrIjEEEEPS6_PKS6_NS0_5tupleIJSF_S6_EEENSJ_IJSG_SG_EEENS0_18inequality_wrapperINSA_8equal_toIjEEEEPmJS6_EEE10hipError_tPvRmT3_T4_T5_T6_T7_T9_mT8_P12ihipStream_tbDpT10_ENKUlT_T0_E_clISt17integral_constantIbLb1EES1A_EEDaS15_S16_EUlS15_E_NS1_11comp_targetILNS1_3genE3ELNS1_11target_archE908ELNS1_3gpuE7ELNS1_3repE0EEENS1_30default_config_static_selectorELNS0_4arch9wavefront6targetE1EEEvT1_,"axG",@progbits,_ZN7rocprim17ROCPRIM_400000_NS6detail17trampoline_kernelINS0_14default_configENS1_25partition_config_selectorILNS1_17partition_subalgoE8EjNS0_10empty_typeEbEEZZNS1_14partition_implILS5_8ELb0ES3_jN6thrust23THRUST_200600_302600_NS6detail15normal_iteratorINSA_10device_ptrIjEEEEPS6_PKS6_NS0_5tupleIJSF_S6_EEENSJ_IJSG_SG_EEENS0_18inequality_wrapperINSA_8equal_toIjEEEEPmJS6_EEE10hipError_tPvRmT3_T4_T5_T6_T7_T9_mT8_P12ihipStream_tbDpT10_ENKUlT_T0_E_clISt17integral_constantIbLb1EES1A_EEDaS15_S16_EUlS15_E_NS1_11comp_targetILNS1_3genE3ELNS1_11target_archE908ELNS1_3gpuE7ELNS1_3repE0EEENS1_30default_config_static_selectorELNS0_4arch9wavefront6targetE1EEEvT1_,comdat
.Lfunc_end221:
	.size	_ZN7rocprim17ROCPRIM_400000_NS6detail17trampoline_kernelINS0_14default_configENS1_25partition_config_selectorILNS1_17partition_subalgoE8EjNS0_10empty_typeEbEEZZNS1_14partition_implILS5_8ELb0ES3_jN6thrust23THRUST_200600_302600_NS6detail15normal_iteratorINSA_10device_ptrIjEEEEPS6_PKS6_NS0_5tupleIJSF_S6_EEENSJ_IJSG_SG_EEENS0_18inequality_wrapperINSA_8equal_toIjEEEEPmJS6_EEE10hipError_tPvRmT3_T4_T5_T6_T7_T9_mT8_P12ihipStream_tbDpT10_ENKUlT_T0_E_clISt17integral_constantIbLb1EES1A_EEDaS15_S16_EUlS15_E_NS1_11comp_targetILNS1_3genE3ELNS1_11target_archE908ELNS1_3gpuE7ELNS1_3repE0EEENS1_30default_config_static_selectorELNS0_4arch9wavefront6targetE1EEEvT1_, .Lfunc_end221-_ZN7rocprim17ROCPRIM_400000_NS6detail17trampoline_kernelINS0_14default_configENS1_25partition_config_selectorILNS1_17partition_subalgoE8EjNS0_10empty_typeEbEEZZNS1_14partition_implILS5_8ELb0ES3_jN6thrust23THRUST_200600_302600_NS6detail15normal_iteratorINSA_10device_ptrIjEEEEPS6_PKS6_NS0_5tupleIJSF_S6_EEENSJ_IJSG_SG_EEENS0_18inequality_wrapperINSA_8equal_toIjEEEEPmJS6_EEE10hipError_tPvRmT3_T4_T5_T6_T7_T9_mT8_P12ihipStream_tbDpT10_ENKUlT_T0_E_clISt17integral_constantIbLb1EES1A_EEDaS15_S16_EUlS15_E_NS1_11comp_targetILNS1_3genE3ELNS1_11target_archE908ELNS1_3gpuE7ELNS1_3repE0EEENS1_30default_config_static_selectorELNS0_4arch9wavefront6targetE1EEEvT1_
                                        ; -- End function
	.set _ZN7rocprim17ROCPRIM_400000_NS6detail17trampoline_kernelINS0_14default_configENS1_25partition_config_selectorILNS1_17partition_subalgoE8EjNS0_10empty_typeEbEEZZNS1_14partition_implILS5_8ELb0ES3_jN6thrust23THRUST_200600_302600_NS6detail15normal_iteratorINSA_10device_ptrIjEEEEPS6_PKS6_NS0_5tupleIJSF_S6_EEENSJ_IJSG_SG_EEENS0_18inequality_wrapperINSA_8equal_toIjEEEEPmJS6_EEE10hipError_tPvRmT3_T4_T5_T6_T7_T9_mT8_P12ihipStream_tbDpT10_ENKUlT_T0_E_clISt17integral_constantIbLb1EES1A_EEDaS15_S16_EUlS15_E_NS1_11comp_targetILNS1_3genE3ELNS1_11target_archE908ELNS1_3gpuE7ELNS1_3repE0EEENS1_30default_config_static_selectorELNS0_4arch9wavefront6targetE1EEEvT1_.num_vgpr, 0
	.set _ZN7rocprim17ROCPRIM_400000_NS6detail17trampoline_kernelINS0_14default_configENS1_25partition_config_selectorILNS1_17partition_subalgoE8EjNS0_10empty_typeEbEEZZNS1_14partition_implILS5_8ELb0ES3_jN6thrust23THRUST_200600_302600_NS6detail15normal_iteratorINSA_10device_ptrIjEEEEPS6_PKS6_NS0_5tupleIJSF_S6_EEENSJ_IJSG_SG_EEENS0_18inequality_wrapperINSA_8equal_toIjEEEEPmJS6_EEE10hipError_tPvRmT3_T4_T5_T6_T7_T9_mT8_P12ihipStream_tbDpT10_ENKUlT_T0_E_clISt17integral_constantIbLb1EES1A_EEDaS15_S16_EUlS15_E_NS1_11comp_targetILNS1_3genE3ELNS1_11target_archE908ELNS1_3gpuE7ELNS1_3repE0EEENS1_30default_config_static_selectorELNS0_4arch9wavefront6targetE1EEEvT1_.num_agpr, 0
	.set _ZN7rocprim17ROCPRIM_400000_NS6detail17trampoline_kernelINS0_14default_configENS1_25partition_config_selectorILNS1_17partition_subalgoE8EjNS0_10empty_typeEbEEZZNS1_14partition_implILS5_8ELb0ES3_jN6thrust23THRUST_200600_302600_NS6detail15normal_iteratorINSA_10device_ptrIjEEEEPS6_PKS6_NS0_5tupleIJSF_S6_EEENSJ_IJSG_SG_EEENS0_18inequality_wrapperINSA_8equal_toIjEEEEPmJS6_EEE10hipError_tPvRmT3_T4_T5_T6_T7_T9_mT8_P12ihipStream_tbDpT10_ENKUlT_T0_E_clISt17integral_constantIbLb1EES1A_EEDaS15_S16_EUlS15_E_NS1_11comp_targetILNS1_3genE3ELNS1_11target_archE908ELNS1_3gpuE7ELNS1_3repE0EEENS1_30default_config_static_selectorELNS0_4arch9wavefront6targetE1EEEvT1_.numbered_sgpr, 0
	.set _ZN7rocprim17ROCPRIM_400000_NS6detail17trampoline_kernelINS0_14default_configENS1_25partition_config_selectorILNS1_17partition_subalgoE8EjNS0_10empty_typeEbEEZZNS1_14partition_implILS5_8ELb0ES3_jN6thrust23THRUST_200600_302600_NS6detail15normal_iteratorINSA_10device_ptrIjEEEEPS6_PKS6_NS0_5tupleIJSF_S6_EEENSJ_IJSG_SG_EEENS0_18inequality_wrapperINSA_8equal_toIjEEEEPmJS6_EEE10hipError_tPvRmT3_T4_T5_T6_T7_T9_mT8_P12ihipStream_tbDpT10_ENKUlT_T0_E_clISt17integral_constantIbLb1EES1A_EEDaS15_S16_EUlS15_E_NS1_11comp_targetILNS1_3genE3ELNS1_11target_archE908ELNS1_3gpuE7ELNS1_3repE0EEENS1_30default_config_static_selectorELNS0_4arch9wavefront6targetE1EEEvT1_.num_named_barrier, 0
	.set _ZN7rocprim17ROCPRIM_400000_NS6detail17trampoline_kernelINS0_14default_configENS1_25partition_config_selectorILNS1_17partition_subalgoE8EjNS0_10empty_typeEbEEZZNS1_14partition_implILS5_8ELb0ES3_jN6thrust23THRUST_200600_302600_NS6detail15normal_iteratorINSA_10device_ptrIjEEEEPS6_PKS6_NS0_5tupleIJSF_S6_EEENSJ_IJSG_SG_EEENS0_18inequality_wrapperINSA_8equal_toIjEEEEPmJS6_EEE10hipError_tPvRmT3_T4_T5_T6_T7_T9_mT8_P12ihipStream_tbDpT10_ENKUlT_T0_E_clISt17integral_constantIbLb1EES1A_EEDaS15_S16_EUlS15_E_NS1_11comp_targetILNS1_3genE3ELNS1_11target_archE908ELNS1_3gpuE7ELNS1_3repE0EEENS1_30default_config_static_selectorELNS0_4arch9wavefront6targetE1EEEvT1_.private_seg_size, 0
	.set _ZN7rocprim17ROCPRIM_400000_NS6detail17trampoline_kernelINS0_14default_configENS1_25partition_config_selectorILNS1_17partition_subalgoE8EjNS0_10empty_typeEbEEZZNS1_14partition_implILS5_8ELb0ES3_jN6thrust23THRUST_200600_302600_NS6detail15normal_iteratorINSA_10device_ptrIjEEEEPS6_PKS6_NS0_5tupleIJSF_S6_EEENSJ_IJSG_SG_EEENS0_18inequality_wrapperINSA_8equal_toIjEEEEPmJS6_EEE10hipError_tPvRmT3_T4_T5_T6_T7_T9_mT8_P12ihipStream_tbDpT10_ENKUlT_T0_E_clISt17integral_constantIbLb1EES1A_EEDaS15_S16_EUlS15_E_NS1_11comp_targetILNS1_3genE3ELNS1_11target_archE908ELNS1_3gpuE7ELNS1_3repE0EEENS1_30default_config_static_selectorELNS0_4arch9wavefront6targetE1EEEvT1_.uses_vcc, 0
	.set _ZN7rocprim17ROCPRIM_400000_NS6detail17trampoline_kernelINS0_14default_configENS1_25partition_config_selectorILNS1_17partition_subalgoE8EjNS0_10empty_typeEbEEZZNS1_14partition_implILS5_8ELb0ES3_jN6thrust23THRUST_200600_302600_NS6detail15normal_iteratorINSA_10device_ptrIjEEEEPS6_PKS6_NS0_5tupleIJSF_S6_EEENSJ_IJSG_SG_EEENS0_18inequality_wrapperINSA_8equal_toIjEEEEPmJS6_EEE10hipError_tPvRmT3_T4_T5_T6_T7_T9_mT8_P12ihipStream_tbDpT10_ENKUlT_T0_E_clISt17integral_constantIbLb1EES1A_EEDaS15_S16_EUlS15_E_NS1_11comp_targetILNS1_3genE3ELNS1_11target_archE908ELNS1_3gpuE7ELNS1_3repE0EEENS1_30default_config_static_selectorELNS0_4arch9wavefront6targetE1EEEvT1_.uses_flat_scratch, 0
	.set _ZN7rocprim17ROCPRIM_400000_NS6detail17trampoline_kernelINS0_14default_configENS1_25partition_config_selectorILNS1_17partition_subalgoE8EjNS0_10empty_typeEbEEZZNS1_14partition_implILS5_8ELb0ES3_jN6thrust23THRUST_200600_302600_NS6detail15normal_iteratorINSA_10device_ptrIjEEEEPS6_PKS6_NS0_5tupleIJSF_S6_EEENSJ_IJSG_SG_EEENS0_18inequality_wrapperINSA_8equal_toIjEEEEPmJS6_EEE10hipError_tPvRmT3_T4_T5_T6_T7_T9_mT8_P12ihipStream_tbDpT10_ENKUlT_T0_E_clISt17integral_constantIbLb1EES1A_EEDaS15_S16_EUlS15_E_NS1_11comp_targetILNS1_3genE3ELNS1_11target_archE908ELNS1_3gpuE7ELNS1_3repE0EEENS1_30default_config_static_selectorELNS0_4arch9wavefront6targetE1EEEvT1_.has_dyn_sized_stack, 0
	.set _ZN7rocprim17ROCPRIM_400000_NS6detail17trampoline_kernelINS0_14default_configENS1_25partition_config_selectorILNS1_17partition_subalgoE8EjNS0_10empty_typeEbEEZZNS1_14partition_implILS5_8ELb0ES3_jN6thrust23THRUST_200600_302600_NS6detail15normal_iteratorINSA_10device_ptrIjEEEEPS6_PKS6_NS0_5tupleIJSF_S6_EEENSJ_IJSG_SG_EEENS0_18inequality_wrapperINSA_8equal_toIjEEEEPmJS6_EEE10hipError_tPvRmT3_T4_T5_T6_T7_T9_mT8_P12ihipStream_tbDpT10_ENKUlT_T0_E_clISt17integral_constantIbLb1EES1A_EEDaS15_S16_EUlS15_E_NS1_11comp_targetILNS1_3genE3ELNS1_11target_archE908ELNS1_3gpuE7ELNS1_3repE0EEENS1_30default_config_static_selectorELNS0_4arch9wavefront6targetE1EEEvT1_.has_recursion, 0
	.set _ZN7rocprim17ROCPRIM_400000_NS6detail17trampoline_kernelINS0_14default_configENS1_25partition_config_selectorILNS1_17partition_subalgoE8EjNS0_10empty_typeEbEEZZNS1_14partition_implILS5_8ELb0ES3_jN6thrust23THRUST_200600_302600_NS6detail15normal_iteratorINSA_10device_ptrIjEEEEPS6_PKS6_NS0_5tupleIJSF_S6_EEENSJ_IJSG_SG_EEENS0_18inequality_wrapperINSA_8equal_toIjEEEEPmJS6_EEE10hipError_tPvRmT3_T4_T5_T6_T7_T9_mT8_P12ihipStream_tbDpT10_ENKUlT_T0_E_clISt17integral_constantIbLb1EES1A_EEDaS15_S16_EUlS15_E_NS1_11comp_targetILNS1_3genE3ELNS1_11target_archE908ELNS1_3gpuE7ELNS1_3repE0EEENS1_30default_config_static_selectorELNS0_4arch9wavefront6targetE1EEEvT1_.has_indirect_call, 0
	.section	.AMDGPU.csdata,"",@progbits
; Kernel info:
; codeLenInByte = 0
; TotalNumSgprs: 4
; NumVgprs: 0
; ScratchSize: 0
; MemoryBound: 0
; FloatMode: 240
; IeeeMode: 1
; LDSByteSize: 0 bytes/workgroup (compile time only)
; SGPRBlocks: 0
; VGPRBlocks: 0
; NumSGPRsForWavesPerEU: 4
; NumVGPRsForWavesPerEU: 1
; Occupancy: 10
; WaveLimiterHint : 0
; COMPUTE_PGM_RSRC2:SCRATCH_EN: 0
; COMPUTE_PGM_RSRC2:USER_SGPR: 6
; COMPUTE_PGM_RSRC2:TRAP_HANDLER: 0
; COMPUTE_PGM_RSRC2:TGID_X_EN: 1
; COMPUTE_PGM_RSRC2:TGID_Y_EN: 0
; COMPUTE_PGM_RSRC2:TGID_Z_EN: 0
; COMPUTE_PGM_RSRC2:TIDIG_COMP_CNT: 0
	.section	.text._ZN7rocprim17ROCPRIM_400000_NS6detail17trampoline_kernelINS0_14default_configENS1_25partition_config_selectorILNS1_17partition_subalgoE8EjNS0_10empty_typeEbEEZZNS1_14partition_implILS5_8ELb0ES3_jN6thrust23THRUST_200600_302600_NS6detail15normal_iteratorINSA_10device_ptrIjEEEEPS6_PKS6_NS0_5tupleIJSF_S6_EEENSJ_IJSG_SG_EEENS0_18inequality_wrapperINSA_8equal_toIjEEEEPmJS6_EEE10hipError_tPvRmT3_T4_T5_T6_T7_T9_mT8_P12ihipStream_tbDpT10_ENKUlT_T0_E_clISt17integral_constantIbLb1EES1A_EEDaS15_S16_EUlS15_E_NS1_11comp_targetILNS1_3genE2ELNS1_11target_archE906ELNS1_3gpuE6ELNS1_3repE0EEENS1_30default_config_static_selectorELNS0_4arch9wavefront6targetE1EEEvT1_,"axG",@progbits,_ZN7rocprim17ROCPRIM_400000_NS6detail17trampoline_kernelINS0_14default_configENS1_25partition_config_selectorILNS1_17partition_subalgoE8EjNS0_10empty_typeEbEEZZNS1_14partition_implILS5_8ELb0ES3_jN6thrust23THRUST_200600_302600_NS6detail15normal_iteratorINSA_10device_ptrIjEEEEPS6_PKS6_NS0_5tupleIJSF_S6_EEENSJ_IJSG_SG_EEENS0_18inequality_wrapperINSA_8equal_toIjEEEEPmJS6_EEE10hipError_tPvRmT3_T4_T5_T6_T7_T9_mT8_P12ihipStream_tbDpT10_ENKUlT_T0_E_clISt17integral_constantIbLb1EES1A_EEDaS15_S16_EUlS15_E_NS1_11comp_targetILNS1_3genE2ELNS1_11target_archE906ELNS1_3gpuE6ELNS1_3repE0EEENS1_30default_config_static_selectorELNS0_4arch9wavefront6targetE1EEEvT1_,comdat
	.protected	_ZN7rocprim17ROCPRIM_400000_NS6detail17trampoline_kernelINS0_14default_configENS1_25partition_config_selectorILNS1_17partition_subalgoE8EjNS0_10empty_typeEbEEZZNS1_14partition_implILS5_8ELb0ES3_jN6thrust23THRUST_200600_302600_NS6detail15normal_iteratorINSA_10device_ptrIjEEEEPS6_PKS6_NS0_5tupleIJSF_S6_EEENSJ_IJSG_SG_EEENS0_18inequality_wrapperINSA_8equal_toIjEEEEPmJS6_EEE10hipError_tPvRmT3_T4_T5_T6_T7_T9_mT8_P12ihipStream_tbDpT10_ENKUlT_T0_E_clISt17integral_constantIbLb1EES1A_EEDaS15_S16_EUlS15_E_NS1_11comp_targetILNS1_3genE2ELNS1_11target_archE906ELNS1_3gpuE6ELNS1_3repE0EEENS1_30default_config_static_selectorELNS0_4arch9wavefront6targetE1EEEvT1_ ; -- Begin function _ZN7rocprim17ROCPRIM_400000_NS6detail17trampoline_kernelINS0_14default_configENS1_25partition_config_selectorILNS1_17partition_subalgoE8EjNS0_10empty_typeEbEEZZNS1_14partition_implILS5_8ELb0ES3_jN6thrust23THRUST_200600_302600_NS6detail15normal_iteratorINSA_10device_ptrIjEEEEPS6_PKS6_NS0_5tupleIJSF_S6_EEENSJ_IJSG_SG_EEENS0_18inequality_wrapperINSA_8equal_toIjEEEEPmJS6_EEE10hipError_tPvRmT3_T4_T5_T6_T7_T9_mT8_P12ihipStream_tbDpT10_ENKUlT_T0_E_clISt17integral_constantIbLb1EES1A_EEDaS15_S16_EUlS15_E_NS1_11comp_targetILNS1_3genE2ELNS1_11target_archE906ELNS1_3gpuE6ELNS1_3repE0EEENS1_30default_config_static_selectorELNS0_4arch9wavefront6targetE1EEEvT1_
	.globl	_ZN7rocprim17ROCPRIM_400000_NS6detail17trampoline_kernelINS0_14default_configENS1_25partition_config_selectorILNS1_17partition_subalgoE8EjNS0_10empty_typeEbEEZZNS1_14partition_implILS5_8ELb0ES3_jN6thrust23THRUST_200600_302600_NS6detail15normal_iteratorINSA_10device_ptrIjEEEEPS6_PKS6_NS0_5tupleIJSF_S6_EEENSJ_IJSG_SG_EEENS0_18inequality_wrapperINSA_8equal_toIjEEEEPmJS6_EEE10hipError_tPvRmT3_T4_T5_T6_T7_T9_mT8_P12ihipStream_tbDpT10_ENKUlT_T0_E_clISt17integral_constantIbLb1EES1A_EEDaS15_S16_EUlS15_E_NS1_11comp_targetILNS1_3genE2ELNS1_11target_archE906ELNS1_3gpuE6ELNS1_3repE0EEENS1_30default_config_static_selectorELNS0_4arch9wavefront6targetE1EEEvT1_
	.p2align	8
	.type	_ZN7rocprim17ROCPRIM_400000_NS6detail17trampoline_kernelINS0_14default_configENS1_25partition_config_selectorILNS1_17partition_subalgoE8EjNS0_10empty_typeEbEEZZNS1_14partition_implILS5_8ELb0ES3_jN6thrust23THRUST_200600_302600_NS6detail15normal_iteratorINSA_10device_ptrIjEEEEPS6_PKS6_NS0_5tupleIJSF_S6_EEENSJ_IJSG_SG_EEENS0_18inequality_wrapperINSA_8equal_toIjEEEEPmJS6_EEE10hipError_tPvRmT3_T4_T5_T6_T7_T9_mT8_P12ihipStream_tbDpT10_ENKUlT_T0_E_clISt17integral_constantIbLb1EES1A_EEDaS15_S16_EUlS15_E_NS1_11comp_targetILNS1_3genE2ELNS1_11target_archE906ELNS1_3gpuE6ELNS1_3repE0EEENS1_30default_config_static_selectorELNS0_4arch9wavefront6targetE1EEEvT1_,@function
_ZN7rocprim17ROCPRIM_400000_NS6detail17trampoline_kernelINS0_14default_configENS1_25partition_config_selectorILNS1_17partition_subalgoE8EjNS0_10empty_typeEbEEZZNS1_14partition_implILS5_8ELb0ES3_jN6thrust23THRUST_200600_302600_NS6detail15normal_iteratorINSA_10device_ptrIjEEEEPS6_PKS6_NS0_5tupleIJSF_S6_EEENSJ_IJSG_SG_EEENS0_18inequality_wrapperINSA_8equal_toIjEEEEPmJS6_EEE10hipError_tPvRmT3_T4_T5_T6_T7_T9_mT8_P12ihipStream_tbDpT10_ENKUlT_T0_E_clISt17integral_constantIbLb1EES1A_EEDaS15_S16_EUlS15_E_NS1_11comp_targetILNS1_3genE2ELNS1_11target_archE906ELNS1_3gpuE6ELNS1_3repE0EEENS1_30default_config_static_selectorELNS0_4arch9wavefront6targetE1EEEvT1_: ; @_ZN7rocprim17ROCPRIM_400000_NS6detail17trampoline_kernelINS0_14default_configENS1_25partition_config_selectorILNS1_17partition_subalgoE8EjNS0_10empty_typeEbEEZZNS1_14partition_implILS5_8ELb0ES3_jN6thrust23THRUST_200600_302600_NS6detail15normal_iteratorINSA_10device_ptrIjEEEEPS6_PKS6_NS0_5tupleIJSF_S6_EEENSJ_IJSG_SG_EEENS0_18inequality_wrapperINSA_8equal_toIjEEEEPmJS6_EEE10hipError_tPvRmT3_T4_T5_T6_T7_T9_mT8_P12ihipStream_tbDpT10_ENKUlT_T0_E_clISt17integral_constantIbLb1EES1A_EEDaS15_S16_EUlS15_E_NS1_11comp_targetILNS1_3genE2ELNS1_11target_archE906ELNS1_3gpuE6ELNS1_3repE0EEENS1_30default_config_static_selectorELNS0_4arch9wavefront6targetE1EEEvT1_
; %bb.0:
	s_endpgm
	.section	.rodata,"a",@progbits
	.p2align	6, 0x0
	.amdhsa_kernel _ZN7rocprim17ROCPRIM_400000_NS6detail17trampoline_kernelINS0_14default_configENS1_25partition_config_selectorILNS1_17partition_subalgoE8EjNS0_10empty_typeEbEEZZNS1_14partition_implILS5_8ELb0ES3_jN6thrust23THRUST_200600_302600_NS6detail15normal_iteratorINSA_10device_ptrIjEEEEPS6_PKS6_NS0_5tupleIJSF_S6_EEENSJ_IJSG_SG_EEENS0_18inequality_wrapperINSA_8equal_toIjEEEEPmJS6_EEE10hipError_tPvRmT3_T4_T5_T6_T7_T9_mT8_P12ihipStream_tbDpT10_ENKUlT_T0_E_clISt17integral_constantIbLb1EES1A_EEDaS15_S16_EUlS15_E_NS1_11comp_targetILNS1_3genE2ELNS1_11target_archE906ELNS1_3gpuE6ELNS1_3repE0EEENS1_30default_config_static_selectorELNS0_4arch9wavefront6targetE1EEEvT1_
		.amdhsa_group_segment_fixed_size 0
		.amdhsa_private_segment_fixed_size 0
		.amdhsa_kernarg_size 128
		.amdhsa_user_sgpr_count 6
		.amdhsa_user_sgpr_private_segment_buffer 1
		.amdhsa_user_sgpr_dispatch_ptr 0
		.amdhsa_user_sgpr_queue_ptr 0
		.amdhsa_user_sgpr_kernarg_segment_ptr 1
		.amdhsa_user_sgpr_dispatch_id 0
		.amdhsa_user_sgpr_flat_scratch_init 0
		.amdhsa_user_sgpr_private_segment_size 0
		.amdhsa_uses_dynamic_stack 0
		.amdhsa_system_sgpr_private_segment_wavefront_offset 0
		.amdhsa_system_sgpr_workgroup_id_x 1
		.amdhsa_system_sgpr_workgroup_id_y 0
		.amdhsa_system_sgpr_workgroup_id_z 0
		.amdhsa_system_sgpr_workgroup_info 0
		.amdhsa_system_vgpr_workitem_id 0
		.amdhsa_next_free_vgpr 1
		.amdhsa_next_free_sgpr 0
		.amdhsa_reserve_vcc 0
		.amdhsa_reserve_flat_scratch 0
		.amdhsa_float_round_mode_32 0
		.amdhsa_float_round_mode_16_64 0
		.amdhsa_float_denorm_mode_32 3
		.amdhsa_float_denorm_mode_16_64 3
		.amdhsa_dx10_clamp 1
		.amdhsa_ieee_mode 1
		.amdhsa_fp16_overflow 0
		.amdhsa_exception_fp_ieee_invalid_op 0
		.amdhsa_exception_fp_denorm_src 0
		.amdhsa_exception_fp_ieee_div_zero 0
		.amdhsa_exception_fp_ieee_overflow 0
		.amdhsa_exception_fp_ieee_underflow 0
		.amdhsa_exception_fp_ieee_inexact 0
		.amdhsa_exception_int_div_zero 0
	.end_amdhsa_kernel
	.section	.text._ZN7rocprim17ROCPRIM_400000_NS6detail17trampoline_kernelINS0_14default_configENS1_25partition_config_selectorILNS1_17partition_subalgoE8EjNS0_10empty_typeEbEEZZNS1_14partition_implILS5_8ELb0ES3_jN6thrust23THRUST_200600_302600_NS6detail15normal_iteratorINSA_10device_ptrIjEEEEPS6_PKS6_NS0_5tupleIJSF_S6_EEENSJ_IJSG_SG_EEENS0_18inequality_wrapperINSA_8equal_toIjEEEEPmJS6_EEE10hipError_tPvRmT3_T4_T5_T6_T7_T9_mT8_P12ihipStream_tbDpT10_ENKUlT_T0_E_clISt17integral_constantIbLb1EES1A_EEDaS15_S16_EUlS15_E_NS1_11comp_targetILNS1_3genE2ELNS1_11target_archE906ELNS1_3gpuE6ELNS1_3repE0EEENS1_30default_config_static_selectorELNS0_4arch9wavefront6targetE1EEEvT1_,"axG",@progbits,_ZN7rocprim17ROCPRIM_400000_NS6detail17trampoline_kernelINS0_14default_configENS1_25partition_config_selectorILNS1_17partition_subalgoE8EjNS0_10empty_typeEbEEZZNS1_14partition_implILS5_8ELb0ES3_jN6thrust23THRUST_200600_302600_NS6detail15normal_iteratorINSA_10device_ptrIjEEEEPS6_PKS6_NS0_5tupleIJSF_S6_EEENSJ_IJSG_SG_EEENS0_18inequality_wrapperINSA_8equal_toIjEEEEPmJS6_EEE10hipError_tPvRmT3_T4_T5_T6_T7_T9_mT8_P12ihipStream_tbDpT10_ENKUlT_T0_E_clISt17integral_constantIbLb1EES1A_EEDaS15_S16_EUlS15_E_NS1_11comp_targetILNS1_3genE2ELNS1_11target_archE906ELNS1_3gpuE6ELNS1_3repE0EEENS1_30default_config_static_selectorELNS0_4arch9wavefront6targetE1EEEvT1_,comdat
.Lfunc_end222:
	.size	_ZN7rocprim17ROCPRIM_400000_NS6detail17trampoline_kernelINS0_14default_configENS1_25partition_config_selectorILNS1_17partition_subalgoE8EjNS0_10empty_typeEbEEZZNS1_14partition_implILS5_8ELb0ES3_jN6thrust23THRUST_200600_302600_NS6detail15normal_iteratorINSA_10device_ptrIjEEEEPS6_PKS6_NS0_5tupleIJSF_S6_EEENSJ_IJSG_SG_EEENS0_18inequality_wrapperINSA_8equal_toIjEEEEPmJS6_EEE10hipError_tPvRmT3_T4_T5_T6_T7_T9_mT8_P12ihipStream_tbDpT10_ENKUlT_T0_E_clISt17integral_constantIbLb1EES1A_EEDaS15_S16_EUlS15_E_NS1_11comp_targetILNS1_3genE2ELNS1_11target_archE906ELNS1_3gpuE6ELNS1_3repE0EEENS1_30default_config_static_selectorELNS0_4arch9wavefront6targetE1EEEvT1_, .Lfunc_end222-_ZN7rocprim17ROCPRIM_400000_NS6detail17trampoline_kernelINS0_14default_configENS1_25partition_config_selectorILNS1_17partition_subalgoE8EjNS0_10empty_typeEbEEZZNS1_14partition_implILS5_8ELb0ES3_jN6thrust23THRUST_200600_302600_NS6detail15normal_iteratorINSA_10device_ptrIjEEEEPS6_PKS6_NS0_5tupleIJSF_S6_EEENSJ_IJSG_SG_EEENS0_18inequality_wrapperINSA_8equal_toIjEEEEPmJS6_EEE10hipError_tPvRmT3_T4_T5_T6_T7_T9_mT8_P12ihipStream_tbDpT10_ENKUlT_T0_E_clISt17integral_constantIbLb1EES1A_EEDaS15_S16_EUlS15_E_NS1_11comp_targetILNS1_3genE2ELNS1_11target_archE906ELNS1_3gpuE6ELNS1_3repE0EEENS1_30default_config_static_selectorELNS0_4arch9wavefront6targetE1EEEvT1_
                                        ; -- End function
	.set _ZN7rocprim17ROCPRIM_400000_NS6detail17trampoline_kernelINS0_14default_configENS1_25partition_config_selectorILNS1_17partition_subalgoE8EjNS0_10empty_typeEbEEZZNS1_14partition_implILS5_8ELb0ES3_jN6thrust23THRUST_200600_302600_NS6detail15normal_iteratorINSA_10device_ptrIjEEEEPS6_PKS6_NS0_5tupleIJSF_S6_EEENSJ_IJSG_SG_EEENS0_18inequality_wrapperINSA_8equal_toIjEEEEPmJS6_EEE10hipError_tPvRmT3_T4_T5_T6_T7_T9_mT8_P12ihipStream_tbDpT10_ENKUlT_T0_E_clISt17integral_constantIbLb1EES1A_EEDaS15_S16_EUlS15_E_NS1_11comp_targetILNS1_3genE2ELNS1_11target_archE906ELNS1_3gpuE6ELNS1_3repE0EEENS1_30default_config_static_selectorELNS0_4arch9wavefront6targetE1EEEvT1_.num_vgpr, 0
	.set _ZN7rocprim17ROCPRIM_400000_NS6detail17trampoline_kernelINS0_14default_configENS1_25partition_config_selectorILNS1_17partition_subalgoE8EjNS0_10empty_typeEbEEZZNS1_14partition_implILS5_8ELb0ES3_jN6thrust23THRUST_200600_302600_NS6detail15normal_iteratorINSA_10device_ptrIjEEEEPS6_PKS6_NS0_5tupleIJSF_S6_EEENSJ_IJSG_SG_EEENS0_18inequality_wrapperINSA_8equal_toIjEEEEPmJS6_EEE10hipError_tPvRmT3_T4_T5_T6_T7_T9_mT8_P12ihipStream_tbDpT10_ENKUlT_T0_E_clISt17integral_constantIbLb1EES1A_EEDaS15_S16_EUlS15_E_NS1_11comp_targetILNS1_3genE2ELNS1_11target_archE906ELNS1_3gpuE6ELNS1_3repE0EEENS1_30default_config_static_selectorELNS0_4arch9wavefront6targetE1EEEvT1_.num_agpr, 0
	.set _ZN7rocprim17ROCPRIM_400000_NS6detail17trampoline_kernelINS0_14default_configENS1_25partition_config_selectorILNS1_17partition_subalgoE8EjNS0_10empty_typeEbEEZZNS1_14partition_implILS5_8ELb0ES3_jN6thrust23THRUST_200600_302600_NS6detail15normal_iteratorINSA_10device_ptrIjEEEEPS6_PKS6_NS0_5tupleIJSF_S6_EEENSJ_IJSG_SG_EEENS0_18inequality_wrapperINSA_8equal_toIjEEEEPmJS6_EEE10hipError_tPvRmT3_T4_T5_T6_T7_T9_mT8_P12ihipStream_tbDpT10_ENKUlT_T0_E_clISt17integral_constantIbLb1EES1A_EEDaS15_S16_EUlS15_E_NS1_11comp_targetILNS1_3genE2ELNS1_11target_archE906ELNS1_3gpuE6ELNS1_3repE0EEENS1_30default_config_static_selectorELNS0_4arch9wavefront6targetE1EEEvT1_.numbered_sgpr, 0
	.set _ZN7rocprim17ROCPRIM_400000_NS6detail17trampoline_kernelINS0_14default_configENS1_25partition_config_selectorILNS1_17partition_subalgoE8EjNS0_10empty_typeEbEEZZNS1_14partition_implILS5_8ELb0ES3_jN6thrust23THRUST_200600_302600_NS6detail15normal_iteratorINSA_10device_ptrIjEEEEPS6_PKS6_NS0_5tupleIJSF_S6_EEENSJ_IJSG_SG_EEENS0_18inequality_wrapperINSA_8equal_toIjEEEEPmJS6_EEE10hipError_tPvRmT3_T4_T5_T6_T7_T9_mT8_P12ihipStream_tbDpT10_ENKUlT_T0_E_clISt17integral_constantIbLb1EES1A_EEDaS15_S16_EUlS15_E_NS1_11comp_targetILNS1_3genE2ELNS1_11target_archE906ELNS1_3gpuE6ELNS1_3repE0EEENS1_30default_config_static_selectorELNS0_4arch9wavefront6targetE1EEEvT1_.num_named_barrier, 0
	.set _ZN7rocprim17ROCPRIM_400000_NS6detail17trampoline_kernelINS0_14default_configENS1_25partition_config_selectorILNS1_17partition_subalgoE8EjNS0_10empty_typeEbEEZZNS1_14partition_implILS5_8ELb0ES3_jN6thrust23THRUST_200600_302600_NS6detail15normal_iteratorINSA_10device_ptrIjEEEEPS6_PKS6_NS0_5tupleIJSF_S6_EEENSJ_IJSG_SG_EEENS0_18inequality_wrapperINSA_8equal_toIjEEEEPmJS6_EEE10hipError_tPvRmT3_T4_T5_T6_T7_T9_mT8_P12ihipStream_tbDpT10_ENKUlT_T0_E_clISt17integral_constantIbLb1EES1A_EEDaS15_S16_EUlS15_E_NS1_11comp_targetILNS1_3genE2ELNS1_11target_archE906ELNS1_3gpuE6ELNS1_3repE0EEENS1_30default_config_static_selectorELNS0_4arch9wavefront6targetE1EEEvT1_.private_seg_size, 0
	.set _ZN7rocprim17ROCPRIM_400000_NS6detail17trampoline_kernelINS0_14default_configENS1_25partition_config_selectorILNS1_17partition_subalgoE8EjNS0_10empty_typeEbEEZZNS1_14partition_implILS5_8ELb0ES3_jN6thrust23THRUST_200600_302600_NS6detail15normal_iteratorINSA_10device_ptrIjEEEEPS6_PKS6_NS0_5tupleIJSF_S6_EEENSJ_IJSG_SG_EEENS0_18inequality_wrapperINSA_8equal_toIjEEEEPmJS6_EEE10hipError_tPvRmT3_T4_T5_T6_T7_T9_mT8_P12ihipStream_tbDpT10_ENKUlT_T0_E_clISt17integral_constantIbLb1EES1A_EEDaS15_S16_EUlS15_E_NS1_11comp_targetILNS1_3genE2ELNS1_11target_archE906ELNS1_3gpuE6ELNS1_3repE0EEENS1_30default_config_static_selectorELNS0_4arch9wavefront6targetE1EEEvT1_.uses_vcc, 0
	.set _ZN7rocprim17ROCPRIM_400000_NS6detail17trampoline_kernelINS0_14default_configENS1_25partition_config_selectorILNS1_17partition_subalgoE8EjNS0_10empty_typeEbEEZZNS1_14partition_implILS5_8ELb0ES3_jN6thrust23THRUST_200600_302600_NS6detail15normal_iteratorINSA_10device_ptrIjEEEEPS6_PKS6_NS0_5tupleIJSF_S6_EEENSJ_IJSG_SG_EEENS0_18inequality_wrapperINSA_8equal_toIjEEEEPmJS6_EEE10hipError_tPvRmT3_T4_T5_T6_T7_T9_mT8_P12ihipStream_tbDpT10_ENKUlT_T0_E_clISt17integral_constantIbLb1EES1A_EEDaS15_S16_EUlS15_E_NS1_11comp_targetILNS1_3genE2ELNS1_11target_archE906ELNS1_3gpuE6ELNS1_3repE0EEENS1_30default_config_static_selectorELNS0_4arch9wavefront6targetE1EEEvT1_.uses_flat_scratch, 0
	.set _ZN7rocprim17ROCPRIM_400000_NS6detail17trampoline_kernelINS0_14default_configENS1_25partition_config_selectorILNS1_17partition_subalgoE8EjNS0_10empty_typeEbEEZZNS1_14partition_implILS5_8ELb0ES3_jN6thrust23THRUST_200600_302600_NS6detail15normal_iteratorINSA_10device_ptrIjEEEEPS6_PKS6_NS0_5tupleIJSF_S6_EEENSJ_IJSG_SG_EEENS0_18inequality_wrapperINSA_8equal_toIjEEEEPmJS6_EEE10hipError_tPvRmT3_T4_T5_T6_T7_T9_mT8_P12ihipStream_tbDpT10_ENKUlT_T0_E_clISt17integral_constantIbLb1EES1A_EEDaS15_S16_EUlS15_E_NS1_11comp_targetILNS1_3genE2ELNS1_11target_archE906ELNS1_3gpuE6ELNS1_3repE0EEENS1_30default_config_static_selectorELNS0_4arch9wavefront6targetE1EEEvT1_.has_dyn_sized_stack, 0
	.set _ZN7rocprim17ROCPRIM_400000_NS6detail17trampoline_kernelINS0_14default_configENS1_25partition_config_selectorILNS1_17partition_subalgoE8EjNS0_10empty_typeEbEEZZNS1_14partition_implILS5_8ELb0ES3_jN6thrust23THRUST_200600_302600_NS6detail15normal_iteratorINSA_10device_ptrIjEEEEPS6_PKS6_NS0_5tupleIJSF_S6_EEENSJ_IJSG_SG_EEENS0_18inequality_wrapperINSA_8equal_toIjEEEEPmJS6_EEE10hipError_tPvRmT3_T4_T5_T6_T7_T9_mT8_P12ihipStream_tbDpT10_ENKUlT_T0_E_clISt17integral_constantIbLb1EES1A_EEDaS15_S16_EUlS15_E_NS1_11comp_targetILNS1_3genE2ELNS1_11target_archE906ELNS1_3gpuE6ELNS1_3repE0EEENS1_30default_config_static_selectorELNS0_4arch9wavefront6targetE1EEEvT1_.has_recursion, 0
	.set _ZN7rocprim17ROCPRIM_400000_NS6detail17trampoline_kernelINS0_14default_configENS1_25partition_config_selectorILNS1_17partition_subalgoE8EjNS0_10empty_typeEbEEZZNS1_14partition_implILS5_8ELb0ES3_jN6thrust23THRUST_200600_302600_NS6detail15normal_iteratorINSA_10device_ptrIjEEEEPS6_PKS6_NS0_5tupleIJSF_S6_EEENSJ_IJSG_SG_EEENS0_18inequality_wrapperINSA_8equal_toIjEEEEPmJS6_EEE10hipError_tPvRmT3_T4_T5_T6_T7_T9_mT8_P12ihipStream_tbDpT10_ENKUlT_T0_E_clISt17integral_constantIbLb1EES1A_EEDaS15_S16_EUlS15_E_NS1_11comp_targetILNS1_3genE2ELNS1_11target_archE906ELNS1_3gpuE6ELNS1_3repE0EEENS1_30default_config_static_selectorELNS0_4arch9wavefront6targetE1EEEvT1_.has_indirect_call, 0
	.section	.AMDGPU.csdata,"",@progbits
; Kernel info:
; codeLenInByte = 4
; TotalNumSgprs: 4
; NumVgprs: 0
; ScratchSize: 0
; MemoryBound: 0
; FloatMode: 240
; IeeeMode: 1
; LDSByteSize: 0 bytes/workgroup (compile time only)
; SGPRBlocks: 0
; VGPRBlocks: 0
; NumSGPRsForWavesPerEU: 4
; NumVGPRsForWavesPerEU: 1
; Occupancy: 10
; WaveLimiterHint : 0
; COMPUTE_PGM_RSRC2:SCRATCH_EN: 0
; COMPUTE_PGM_RSRC2:USER_SGPR: 6
; COMPUTE_PGM_RSRC2:TRAP_HANDLER: 0
; COMPUTE_PGM_RSRC2:TGID_X_EN: 1
; COMPUTE_PGM_RSRC2:TGID_Y_EN: 0
; COMPUTE_PGM_RSRC2:TGID_Z_EN: 0
; COMPUTE_PGM_RSRC2:TIDIG_COMP_CNT: 0
	.section	.text._ZN7rocprim17ROCPRIM_400000_NS6detail17trampoline_kernelINS0_14default_configENS1_25partition_config_selectorILNS1_17partition_subalgoE8EjNS0_10empty_typeEbEEZZNS1_14partition_implILS5_8ELb0ES3_jN6thrust23THRUST_200600_302600_NS6detail15normal_iteratorINSA_10device_ptrIjEEEEPS6_PKS6_NS0_5tupleIJSF_S6_EEENSJ_IJSG_SG_EEENS0_18inequality_wrapperINSA_8equal_toIjEEEEPmJS6_EEE10hipError_tPvRmT3_T4_T5_T6_T7_T9_mT8_P12ihipStream_tbDpT10_ENKUlT_T0_E_clISt17integral_constantIbLb1EES1A_EEDaS15_S16_EUlS15_E_NS1_11comp_targetILNS1_3genE10ELNS1_11target_archE1200ELNS1_3gpuE4ELNS1_3repE0EEENS1_30default_config_static_selectorELNS0_4arch9wavefront6targetE1EEEvT1_,"axG",@progbits,_ZN7rocprim17ROCPRIM_400000_NS6detail17trampoline_kernelINS0_14default_configENS1_25partition_config_selectorILNS1_17partition_subalgoE8EjNS0_10empty_typeEbEEZZNS1_14partition_implILS5_8ELb0ES3_jN6thrust23THRUST_200600_302600_NS6detail15normal_iteratorINSA_10device_ptrIjEEEEPS6_PKS6_NS0_5tupleIJSF_S6_EEENSJ_IJSG_SG_EEENS0_18inequality_wrapperINSA_8equal_toIjEEEEPmJS6_EEE10hipError_tPvRmT3_T4_T5_T6_T7_T9_mT8_P12ihipStream_tbDpT10_ENKUlT_T0_E_clISt17integral_constantIbLb1EES1A_EEDaS15_S16_EUlS15_E_NS1_11comp_targetILNS1_3genE10ELNS1_11target_archE1200ELNS1_3gpuE4ELNS1_3repE0EEENS1_30default_config_static_selectorELNS0_4arch9wavefront6targetE1EEEvT1_,comdat
	.protected	_ZN7rocprim17ROCPRIM_400000_NS6detail17trampoline_kernelINS0_14default_configENS1_25partition_config_selectorILNS1_17partition_subalgoE8EjNS0_10empty_typeEbEEZZNS1_14partition_implILS5_8ELb0ES3_jN6thrust23THRUST_200600_302600_NS6detail15normal_iteratorINSA_10device_ptrIjEEEEPS6_PKS6_NS0_5tupleIJSF_S6_EEENSJ_IJSG_SG_EEENS0_18inequality_wrapperINSA_8equal_toIjEEEEPmJS6_EEE10hipError_tPvRmT3_T4_T5_T6_T7_T9_mT8_P12ihipStream_tbDpT10_ENKUlT_T0_E_clISt17integral_constantIbLb1EES1A_EEDaS15_S16_EUlS15_E_NS1_11comp_targetILNS1_3genE10ELNS1_11target_archE1200ELNS1_3gpuE4ELNS1_3repE0EEENS1_30default_config_static_selectorELNS0_4arch9wavefront6targetE1EEEvT1_ ; -- Begin function _ZN7rocprim17ROCPRIM_400000_NS6detail17trampoline_kernelINS0_14default_configENS1_25partition_config_selectorILNS1_17partition_subalgoE8EjNS0_10empty_typeEbEEZZNS1_14partition_implILS5_8ELb0ES3_jN6thrust23THRUST_200600_302600_NS6detail15normal_iteratorINSA_10device_ptrIjEEEEPS6_PKS6_NS0_5tupleIJSF_S6_EEENSJ_IJSG_SG_EEENS0_18inequality_wrapperINSA_8equal_toIjEEEEPmJS6_EEE10hipError_tPvRmT3_T4_T5_T6_T7_T9_mT8_P12ihipStream_tbDpT10_ENKUlT_T0_E_clISt17integral_constantIbLb1EES1A_EEDaS15_S16_EUlS15_E_NS1_11comp_targetILNS1_3genE10ELNS1_11target_archE1200ELNS1_3gpuE4ELNS1_3repE0EEENS1_30default_config_static_selectorELNS0_4arch9wavefront6targetE1EEEvT1_
	.globl	_ZN7rocprim17ROCPRIM_400000_NS6detail17trampoline_kernelINS0_14default_configENS1_25partition_config_selectorILNS1_17partition_subalgoE8EjNS0_10empty_typeEbEEZZNS1_14partition_implILS5_8ELb0ES3_jN6thrust23THRUST_200600_302600_NS6detail15normal_iteratorINSA_10device_ptrIjEEEEPS6_PKS6_NS0_5tupleIJSF_S6_EEENSJ_IJSG_SG_EEENS0_18inequality_wrapperINSA_8equal_toIjEEEEPmJS6_EEE10hipError_tPvRmT3_T4_T5_T6_T7_T9_mT8_P12ihipStream_tbDpT10_ENKUlT_T0_E_clISt17integral_constantIbLb1EES1A_EEDaS15_S16_EUlS15_E_NS1_11comp_targetILNS1_3genE10ELNS1_11target_archE1200ELNS1_3gpuE4ELNS1_3repE0EEENS1_30default_config_static_selectorELNS0_4arch9wavefront6targetE1EEEvT1_
	.p2align	8
	.type	_ZN7rocprim17ROCPRIM_400000_NS6detail17trampoline_kernelINS0_14default_configENS1_25partition_config_selectorILNS1_17partition_subalgoE8EjNS0_10empty_typeEbEEZZNS1_14partition_implILS5_8ELb0ES3_jN6thrust23THRUST_200600_302600_NS6detail15normal_iteratorINSA_10device_ptrIjEEEEPS6_PKS6_NS0_5tupleIJSF_S6_EEENSJ_IJSG_SG_EEENS0_18inequality_wrapperINSA_8equal_toIjEEEEPmJS6_EEE10hipError_tPvRmT3_T4_T5_T6_T7_T9_mT8_P12ihipStream_tbDpT10_ENKUlT_T0_E_clISt17integral_constantIbLb1EES1A_EEDaS15_S16_EUlS15_E_NS1_11comp_targetILNS1_3genE10ELNS1_11target_archE1200ELNS1_3gpuE4ELNS1_3repE0EEENS1_30default_config_static_selectorELNS0_4arch9wavefront6targetE1EEEvT1_,@function
_ZN7rocprim17ROCPRIM_400000_NS6detail17trampoline_kernelINS0_14default_configENS1_25partition_config_selectorILNS1_17partition_subalgoE8EjNS0_10empty_typeEbEEZZNS1_14partition_implILS5_8ELb0ES3_jN6thrust23THRUST_200600_302600_NS6detail15normal_iteratorINSA_10device_ptrIjEEEEPS6_PKS6_NS0_5tupleIJSF_S6_EEENSJ_IJSG_SG_EEENS0_18inequality_wrapperINSA_8equal_toIjEEEEPmJS6_EEE10hipError_tPvRmT3_T4_T5_T6_T7_T9_mT8_P12ihipStream_tbDpT10_ENKUlT_T0_E_clISt17integral_constantIbLb1EES1A_EEDaS15_S16_EUlS15_E_NS1_11comp_targetILNS1_3genE10ELNS1_11target_archE1200ELNS1_3gpuE4ELNS1_3repE0EEENS1_30default_config_static_selectorELNS0_4arch9wavefront6targetE1EEEvT1_: ; @_ZN7rocprim17ROCPRIM_400000_NS6detail17trampoline_kernelINS0_14default_configENS1_25partition_config_selectorILNS1_17partition_subalgoE8EjNS0_10empty_typeEbEEZZNS1_14partition_implILS5_8ELb0ES3_jN6thrust23THRUST_200600_302600_NS6detail15normal_iteratorINSA_10device_ptrIjEEEEPS6_PKS6_NS0_5tupleIJSF_S6_EEENSJ_IJSG_SG_EEENS0_18inequality_wrapperINSA_8equal_toIjEEEEPmJS6_EEE10hipError_tPvRmT3_T4_T5_T6_T7_T9_mT8_P12ihipStream_tbDpT10_ENKUlT_T0_E_clISt17integral_constantIbLb1EES1A_EEDaS15_S16_EUlS15_E_NS1_11comp_targetILNS1_3genE10ELNS1_11target_archE1200ELNS1_3gpuE4ELNS1_3repE0EEENS1_30default_config_static_selectorELNS0_4arch9wavefront6targetE1EEEvT1_
; %bb.0:
	.section	.rodata,"a",@progbits
	.p2align	6, 0x0
	.amdhsa_kernel _ZN7rocprim17ROCPRIM_400000_NS6detail17trampoline_kernelINS0_14default_configENS1_25partition_config_selectorILNS1_17partition_subalgoE8EjNS0_10empty_typeEbEEZZNS1_14partition_implILS5_8ELb0ES3_jN6thrust23THRUST_200600_302600_NS6detail15normal_iteratorINSA_10device_ptrIjEEEEPS6_PKS6_NS0_5tupleIJSF_S6_EEENSJ_IJSG_SG_EEENS0_18inequality_wrapperINSA_8equal_toIjEEEEPmJS6_EEE10hipError_tPvRmT3_T4_T5_T6_T7_T9_mT8_P12ihipStream_tbDpT10_ENKUlT_T0_E_clISt17integral_constantIbLb1EES1A_EEDaS15_S16_EUlS15_E_NS1_11comp_targetILNS1_3genE10ELNS1_11target_archE1200ELNS1_3gpuE4ELNS1_3repE0EEENS1_30default_config_static_selectorELNS0_4arch9wavefront6targetE1EEEvT1_
		.amdhsa_group_segment_fixed_size 0
		.amdhsa_private_segment_fixed_size 0
		.amdhsa_kernarg_size 128
		.amdhsa_user_sgpr_count 6
		.amdhsa_user_sgpr_private_segment_buffer 1
		.amdhsa_user_sgpr_dispatch_ptr 0
		.amdhsa_user_sgpr_queue_ptr 0
		.amdhsa_user_sgpr_kernarg_segment_ptr 1
		.amdhsa_user_sgpr_dispatch_id 0
		.amdhsa_user_sgpr_flat_scratch_init 0
		.amdhsa_user_sgpr_private_segment_size 0
		.amdhsa_uses_dynamic_stack 0
		.amdhsa_system_sgpr_private_segment_wavefront_offset 0
		.amdhsa_system_sgpr_workgroup_id_x 1
		.amdhsa_system_sgpr_workgroup_id_y 0
		.amdhsa_system_sgpr_workgroup_id_z 0
		.amdhsa_system_sgpr_workgroup_info 0
		.amdhsa_system_vgpr_workitem_id 0
		.amdhsa_next_free_vgpr 1
		.amdhsa_next_free_sgpr 0
		.amdhsa_reserve_vcc 0
		.amdhsa_reserve_flat_scratch 0
		.amdhsa_float_round_mode_32 0
		.amdhsa_float_round_mode_16_64 0
		.amdhsa_float_denorm_mode_32 3
		.amdhsa_float_denorm_mode_16_64 3
		.amdhsa_dx10_clamp 1
		.amdhsa_ieee_mode 1
		.amdhsa_fp16_overflow 0
		.amdhsa_exception_fp_ieee_invalid_op 0
		.amdhsa_exception_fp_denorm_src 0
		.amdhsa_exception_fp_ieee_div_zero 0
		.amdhsa_exception_fp_ieee_overflow 0
		.amdhsa_exception_fp_ieee_underflow 0
		.amdhsa_exception_fp_ieee_inexact 0
		.amdhsa_exception_int_div_zero 0
	.end_amdhsa_kernel
	.section	.text._ZN7rocprim17ROCPRIM_400000_NS6detail17trampoline_kernelINS0_14default_configENS1_25partition_config_selectorILNS1_17partition_subalgoE8EjNS0_10empty_typeEbEEZZNS1_14partition_implILS5_8ELb0ES3_jN6thrust23THRUST_200600_302600_NS6detail15normal_iteratorINSA_10device_ptrIjEEEEPS6_PKS6_NS0_5tupleIJSF_S6_EEENSJ_IJSG_SG_EEENS0_18inequality_wrapperINSA_8equal_toIjEEEEPmJS6_EEE10hipError_tPvRmT3_T4_T5_T6_T7_T9_mT8_P12ihipStream_tbDpT10_ENKUlT_T0_E_clISt17integral_constantIbLb1EES1A_EEDaS15_S16_EUlS15_E_NS1_11comp_targetILNS1_3genE10ELNS1_11target_archE1200ELNS1_3gpuE4ELNS1_3repE0EEENS1_30default_config_static_selectorELNS0_4arch9wavefront6targetE1EEEvT1_,"axG",@progbits,_ZN7rocprim17ROCPRIM_400000_NS6detail17trampoline_kernelINS0_14default_configENS1_25partition_config_selectorILNS1_17partition_subalgoE8EjNS0_10empty_typeEbEEZZNS1_14partition_implILS5_8ELb0ES3_jN6thrust23THRUST_200600_302600_NS6detail15normal_iteratorINSA_10device_ptrIjEEEEPS6_PKS6_NS0_5tupleIJSF_S6_EEENSJ_IJSG_SG_EEENS0_18inequality_wrapperINSA_8equal_toIjEEEEPmJS6_EEE10hipError_tPvRmT3_T4_T5_T6_T7_T9_mT8_P12ihipStream_tbDpT10_ENKUlT_T0_E_clISt17integral_constantIbLb1EES1A_EEDaS15_S16_EUlS15_E_NS1_11comp_targetILNS1_3genE10ELNS1_11target_archE1200ELNS1_3gpuE4ELNS1_3repE0EEENS1_30default_config_static_selectorELNS0_4arch9wavefront6targetE1EEEvT1_,comdat
.Lfunc_end223:
	.size	_ZN7rocprim17ROCPRIM_400000_NS6detail17trampoline_kernelINS0_14default_configENS1_25partition_config_selectorILNS1_17partition_subalgoE8EjNS0_10empty_typeEbEEZZNS1_14partition_implILS5_8ELb0ES3_jN6thrust23THRUST_200600_302600_NS6detail15normal_iteratorINSA_10device_ptrIjEEEEPS6_PKS6_NS0_5tupleIJSF_S6_EEENSJ_IJSG_SG_EEENS0_18inequality_wrapperINSA_8equal_toIjEEEEPmJS6_EEE10hipError_tPvRmT3_T4_T5_T6_T7_T9_mT8_P12ihipStream_tbDpT10_ENKUlT_T0_E_clISt17integral_constantIbLb1EES1A_EEDaS15_S16_EUlS15_E_NS1_11comp_targetILNS1_3genE10ELNS1_11target_archE1200ELNS1_3gpuE4ELNS1_3repE0EEENS1_30default_config_static_selectorELNS0_4arch9wavefront6targetE1EEEvT1_, .Lfunc_end223-_ZN7rocprim17ROCPRIM_400000_NS6detail17trampoline_kernelINS0_14default_configENS1_25partition_config_selectorILNS1_17partition_subalgoE8EjNS0_10empty_typeEbEEZZNS1_14partition_implILS5_8ELb0ES3_jN6thrust23THRUST_200600_302600_NS6detail15normal_iteratorINSA_10device_ptrIjEEEEPS6_PKS6_NS0_5tupleIJSF_S6_EEENSJ_IJSG_SG_EEENS0_18inequality_wrapperINSA_8equal_toIjEEEEPmJS6_EEE10hipError_tPvRmT3_T4_T5_T6_T7_T9_mT8_P12ihipStream_tbDpT10_ENKUlT_T0_E_clISt17integral_constantIbLb1EES1A_EEDaS15_S16_EUlS15_E_NS1_11comp_targetILNS1_3genE10ELNS1_11target_archE1200ELNS1_3gpuE4ELNS1_3repE0EEENS1_30default_config_static_selectorELNS0_4arch9wavefront6targetE1EEEvT1_
                                        ; -- End function
	.set _ZN7rocprim17ROCPRIM_400000_NS6detail17trampoline_kernelINS0_14default_configENS1_25partition_config_selectorILNS1_17partition_subalgoE8EjNS0_10empty_typeEbEEZZNS1_14partition_implILS5_8ELb0ES3_jN6thrust23THRUST_200600_302600_NS6detail15normal_iteratorINSA_10device_ptrIjEEEEPS6_PKS6_NS0_5tupleIJSF_S6_EEENSJ_IJSG_SG_EEENS0_18inequality_wrapperINSA_8equal_toIjEEEEPmJS6_EEE10hipError_tPvRmT3_T4_T5_T6_T7_T9_mT8_P12ihipStream_tbDpT10_ENKUlT_T0_E_clISt17integral_constantIbLb1EES1A_EEDaS15_S16_EUlS15_E_NS1_11comp_targetILNS1_3genE10ELNS1_11target_archE1200ELNS1_3gpuE4ELNS1_3repE0EEENS1_30default_config_static_selectorELNS0_4arch9wavefront6targetE1EEEvT1_.num_vgpr, 0
	.set _ZN7rocprim17ROCPRIM_400000_NS6detail17trampoline_kernelINS0_14default_configENS1_25partition_config_selectorILNS1_17partition_subalgoE8EjNS0_10empty_typeEbEEZZNS1_14partition_implILS5_8ELb0ES3_jN6thrust23THRUST_200600_302600_NS6detail15normal_iteratorINSA_10device_ptrIjEEEEPS6_PKS6_NS0_5tupleIJSF_S6_EEENSJ_IJSG_SG_EEENS0_18inequality_wrapperINSA_8equal_toIjEEEEPmJS6_EEE10hipError_tPvRmT3_T4_T5_T6_T7_T9_mT8_P12ihipStream_tbDpT10_ENKUlT_T0_E_clISt17integral_constantIbLb1EES1A_EEDaS15_S16_EUlS15_E_NS1_11comp_targetILNS1_3genE10ELNS1_11target_archE1200ELNS1_3gpuE4ELNS1_3repE0EEENS1_30default_config_static_selectorELNS0_4arch9wavefront6targetE1EEEvT1_.num_agpr, 0
	.set _ZN7rocprim17ROCPRIM_400000_NS6detail17trampoline_kernelINS0_14default_configENS1_25partition_config_selectorILNS1_17partition_subalgoE8EjNS0_10empty_typeEbEEZZNS1_14partition_implILS5_8ELb0ES3_jN6thrust23THRUST_200600_302600_NS6detail15normal_iteratorINSA_10device_ptrIjEEEEPS6_PKS6_NS0_5tupleIJSF_S6_EEENSJ_IJSG_SG_EEENS0_18inequality_wrapperINSA_8equal_toIjEEEEPmJS6_EEE10hipError_tPvRmT3_T4_T5_T6_T7_T9_mT8_P12ihipStream_tbDpT10_ENKUlT_T0_E_clISt17integral_constantIbLb1EES1A_EEDaS15_S16_EUlS15_E_NS1_11comp_targetILNS1_3genE10ELNS1_11target_archE1200ELNS1_3gpuE4ELNS1_3repE0EEENS1_30default_config_static_selectorELNS0_4arch9wavefront6targetE1EEEvT1_.numbered_sgpr, 0
	.set _ZN7rocprim17ROCPRIM_400000_NS6detail17trampoline_kernelINS0_14default_configENS1_25partition_config_selectorILNS1_17partition_subalgoE8EjNS0_10empty_typeEbEEZZNS1_14partition_implILS5_8ELb0ES3_jN6thrust23THRUST_200600_302600_NS6detail15normal_iteratorINSA_10device_ptrIjEEEEPS6_PKS6_NS0_5tupleIJSF_S6_EEENSJ_IJSG_SG_EEENS0_18inequality_wrapperINSA_8equal_toIjEEEEPmJS6_EEE10hipError_tPvRmT3_T4_T5_T6_T7_T9_mT8_P12ihipStream_tbDpT10_ENKUlT_T0_E_clISt17integral_constantIbLb1EES1A_EEDaS15_S16_EUlS15_E_NS1_11comp_targetILNS1_3genE10ELNS1_11target_archE1200ELNS1_3gpuE4ELNS1_3repE0EEENS1_30default_config_static_selectorELNS0_4arch9wavefront6targetE1EEEvT1_.num_named_barrier, 0
	.set _ZN7rocprim17ROCPRIM_400000_NS6detail17trampoline_kernelINS0_14default_configENS1_25partition_config_selectorILNS1_17partition_subalgoE8EjNS0_10empty_typeEbEEZZNS1_14partition_implILS5_8ELb0ES3_jN6thrust23THRUST_200600_302600_NS6detail15normal_iteratorINSA_10device_ptrIjEEEEPS6_PKS6_NS0_5tupleIJSF_S6_EEENSJ_IJSG_SG_EEENS0_18inequality_wrapperINSA_8equal_toIjEEEEPmJS6_EEE10hipError_tPvRmT3_T4_T5_T6_T7_T9_mT8_P12ihipStream_tbDpT10_ENKUlT_T0_E_clISt17integral_constantIbLb1EES1A_EEDaS15_S16_EUlS15_E_NS1_11comp_targetILNS1_3genE10ELNS1_11target_archE1200ELNS1_3gpuE4ELNS1_3repE0EEENS1_30default_config_static_selectorELNS0_4arch9wavefront6targetE1EEEvT1_.private_seg_size, 0
	.set _ZN7rocprim17ROCPRIM_400000_NS6detail17trampoline_kernelINS0_14default_configENS1_25partition_config_selectorILNS1_17partition_subalgoE8EjNS0_10empty_typeEbEEZZNS1_14partition_implILS5_8ELb0ES3_jN6thrust23THRUST_200600_302600_NS6detail15normal_iteratorINSA_10device_ptrIjEEEEPS6_PKS6_NS0_5tupleIJSF_S6_EEENSJ_IJSG_SG_EEENS0_18inequality_wrapperINSA_8equal_toIjEEEEPmJS6_EEE10hipError_tPvRmT3_T4_T5_T6_T7_T9_mT8_P12ihipStream_tbDpT10_ENKUlT_T0_E_clISt17integral_constantIbLb1EES1A_EEDaS15_S16_EUlS15_E_NS1_11comp_targetILNS1_3genE10ELNS1_11target_archE1200ELNS1_3gpuE4ELNS1_3repE0EEENS1_30default_config_static_selectorELNS0_4arch9wavefront6targetE1EEEvT1_.uses_vcc, 0
	.set _ZN7rocprim17ROCPRIM_400000_NS6detail17trampoline_kernelINS0_14default_configENS1_25partition_config_selectorILNS1_17partition_subalgoE8EjNS0_10empty_typeEbEEZZNS1_14partition_implILS5_8ELb0ES3_jN6thrust23THRUST_200600_302600_NS6detail15normal_iteratorINSA_10device_ptrIjEEEEPS6_PKS6_NS0_5tupleIJSF_S6_EEENSJ_IJSG_SG_EEENS0_18inequality_wrapperINSA_8equal_toIjEEEEPmJS6_EEE10hipError_tPvRmT3_T4_T5_T6_T7_T9_mT8_P12ihipStream_tbDpT10_ENKUlT_T0_E_clISt17integral_constantIbLb1EES1A_EEDaS15_S16_EUlS15_E_NS1_11comp_targetILNS1_3genE10ELNS1_11target_archE1200ELNS1_3gpuE4ELNS1_3repE0EEENS1_30default_config_static_selectorELNS0_4arch9wavefront6targetE1EEEvT1_.uses_flat_scratch, 0
	.set _ZN7rocprim17ROCPRIM_400000_NS6detail17trampoline_kernelINS0_14default_configENS1_25partition_config_selectorILNS1_17partition_subalgoE8EjNS0_10empty_typeEbEEZZNS1_14partition_implILS5_8ELb0ES3_jN6thrust23THRUST_200600_302600_NS6detail15normal_iteratorINSA_10device_ptrIjEEEEPS6_PKS6_NS0_5tupleIJSF_S6_EEENSJ_IJSG_SG_EEENS0_18inequality_wrapperINSA_8equal_toIjEEEEPmJS6_EEE10hipError_tPvRmT3_T4_T5_T6_T7_T9_mT8_P12ihipStream_tbDpT10_ENKUlT_T0_E_clISt17integral_constantIbLb1EES1A_EEDaS15_S16_EUlS15_E_NS1_11comp_targetILNS1_3genE10ELNS1_11target_archE1200ELNS1_3gpuE4ELNS1_3repE0EEENS1_30default_config_static_selectorELNS0_4arch9wavefront6targetE1EEEvT1_.has_dyn_sized_stack, 0
	.set _ZN7rocprim17ROCPRIM_400000_NS6detail17trampoline_kernelINS0_14default_configENS1_25partition_config_selectorILNS1_17partition_subalgoE8EjNS0_10empty_typeEbEEZZNS1_14partition_implILS5_8ELb0ES3_jN6thrust23THRUST_200600_302600_NS6detail15normal_iteratorINSA_10device_ptrIjEEEEPS6_PKS6_NS0_5tupleIJSF_S6_EEENSJ_IJSG_SG_EEENS0_18inequality_wrapperINSA_8equal_toIjEEEEPmJS6_EEE10hipError_tPvRmT3_T4_T5_T6_T7_T9_mT8_P12ihipStream_tbDpT10_ENKUlT_T0_E_clISt17integral_constantIbLb1EES1A_EEDaS15_S16_EUlS15_E_NS1_11comp_targetILNS1_3genE10ELNS1_11target_archE1200ELNS1_3gpuE4ELNS1_3repE0EEENS1_30default_config_static_selectorELNS0_4arch9wavefront6targetE1EEEvT1_.has_recursion, 0
	.set _ZN7rocprim17ROCPRIM_400000_NS6detail17trampoline_kernelINS0_14default_configENS1_25partition_config_selectorILNS1_17partition_subalgoE8EjNS0_10empty_typeEbEEZZNS1_14partition_implILS5_8ELb0ES3_jN6thrust23THRUST_200600_302600_NS6detail15normal_iteratorINSA_10device_ptrIjEEEEPS6_PKS6_NS0_5tupleIJSF_S6_EEENSJ_IJSG_SG_EEENS0_18inequality_wrapperINSA_8equal_toIjEEEEPmJS6_EEE10hipError_tPvRmT3_T4_T5_T6_T7_T9_mT8_P12ihipStream_tbDpT10_ENKUlT_T0_E_clISt17integral_constantIbLb1EES1A_EEDaS15_S16_EUlS15_E_NS1_11comp_targetILNS1_3genE10ELNS1_11target_archE1200ELNS1_3gpuE4ELNS1_3repE0EEENS1_30default_config_static_selectorELNS0_4arch9wavefront6targetE1EEEvT1_.has_indirect_call, 0
	.section	.AMDGPU.csdata,"",@progbits
; Kernel info:
; codeLenInByte = 0
; TotalNumSgprs: 4
; NumVgprs: 0
; ScratchSize: 0
; MemoryBound: 0
; FloatMode: 240
; IeeeMode: 1
; LDSByteSize: 0 bytes/workgroup (compile time only)
; SGPRBlocks: 0
; VGPRBlocks: 0
; NumSGPRsForWavesPerEU: 4
; NumVGPRsForWavesPerEU: 1
; Occupancy: 10
; WaveLimiterHint : 0
; COMPUTE_PGM_RSRC2:SCRATCH_EN: 0
; COMPUTE_PGM_RSRC2:USER_SGPR: 6
; COMPUTE_PGM_RSRC2:TRAP_HANDLER: 0
; COMPUTE_PGM_RSRC2:TGID_X_EN: 1
; COMPUTE_PGM_RSRC2:TGID_Y_EN: 0
; COMPUTE_PGM_RSRC2:TGID_Z_EN: 0
; COMPUTE_PGM_RSRC2:TIDIG_COMP_CNT: 0
	.section	.text._ZN7rocprim17ROCPRIM_400000_NS6detail17trampoline_kernelINS0_14default_configENS1_25partition_config_selectorILNS1_17partition_subalgoE8EjNS0_10empty_typeEbEEZZNS1_14partition_implILS5_8ELb0ES3_jN6thrust23THRUST_200600_302600_NS6detail15normal_iteratorINSA_10device_ptrIjEEEEPS6_PKS6_NS0_5tupleIJSF_S6_EEENSJ_IJSG_SG_EEENS0_18inequality_wrapperINSA_8equal_toIjEEEEPmJS6_EEE10hipError_tPvRmT3_T4_T5_T6_T7_T9_mT8_P12ihipStream_tbDpT10_ENKUlT_T0_E_clISt17integral_constantIbLb1EES1A_EEDaS15_S16_EUlS15_E_NS1_11comp_targetILNS1_3genE9ELNS1_11target_archE1100ELNS1_3gpuE3ELNS1_3repE0EEENS1_30default_config_static_selectorELNS0_4arch9wavefront6targetE1EEEvT1_,"axG",@progbits,_ZN7rocprim17ROCPRIM_400000_NS6detail17trampoline_kernelINS0_14default_configENS1_25partition_config_selectorILNS1_17partition_subalgoE8EjNS0_10empty_typeEbEEZZNS1_14partition_implILS5_8ELb0ES3_jN6thrust23THRUST_200600_302600_NS6detail15normal_iteratorINSA_10device_ptrIjEEEEPS6_PKS6_NS0_5tupleIJSF_S6_EEENSJ_IJSG_SG_EEENS0_18inequality_wrapperINSA_8equal_toIjEEEEPmJS6_EEE10hipError_tPvRmT3_T4_T5_T6_T7_T9_mT8_P12ihipStream_tbDpT10_ENKUlT_T0_E_clISt17integral_constantIbLb1EES1A_EEDaS15_S16_EUlS15_E_NS1_11comp_targetILNS1_3genE9ELNS1_11target_archE1100ELNS1_3gpuE3ELNS1_3repE0EEENS1_30default_config_static_selectorELNS0_4arch9wavefront6targetE1EEEvT1_,comdat
	.protected	_ZN7rocprim17ROCPRIM_400000_NS6detail17trampoline_kernelINS0_14default_configENS1_25partition_config_selectorILNS1_17partition_subalgoE8EjNS0_10empty_typeEbEEZZNS1_14partition_implILS5_8ELb0ES3_jN6thrust23THRUST_200600_302600_NS6detail15normal_iteratorINSA_10device_ptrIjEEEEPS6_PKS6_NS0_5tupleIJSF_S6_EEENSJ_IJSG_SG_EEENS0_18inequality_wrapperINSA_8equal_toIjEEEEPmJS6_EEE10hipError_tPvRmT3_T4_T5_T6_T7_T9_mT8_P12ihipStream_tbDpT10_ENKUlT_T0_E_clISt17integral_constantIbLb1EES1A_EEDaS15_S16_EUlS15_E_NS1_11comp_targetILNS1_3genE9ELNS1_11target_archE1100ELNS1_3gpuE3ELNS1_3repE0EEENS1_30default_config_static_selectorELNS0_4arch9wavefront6targetE1EEEvT1_ ; -- Begin function _ZN7rocprim17ROCPRIM_400000_NS6detail17trampoline_kernelINS0_14default_configENS1_25partition_config_selectorILNS1_17partition_subalgoE8EjNS0_10empty_typeEbEEZZNS1_14partition_implILS5_8ELb0ES3_jN6thrust23THRUST_200600_302600_NS6detail15normal_iteratorINSA_10device_ptrIjEEEEPS6_PKS6_NS0_5tupleIJSF_S6_EEENSJ_IJSG_SG_EEENS0_18inequality_wrapperINSA_8equal_toIjEEEEPmJS6_EEE10hipError_tPvRmT3_T4_T5_T6_T7_T9_mT8_P12ihipStream_tbDpT10_ENKUlT_T0_E_clISt17integral_constantIbLb1EES1A_EEDaS15_S16_EUlS15_E_NS1_11comp_targetILNS1_3genE9ELNS1_11target_archE1100ELNS1_3gpuE3ELNS1_3repE0EEENS1_30default_config_static_selectorELNS0_4arch9wavefront6targetE1EEEvT1_
	.globl	_ZN7rocprim17ROCPRIM_400000_NS6detail17trampoline_kernelINS0_14default_configENS1_25partition_config_selectorILNS1_17partition_subalgoE8EjNS0_10empty_typeEbEEZZNS1_14partition_implILS5_8ELb0ES3_jN6thrust23THRUST_200600_302600_NS6detail15normal_iteratorINSA_10device_ptrIjEEEEPS6_PKS6_NS0_5tupleIJSF_S6_EEENSJ_IJSG_SG_EEENS0_18inequality_wrapperINSA_8equal_toIjEEEEPmJS6_EEE10hipError_tPvRmT3_T4_T5_T6_T7_T9_mT8_P12ihipStream_tbDpT10_ENKUlT_T0_E_clISt17integral_constantIbLb1EES1A_EEDaS15_S16_EUlS15_E_NS1_11comp_targetILNS1_3genE9ELNS1_11target_archE1100ELNS1_3gpuE3ELNS1_3repE0EEENS1_30default_config_static_selectorELNS0_4arch9wavefront6targetE1EEEvT1_
	.p2align	8
	.type	_ZN7rocprim17ROCPRIM_400000_NS6detail17trampoline_kernelINS0_14default_configENS1_25partition_config_selectorILNS1_17partition_subalgoE8EjNS0_10empty_typeEbEEZZNS1_14partition_implILS5_8ELb0ES3_jN6thrust23THRUST_200600_302600_NS6detail15normal_iteratorINSA_10device_ptrIjEEEEPS6_PKS6_NS0_5tupleIJSF_S6_EEENSJ_IJSG_SG_EEENS0_18inequality_wrapperINSA_8equal_toIjEEEEPmJS6_EEE10hipError_tPvRmT3_T4_T5_T6_T7_T9_mT8_P12ihipStream_tbDpT10_ENKUlT_T0_E_clISt17integral_constantIbLb1EES1A_EEDaS15_S16_EUlS15_E_NS1_11comp_targetILNS1_3genE9ELNS1_11target_archE1100ELNS1_3gpuE3ELNS1_3repE0EEENS1_30default_config_static_selectorELNS0_4arch9wavefront6targetE1EEEvT1_,@function
_ZN7rocprim17ROCPRIM_400000_NS6detail17trampoline_kernelINS0_14default_configENS1_25partition_config_selectorILNS1_17partition_subalgoE8EjNS0_10empty_typeEbEEZZNS1_14partition_implILS5_8ELb0ES3_jN6thrust23THRUST_200600_302600_NS6detail15normal_iteratorINSA_10device_ptrIjEEEEPS6_PKS6_NS0_5tupleIJSF_S6_EEENSJ_IJSG_SG_EEENS0_18inequality_wrapperINSA_8equal_toIjEEEEPmJS6_EEE10hipError_tPvRmT3_T4_T5_T6_T7_T9_mT8_P12ihipStream_tbDpT10_ENKUlT_T0_E_clISt17integral_constantIbLb1EES1A_EEDaS15_S16_EUlS15_E_NS1_11comp_targetILNS1_3genE9ELNS1_11target_archE1100ELNS1_3gpuE3ELNS1_3repE0EEENS1_30default_config_static_selectorELNS0_4arch9wavefront6targetE1EEEvT1_: ; @_ZN7rocprim17ROCPRIM_400000_NS6detail17trampoline_kernelINS0_14default_configENS1_25partition_config_selectorILNS1_17partition_subalgoE8EjNS0_10empty_typeEbEEZZNS1_14partition_implILS5_8ELb0ES3_jN6thrust23THRUST_200600_302600_NS6detail15normal_iteratorINSA_10device_ptrIjEEEEPS6_PKS6_NS0_5tupleIJSF_S6_EEENSJ_IJSG_SG_EEENS0_18inequality_wrapperINSA_8equal_toIjEEEEPmJS6_EEE10hipError_tPvRmT3_T4_T5_T6_T7_T9_mT8_P12ihipStream_tbDpT10_ENKUlT_T0_E_clISt17integral_constantIbLb1EES1A_EEDaS15_S16_EUlS15_E_NS1_11comp_targetILNS1_3genE9ELNS1_11target_archE1100ELNS1_3gpuE3ELNS1_3repE0EEENS1_30default_config_static_selectorELNS0_4arch9wavefront6targetE1EEEvT1_
; %bb.0:
	.section	.rodata,"a",@progbits
	.p2align	6, 0x0
	.amdhsa_kernel _ZN7rocprim17ROCPRIM_400000_NS6detail17trampoline_kernelINS0_14default_configENS1_25partition_config_selectorILNS1_17partition_subalgoE8EjNS0_10empty_typeEbEEZZNS1_14partition_implILS5_8ELb0ES3_jN6thrust23THRUST_200600_302600_NS6detail15normal_iteratorINSA_10device_ptrIjEEEEPS6_PKS6_NS0_5tupleIJSF_S6_EEENSJ_IJSG_SG_EEENS0_18inequality_wrapperINSA_8equal_toIjEEEEPmJS6_EEE10hipError_tPvRmT3_T4_T5_T6_T7_T9_mT8_P12ihipStream_tbDpT10_ENKUlT_T0_E_clISt17integral_constantIbLb1EES1A_EEDaS15_S16_EUlS15_E_NS1_11comp_targetILNS1_3genE9ELNS1_11target_archE1100ELNS1_3gpuE3ELNS1_3repE0EEENS1_30default_config_static_selectorELNS0_4arch9wavefront6targetE1EEEvT1_
		.amdhsa_group_segment_fixed_size 0
		.amdhsa_private_segment_fixed_size 0
		.amdhsa_kernarg_size 128
		.amdhsa_user_sgpr_count 6
		.amdhsa_user_sgpr_private_segment_buffer 1
		.amdhsa_user_sgpr_dispatch_ptr 0
		.amdhsa_user_sgpr_queue_ptr 0
		.amdhsa_user_sgpr_kernarg_segment_ptr 1
		.amdhsa_user_sgpr_dispatch_id 0
		.amdhsa_user_sgpr_flat_scratch_init 0
		.amdhsa_user_sgpr_private_segment_size 0
		.amdhsa_uses_dynamic_stack 0
		.amdhsa_system_sgpr_private_segment_wavefront_offset 0
		.amdhsa_system_sgpr_workgroup_id_x 1
		.amdhsa_system_sgpr_workgroup_id_y 0
		.amdhsa_system_sgpr_workgroup_id_z 0
		.amdhsa_system_sgpr_workgroup_info 0
		.amdhsa_system_vgpr_workitem_id 0
		.amdhsa_next_free_vgpr 1
		.amdhsa_next_free_sgpr 0
		.amdhsa_reserve_vcc 0
		.amdhsa_reserve_flat_scratch 0
		.amdhsa_float_round_mode_32 0
		.amdhsa_float_round_mode_16_64 0
		.amdhsa_float_denorm_mode_32 3
		.amdhsa_float_denorm_mode_16_64 3
		.amdhsa_dx10_clamp 1
		.amdhsa_ieee_mode 1
		.amdhsa_fp16_overflow 0
		.amdhsa_exception_fp_ieee_invalid_op 0
		.amdhsa_exception_fp_denorm_src 0
		.amdhsa_exception_fp_ieee_div_zero 0
		.amdhsa_exception_fp_ieee_overflow 0
		.amdhsa_exception_fp_ieee_underflow 0
		.amdhsa_exception_fp_ieee_inexact 0
		.amdhsa_exception_int_div_zero 0
	.end_amdhsa_kernel
	.section	.text._ZN7rocprim17ROCPRIM_400000_NS6detail17trampoline_kernelINS0_14default_configENS1_25partition_config_selectorILNS1_17partition_subalgoE8EjNS0_10empty_typeEbEEZZNS1_14partition_implILS5_8ELb0ES3_jN6thrust23THRUST_200600_302600_NS6detail15normal_iteratorINSA_10device_ptrIjEEEEPS6_PKS6_NS0_5tupleIJSF_S6_EEENSJ_IJSG_SG_EEENS0_18inequality_wrapperINSA_8equal_toIjEEEEPmJS6_EEE10hipError_tPvRmT3_T4_T5_T6_T7_T9_mT8_P12ihipStream_tbDpT10_ENKUlT_T0_E_clISt17integral_constantIbLb1EES1A_EEDaS15_S16_EUlS15_E_NS1_11comp_targetILNS1_3genE9ELNS1_11target_archE1100ELNS1_3gpuE3ELNS1_3repE0EEENS1_30default_config_static_selectorELNS0_4arch9wavefront6targetE1EEEvT1_,"axG",@progbits,_ZN7rocprim17ROCPRIM_400000_NS6detail17trampoline_kernelINS0_14default_configENS1_25partition_config_selectorILNS1_17partition_subalgoE8EjNS0_10empty_typeEbEEZZNS1_14partition_implILS5_8ELb0ES3_jN6thrust23THRUST_200600_302600_NS6detail15normal_iteratorINSA_10device_ptrIjEEEEPS6_PKS6_NS0_5tupleIJSF_S6_EEENSJ_IJSG_SG_EEENS0_18inequality_wrapperINSA_8equal_toIjEEEEPmJS6_EEE10hipError_tPvRmT3_T4_T5_T6_T7_T9_mT8_P12ihipStream_tbDpT10_ENKUlT_T0_E_clISt17integral_constantIbLb1EES1A_EEDaS15_S16_EUlS15_E_NS1_11comp_targetILNS1_3genE9ELNS1_11target_archE1100ELNS1_3gpuE3ELNS1_3repE0EEENS1_30default_config_static_selectorELNS0_4arch9wavefront6targetE1EEEvT1_,comdat
.Lfunc_end224:
	.size	_ZN7rocprim17ROCPRIM_400000_NS6detail17trampoline_kernelINS0_14default_configENS1_25partition_config_selectorILNS1_17partition_subalgoE8EjNS0_10empty_typeEbEEZZNS1_14partition_implILS5_8ELb0ES3_jN6thrust23THRUST_200600_302600_NS6detail15normal_iteratorINSA_10device_ptrIjEEEEPS6_PKS6_NS0_5tupleIJSF_S6_EEENSJ_IJSG_SG_EEENS0_18inequality_wrapperINSA_8equal_toIjEEEEPmJS6_EEE10hipError_tPvRmT3_T4_T5_T6_T7_T9_mT8_P12ihipStream_tbDpT10_ENKUlT_T0_E_clISt17integral_constantIbLb1EES1A_EEDaS15_S16_EUlS15_E_NS1_11comp_targetILNS1_3genE9ELNS1_11target_archE1100ELNS1_3gpuE3ELNS1_3repE0EEENS1_30default_config_static_selectorELNS0_4arch9wavefront6targetE1EEEvT1_, .Lfunc_end224-_ZN7rocprim17ROCPRIM_400000_NS6detail17trampoline_kernelINS0_14default_configENS1_25partition_config_selectorILNS1_17partition_subalgoE8EjNS0_10empty_typeEbEEZZNS1_14partition_implILS5_8ELb0ES3_jN6thrust23THRUST_200600_302600_NS6detail15normal_iteratorINSA_10device_ptrIjEEEEPS6_PKS6_NS0_5tupleIJSF_S6_EEENSJ_IJSG_SG_EEENS0_18inequality_wrapperINSA_8equal_toIjEEEEPmJS6_EEE10hipError_tPvRmT3_T4_T5_T6_T7_T9_mT8_P12ihipStream_tbDpT10_ENKUlT_T0_E_clISt17integral_constantIbLb1EES1A_EEDaS15_S16_EUlS15_E_NS1_11comp_targetILNS1_3genE9ELNS1_11target_archE1100ELNS1_3gpuE3ELNS1_3repE0EEENS1_30default_config_static_selectorELNS0_4arch9wavefront6targetE1EEEvT1_
                                        ; -- End function
	.set _ZN7rocprim17ROCPRIM_400000_NS6detail17trampoline_kernelINS0_14default_configENS1_25partition_config_selectorILNS1_17partition_subalgoE8EjNS0_10empty_typeEbEEZZNS1_14partition_implILS5_8ELb0ES3_jN6thrust23THRUST_200600_302600_NS6detail15normal_iteratorINSA_10device_ptrIjEEEEPS6_PKS6_NS0_5tupleIJSF_S6_EEENSJ_IJSG_SG_EEENS0_18inequality_wrapperINSA_8equal_toIjEEEEPmJS6_EEE10hipError_tPvRmT3_T4_T5_T6_T7_T9_mT8_P12ihipStream_tbDpT10_ENKUlT_T0_E_clISt17integral_constantIbLb1EES1A_EEDaS15_S16_EUlS15_E_NS1_11comp_targetILNS1_3genE9ELNS1_11target_archE1100ELNS1_3gpuE3ELNS1_3repE0EEENS1_30default_config_static_selectorELNS0_4arch9wavefront6targetE1EEEvT1_.num_vgpr, 0
	.set _ZN7rocprim17ROCPRIM_400000_NS6detail17trampoline_kernelINS0_14default_configENS1_25partition_config_selectorILNS1_17partition_subalgoE8EjNS0_10empty_typeEbEEZZNS1_14partition_implILS5_8ELb0ES3_jN6thrust23THRUST_200600_302600_NS6detail15normal_iteratorINSA_10device_ptrIjEEEEPS6_PKS6_NS0_5tupleIJSF_S6_EEENSJ_IJSG_SG_EEENS0_18inequality_wrapperINSA_8equal_toIjEEEEPmJS6_EEE10hipError_tPvRmT3_T4_T5_T6_T7_T9_mT8_P12ihipStream_tbDpT10_ENKUlT_T0_E_clISt17integral_constantIbLb1EES1A_EEDaS15_S16_EUlS15_E_NS1_11comp_targetILNS1_3genE9ELNS1_11target_archE1100ELNS1_3gpuE3ELNS1_3repE0EEENS1_30default_config_static_selectorELNS0_4arch9wavefront6targetE1EEEvT1_.num_agpr, 0
	.set _ZN7rocprim17ROCPRIM_400000_NS6detail17trampoline_kernelINS0_14default_configENS1_25partition_config_selectorILNS1_17partition_subalgoE8EjNS0_10empty_typeEbEEZZNS1_14partition_implILS5_8ELb0ES3_jN6thrust23THRUST_200600_302600_NS6detail15normal_iteratorINSA_10device_ptrIjEEEEPS6_PKS6_NS0_5tupleIJSF_S6_EEENSJ_IJSG_SG_EEENS0_18inequality_wrapperINSA_8equal_toIjEEEEPmJS6_EEE10hipError_tPvRmT3_T4_T5_T6_T7_T9_mT8_P12ihipStream_tbDpT10_ENKUlT_T0_E_clISt17integral_constantIbLb1EES1A_EEDaS15_S16_EUlS15_E_NS1_11comp_targetILNS1_3genE9ELNS1_11target_archE1100ELNS1_3gpuE3ELNS1_3repE0EEENS1_30default_config_static_selectorELNS0_4arch9wavefront6targetE1EEEvT1_.numbered_sgpr, 0
	.set _ZN7rocprim17ROCPRIM_400000_NS6detail17trampoline_kernelINS0_14default_configENS1_25partition_config_selectorILNS1_17partition_subalgoE8EjNS0_10empty_typeEbEEZZNS1_14partition_implILS5_8ELb0ES3_jN6thrust23THRUST_200600_302600_NS6detail15normal_iteratorINSA_10device_ptrIjEEEEPS6_PKS6_NS0_5tupleIJSF_S6_EEENSJ_IJSG_SG_EEENS0_18inequality_wrapperINSA_8equal_toIjEEEEPmJS6_EEE10hipError_tPvRmT3_T4_T5_T6_T7_T9_mT8_P12ihipStream_tbDpT10_ENKUlT_T0_E_clISt17integral_constantIbLb1EES1A_EEDaS15_S16_EUlS15_E_NS1_11comp_targetILNS1_3genE9ELNS1_11target_archE1100ELNS1_3gpuE3ELNS1_3repE0EEENS1_30default_config_static_selectorELNS0_4arch9wavefront6targetE1EEEvT1_.num_named_barrier, 0
	.set _ZN7rocprim17ROCPRIM_400000_NS6detail17trampoline_kernelINS0_14default_configENS1_25partition_config_selectorILNS1_17partition_subalgoE8EjNS0_10empty_typeEbEEZZNS1_14partition_implILS5_8ELb0ES3_jN6thrust23THRUST_200600_302600_NS6detail15normal_iteratorINSA_10device_ptrIjEEEEPS6_PKS6_NS0_5tupleIJSF_S6_EEENSJ_IJSG_SG_EEENS0_18inequality_wrapperINSA_8equal_toIjEEEEPmJS6_EEE10hipError_tPvRmT3_T4_T5_T6_T7_T9_mT8_P12ihipStream_tbDpT10_ENKUlT_T0_E_clISt17integral_constantIbLb1EES1A_EEDaS15_S16_EUlS15_E_NS1_11comp_targetILNS1_3genE9ELNS1_11target_archE1100ELNS1_3gpuE3ELNS1_3repE0EEENS1_30default_config_static_selectorELNS0_4arch9wavefront6targetE1EEEvT1_.private_seg_size, 0
	.set _ZN7rocprim17ROCPRIM_400000_NS6detail17trampoline_kernelINS0_14default_configENS1_25partition_config_selectorILNS1_17partition_subalgoE8EjNS0_10empty_typeEbEEZZNS1_14partition_implILS5_8ELb0ES3_jN6thrust23THRUST_200600_302600_NS6detail15normal_iteratorINSA_10device_ptrIjEEEEPS6_PKS6_NS0_5tupleIJSF_S6_EEENSJ_IJSG_SG_EEENS0_18inequality_wrapperINSA_8equal_toIjEEEEPmJS6_EEE10hipError_tPvRmT3_T4_T5_T6_T7_T9_mT8_P12ihipStream_tbDpT10_ENKUlT_T0_E_clISt17integral_constantIbLb1EES1A_EEDaS15_S16_EUlS15_E_NS1_11comp_targetILNS1_3genE9ELNS1_11target_archE1100ELNS1_3gpuE3ELNS1_3repE0EEENS1_30default_config_static_selectorELNS0_4arch9wavefront6targetE1EEEvT1_.uses_vcc, 0
	.set _ZN7rocprim17ROCPRIM_400000_NS6detail17trampoline_kernelINS0_14default_configENS1_25partition_config_selectorILNS1_17partition_subalgoE8EjNS0_10empty_typeEbEEZZNS1_14partition_implILS5_8ELb0ES3_jN6thrust23THRUST_200600_302600_NS6detail15normal_iteratorINSA_10device_ptrIjEEEEPS6_PKS6_NS0_5tupleIJSF_S6_EEENSJ_IJSG_SG_EEENS0_18inequality_wrapperINSA_8equal_toIjEEEEPmJS6_EEE10hipError_tPvRmT3_T4_T5_T6_T7_T9_mT8_P12ihipStream_tbDpT10_ENKUlT_T0_E_clISt17integral_constantIbLb1EES1A_EEDaS15_S16_EUlS15_E_NS1_11comp_targetILNS1_3genE9ELNS1_11target_archE1100ELNS1_3gpuE3ELNS1_3repE0EEENS1_30default_config_static_selectorELNS0_4arch9wavefront6targetE1EEEvT1_.uses_flat_scratch, 0
	.set _ZN7rocprim17ROCPRIM_400000_NS6detail17trampoline_kernelINS0_14default_configENS1_25partition_config_selectorILNS1_17partition_subalgoE8EjNS0_10empty_typeEbEEZZNS1_14partition_implILS5_8ELb0ES3_jN6thrust23THRUST_200600_302600_NS6detail15normal_iteratorINSA_10device_ptrIjEEEEPS6_PKS6_NS0_5tupleIJSF_S6_EEENSJ_IJSG_SG_EEENS0_18inequality_wrapperINSA_8equal_toIjEEEEPmJS6_EEE10hipError_tPvRmT3_T4_T5_T6_T7_T9_mT8_P12ihipStream_tbDpT10_ENKUlT_T0_E_clISt17integral_constantIbLb1EES1A_EEDaS15_S16_EUlS15_E_NS1_11comp_targetILNS1_3genE9ELNS1_11target_archE1100ELNS1_3gpuE3ELNS1_3repE0EEENS1_30default_config_static_selectorELNS0_4arch9wavefront6targetE1EEEvT1_.has_dyn_sized_stack, 0
	.set _ZN7rocprim17ROCPRIM_400000_NS6detail17trampoline_kernelINS0_14default_configENS1_25partition_config_selectorILNS1_17partition_subalgoE8EjNS0_10empty_typeEbEEZZNS1_14partition_implILS5_8ELb0ES3_jN6thrust23THRUST_200600_302600_NS6detail15normal_iteratorINSA_10device_ptrIjEEEEPS6_PKS6_NS0_5tupleIJSF_S6_EEENSJ_IJSG_SG_EEENS0_18inequality_wrapperINSA_8equal_toIjEEEEPmJS6_EEE10hipError_tPvRmT3_T4_T5_T6_T7_T9_mT8_P12ihipStream_tbDpT10_ENKUlT_T0_E_clISt17integral_constantIbLb1EES1A_EEDaS15_S16_EUlS15_E_NS1_11comp_targetILNS1_3genE9ELNS1_11target_archE1100ELNS1_3gpuE3ELNS1_3repE0EEENS1_30default_config_static_selectorELNS0_4arch9wavefront6targetE1EEEvT1_.has_recursion, 0
	.set _ZN7rocprim17ROCPRIM_400000_NS6detail17trampoline_kernelINS0_14default_configENS1_25partition_config_selectorILNS1_17partition_subalgoE8EjNS0_10empty_typeEbEEZZNS1_14partition_implILS5_8ELb0ES3_jN6thrust23THRUST_200600_302600_NS6detail15normal_iteratorINSA_10device_ptrIjEEEEPS6_PKS6_NS0_5tupleIJSF_S6_EEENSJ_IJSG_SG_EEENS0_18inequality_wrapperINSA_8equal_toIjEEEEPmJS6_EEE10hipError_tPvRmT3_T4_T5_T6_T7_T9_mT8_P12ihipStream_tbDpT10_ENKUlT_T0_E_clISt17integral_constantIbLb1EES1A_EEDaS15_S16_EUlS15_E_NS1_11comp_targetILNS1_3genE9ELNS1_11target_archE1100ELNS1_3gpuE3ELNS1_3repE0EEENS1_30default_config_static_selectorELNS0_4arch9wavefront6targetE1EEEvT1_.has_indirect_call, 0
	.section	.AMDGPU.csdata,"",@progbits
; Kernel info:
; codeLenInByte = 0
; TotalNumSgprs: 4
; NumVgprs: 0
; ScratchSize: 0
; MemoryBound: 0
; FloatMode: 240
; IeeeMode: 1
; LDSByteSize: 0 bytes/workgroup (compile time only)
; SGPRBlocks: 0
; VGPRBlocks: 0
; NumSGPRsForWavesPerEU: 4
; NumVGPRsForWavesPerEU: 1
; Occupancy: 10
; WaveLimiterHint : 0
; COMPUTE_PGM_RSRC2:SCRATCH_EN: 0
; COMPUTE_PGM_RSRC2:USER_SGPR: 6
; COMPUTE_PGM_RSRC2:TRAP_HANDLER: 0
; COMPUTE_PGM_RSRC2:TGID_X_EN: 1
; COMPUTE_PGM_RSRC2:TGID_Y_EN: 0
; COMPUTE_PGM_RSRC2:TGID_Z_EN: 0
; COMPUTE_PGM_RSRC2:TIDIG_COMP_CNT: 0
	.section	.text._ZN7rocprim17ROCPRIM_400000_NS6detail17trampoline_kernelINS0_14default_configENS1_25partition_config_selectorILNS1_17partition_subalgoE8EjNS0_10empty_typeEbEEZZNS1_14partition_implILS5_8ELb0ES3_jN6thrust23THRUST_200600_302600_NS6detail15normal_iteratorINSA_10device_ptrIjEEEEPS6_PKS6_NS0_5tupleIJSF_S6_EEENSJ_IJSG_SG_EEENS0_18inequality_wrapperINSA_8equal_toIjEEEEPmJS6_EEE10hipError_tPvRmT3_T4_T5_T6_T7_T9_mT8_P12ihipStream_tbDpT10_ENKUlT_T0_E_clISt17integral_constantIbLb1EES1A_EEDaS15_S16_EUlS15_E_NS1_11comp_targetILNS1_3genE8ELNS1_11target_archE1030ELNS1_3gpuE2ELNS1_3repE0EEENS1_30default_config_static_selectorELNS0_4arch9wavefront6targetE1EEEvT1_,"axG",@progbits,_ZN7rocprim17ROCPRIM_400000_NS6detail17trampoline_kernelINS0_14default_configENS1_25partition_config_selectorILNS1_17partition_subalgoE8EjNS0_10empty_typeEbEEZZNS1_14partition_implILS5_8ELb0ES3_jN6thrust23THRUST_200600_302600_NS6detail15normal_iteratorINSA_10device_ptrIjEEEEPS6_PKS6_NS0_5tupleIJSF_S6_EEENSJ_IJSG_SG_EEENS0_18inequality_wrapperINSA_8equal_toIjEEEEPmJS6_EEE10hipError_tPvRmT3_T4_T5_T6_T7_T9_mT8_P12ihipStream_tbDpT10_ENKUlT_T0_E_clISt17integral_constantIbLb1EES1A_EEDaS15_S16_EUlS15_E_NS1_11comp_targetILNS1_3genE8ELNS1_11target_archE1030ELNS1_3gpuE2ELNS1_3repE0EEENS1_30default_config_static_selectorELNS0_4arch9wavefront6targetE1EEEvT1_,comdat
	.protected	_ZN7rocprim17ROCPRIM_400000_NS6detail17trampoline_kernelINS0_14default_configENS1_25partition_config_selectorILNS1_17partition_subalgoE8EjNS0_10empty_typeEbEEZZNS1_14partition_implILS5_8ELb0ES3_jN6thrust23THRUST_200600_302600_NS6detail15normal_iteratorINSA_10device_ptrIjEEEEPS6_PKS6_NS0_5tupleIJSF_S6_EEENSJ_IJSG_SG_EEENS0_18inequality_wrapperINSA_8equal_toIjEEEEPmJS6_EEE10hipError_tPvRmT3_T4_T5_T6_T7_T9_mT8_P12ihipStream_tbDpT10_ENKUlT_T0_E_clISt17integral_constantIbLb1EES1A_EEDaS15_S16_EUlS15_E_NS1_11comp_targetILNS1_3genE8ELNS1_11target_archE1030ELNS1_3gpuE2ELNS1_3repE0EEENS1_30default_config_static_selectorELNS0_4arch9wavefront6targetE1EEEvT1_ ; -- Begin function _ZN7rocprim17ROCPRIM_400000_NS6detail17trampoline_kernelINS0_14default_configENS1_25partition_config_selectorILNS1_17partition_subalgoE8EjNS0_10empty_typeEbEEZZNS1_14partition_implILS5_8ELb0ES3_jN6thrust23THRUST_200600_302600_NS6detail15normal_iteratorINSA_10device_ptrIjEEEEPS6_PKS6_NS0_5tupleIJSF_S6_EEENSJ_IJSG_SG_EEENS0_18inequality_wrapperINSA_8equal_toIjEEEEPmJS6_EEE10hipError_tPvRmT3_T4_T5_T6_T7_T9_mT8_P12ihipStream_tbDpT10_ENKUlT_T0_E_clISt17integral_constantIbLb1EES1A_EEDaS15_S16_EUlS15_E_NS1_11comp_targetILNS1_3genE8ELNS1_11target_archE1030ELNS1_3gpuE2ELNS1_3repE0EEENS1_30default_config_static_selectorELNS0_4arch9wavefront6targetE1EEEvT1_
	.globl	_ZN7rocprim17ROCPRIM_400000_NS6detail17trampoline_kernelINS0_14default_configENS1_25partition_config_selectorILNS1_17partition_subalgoE8EjNS0_10empty_typeEbEEZZNS1_14partition_implILS5_8ELb0ES3_jN6thrust23THRUST_200600_302600_NS6detail15normal_iteratorINSA_10device_ptrIjEEEEPS6_PKS6_NS0_5tupleIJSF_S6_EEENSJ_IJSG_SG_EEENS0_18inequality_wrapperINSA_8equal_toIjEEEEPmJS6_EEE10hipError_tPvRmT3_T4_T5_T6_T7_T9_mT8_P12ihipStream_tbDpT10_ENKUlT_T0_E_clISt17integral_constantIbLb1EES1A_EEDaS15_S16_EUlS15_E_NS1_11comp_targetILNS1_3genE8ELNS1_11target_archE1030ELNS1_3gpuE2ELNS1_3repE0EEENS1_30default_config_static_selectorELNS0_4arch9wavefront6targetE1EEEvT1_
	.p2align	8
	.type	_ZN7rocprim17ROCPRIM_400000_NS6detail17trampoline_kernelINS0_14default_configENS1_25partition_config_selectorILNS1_17partition_subalgoE8EjNS0_10empty_typeEbEEZZNS1_14partition_implILS5_8ELb0ES3_jN6thrust23THRUST_200600_302600_NS6detail15normal_iteratorINSA_10device_ptrIjEEEEPS6_PKS6_NS0_5tupleIJSF_S6_EEENSJ_IJSG_SG_EEENS0_18inequality_wrapperINSA_8equal_toIjEEEEPmJS6_EEE10hipError_tPvRmT3_T4_T5_T6_T7_T9_mT8_P12ihipStream_tbDpT10_ENKUlT_T0_E_clISt17integral_constantIbLb1EES1A_EEDaS15_S16_EUlS15_E_NS1_11comp_targetILNS1_3genE8ELNS1_11target_archE1030ELNS1_3gpuE2ELNS1_3repE0EEENS1_30default_config_static_selectorELNS0_4arch9wavefront6targetE1EEEvT1_,@function
_ZN7rocprim17ROCPRIM_400000_NS6detail17trampoline_kernelINS0_14default_configENS1_25partition_config_selectorILNS1_17partition_subalgoE8EjNS0_10empty_typeEbEEZZNS1_14partition_implILS5_8ELb0ES3_jN6thrust23THRUST_200600_302600_NS6detail15normal_iteratorINSA_10device_ptrIjEEEEPS6_PKS6_NS0_5tupleIJSF_S6_EEENSJ_IJSG_SG_EEENS0_18inequality_wrapperINSA_8equal_toIjEEEEPmJS6_EEE10hipError_tPvRmT3_T4_T5_T6_T7_T9_mT8_P12ihipStream_tbDpT10_ENKUlT_T0_E_clISt17integral_constantIbLb1EES1A_EEDaS15_S16_EUlS15_E_NS1_11comp_targetILNS1_3genE8ELNS1_11target_archE1030ELNS1_3gpuE2ELNS1_3repE0EEENS1_30default_config_static_selectorELNS0_4arch9wavefront6targetE1EEEvT1_: ; @_ZN7rocprim17ROCPRIM_400000_NS6detail17trampoline_kernelINS0_14default_configENS1_25partition_config_selectorILNS1_17partition_subalgoE8EjNS0_10empty_typeEbEEZZNS1_14partition_implILS5_8ELb0ES3_jN6thrust23THRUST_200600_302600_NS6detail15normal_iteratorINSA_10device_ptrIjEEEEPS6_PKS6_NS0_5tupleIJSF_S6_EEENSJ_IJSG_SG_EEENS0_18inequality_wrapperINSA_8equal_toIjEEEEPmJS6_EEE10hipError_tPvRmT3_T4_T5_T6_T7_T9_mT8_P12ihipStream_tbDpT10_ENKUlT_T0_E_clISt17integral_constantIbLb1EES1A_EEDaS15_S16_EUlS15_E_NS1_11comp_targetILNS1_3genE8ELNS1_11target_archE1030ELNS1_3gpuE2ELNS1_3repE0EEENS1_30default_config_static_selectorELNS0_4arch9wavefront6targetE1EEEvT1_
; %bb.0:
	.section	.rodata,"a",@progbits
	.p2align	6, 0x0
	.amdhsa_kernel _ZN7rocprim17ROCPRIM_400000_NS6detail17trampoline_kernelINS0_14default_configENS1_25partition_config_selectorILNS1_17partition_subalgoE8EjNS0_10empty_typeEbEEZZNS1_14partition_implILS5_8ELb0ES3_jN6thrust23THRUST_200600_302600_NS6detail15normal_iteratorINSA_10device_ptrIjEEEEPS6_PKS6_NS0_5tupleIJSF_S6_EEENSJ_IJSG_SG_EEENS0_18inequality_wrapperINSA_8equal_toIjEEEEPmJS6_EEE10hipError_tPvRmT3_T4_T5_T6_T7_T9_mT8_P12ihipStream_tbDpT10_ENKUlT_T0_E_clISt17integral_constantIbLb1EES1A_EEDaS15_S16_EUlS15_E_NS1_11comp_targetILNS1_3genE8ELNS1_11target_archE1030ELNS1_3gpuE2ELNS1_3repE0EEENS1_30default_config_static_selectorELNS0_4arch9wavefront6targetE1EEEvT1_
		.amdhsa_group_segment_fixed_size 0
		.amdhsa_private_segment_fixed_size 0
		.amdhsa_kernarg_size 128
		.amdhsa_user_sgpr_count 6
		.amdhsa_user_sgpr_private_segment_buffer 1
		.amdhsa_user_sgpr_dispatch_ptr 0
		.amdhsa_user_sgpr_queue_ptr 0
		.amdhsa_user_sgpr_kernarg_segment_ptr 1
		.amdhsa_user_sgpr_dispatch_id 0
		.amdhsa_user_sgpr_flat_scratch_init 0
		.amdhsa_user_sgpr_private_segment_size 0
		.amdhsa_uses_dynamic_stack 0
		.amdhsa_system_sgpr_private_segment_wavefront_offset 0
		.amdhsa_system_sgpr_workgroup_id_x 1
		.amdhsa_system_sgpr_workgroup_id_y 0
		.amdhsa_system_sgpr_workgroup_id_z 0
		.amdhsa_system_sgpr_workgroup_info 0
		.amdhsa_system_vgpr_workitem_id 0
		.amdhsa_next_free_vgpr 1
		.amdhsa_next_free_sgpr 0
		.amdhsa_reserve_vcc 0
		.amdhsa_reserve_flat_scratch 0
		.amdhsa_float_round_mode_32 0
		.amdhsa_float_round_mode_16_64 0
		.amdhsa_float_denorm_mode_32 3
		.amdhsa_float_denorm_mode_16_64 3
		.amdhsa_dx10_clamp 1
		.amdhsa_ieee_mode 1
		.amdhsa_fp16_overflow 0
		.amdhsa_exception_fp_ieee_invalid_op 0
		.amdhsa_exception_fp_denorm_src 0
		.amdhsa_exception_fp_ieee_div_zero 0
		.amdhsa_exception_fp_ieee_overflow 0
		.amdhsa_exception_fp_ieee_underflow 0
		.amdhsa_exception_fp_ieee_inexact 0
		.amdhsa_exception_int_div_zero 0
	.end_amdhsa_kernel
	.section	.text._ZN7rocprim17ROCPRIM_400000_NS6detail17trampoline_kernelINS0_14default_configENS1_25partition_config_selectorILNS1_17partition_subalgoE8EjNS0_10empty_typeEbEEZZNS1_14partition_implILS5_8ELb0ES3_jN6thrust23THRUST_200600_302600_NS6detail15normal_iteratorINSA_10device_ptrIjEEEEPS6_PKS6_NS0_5tupleIJSF_S6_EEENSJ_IJSG_SG_EEENS0_18inequality_wrapperINSA_8equal_toIjEEEEPmJS6_EEE10hipError_tPvRmT3_T4_T5_T6_T7_T9_mT8_P12ihipStream_tbDpT10_ENKUlT_T0_E_clISt17integral_constantIbLb1EES1A_EEDaS15_S16_EUlS15_E_NS1_11comp_targetILNS1_3genE8ELNS1_11target_archE1030ELNS1_3gpuE2ELNS1_3repE0EEENS1_30default_config_static_selectorELNS0_4arch9wavefront6targetE1EEEvT1_,"axG",@progbits,_ZN7rocprim17ROCPRIM_400000_NS6detail17trampoline_kernelINS0_14default_configENS1_25partition_config_selectorILNS1_17partition_subalgoE8EjNS0_10empty_typeEbEEZZNS1_14partition_implILS5_8ELb0ES3_jN6thrust23THRUST_200600_302600_NS6detail15normal_iteratorINSA_10device_ptrIjEEEEPS6_PKS6_NS0_5tupleIJSF_S6_EEENSJ_IJSG_SG_EEENS0_18inequality_wrapperINSA_8equal_toIjEEEEPmJS6_EEE10hipError_tPvRmT3_T4_T5_T6_T7_T9_mT8_P12ihipStream_tbDpT10_ENKUlT_T0_E_clISt17integral_constantIbLb1EES1A_EEDaS15_S16_EUlS15_E_NS1_11comp_targetILNS1_3genE8ELNS1_11target_archE1030ELNS1_3gpuE2ELNS1_3repE0EEENS1_30default_config_static_selectorELNS0_4arch9wavefront6targetE1EEEvT1_,comdat
.Lfunc_end225:
	.size	_ZN7rocprim17ROCPRIM_400000_NS6detail17trampoline_kernelINS0_14default_configENS1_25partition_config_selectorILNS1_17partition_subalgoE8EjNS0_10empty_typeEbEEZZNS1_14partition_implILS5_8ELb0ES3_jN6thrust23THRUST_200600_302600_NS6detail15normal_iteratorINSA_10device_ptrIjEEEEPS6_PKS6_NS0_5tupleIJSF_S6_EEENSJ_IJSG_SG_EEENS0_18inequality_wrapperINSA_8equal_toIjEEEEPmJS6_EEE10hipError_tPvRmT3_T4_T5_T6_T7_T9_mT8_P12ihipStream_tbDpT10_ENKUlT_T0_E_clISt17integral_constantIbLb1EES1A_EEDaS15_S16_EUlS15_E_NS1_11comp_targetILNS1_3genE8ELNS1_11target_archE1030ELNS1_3gpuE2ELNS1_3repE0EEENS1_30default_config_static_selectorELNS0_4arch9wavefront6targetE1EEEvT1_, .Lfunc_end225-_ZN7rocprim17ROCPRIM_400000_NS6detail17trampoline_kernelINS0_14default_configENS1_25partition_config_selectorILNS1_17partition_subalgoE8EjNS0_10empty_typeEbEEZZNS1_14partition_implILS5_8ELb0ES3_jN6thrust23THRUST_200600_302600_NS6detail15normal_iteratorINSA_10device_ptrIjEEEEPS6_PKS6_NS0_5tupleIJSF_S6_EEENSJ_IJSG_SG_EEENS0_18inequality_wrapperINSA_8equal_toIjEEEEPmJS6_EEE10hipError_tPvRmT3_T4_T5_T6_T7_T9_mT8_P12ihipStream_tbDpT10_ENKUlT_T0_E_clISt17integral_constantIbLb1EES1A_EEDaS15_S16_EUlS15_E_NS1_11comp_targetILNS1_3genE8ELNS1_11target_archE1030ELNS1_3gpuE2ELNS1_3repE0EEENS1_30default_config_static_selectorELNS0_4arch9wavefront6targetE1EEEvT1_
                                        ; -- End function
	.set _ZN7rocprim17ROCPRIM_400000_NS6detail17trampoline_kernelINS0_14default_configENS1_25partition_config_selectorILNS1_17partition_subalgoE8EjNS0_10empty_typeEbEEZZNS1_14partition_implILS5_8ELb0ES3_jN6thrust23THRUST_200600_302600_NS6detail15normal_iteratorINSA_10device_ptrIjEEEEPS6_PKS6_NS0_5tupleIJSF_S6_EEENSJ_IJSG_SG_EEENS0_18inequality_wrapperINSA_8equal_toIjEEEEPmJS6_EEE10hipError_tPvRmT3_T4_T5_T6_T7_T9_mT8_P12ihipStream_tbDpT10_ENKUlT_T0_E_clISt17integral_constantIbLb1EES1A_EEDaS15_S16_EUlS15_E_NS1_11comp_targetILNS1_3genE8ELNS1_11target_archE1030ELNS1_3gpuE2ELNS1_3repE0EEENS1_30default_config_static_selectorELNS0_4arch9wavefront6targetE1EEEvT1_.num_vgpr, 0
	.set _ZN7rocprim17ROCPRIM_400000_NS6detail17trampoline_kernelINS0_14default_configENS1_25partition_config_selectorILNS1_17partition_subalgoE8EjNS0_10empty_typeEbEEZZNS1_14partition_implILS5_8ELb0ES3_jN6thrust23THRUST_200600_302600_NS6detail15normal_iteratorINSA_10device_ptrIjEEEEPS6_PKS6_NS0_5tupleIJSF_S6_EEENSJ_IJSG_SG_EEENS0_18inequality_wrapperINSA_8equal_toIjEEEEPmJS6_EEE10hipError_tPvRmT3_T4_T5_T6_T7_T9_mT8_P12ihipStream_tbDpT10_ENKUlT_T0_E_clISt17integral_constantIbLb1EES1A_EEDaS15_S16_EUlS15_E_NS1_11comp_targetILNS1_3genE8ELNS1_11target_archE1030ELNS1_3gpuE2ELNS1_3repE0EEENS1_30default_config_static_selectorELNS0_4arch9wavefront6targetE1EEEvT1_.num_agpr, 0
	.set _ZN7rocprim17ROCPRIM_400000_NS6detail17trampoline_kernelINS0_14default_configENS1_25partition_config_selectorILNS1_17partition_subalgoE8EjNS0_10empty_typeEbEEZZNS1_14partition_implILS5_8ELb0ES3_jN6thrust23THRUST_200600_302600_NS6detail15normal_iteratorINSA_10device_ptrIjEEEEPS6_PKS6_NS0_5tupleIJSF_S6_EEENSJ_IJSG_SG_EEENS0_18inequality_wrapperINSA_8equal_toIjEEEEPmJS6_EEE10hipError_tPvRmT3_T4_T5_T6_T7_T9_mT8_P12ihipStream_tbDpT10_ENKUlT_T0_E_clISt17integral_constantIbLb1EES1A_EEDaS15_S16_EUlS15_E_NS1_11comp_targetILNS1_3genE8ELNS1_11target_archE1030ELNS1_3gpuE2ELNS1_3repE0EEENS1_30default_config_static_selectorELNS0_4arch9wavefront6targetE1EEEvT1_.numbered_sgpr, 0
	.set _ZN7rocprim17ROCPRIM_400000_NS6detail17trampoline_kernelINS0_14default_configENS1_25partition_config_selectorILNS1_17partition_subalgoE8EjNS0_10empty_typeEbEEZZNS1_14partition_implILS5_8ELb0ES3_jN6thrust23THRUST_200600_302600_NS6detail15normal_iteratorINSA_10device_ptrIjEEEEPS6_PKS6_NS0_5tupleIJSF_S6_EEENSJ_IJSG_SG_EEENS0_18inequality_wrapperINSA_8equal_toIjEEEEPmJS6_EEE10hipError_tPvRmT3_T4_T5_T6_T7_T9_mT8_P12ihipStream_tbDpT10_ENKUlT_T0_E_clISt17integral_constantIbLb1EES1A_EEDaS15_S16_EUlS15_E_NS1_11comp_targetILNS1_3genE8ELNS1_11target_archE1030ELNS1_3gpuE2ELNS1_3repE0EEENS1_30default_config_static_selectorELNS0_4arch9wavefront6targetE1EEEvT1_.num_named_barrier, 0
	.set _ZN7rocprim17ROCPRIM_400000_NS6detail17trampoline_kernelINS0_14default_configENS1_25partition_config_selectorILNS1_17partition_subalgoE8EjNS0_10empty_typeEbEEZZNS1_14partition_implILS5_8ELb0ES3_jN6thrust23THRUST_200600_302600_NS6detail15normal_iteratorINSA_10device_ptrIjEEEEPS6_PKS6_NS0_5tupleIJSF_S6_EEENSJ_IJSG_SG_EEENS0_18inequality_wrapperINSA_8equal_toIjEEEEPmJS6_EEE10hipError_tPvRmT3_T4_T5_T6_T7_T9_mT8_P12ihipStream_tbDpT10_ENKUlT_T0_E_clISt17integral_constantIbLb1EES1A_EEDaS15_S16_EUlS15_E_NS1_11comp_targetILNS1_3genE8ELNS1_11target_archE1030ELNS1_3gpuE2ELNS1_3repE0EEENS1_30default_config_static_selectorELNS0_4arch9wavefront6targetE1EEEvT1_.private_seg_size, 0
	.set _ZN7rocprim17ROCPRIM_400000_NS6detail17trampoline_kernelINS0_14default_configENS1_25partition_config_selectorILNS1_17partition_subalgoE8EjNS0_10empty_typeEbEEZZNS1_14partition_implILS5_8ELb0ES3_jN6thrust23THRUST_200600_302600_NS6detail15normal_iteratorINSA_10device_ptrIjEEEEPS6_PKS6_NS0_5tupleIJSF_S6_EEENSJ_IJSG_SG_EEENS0_18inequality_wrapperINSA_8equal_toIjEEEEPmJS6_EEE10hipError_tPvRmT3_T4_T5_T6_T7_T9_mT8_P12ihipStream_tbDpT10_ENKUlT_T0_E_clISt17integral_constantIbLb1EES1A_EEDaS15_S16_EUlS15_E_NS1_11comp_targetILNS1_3genE8ELNS1_11target_archE1030ELNS1_3gpuE2ELNS1_3repE0EEENS1_30default_config_static_selectorELNS0_4arch9wavefront6targetE1EEEvT1_.uses_vcc, 0
	.set _ZN7rocprim17ROCPRIM_400000_NS6detail17trampoline_kernelINS0_14default_configENS1_25partition_config_selectorILNS1_17partition_subalgoE8EjNS0_10empty_typeEbEEZZNS1_14partition_implILS5_8ELb0ES3_jN6thrust23THRUST_200600_302600_NS6detail15normal_iteratorINSA_10device_ptrIjEEEEPS6_PKS6_NS0_5tupleIJSF_S6_EEENSJ_IJSG_SG_EEENS0_18inequality_wrapperINSA_8equal_toIjEEEEPmJS6_EEE10hipError_tPvRmT3_T4_T5_T6_T7_T9_mT8_P12ihipStream_tbDpT10_ENKUlT_T0_E_clISt17integral_constantIbLb1EES1A_EEDaS15_S16_EUlS15_E_NS1_11comp_targetILNS1_3genE8ELNS1_11target_archE1030ELNS1_3gpuE2ELNS1_3repE0EEENS1_30default_config_static_selectorELNS0_4arch9wavefront6targetE1EEEvT1_.uses_flat_scratch, 0
	.set _ZN7rocprim17ROCPRIM_400000_NS6detail17trampoline_kernelINS0_14default_configENS1_25partition_config_selectorILNS1_17partition_subalgoE8EjNS0_10empty_typeEbEEZZNS1_14partition_implILS5_8ELb0ES3_jN6thrust23THRUST_200600_302600_NS6detail15normal_iteratorINSA_10device_ptrIjEEEEPS6_PKS6_NS0_5tupleIJSF_S6_EEENSJ_IJSG_SG_EEENS0_18inequality_wrapperINSA_8equal_toIjEEEEPmJS6_EEE10hipError_tPvRmT3_T4_T5_T6_T7_T9_mT8_P12ihipStream_tbDpT10_ENKUlT_T0_E_clISt17integral_constantIbLb1EES1A_EEDaS15_S16_EUlS15_E_NS1_11comp_targetILNS1_3genE8ELNS1_11target_archE1030ELNS1_3gpuE2ELNS1_3repE0EEENS1_30default_config_static_selectorELNS0_4arch9wavefront6targetE1EEEvT1_.has_dyn_sized_stack, 0
	.set _ZN7rocprim17ROCPRIM_400000_NS6detail17trampoline_kernelINS0_14default_configENS1_25partition_config_selectorILNS1_17partition_subalgoE8EjNS0_10empty_typeEbEEZZNS1_14partition_implILS5_8ELb0ES3_jN6thrust23THRUST_200600_302600_NS6detail15normal_iteratorINSA_10device_ptrIjEEEEPS6_PKS6_NS0_5tupleIJSF_S6_EEENSJ_IJSG_SG_EEENS0_18inequality_wrapperINSA_8equal_toIjEEEEPmJS6_EEE10hipError_tPvRmT3_T4_T5_T6_T7_T9_mT8_P12ihipStream_tbDpT10_ENKUlT_T0_E_clISt17integral_constantIbLb1EES1A_EEDaS15_S16_EUlS15_E_NS1_11comp_targetILNS1_3genE8ELNS1_11target_archE1030ELNS1_3gpuE2ELNS1_3repE0EEENS1_30default_config_static_selectorELNS0_4arch9wavefront6targetE1EEEvT1_.has_recursion, 0
	.set _ZN7rocprim17ROCPRIM_400000_NS6detail17trampoline_kernelINS0_14default_configENS1_25partition_config_selectorILNS1_17partition_subalgoE8EjNS0_10empty_typeEbEEZZNS1_14partition_implILS5_8ELb0ES3_jN6thrust23THRUST_200600_302600_NS6detail15normal_iteratorINSA_10device_ptrIjEEEEPS6_PKS6_NS0_5tupleIJSF_S6_EEENSJ_IJSG_SG_EEENS0_18inequality_wrapperINSA_8equal_toIjEEEEPmJS6_EEE10hipError_tPvRmT3_T4_T5_T6_T7_T9_mT8_P12ihipStream_tbDpT10_ENKUlT_T0_E_clISt17integral_constantIbLb1EES1A_EEDaS15_S16_EUlS15_E_NS1_11comp_targetILNS1_3genE8ELNS1_11target_archE1030ELNS1_3gpuE2ELNS1_3repE0EEENS1_30default_config_static_selectorELNS0_4arch9wavefront6targetE1EEEvT1_.has_indirect_call, 0
	.section	.AMDGPU.csdata,"",@progbits
; Kernel info:
; codeLenInByte = 0
; TotalNumSgprs: 4
; NumVgprs: 0
; ScratchSize: 0
; MemoryBound: 0
; FloatMode: 240
; IeeeMode: 1
; LDSByteSize: 0 bytes/workgroup (compile time only)
; SGPRBlocks: 0
; VGPRBlocks: 0
; NumSGPRsForWavesPerEU: 4
; NumVGPRsForWavesPerEU: 1
; Occupancy: 10
; WaveLimiterHint : 0
; COMPUTE_PGM_RSRC2:SCRATCH_EN: 0
; COMPUTE_PGM_RSRC2:USER_SGPR: 6
; COMPUTE_PGM_RSRC2:TRAP_HANDLER: 0
; COMPUTE_PGM_RSRC2:TGID_X_EN: 1
; COMPUTE_PGM_RSRC2:TGID_Y_EN: 0
; COMPUTE_PGM_RSRC2:TGID_Z_EN: 0
; COMPUTE_PGM_RSRC2:TIDIG_COMP_CNT: 0
	.section	.text._ZN7rocprim17ROCPRIM_400000_NS6detail17trampoline_kernelINS0_14default_configENS1_25partition_config_selectorILNS1_17partition_subalgoE8EjNS0_10empty_typeEbEEZZNS1_14partition_implILS5_8ELb0ES3_jN6thrust23THRUST_200600_302600_NS6detail15normal_iteratorINSA_10device_ptrIjEEEEPS6_PKS6_NS0_5tupleIJSF_S6_EEENSJ_IJSG_SG_EEENS0_18inequality_wrapperINSA_8equal_toIjEEEEPmJS6_EEE10hipError_tPvRmT3_T4_T5_T6_T7_T9_mT8_P12ihipStream_tbDpT10_ENKUlT_T0_E_clISt17integral_constantIbLb1EES19_IbLb0EEEEDaS15_S16_EUlS15_E_NS1_11comp_targetILNS1_3genE0ELNS1_11target_archE4294967295ELNS1_3gpuE0ELNS1_3repE0EEENS1_30default_config_static_selectorELNS0_4arch9wavefront6targetE1EEEvT1_,"axG",@progbits,_ZN7rocprim17ROCPRIM_400000_NS6detail17trampoline_kernelINS0_14default_configENS1_25partition_config_selectorILNS1_17partition_subalgoE8EjNS0_10empty_typeEbEEZZNS1_14partition_implILS5_8ELb0ES3_jN6thrust23THRUST_200600_302600_NS6detail15normal_iteratorINSA_10device_ptrIjEEEEPS6_PKS6_NS0_5tupleIJSF_S6_EEENSJ_IJSG_SG_EEENS0_18inequality_wrapperINSA_8equal_toIjEEEEPmJS6_EEE10hipError_tPvRmT3_T4_T5_T6_T7_T9_mT8_P12ihipStream_tbDpT10_ENKUlT_T0_E_clISt17integral_constantIbLb1EES19_IbLb0EEEEDaS15_S16_EUlS15_E_NS1_11comp_targetILNS1_3genE0ELNS1_11target_archE4294967295ELNS1_3gpuE0ELNS1_3repE0EEENS1_30default_config_static_selectorELNS0_4arch9wavefront6targetE1EEEvT1_,comdat
	.protected	_ZN7rocprim17ROCPRIM_400000_NS6detail17trampoline_kernelINS0_14default_configENS1_25partition_config_selectorILNS1_17partition_subalgoE8EjNS0_10empty_typeEbEEZZNS1_14partition_implILS5_8ELb0ES3_jN6thrust23THRUST_200600_302600_NS6detail15normal_iteratorINSA_10device_ptrIjEEEEPS6_PKS6_NS0_5tupleIJSF_S6_EEENSJ_IJSG_SG_EEENS0_18inequality_wrapperINSA_8equal_toIjEEEEPmJS6_EEE10hipError_tPvRmT3_T4_T5_T6_T7_T9_mT8_P12ihipStream_tbDpT10_ENKUlT_T0_E_clISt17integral_constantIbLb1EES19_IbLb0EEEEDaS15_S16_EUlS15_E_NS1_11comp_targetILNS1_3genE0ELNS1_11target_archE4294967295ELNS1_3gpuE0ELNS1_3repE0EEENS1_30default_config_static_selectorELNS0_4arch9wavefront6targetE1EEEvT1_ ; -- Begin function _ZN7rocprim17ROCPRIM_400000_NS6detail17trampoline_kernelINS0_14default_configENS1_25partition_config_selectorILNS1_17partition_subalgoE8EjNS0_10empty_typeEbEEZZNS1_14partition_implILS5_8ELb0ES3_jN6thrust23THRUST_200600_302600_NS6detail15normal_iteratorINSA_10device_ptrIjEEEEPS6_PKS6_NS0_5tupleIJSF_S6_EEENSJ_IJSG_SG_EEENS0_18inequality_wrapperINSA_8equal_toIjEEEEPmJS6_EEE10hipError_tPvRmT3_T4_T5_T6_T7_T9_mT8_P12ihipStream_tbDpT10_ENKUlT_T0_E_clISt17integral_constantIbLb1EES19_IbLb0EEEEDaS15_S16_EUlS15_E_NS1_11comp_targetILNS1_3genE0ELNS1_11target_archE4294967295ELNS1_3gpuE0ELNS1_3repE0EEENS1_30default_config_static_selectorELNS0_4arch9wavefront6targetE1EEEvT1_
	.globl	_ZN7rocprim17ROCPRIM_400000_NS6detail17trampoline_kernelINS0_14default_configENS1_25partition_config_selectorILNS1_17partition_subalgoE8EjNS0_10empty_typeEbEEZZNS1_14partition_implILS5_8ELb0ES3_jN6thrust23THRUST_200600_302600_NS6detail15normal_iteratorINSA_10device_ptrIjEEEEPS6_PKS6_NS0_5tupleIJSF_S6_EEENSJ_IJSG_SG_EEENS0_18inequality_wrapperINSA_8equal_toIjEEEEPmJS6_EEE10hipError_tPvRmT3_T4_T5_T6_T7_T9_mT8_P12ihipStream_tbDpT10_ENKUlT_T0_E_clISt17integral_constantIbLb1EES19_IbLb0EEEEDaS15_S16_EUlS15_E_NS1_11comp_targetILNS1_3genE0ELNS1_11target_archE4294967295ELNS1_3gpuE0ELNS1_3repE0EEENS1_30default_config_static_selectorELNS0_4arch9wavefront6targetE1EEEvT1_
	.p2align	8
	.type	_ZN7rocprim17ROCPRIM_400000_NS6detail17trampoline_kernelINS0_14default_configENS1_25partition_config_selectorILNS1_17partition_subalgoE8EjNS0_10empty_typeEbEEZZNS1_14partition_implILS5_8ELb0ES3_jN6thrust23THRUST_200600_302600_NS6detail15normal_iteratorINSA_10device_ptrIjEEEEPS6_PKS6_NS0_5tupleIJSF_S6_EEENSJ_IJSG_SG_EEENS0_18inequality_wrapperINSA_8equal_toIjEEEEPmJS6_EEE10hipError_tPvRmT3_T4_T5_T6_T7_T9_mT8_P12ihipStream_tbDpT10_ENKUlT_T0_E_clISt17integral_constantIbLb1EES19_IbLb0EEEEDaS15_S16_EUlS15_E_NS1_11comp_targetILNS1_3genE0ELNS1_11target_archE4294967295ELNS1_3gpuE0ELNS1_3repE0EEENS1_30default_config_static_selectorELNS0_4arch9wavefront6targetE1EEEvT1_,@function
_ZN7rocprim17ROCPRIM_400000_NS6detail17trampoline_kernelINS0_14default_configENS1_25partition_config_selectorILNS1_17partition_subalgoE8EjNS0_10empty_typeEbEEZZNS1_14partition_implILS5_8ELb0ES3_jN6thrust23THRUST_200600_302600_NS6detail15normal_iteratorINSA_10device_ptrIjEEEEPS6_PKS6_NS0_5tupleIJSF_S6_EEENSJ_IJSG_SG_EEENS0_18inequality_wrapperINSA_8equal_toIjEEEEPmJS6_EEE10hipError_tPvRmT3_T4_T5_T6_T7_T9_mT8_P12ihipStream_tbDpT10_ENKUlT_T0_E_clISt17integral_constantIbLb1EES19_IbLb0EEEEDaS15_S16_EUlS15_E_NS1_11comp_targetILNS1_3genE0ELNS1_11target_archE4294967295ELNS1_3gpuE0ELNS1_3repE0EEENS1_30default_config_static_selectorELNS0_4arch9wavefront6targetE1EEEvT1_: ; @_ZN7rocprim17ROCPRIM_400000_NS6detail17trampoline_kernelINS0_14default_configENS1_25partition_config_selectorILNS1_17partition_subalgoE8EjNS0_10empty_typeEbEEZZNS1_14partition_implILS5_8ELb0ES3_jN6thrust23THRUST_200600_302600_NS6detail15normal_iteratorINSA_10device_ptrIjEEEEPS6_PKS6_NS0_5tupleIJSF_S6_EEENSJ_IJSG_SG_EEENS0_18inequality_wrapperINSA_8equal_toIjEEEEPmJS6_EEE10hipError_tPvRmT3_T4_T5_T6_T7_T9_mT8_P12ihipStream_tbDpT10_ENKUlT_T0_E_clISt17integral_constantIbLb1EES19_IbLb0EEEEDaS15_S16_EUlS15_E_NS1_11comp_targetILNS1_3genE0ELNS1_11target_archE4294967295ELNS1_3gpuE0ELNS1_3repE0EEENS1_30default_config_static_selectorELNS0_4arch9wavefront6targetE1EEEvT1_
; %bb.0:
	.section	.rodata,"a",@progbits
	.p2align	6, 0x0
	.amdhsa_kernel _ZN7rocprim17ROCPRIM_400000_NS6detail17trampoline_kernelINS0_14default_configENS1_25partition_config_selectorILNS1_17partition_subalgoE8EjNS0_10empty_typeEbEEZZNS1_14partition_implILS5_8ELb0ES3_jN6thrust23THRUST_200600_302600_NS6detail15normal_iteratorINSA_10device_ptrIjEEEEPS6_PKS6_NS0_5tupleIJSF_S6_EEENSJ_IJSG_SG_EEENS0_18inequality_wrapperINSA_8equal_toIjEEEEPmJS6_EEE10hipError_tPvRmT3_T4_T5_T6_T7_T9_mT8_P12ihipStream_tbDpT10_ENKUlT_T0_E_clISt17integral_constantIbLb1EES19_IbLb0EEEEDaS15_S16_EUlS15_E_NS1_11comp_targetILNS1_3genE0ELNS1_11target_archE4294967295ELNS1_3gpuE0ELNS1_3repE0EEENS1_30default_config_static_selectorELNS0_4arch9wavefront6targetE1EEEvT1_
		.amdhsa_group_segment_fixed_size 0
		.amdhsa_private_segment_fixed_size 0
		.amdhsa_kernarg_size 112
		.amdhsa_user_sgpr_count 6
		.amdhsa_user_sgpr_private_segment_buffer 1
		.amdhsa_user_sgpr_dispatch_ptr 0
		.amdhsa_user_sgpr_queue_ptr 0
		.amdhsa_user_sgpr_kernarg_segment_ptr 1
		.amdhsa_user_sgpr_dispatch_id 0
		.amdhsa_user_sgpr_flat_scratch_init 0
		.amdhsa_user_sgpr_private_segment_size 0
		.amdhsa_uses_dynamic_stack 0
		.amdhsa_system_sgpr_private_segment_wavefront_offset 0
		.amdhsa_system_sgpr_workgroup_id_x 1
		.amdhsa_system_sgpr_workgroup_id_y 0
		.amdhsa_system_sgpr_workgroup_id_z 0
		.amdhsa_system_sgpr_workgroup_info 0
		.amdhsa_system_vgpr_workitem_id 0
		.amdhsa_next_free_vgpr 1
		.amdhsa_next_free_sgpr 0
		.amdhsa_reserve_vcc 0
		.amdhsa_reserve_flat_scratch 0
		.amdhsa_float_round_mode_32 0
		.amdhsa_float_round_mode_16_64 0
		.amdhsa_float_denorm_mode_32 3
		.amdhsa_float_denorm_mode_16_64 3
		.amdhsa_dx10_clamp 1
		.amdhsa_ieee_mode 1
		.amdhsa_fp16_overflow 0
		.amdhsa_exception_fp_ieee_invalid_op 0
		.amdhsa_exception_fp_denorm_src 0
		.amdhsa_exception_fp_ieee_div_zero 0
		.amdhsa_exception_fp_ieee_overflow 0
		.amdhsa_exception_fp_ieee_underflow 0
		.amdhsa_exception_fp_ieee_inexact 0
		.amdhsa_exception_int_div_zero 0
	.end_amdhsa_kernel
	.section	.text._ZN7rocprim17ROCPRIM_400000_NS6detail17trampoline_kernelINS0_14default_configENS1_25partition_config_selectorILNS1_17partition_subalgoE8EjNS0_10empty_typeEbEEZZNS1_14partition_implILS5_8ELb0ES3_jN6thrust23THRUST_200600_302600_NS6detail15normal_iteratorINSA_10device_ptrIjEEEEPS6_PKS6_NS0_5tupleIJSF_S6_EEENSJ_IJSG_SG_EEENS0_18inequality_wrapperINSA_8equal_toIjEEEEPmJS6_EEE10hipError_tPvRmT3_T4_T5_T6_T7_T9_mT8_P12ihipStream_tbDpT10_ENKUlT_T0_E_clISt17integral_constantIbLb1EES19_IbLb0EEEEDaS15_S16_EUlS15_E_NS1_11comp_targetILNS1_3genE0ELNS1_11target_archE4294967295ELNS1_3gpuE0ELNS1_3repE0EEENS1_30default_config_static_selectorELNS0_4arch9wavefront6targetE1EEEvT1_,"axG",@progbits,_ZN7rocprim17ROCPRIM_400000_NS6detail17trampoline_kernelINS0_14default_configENS1_25partition_config_selectorILNS1_17partition_subalgoE8EjNS0_10empty_typeEbEEZZNS1_14partition_implILS5_8ELb0ES3_jN6thrust23THRUST_200600_302600_NS6detail15normal_iteratorINSA_10device_ptrIjEEEEPS6_PKS6_NS0_5tupleIJSF_S6_EEENSJ_IJSG_SG_EEENS0_18inequality_wrapperINSA_8equal_toIjEEEEPmJS6_EEE10hipError_tPvRmT3_T4_T5_T6_T7_T9_mT8_P12ihipStream_tbDpT10_ENKUlT_T0_E_clISt17integral_constantIbLb1EES19_IbLb0EEEEDaS15_S16_EUlS15_E_NS1_11comp_targetILNS1_3genE0ELNS1_11target_archE4294967295ELNS1_3gpuE0ELNS1_3repE0EEENS1_30default_config_static_selectorELNS0_4arch9wavefront6targetE1EEEvT1_,comdat
.Lfunc_end226:
	.size	_ZN7rocprim17ROCPRIM_400000_NS6detail17trampoline_kernelINS0_14default_configENS1_25partition_config_selectorILNS1_17partition_subalgoE8EjNS0_10empty_typeEbEEZZNS1_14partition_implILS5_8ELb0ES3_jN6thrust23THRUST_200600_302600_NS6detail15normal_iteratorINSA_10device_ptrIjEEEEPS6_PKS6_NS0_5tupleIJSF_S6_EEENSJ_IJSG_SG_EEENS0_18inequality_wrapperINSA_8equal_toIjEEEEPmJS6_EEE10hipError_tPvRmT3_T4_T5_T6_T7_T9_mT8_P12ihipStream_tbDpT10_ENKUlT_T0_E_clISt17integral_constantIbLb1EES19_IbLb0EEEEDaS15_S16_EUlS15_E_NS1_11comp_targetILNS1_3genE0ELNS1_11target_archE4294967295ELNS1_3gpuE0ELNS1_3repE0EEENS1_30default_config_static_selectorELNS0_4arch9wavefront6targetE1EEEvT1_, .Lfunc_end226-_ZN7rocprim17ROCPRIM_400000_NS6detail17trampoline_kernelINS0_14default_configENS1_25partition_config_selectorILNS1_17partition_subalgoE8EjNS0_10empty_typeEbEEZZNS1_14partition_implILS5_8ELb0ES3_jN6thrust23THRUST_200600_302600_NS6detail15normal_iteratorINSA_10device_ptrIjEEEEPS6_PKS6_NS0_5tupleIJSF_S6_EEENSJ_IJSG_SG_EEENS0_18inequality_wrapperINSA_8equal_toIjEEEEPmJS6_EEE10hipError_tPvRmT3_T4_T5_T6_T7_T9_mT8_P12ihipStream_tbDpT10_ENKUlT_T0_E_clISt17integral_constantIbLb1EES19_IbLb0EEEEDaS15_S16_EUlS15_E_NS1_11comp_targetILNS1_3genE0ELNS1_11target_archE4294967295ELNS1_3gpuE0ELNS1_3repE0EEENS1_30default_config_static_selectorELNS0_4arch9wavefront6targetE1EEEvT1_
                                        ; -- End function
	.set _ZN7rocprim17ROCPRIM_400000_NS6detail17trampoline_kernelINS0_14default_configENS1_25partition_config_selectorILNS1_17partition_subalgoE8EjNS0_10empty_typeEbEEZZNS1_14partition_implILS5_8ELb0ES3_jN6thrust23THRUST_200600_302600_NS6detail15normal_iteratorINSA_10device_ptrIjEEEEPS6_PKS6_NS0_5tupleIJSF_S6_EEENSJ_IJSG_SG_EEENS0_18inequality_wrapperINSA_8equal_toIjEEEEPmJS6_EEE10hipError_tPvRmT3_T4_T5_T6_T7_T9_mT8_P12ihipStream_tbDpT10_ENKUlT_T0_E_clISt17integral_constantIbLb1EES19_IbLb0EEEEDaS15_S16_EUlS15_E_NS1_11comp_targetILNS1_3genE0ELNS1_11target_archE4294967295ELNS1_3gpuE0ELNS1_3repE0EEENS1_30default_config_static_selectorELNS0_4arch9wavefront6targetE1EEEvT1_.num_vgpr, 0
	.set _ZN7rocprim17ROCPRIM_400000_NS6detail17trampoline_kernelINS0_14default_configENS1_25partition_config_selectorILNS1_17partition_subalgoE8EjNS0_10empty_typeEbEEZZNS1_14partition_implILS5_8ELb0ES3_jN6thrust23THRUST_200600_302600_NS6detail15normal_iteratorINSA_10device_ptrIjEEEEPS6_PKS6_NS0_5tupleIJSF_S6_EEENSJ_IJSG_SG_EEENS0_18inequality_wrapperINSA_8equal_toIjEEEEPmJS6_EEE10hipError_tPvRmT3_T4_T5_T6_T7_T9_mT8_P12ihipStream_tbDpT10_ENKUlT_T0_E_clISt17integral_constantIbLb1EES19_IbLb0EEEEDaS15_S16_EUlS15_E_NS1_11comp_targetILNS1_3genE0ELNS1_11target_archE4294967295ELNS1_3gpuE0ELNS1_3repE0EEENS1_30default_config_static_selectorELNS0_4arch9wavefront6targetE1EEEvT1_.num_agpr, 0
	.set _ZN7rocprim17ROCPRIM_400000_NS6detail17trampoline_kernelINS0_14default_configENS1_25partition_config_selectorILNS1_17partition_subalgoE8EjNS0_10empty_typeEbEEZZNS1_14partition_implILS5_8ELb0ES3_jN6thrust23THRUST_200600_302600_NS6detail15normal_iteratorINSA_10device_ptrIjEEEEPS6_PKS6_NS0_5tupleIJSF_S6_EEENSJ_IJSG_SG_EEENS0_18inequality_wrapperINSA_8equal_toIjEEEEPmJS6_EEE10hipError_tPvRmT3_T4_T5_T6_T7_T9_mT8_P12ihipStream_tbDpT10_ENKUlT_T0_E_clISt17integral_constantIbLb1EES19_IbLb0EEEEDaS15_S16_EUlS15_E_NS1_11comp_targetILNS1_3genE0ELNS1_11target_archE4294967295ELNS1_3gpuE0ELNS1_3repE0EEENS1_30default_config_static_selectorELNS0_4arch9wavefront6targetE1EEEvT1_.numbered_sgpr, 0
	.set _ZN7rocprim17ROCPRIM_400000_NS6detail17trampoline_kernelINS0_14default_configENS1_25partition_config_selectorILNS1_17partition_subalgoE8EjNS0_10empty_typeEbEEZZNS1_14partition_implILS5_8ELb0ES3_jN6thrust23THRUST_200600_302600_NS6detail15normal_iteratorINSA_10device_ptrIjEEEEPS6_PKS6_NS0_5tupleIJSF_S6_EEENSJ_IJSG_SG_EEENS0_18inequality_wrapperINSA_8equal_toIjEEEEPmJS6_EEE10hipError_tPvRmT3_T4_T5_T6_T7_T9_mT8_P12ihipStream_tbDpT10_ENKUlT_T0_E_clISt17integral_constantIbLb1EES19_IbLb0EEEEDaS15_S16_EUlS15_E_NS1_11comp_targetILNS1_3genE0ELNS1_11target_archE4294967295ELNS1_3gpuE0ELNS1_3repE0EEENS1_30default_config_static_selectorELNS0_4arch9wavefront6targetE1EEEvT1_.num_named_barrier, 0
	.set _ZN7rocprim17ROCPRIM_400000_NS6detail17trampoline_kernelINS0_14default_configENS1_25partition_config_selectorILNS1_17partition_subalgoE8EjNS0_10empty_typeEbEEZZNS1_14partition_implILS5_8ELb0ES3_jN6thrust23THRUST_200600_302600_NS6detail15normal_iteratorINSA_10device_ptrIjEEEEPS6_PKS6_NS0_5tupleIJSF_S6_EEENSJ_IJSG_SG_EEENS0_18inequality_wrapperINSA_8equal_toIjEEEEPmJS6_EEE10hipError_tPvRmT3_T4_T5_T6_T7_T9_mT8_P12ihipStream_tbDpT10_ENKUlT_T0_E_clISt17integral_constantIbLb1EES19_IbLb0EEEEDaS15_S16_EUlS15_E_NS1_11comp_targetILNS1_3genE0ELNS1_11target_archE4294967295ELNS1_3gpuE0ELNS1_3repE0EEENS1_30default_config_static_selectorELNS0_4arch9wavefront6targetE1EEEvT1_.private_seg_size, 0
	.set _ZN7rocprim17ROCPRIM_400000_NS6detail17trampoline_kernelINS0_14default_configENS1_25partition_config_selectorILNS1_17partition_subalgoE8EjNS0_10empty_typeEbEEZZNS1_14partition_implILS5_8ELb0ES3_jN6thrust23THRUST_200600_302600_NS6detail15normal_iteratorINSA_10device_ptrIjEEEEPS6_PKS6_NS0_5tupleIJSF_S6_EEENSJ_IJSG_SG_EEENS0_18inequality_wrapperINSA_8equal_toIjEEEEPmJS6_EEE10hipError_tPvRmT3_T4_T5_T6_T7_T9_mT8_P12ihipStream_tbDpT10_ENKUlT_T0_E_clISt17integral_constantIbLb1EES19_IbLb0EEEEDaS15_S16_EUlS15_E_NS1_11comp_targetILNS1_3genE0ELNS1_11target_archE4294967295ELNS1_3gpuE0ELNS1_3repE0EEENS1_30default_config_static_selectorELNS0_4arch9wavefront6targetE1EEEvT1_.uses_vcc, 0
	.set _ZN7rocprim17ROCPRIM_400000_NS6detail17trampoline_kernelINS0_14default_configENS1_25partition_config_selectorILNS1_17partition_subalgoE8EjNS0_10empty_typeEbEEZZNS1_14partition_implILS5_8ELb0ES3_jN6thrust23THRUST_200600_302600_NS6detail15normal_iteratorINSA_10device_ptrIjEEEEPS6_PKS6_NS0_5tupleIJSF_S6_EEENSJ_IJSG_SG_EEENS0_18inequality_wrapperINSA_8equal_toIjEEEEPmJS6_EEE10hipError_tPvRmT3_T4_T5_T6_T7_T9_mT8_P12ihipStream_tbDpT10_ENKUlT_T0_E_clISt17integral_constantIbLb1EES19_IbLb0EEEEDaS15_S16_EUlS15_E_NS1_11comp_targetILNS1_3genE0ELNS1_11target_archE4294967295ELNS1_3gpuE0ELNS1_3repE0EEENS1_30default_config_static_selectorELNS0_4arch9wavefront6targetE1EEEvT1_.uses_flat_scratch, 0
	.set _ZN7rocprim17ROCPRIM_400000_NS6detail17trampoline_kernelINS0_14default_configENS1_25partition_config_selectorILNS1_17partition_subalgoE8EjNS0_10empty_typeEbEEZZNS1_14partition_implILS5_8ELb0ES3_jN6thrust23THRUST_200600_302600_NS6detail15normal_iteratorINSA_10device_ptrIjEEEEPS6_PKS6_NS0_5tupleIJSF_S6_EEENSJ_IJSG_SG_EEENS0_18inequality_wrapperINSA_8equal_toIjEEEEPmJS6_EEE10hipError_tPvRmT3_T4_T5_T6_T7_T9_mT8_P12ihipStream_tbDpT10_ENKUlT_T0_E_clISt17integral_constantIbLb1EES19_IbLb0EEEEDaS15_S16_EUlS15_E_NS1_11comp_targetILNS1_3genE0ELNS1_11target_archE4294967295ELNS1_3gpuE0ELNS1_3repE0EEENS1_30default_config_static_selectorELNS0_4arch9wavefront6targetE1EEEvT1_.has_dyn_sized_stack, 0
	.set _ZN7rocprim17ROCPRIM_400000_NS6detail17trampoline_kernelINS0_14default_configENS1_25partition_config_selectorILNS1_17partition_subalgoE8EjNS0_10empty_typeEbEEZZNS1_14partition_implILS5_8ELb0ES3_jN6thrust23THRUST_200600_302600_NS6detail15normal_iteratorINSA_10device_ptrIjEEEEPS6_PKS6_NS0_5tupleIJSF_S6_EEENSJ_IJSG_SG_EEENS0_18inequality_wrapperINSA_8equal_toIjEEEEPmJS6_EEE10hipError_tPvRmT3_T4_T5_T6_T7_T9_mT8_P12ihipStream_tbDpT10_ENKUlT_T0_E_clISt17integral_constantIbLb1EES19_IbLb0EEEEDaS15_S16_EUlS15_E_NS1_11comp_targetILNS1_3genE0ELNS1_11target_archE4294967295ELNS1_3gpuE0ELNS1_3repE0EEENS1_30default_config_static_selectorELNS0_4arch9wavefront6targetE1EEEvT1_.has_recursion, 0
	.set _ZN7rocprim17ROCPRIM_400000_NS6detail17trampoline_kernelINS0_14default_configENS1_25partition_config_selectorILNS1_17partition_subalgoE8EjNS0_10empty_typeEbEEZZNS1_14partition_implILS5_8ELb0ES3_jN6thrust23THRUST_200600_302600_NS6detail15normal_iteratorINSA_10device_ptrIjEEEEPS6_PKS6_NS0_5tupleIJSF_S6_EEENSJ_IJSG_SG_EEENS0_18inequality_wrapperINSA_8equal_toIjEEEEPmJS6_EEE10hipError_tPvRmT3_T4_T5_T6_T7_T9_mT8_P12ihipStream_tbDpT10_ENKUlT_T0_E_clISt17integral_constantIbLb1EES19_IbLb0EEEEDaS15_S16_EUlS15_E_NS1_11comp_targetILNS1_3genE0ELNS1_11target_archE4294967295ELNS1_3gpuE0ELNS1_3repE0EEENS1_30default_config_static_selectorELNS0_4arch9wavefront6targetE1EEEvT1_.has_indirect_call, 0
	.section	.AMDGPU.csdata,"",@progbits
; Kernel info:
; codeLenInByte = 0
; TotalNumSgprs: 4
; NumVgprs: 0
; ScratchSize: 0
; MemoryBound: 0
; FloatMode: 240
; IeeeMode: 1
; LDSByteSize: 0 bytes/workgroup (compile time only)
; SGPRBlocks: 0
; VGPRBlocks: 0
; NumSGPRsForWavesPerEU: 4
; NumVGPRsForWavesPerEU: 1
; Occupancy: 10
; WaveLimiterHint : 0
; COMPUTE_PGM_RSRC2:SCRATCH_EN: 0
; COMPUTE_PGM_RSRC2:USER_SGPR: 6
; COMPUTE_PGM_RSRC2:TRAP_HANDLER: 0
; COMPUTE_PGM_RSRC2:TGID_X_EN: 1
; COMPUTE_PGM_RSRC2:TGID_Y_EN: 0
; COMPUTE_PGM_RSRC2:TGID_Z_EN: 0
; COMPUTE_PGM_RSRC2:TIDIG_COMP_CNT: 0
	.section	.text._ZN7rocprim17ROCPRIM_400000_NS6detail17trampoline_kernelINS0_14default_configENS1_25partition_config_selectorILNS1_17partition_subalgoE8EjNS0_10empty_typeEbEEZZNS1_14partition_implILS5_8ELb0ES3_jN6thrust23THRUST_200600_302600_NS6detail15normal_iteratorINSA_10device_ptrIjEEEEPS6_PKS6_NS0_5tupleIJSF_S6_EEENSJ_IJSG_SG_EEENS0_18inequality_wrapperINSA_8equal_toIjEEEEPmJS6_EEE10hipError_tPvRmT3_T4_T5_T6_T7_T9_mT8_P12ihipStream_tbDpT10_ENKUlT_T0_E_clISt17integral_constantIbLb1EES19_IbLb0EEEEDaS15_S16_EUlS15_E_NS1_11comp_targetILNS1_3genE5ELNS1_11target_archE942ELNS1_3gpuE9ELNS1_3repE0EEENS1_30default_config_static_selectorELNS0_4arch9wavefront6targetE1EEEvT1_,"axG",@progbits,_ZN7rocprim17ROCPRIM_400000_NS6detail17trampoline_kernelINS0_14default_configENS1_25partition_config_selectorILNS1_17partition_subalgoE8EjNS0_10empty_typeEbEEZZNS1_14partition_implILS5_8ELb0ES3_jN6thrust23THRUST_200600_302600_NS6detail15normal_iteratorINSA_10device_ptrIjEEEEPS6_PKS6_NS0_5tupleIJSF_S6_EEENSJ_IJSG_SG_EEENS0_18inequality_wrapperINSA_8equal_toIjEEEEPmJS6_EEE10hipError_tPvRmT3_T4_T5_T6_T7_T9_mT8_P12ihipStream_tbDpT10_ENKUlT_T0_E_clISt17integral_constantIbLb1EES19_IbLb0EEEEDaS15_S16_EUlS15_E_NS1_11comp_targetILNS1_3genE5ELNS1_11target_archE942ELNS1_3gpuE9ELNS1_3repE0EEENS1_30default_config_static_selectorELNS0_4arch9wavefront6targetE1EEEvT1_,comdat
	.protected	_ZN7rocprim17ROCPRIM_400000_NS6detail17trampoline_kernelINS0_14default_configENS1_25partition_config_selectorILNS1_17partition_subalgoE8EjNS0_10empty_typeEbEEZZNS1_14partition_implILS5_8ELb0ES3_jN6thrust23THRUST_200600_302600_NS6detail15normal_iteratorINSA_10device_ptrIjEEEEPS6_PKS6_NS0_5tupleIJSF_S6_EEENSJ_IJSG_SG_EEENS0_18inequality_wrapperINSA_8equal_toIjEEEEPmJS6_EEE10hipError_tPvRmT3_T4_T5_T6_T7_T9_mT8_P12ihipStream_tbDpT10_ENKUlT_T0_E_clISt17integral_constantIbLb1EES19_IbLb0EEEEDaS15_S16_EUlS15_E_NS1_11comp_targetILNS1_3genE5ELNS1_11target_archE942ELNS1_3gpuE9ELNS1_3repE0EEENS1_30default_config_static_selectorELNS0_4arch9wavefront6targetE1EEEvT1_ ; -- Begin function _ZN7rocprim17ROCPRIM_400000_NS6detail17trampoline_kernelINS0_14default_configENS1_25partition_config_selectorILNS1_17partition_subalgoE8EjNS0_10empty_typeEbEEZZNS1_14partition_implILS5_8ELb0ES3_jN6thrust23THRUST_200600_302600_NS6detail15normal_iteratorINSA_10device_ptrIjEEEEPS6_PKS6_NS0_5tupleIJSF_S6_EEENSJ_IJSG_SG_EEENS0_18inequality_wrapperINSA_8equal_toIjEEEEPmJS6_EEE10hipError_tPvRmT3_T4_T5_T6_T7_T9_mT8_P12ihipStream_tbDpT10_ENKUlT_T0_E_clISt17integral_constantIbLb1EES19_IbLb0EEEEDaS15_S16_EUlS15_E_NS1_11comp_targetILNS1_3genE5ELNS1_11target_archE942ELNS1_3gpuE9ELNS1_3repE0EEENS1_30default_config_static_selectorELNS0_4arch9wavefront6targetE1EEEvT1_
	.globl	_ZN7rocprim17ROCPRIM_400000_NS6detail17trampoline_kernelINS0_14default_configENS1_25partition_config_selectorILNS1_17partition_subalgoE8EjNS0_10empty_typeEbEEZZNS1_14partition_implILS5_8ELb0ES3_jN6thrust23THRUST_200600_302600_NS6detail15normal_iteratorINSA_10device_ptrIjEEEEPS6_PKS6_NS0_5tupleIJSF_S6_EEENSJ_IJSG_SG_EEENS0_18inequality_wrapperINSA_8equal_toIjEEEEPmJS6_EEE10hipError_tPvRmT3_T4_T5_T6_T7_T9_mT8_P12ihipStream_tbDpT10_ENKUlT_T0_E_clISt17integral_constantIbLb1EES19_IbLb0EEEEDaS15_S16_EUlS15_E_NS1_11comp_targetILNS1_3genE5ELNS1_11target_archE942ELNS1_3gpuE9ELNS1_3repE0EEENS1_30default_config_static_selectorELNS0_4arch9wavefront6targetE1EEEvT1_
	.p2align	8
	.type	_ZN7rocprim17ROCPRIM_400000_NS6detail17trampoline_kernelINS0_14default_configENS1_25partition_config_selectorILNS1_17partition_subalgoE8EjNS0_10empty_typeEbEEZZNS1_14partition_implILS5_8ELb0ES3_jN6thrust23THRUST_200600_302600_NS6detail15normal_iteratorINSA_10device_ptrIjEEEEPS6_PKS6_NS0_5tupleIJSF_S6_EEENSJ_IJSG_SG_EEENS0_18inequality_wrapperINSA_8equal_toIjEEEEPmJS6_EEE10hipError_tPvRmT3_T4_T5_T6_T7_T9_mT8_P12ihipStream_tbDpT10_ENKUlT_T0_E_clISt17integral_constantIbLb1EES19_IbLb0EEEEDaS15_S16_EUlS15_E_NS1_11comp_targetILNS1_3genE5ELNS1_11target_archE942ELNS1_3gpuE9ELNS1_3repE0EEENS1_30default_config_static_selectorELNS0_4arch9wavefront6targetE1EEEvT1_,@function
_ZN7rocprim17ROCPRIM_400000_NS6detail17trampoline_kernelINS0_14default_configENS1_25partition_config_selectorILNS1_17partition_subalgoE8EjNS0_10empty_typeEbEEZZNS1_14partition_implILS5_8ELb0ES3_jN6thrust23THRUST_200600_302600_NS6detail15normal_iteratorINSA_10device_ptrIjEEEEPS6_PKS6_NS0_5tupleIJSF_S6_EEENSJ_IJSG_SG_EEENS0_18inequality_wrapperINSA_8equal_toIjEEEEPmJS6_EEE10hipError_tPvRmT3_T4_T5_T6_T7_T9_mT8_P12ihipStream_tbDpT10_ENKUlT_T0_E_clISt17integral_constantIbLb1EES19_IbLb0EEEEDaS15_S16_EUlS15_E_NS1_11comp_targetILNS1_3genE5ELNS1_11target_archE942ELNS1_3gpuE9ELNS1_3repE0EEENS1_30default_config_static_selectorELNS0_4arch9wavefront6targetE1EEEvT1_: ; @_ZN7rocprim17ROCPRIM_400000_NS6detail17trampoline_kernelINS0_14default_configENS1_25partition_config_selectorILNS1_17partition_subalgoE8EjNS0_10empty_typeEbEEZZNS1_14partition_implILS5_8ELb0ES3_jN6thrust23THRUST_200600_302600_NS6detail15normal_iteratorINSA_10device_ptrIjEEEEPS6_PKS6_NS0_5tupleIJSF_S6_EEENSJ_IJSG_SG_EEENS0_18inequality_wrapperINSA_8equal_toIjEEEEPmJS6_EEE10hipError_tPvRmT3_T4_T5_T6_T7_T9_mT8_P12ihipStream_tbDpT10_ENKUlT_T0_E_clISt17integral_constantIbLb1EES19_IbLb0EEEEDaS15_S16_EUlS15_E_NS1_11comp_targetILNS1_3genE5ELNS1_11target_archE942ELNS1_3gpuE9ELNS1_3repE0EEENS1_30default_config_static_selectorELNS0_4arch9wavefront6targetE1EEEvT1_
; %bb.0:
	.section	.rodata,"a",@progbits
	.p2align	6, 0x0
	.amdhsa_kernel _ZN7rocprim17ROCPRIM_400000_NS6detail17trampoline_kernelINS0_14default_configENS1_25partition_config_selectorILNS1_17partition_subalgoE8EjNS0_10empty_typeEbEEZZNS1_14partition_implILS5_8ELb0ES3_jN6thrust23THRUST_200600_302600_NS6detail15normal_iteratorINSA_10device_ptrIjEEEEPS6_PKS6_NS0_5tupleIJSF_S6_EEENSJ_IJSG_SG_EEENS0_18inequality_wrapperINSA_8equal_toIjEEEEPmJS6_EEE10hipError_tPvRmT3_T4_T5_T6_T7_T9_mT8_P12ihipStream_tbDpT10_ENKUlT_T0_E_clISt17integral_constantIbLb1EES19_IbLb0EEEEDaS15_S16_EUlS15_E_NS1_11comp_targetILNS1_3genE5ELNS1_11target_archE942ELNS1_3gpuE9ELNS1_3repE0EEENS1_30default_config_static_selectorELNS0_4arch9wavefront6targetE1EEEvT1_
		.amdhsa_group_segment_fixed_size 0
		.amdhsa_private_segment_fixed_size 0
		.amdhsa_kernarg_size 112
		.amdhsa_user_sgpr_count 6
		.amdhsa_user_sgpr_private_segment_buffer 1
		.amdhsa_user_sgpr_dispatch_ptr 0
		.amdhsa_user_sgpr_queue_ptr 0
		.amdhsa_user_sgpr_kernarg_segment_ptr 1
		.amdhsa_user_sgpr_dispatch_id 0
		.amdhsa_user_sgpr_flat_scratch_init 0
		.amdhsa_user_sgpr_private_segment_size 0
		.amdhsa_uses_dynamic_stack 0
		.amdhsa_system_sgpr_private_segment_wavefront_offset 0
		.amdhsa_system_sgpr_workgroup_id_x 1
		.amdhsa_system_sgpr_workgroup_id_y 0
		.amdhsa_system_sgpr_workgroup_id_z 0
		.amdhsa_system_sgpr_workgroup_info 0
		.amdhsa_system_vgpr_workitem_id 0
		.amdhsa_next_free_vgpr 1
		.amdhsa_next_free_sgpr 0
		.amdhsa_reserve_vcc 0
		.amdhsa_reserve_flat_scratch 0
		.amdhsa_float_round_mode_32 0
		.amdhsa_float_round_mode_16_64 0
		.amdhsa_float_denorm_mode_32 3
		.amdhsa_float_denorm_mode_16_64 3
		.amdhsa_dx10_clamp 1
		.amdhsa_ieee_mode 1
		.amdhsa_fp16_overflow 0
		.amdhsa_exception_fp_ieee_invalid_op 0
		.amdhsa_exception_fp_denorm_src 0
		.amdhsa_exception_fp_ieee_div_zero 0
		.amdhsa_exception_fp_ieee_overflow 0
		.amdhsa_exception_fp_ieee_underflow 0
		.amdhsa_exception_fp_ieee_inexact 0
		.amdhsa_exception_int_div_zero 0
	.end_amdhsa_kernel
	.section	.text._ZN7rocprim17ROCPRIM_400000_NS6detail17trampoline_kernelINS0_14default_configENS1_25partition_config_selectorILNS1_17partition_subalgoE8EjNS0_10empty_typeEbEEZZNS1_14partition_implILS5_8ELb0ES3_jN6thrust23THRUST_200600_302600_NS6detail15normal_iteratorINSA_10device_ptrIjEEEEPS6_PKS6_NS0_5tupleIJSF_S6_EEENSJ_IJSG_SG_EEENS0_18inequality_wrapperINSA_8equal_toIjEEEEPmJS6_EEE10hipError_tPvRmT3_T4_T5_T6_T7_T9_mT8_P12ihipStream_tbDpT10_ENKUlT_T0_E_clISt17integral_constantIbLb1EES19_IbLb0EEEEDaS15_S16_EUlS15_E_NS1_11comp_targetILNS1_3genE5ELNS1_11target_archE942ELNS1_3gpuE9ELNS1_3repE0EEENS1_30default_config_static_selectorELNS0_4arch9wavefront6targetE1EEEvT1_,"axG",@progbits,_ZN7rocprim17ROCPRIM_400000_NS6detail17trampoline_kernelINS0_14default_configENS1_25partition_config_selectorILNS1_17partition_subalgoE8EjNS0_10empty_typeEbEEZZNS1_14partition_implILS5_8ELb0ES3_jN6thrust23THRUST_200600_302600_NS6detail15normal_iteratorINSA_10device_ptrIjEEEEPS6_PKS6_NS0_5tupleIJSF_S6_EEENSJ_IJSG_SG_EEENS0_18inequality_wrapperINSA_8equal_toIjEEEEPmJS6_EEE10hipError_tPvRmT3_T4_T5_T6_T7_T9_mT8_P12ihipStream_tbDpT10_ENKUlT_T0_E_clISt17integral_constantIbLb1EES19_IbLb0EEEEDaS15_S16_EUlS15_E_NS1_11comp_targetILNS1_3genE5ELNS1_11target_archE942ELNS1_3gpuE9ELNS1_3repE0EEENS1_30default_config_static_selectorELNS0_4arch9wavefront6targetE1EEEvT1_,comdat
.Lfunc_end227:
	.size	_ZN7rocprim17ROCPRIM_400000_NS6detail17trampoline_kernelINS0_14default_configENS1_25partition_config_selectorILNS1_17partition_subalgoE8EjNS0_10empty_typeEbEEZZNS1_14partition_implILS5_8ELb0ES3_jN6thrust23THRUST_200600_302600_NS6detail15normal_iteratorINSA_10device_ptrIjEEEEPS6_PKS6_NS0_5tupleIJSF_S6_EEENSJ_IJSG_SG_EEENS0_18inequality_wrapperINSA_8equal_toIjEEEEPmJS6_EEE10hipError_tPvRmT3_T4_T5_T6_T7_T9_mT8_P12ihipStream_tbDpT10_ENKUlT_T0_E_clISt17integral_constantIbLb1EES19_IbLb0EEEEDaS15_S16_EUlS15_E_NS1_11comp_targetILNS1_3genE5ELNS1_11target_archE942ELNS1_3gpuE9ELNS1_3repE0EEENS1_30default_config_static_selectorELNS0_4arch9wavefront6targetE1EEEvT1_, .Lfunc_end227-_ZN7rocprim17ROCPRIM_400000_NS6detail17trampoline_kernelINS0_14default_configENS1_25partition_config_selectorILNS1_17partition_subalgoE8EjNS0_10empty_typeEbEEZZNS1_14partition_implILS5_8ELb0ES3_jN6thrust23THRUST_200600_302600_NS6detail15normal_iteratorINSA_10device_ptrIjEEEEPS6_PKS6_NS0_5tupleIJSF_S6_EEENSJ_IJSG_SG_EEENS0_18inequality_wrapperINSA_8equal_toIjEEEEPmJS6_EEE10hipError_tPvRmT3_T4_T5_T6_T7_T9_mT8_P12ihipStream_tbDpT10_ENKUlT_T0_E_clISt17integral_constantIbLb1EES19_IbLb0EEEEDaS15_S16_EUlS15_E_NS1_11comp_targetILNS1_3genE5ELNS1_11target_archE942ELNS1_3gpuE9ELNS1_3repE0EEENS1_30default_config_static_selectorELNS0_4arch9wavefront6targetE1EEEvT1_
                                        ; -- End function
	.set _ZN7rocprim17ROCPRIM_400000_NS6detail17trampoline_kernelINS0_14default_configENS1_25partition_config_selectorILNS1_17partition_subalgoE8EjNS0_10empty_typeEbEEZZNS1_14partition_implILS5_8ELb0ES3_jN6thrust23THRUST_200600_302600_NS6detail15normal_iteratorINSA_10device_ptrIjEEEEPS6_PKS6_NS0_5tupleIJSF_S6_EEENSJ_IJSG_SG_EEENS0_18inequality_wrapperINSA_8equal_toIjEEEEPmJS6_EEE10hipError_tPvRmT3_T4_T5_T6_T7_T9_mT8_P12ihipStream_tbDpT10_ENKUlT_T0_E_clISt17integral_constantIbLb1EES19_IbLb0EEEEDaS15_S16_EUlS15_E_NS1_11comp_targetILNS1_3genE5ELNS1_11target_archE942ELNS1_3gpuE9ELNS1_3repE0EEENS1_30default_config_static_selectorELNS0_4arch9wavefront6targetE1EEEvT1_.num_vgpr, 0
	.set _ZN7rocprim17ROCPRIM_400000_NS6detail17trampoline_kernelINS0_14default_configENS1_25partition_config_selectorILNS1_17partition_subalgoE8EjNS0_10empty_typeEbEEZZNS1_14partition_implILS5_8ELb0ES3_jN6thrust23THRUST_200600_302600_NS6detail15normal_iteratorINSA_10device_ptrIjEEEEPS6_PKS6_NS0_5tupleIJSF_S6_EEENSJ_IJSG_SG_EEENS0_18inequality_wrapperINSA_8equal_toIjEEEEPmJS6_EEE10hipError_tPvRmT3_T4_T5_T6_T7_T9_mT8_P12ihipStream_tbDpT10_ENKUlT_T0_E_clISt17integral_constantIbLb1EES19_IbLb0EEEEDaS15_S16_EUlS15_E_NS1_11comp_targetILNS1_3genE5ELNS1_11target_archE942ELNS1_3gpuE9ELNS1_3repE0EEENS1_30default_config_static_selectorELNS0_4arch9wavefront6targetE1EEEvT1_.num_agpr, 0
	.set _ZN7rocprim17ROCPRIM_400000_NS6detail17trampoline_kernelINS0_14default_configENS1_25partition_config_selectorILNS1_17partition_subalgoE8EjNS0_10empty_typeEbEEZZNS1_14partition_implILS5_8ELb0ES3_jN6thrust23THRUST_200600_302600_NS6detail15normal_iteratorINSA_10device_ptrIjEEEEPS6_PKS6_NS0_5tupleIJSF_S6_EEENSJ_IJSG_SG_EEENS0_18inequality_wrapperINSA_8equal_toIjEEEEPmJS6_EEE10hipError_tPvRmT3_T4_T5_T6_T7_T9_mT8_P12ihipStream_tbDpT10_ENKUlT_T0_E_clISt17integral_constantIbLb1EES19_IbLb0EEEEDaS15_S16_EUlS15_E_NS1_11comp_targetILNS1_3genE5ELNS1_11target_archE942ELNS1_3gpuE9ELNS1_3repE0EEENS1_30default_config_static_selectorELNS0_4arch9wavefront6targetE1EEEvT1_.numbered_sgpr, 0
	.set _ZN7rocprim17ROCPRIM_400000_NS6detail17trampoline_kernelINS0_14default_configENS1_25partition_config_selectorILNS1_17partition_subalgoE8EjNS0_10empty_typeEbEEZZNS1_14partition_implILS5_8ELb0ES3_jN6thrust23THRUST_200600_302600_NS6detail15normal_iteratorINSA_10device_ptrIjEEEEPS6_PKS6_NS0_5tupleIJSF_S6_EEENSJ_IJSG_SG_EEENS0_18inequality_wrapperINSA_8equal_toIjEEEEPmJS6_EEE10hipError_tPvRmT3_T4_T5_T6_T7_T9_mT8_P12ihipStream_tbDpT10_ENKUlT_T0_E_clISt17integral_constantIbLb1EES19_IbLb0EEEEDaS15_S16_EUlS15_E_NS1_11comp_targetILNS1_3genE5ELNS1_11target_archE942ELNS1_3gpuE9ELNS1_3repE0EEENS1_30default_config_static_selectorELNS0_4arch9wavefront6targetE1EEEvT1_.num_named_barrier, 0
	.set _ZN7rocprim17ROCPRIM_400000_NS6detail17trampoline_kernelINS0_14default_configENS1_25partition_config_selectorILNS1_17partition_subalgoE8EjNS0_10empty_typeEbEEZZNS1_14partition_implILS5_8ELb0ES3_jN6thrust23THRUST_200600_302600_NS6detail15normal_iteratorINSA_10device_ptrIjEEEEPS6_PKS6_NS0_5tupleIJSF_S6_EEENSJ_IJSG_SG_EEENS0_18inequality_wrapperINSA_8equal_toIjEEEEPmJS6_EEE10hipError_tPvRmT3_T4_T5_T6_T7_T9_mT8_P12ihipStream_tbDpT10_ENKUlT_T0_E_clISt17integral_constantIbLb1EES19_IbLb0EEEEDaS15_S16_EUlS15_E_NS1_11comp_targetILNS1_3genE5ELNS1_11target_archE942ELNS1_3gpuE9ELNS1_3repE0EEENS1_30default_config_static_selectorELNS0_4arch9wavefront6targetE1EEEvT1_.private_seg_size, 0
	.set _ZN7rocprim17ROCPRIM_400000_NS6detail17trampoline_kernelINS0_14default_configENS1_25partition_config_selectorILNS1_17partition_subalgoE8EjNS0_10empty_typeEbEEZZNS1_14partition_implILS5_8ELb0ES3_jN6thrust23THRUST_200600_302600_NS6detail15normal_iteratorINSA_10device_ptrIjEEEEPS6_PKS6_NS0_5tupleIJSF_S6_EEENSJ_IJSG_SG_EEENS0_18inequality_wrapperINSA_8equal_toIjEEEEPmJS6_EEE10hipError_tPvRmT3_T4_T5_T6_T7_T9_mT8_P12ihipStream_tbDpT10_ENKUlT_T0_E_clISt17integral_constantIbLb1EES19_IbLb0EEEEDaS15_S16_EUlS15_E_NS1_11comp_targetILNS1_3genE5ELNS1_11target_archE942ELNS1_3gpuE9ELNS1_3repE0EEENS1_30default_config_static_selectorELNS0_4arch9wavefront6targetE1EEEvT1_.uses_vcc, 0
	.set _ZN7rocprim17ROCPRIM_400000_NS6detail17trampoline_kernelINS0_14default_configENS1_25partition_config_selectorILNS1_17partition_subalgoE8EjNS0_10empty_typeEbEEZZNS1_14partition_implILS5_8ELb0ES3_jN6thrust23THRUST_200600_302600_NS6detail15normal_iteratorINSA_10device_ptrIjEEEEPS6_PKS6_NS0_5tupleIJSF_S6_EEENSJ_IJSG_SG_EEENS0_18inequality_wrapperINSA_8equal_toIjEEEEPmJS6_EEE10hipError_tPvRmT3_T4_T5_T6_T7_T9_mT8_P12ihipStream_tbDpT10_ENKUlT_T0_E_clISt17integral_constantIbLb1EES19_IbLb0EEEEDaS15_S16_EUlS15_E_NS1_11comp_targetILNS1_3genE5ELNS1_11target_archE942ELNS1_3gpuE9ELNS1_3repE0EEENS1_30default_config_static_selectorELNS0_4arch9wavefront6targetE1EEEvT1_.uses_flat_scratch, 0
	.set _ZN7rocprim17ROCPRIM_400000_NS6detail17trampoline_kernelINS0_14default_configENS1_25partition_config_selectorILNS1_17partition_subalgoE8EjNS0_10empty_typeEbEEZZNS1_14partition_implILS5_8ELb0ES3_jN6thrust23THRUST_200600_302600_NS6detail15normal_iteratorINSA_10device_ptrIjEEEEPS6_PKS6_NS0_5tupleIJSF_S6_EEENSJ_IJSG_SG_EEENS0_18inequality_wrapperINSA_8equal_toIjEEEEPmJS6_EEE10hipError_tPvRmT3_T4_T5_T6_T7_T9_mT8_P12ihipStream_tbDpT10_ENKUlT_T0_E_clISt17integral_constantIbLb1EES19_IbLb0EEEEDaS15_S16_EUlS15_E_NS1_11comp_targetILNS1_3genE5ELNS1_11target_archE942ELNS1_3gpuE9ELNS1_3repE0EEENS1_30default_config_static_selectorELNS0_4arch9wavefront6targetE1EEEvT1_.has_dyn_sized_stack, 0
	.set _ZN7rocprim17ROCPRIM_400000_NS6detail17trampoline_kernelINS0_14default_configENS1_25partition_config_selectorILNS1_17partition_subalgoE8EjNS0_10empty_typeEbEEZZNS1_14partition_implILS5_8ELb0ES3_jN6thrust23THRUST_200600_302600_NS6detail15normal_iteratorINSA_10device_ptrIjEEEEPS6_PKS6_NS0_5tupleIJSF_S6_EEENSJ_IJSG_SG_EEENS0_18inequality_wrapperINSA_8equal_toIjEEEEPmJS6_EEE10hipError_tPvRmT3_T4_T5_T6_T7_T9_mT8_P12ihipStream_tbDpT10_ENKUlT_T0_E_clISt17integral_constantIbLb1EES19_IbLb0EEEEDaS15_S16_EUlS15_E_NS1_11comp_targetILNS1_3genE5ELNS1_11target_archE942ELNS1_3gpuE9ELNS1_3repE0EEENS1_30default_config_static_selectorELNS0_4arch9wavefront6targetE1EEEvT1_.has_recursion, 0
	.set _ZN7rocprim17ROCPRIM_400000_NS6detail17trampoline_kernelINS0_14default_configENS1_25partition_config_selectorILNS1_17partition_subalgoE8EjNS0_10empty_typeEbEEZZNS1_14partition_implILS5_8ELb0ES3_jN6thrust23THRUST_200600_302600_NS6detail15normal_iteratorINSA_10device_ptrIjEEEEPS6_PKS6_NS0_5tupleIJSF_S6_EEENSJ_IJSG_SG_EEENS0_18inequality_wrapperINSA_8equal_toIjEEEEPmJS6_EEE10hipError_tPvRmT3_T4_T5_T6_T7_T9_mT8_P12ihipStream_tbDpT10_ENKUlT_T0_E_clISt17integral_constantIbLb1EES19_IbLb0EEEEDaS15_S16_EUlS15_E_NS1_11comp_targetILNS1_3genE5ELNS1_11target_archE942ELNS1_3gpuE9ELNS1_3repE0EEENS1_30default_config_static_selectorELNS0_4arch9wavefront6targetE1EEEvT1_.has_indirect_call, 0
	.section	.AMDGPU.csdata,"",@progbits
; Kernel info:
; codeLenInByte = 0
; TotalNumSgprs: 4
; NumVgprs: 0
; ScratchSize: 0
; MemoryBound: 0
; FloatMode: 240
; IeeeMode: 1
; LDSByteSize: 0 bytes/workgroup (compile time only)
; SGPRBlocks: 0
; VGPRBlocks: 0
; NumSGPRsForWavesPerEU: 4
; NumVGPRsForWavesPerEU: 1
; Occupancy: 10
; WaveLimiterHint : 0
; COMPUTE_PGM_RSRC2:SCRATCH_EN: 0
; COMPUTE_PGM_RSRC2:USER_SGPR: 6
; COMPUTE_PGM_RSRC2:TRAP_HANDLER: 0
; COMPUTE_PGM_RSRC2:TGID_X_EN: 1
; COMPUTE_PGM_RSRC2:TGID_Y_EN: 0
; COMPUTE_PGM_RSRC2:TGID_Z_EN: 0
; COMPUTE_PGM_RSRC2:TIDIG_COMP_CNT: 0
	.section	.text._ZN7rocprim17ROCPRIM_400000_NS6detail17trampoline_kernelINS0_14default_configENS1_25partition_config_selectorILNS1_17partition_subalgoE8EjNS0_10empty_typeEbEEZZNS1_14partition_implILS5_8ELb0ES3_jN6thrust23THRUST_200600_302600_NS6detail15normal_iteratorINSA_10device_ptrIjEEEEPS6_PKS6_NS0_5tupleIJSF_S6_EEENSJ_IJSG_SG_EEENS0_18inequality_wrapperINSA_8equal_toIjEEEEPmJS6_EEE10hipError_tPvRmT3_T4_T5_T6_T7_T9_mT8_P12ihipStream_tbDpT10_ENKUlT_T0_E_clISt17integral_constantIbLb1EES19_IbLb0EEEEDaS15_S16_EUlS15_E_NS1_11comp_targetILNS1_3genE4ELNS1_11target_archE910ELNS1_3gpuE8ELNS1_3repE0EEENS1_30default_config_static_selectorELNS0_4arch9wavefront6targetE1EEEvT1_,"axG",@progbits,_ZN7rocprim17ROCPRIM_400000_NS6detail17trampoline_kernelINS0_14default_configENS1_25partition_config_selectorILNS1_17partition_subalgoE8EjNS0_10empty_typeEbEEZZNS1_14partition_implILS5_8ELb0ES3_jN6thrust23THRUST_200600_302600_NS6detail15normal_iteratorINSA_10device_ptrIjEEEEPS6_PKS6_NS0_5tupleIJSF_S6_EEENSJ_IJSG_SG_EEENS0_18inequality_wrapperINSA_8equal_toIjEEEEPmJS6_EEE10hipError_tPvRmT3_T4_T5_T6_T7_T9_mT8_P12ihipStream_tbDpT10_ENKUlT_T0_E_clISt17integral_constantIbLb1EES19_IbLb0EEEEDaS15_S16_EUlS15_E_NS1_11comp_targetILNS1_3genE4ELNS1_11target_archE910ELNS1_3gpuE8ELNS1_3repE0EEENS1_30default_config_static_selectorELNS0_4arch9wavefront6targetE1EEEvT1_,comdat
	.protected	_ZN7rocprim17ROCPRIM_400000_NS6detail17trampoline_kernelINS0_14default_configENS1_25partition_config_selectorILNS1_17partition_subalgoE8EjNS0_10empty_typeEbEEZZNS1_14partition_implILS5_8ELb0ES3_jN6thrust23THRUST_200600_302600_NS6detail15normal_iteratorINSA_10device_ptrIjEEEEPS6_PKS6_NS0_5tupleIJSF_S6_EEENSJ_IJSG_SG_EEENS0_18inequality_wrapperINSA_8equal_toIjEEEEPmJS6_EEE10hipError_tPvRmT3_T4_T5_T6_T7_T9_mT8_P12ihipStream_tbDpT10_ENKUlT_T0_E_clISt17integral_constantIbLb1EES19_IbLb0EEEEDaS15_S16_EUlS15_E_NS1_11comp_targetILNS1_3genE4ELNS1_11target_archE910ELNS1_3gpuE8ELNS1_3repE0EEENS1_30default_config_static_selectorELNS0_4arch9wavefront6targetE1EEEvT1_ ; -- Begin function _ZN7rocprim17ROCPRIM_400000_NS6detail17trampoline_kernelINS0_14default_configENS1_25partition_config_selectorILNS1_17partition_subalgoE8EjNS0_10empty_typeEbEEZZNS1_14partition_implILS5_8ELb0ES3_jN6thrust23THRUST_200600_302600_NS6detail15normal_iteratorINSA_10device_ptrIjEEEEPS6_PKS6_NS0_5tupleIJSF_S6_EEENSJ_IJSG_SG_EEENS0_18inequality_wrapperINSA_8equal_toIjEEEEPmJS6_EEE10hipError_tPvRmT3_T4_T5_T6_T7_T9_mT8_P12ihipStream_tbDpT10_ENKUlT_T0_E_clISt17integral_constantIbLb1EES19_IbLb0EEEEDaS15_S16_EUlS15_E_NS1_11comp_targetILNS1_3genE4ELNS1_11target_archE910ELNS1_3gpuE8ELNS1_3repE0EEENS1_30default_config_static_selectorELNS0_4arch9wavefront6targetE1EEEvT1_
	.globl	_ZN7rocprim17ROCPRIM_400000_NS6detail17trampoline_kernelINS0_14default_configENS1_25partition_config_selectorILNS1_17partition_subalgoE8EjNS0_10empty_typeEbEEZZNS1_14partition_implILS5_8ELb0ES3_jN6thrust23THRUST_200600_302600_NS6detail15normal_iteratorINSA_10device_ptrIjEEEEPS6_PKS6_NS0_5tupleIJSF_S6_EEENSJ_IJSG_SG_EEENS0_18inequality_wrapperINSA_8equal_toIjEEEEPmJS6_EEE10hipError_tPvRmT3_T4_T5_T6_T7_T9_mT8_P12ihipStream_tbDpT10_ENKUlT_T0_E_clISt17integral_constantIbLb1EES19_IbLb0EEEEDaS15_S16_EUlS15_E_NS1_11comp_targetILNS1_3genE4ELNS1_11target_archE910ELNS1_3gpuE8ELNS1_3repE0EEENS1_30default_config_static_selectorELNS0_4arch9wavefront6targetE1EEEvT1_
	.p2align	8
	.type	_ZN7rocprim17ROCPRIM_400000_NS6detail17trampoline_kernelINS0_14default_configENS1_25partition_config_selectorILNS1_17partition_subalgoE8EjNS0_10empty_typeEbEEZZNS1_14partition_implILS5_8ELb0ES3_jN6thrust23THRUST_200600_302600_NS6detail15normal_iteratorINSA_10device_ptrIjEEEEPS6_PKS6_NS0_5tupleIJSF_S6_EEENSJ_IJSG_SG_EEENS0_18inequality_wrapperINSA_8equal_toIjEEEEPmJS6_EEE10hipError_tPvRmT3_T4_T5_T6_T7_T9_mT8_P12ihipStream_tbDpT10_ENKUlT_T0_E_clISt17integral_constantIbLb1EES19_IbLb0EEEEDaS15_S16_EUlS15_E_NS1_11comp_targetILNS1_3genE4ELNS1_11target_archE910ELNS1_3gpuE8ELNS1_3repE0EEENS1_30default_config_static_selectorELNS0_4arch9wavefront6targetE1EEEvT1_,@function
_ZN7rocprim17ROCPRIM_400000_NS6detail17trampoline_kernelINS0_14default_configENS1_25partition_config_selectorILNS1_17partition_subalgoE8EjNS0_10empty_typeEbEEZZNS1_14partition_implILS5_8ELb0ES3_jN6thrust23THRUST_200600_302600_NS6detail15normal_iteratorINSA_10device_ptrIjEEEEPS6_PKS6_NS0_5tupleIJSF_S6_EEENSJ_IJSG_SG_EEENS0_18inequality_wrapperINSA_8equal_toIjEEEEPmJS6_EEE10hipError_tPvRmT3_T4_T5_T6_T7_T9_mT8_P12ihipStream_tbDpT10_ENKUlT_T0_E_clISt17integral_constantIbLb1EES19_IbLb0EEEEDaS15_S16_EUlS15_E_NS1_11comp_targetILNS1_3genE4ELNS1_11target_archE910ELNS1_3gpuE8ELNS1_3repE0EEENS1_30default_config_static_selectorELNS0_4arch9wavefront6targetE1EEEvT1_: ; @_ZN7rocprim17ROCPRIM_400000_NS6detail17trampoline_kernelINS0_14default_configENS1_25partition_config_selectorILNS1_17partition_subalgoE8EjNS0_10empty_typeEbEEZZNS1_14partition_implILS5_8ELb0ES3_jN6thrust23THRUST_200600_302600_NS6detail15normal_iteratorINSA_10device_ptrIjEEEEPS6_PKS6_NS0_5tupleIJSF_S6_EEENSJ_IJSG_SG_EEENS0_18inequality_wrapperINSA_8equal_toIjEEEEPmJS6_EEE10hipError_tPvRmT3_T4_T5_T6_T7_T9_mT8_P12ihipStream_tbDpT10_ENKUlT_T0_E_clISt17integral_constantIbLb1EES19_IbLb0EEEEDaS15_S16_EUlS15_E_NS1_11comp_targetILNS1_3genE4ELNS1_11target_archE910ELNS1_3gpuE8ELNS1_3repE0EEENS1_30default_config_static_selectorELNS0_4arch9wavefront6targetE1EEEvT1_
; %bb.0:
	.section	.rodata,"a",@progbits
	.p2align	6, 0x0
	.amdhsa_kernel _ZN7rocprim17ROCPRIM_400000_NS6detail17trampoline_kernelINS0_14default_configENS1_25partition_config_selectorILNS1_17partition_subalgoE8EjNS0_10empty_typeEbEEZZNS1_14partition_implILS5_8ELb0ES3_jN6thrust23THRUST_200600_302600_NS6detail15normal_iteratorINSA_10device_ptrIjEEEEPS6_PKS6_NS0_5tupleIJSF_S6_EEENSJ_IJSG_SG_EEENS0_18inequality_wrapperINSA_8equal_toIjEEEEPmJS6_EEE10hipError_tPvRmT3_T4_T5_T6_T7_T9_mT8_P12ihipStream_tbDpT10_ENKUlT_T0_E_clISt17integral_constantIbLb1EES19_IbLb0EEEEDaS15_S16_EUlS15_E_NS1_11comp_targetILNS1_3genE4ELNS1_11target_archE910ELNS1_3gpuE8ELNS1_3repE0EEENS1_30default_config_static_selectorELNS0_4arch9wavefront6targetE1EEEvT1_
		.amdhsa_group_segment_fixed_size 0
		.amdhsa_private_segment_fixed_size 0
		.amdhsa_kernarg_size 112
		.amdhsa_user_sgpr_count 6
		.amdhsa_user_sgpr_private_segment_buffer 1
		.amdhsa_user_sgpr_dispatch_ptr 0
		.amdhsa_user_sgpr_queue_ptr 0
		.amdhsa_user_sgpr_kernarg_segment_ptr 1
		.amdhsa_user_sgpr_dispatch_id 0
		.amdhsa_user_sgpr_flat_scratch_init 0
		.amdhsa_user_sgpr_private_segment_size 0
		.amdhsa_uses_dynamic_stack 0
		.amdhsa_system_sgpr_private_segment_wavefront_offset 0
		.amdhsa_system_sgpr_workgroup_id_x 1
		.amdhsa_system_sgpr_workgroup_id_y 0
		.amdhsa_system_sgpr_workgroup_id_z 0
		.amdhsa_system_sgpr_workgroup_info 0
		.amdhsa_system_vgpr_workitem_id 0
		.amdhsa_next_free_vgpr 1
		.amdhsa_next_free_sgpr 0
		.amdhsa_reserve_vcc 0
		.amdhsa_reserve_flat_scratch 0
		.amdhsa_float_round_mode_32 0
		.amdhsa_float_round_mode_16_64 0
		.amdhsa_float_denorm_mode_32 3
		.amdhsa_float_denorm_mode_16_64 3
		.amdhsa_dx10_clamp 1
		.amdhsa_ieee_mode 1
		.amdhsa_fp16_overflow 0
		.amdhsa_exception_fp_ieee_invalid_op 0
		.amdhsa_exception_fp_denorm_src 0
		.amdhsa_exception_fp_ieee_div_zero 0
		.amdhsa_exception_fp_ieee_overflow 0
		.amdhsa_exception_fp_ieee_underflow 0
		.amdhsa_exception_fp_ieee_inexact 0
		.amdhsa_exception_int_div_zero 0
	.end_amdhsa_kernel
	.section	.text._ZN7rocprim17ROCPRIM_400000_NS6detail17trampoline_kernelINS0_14default_configENS1_25partition_config_selectorILNS1_17partition_subalgoE8EjNS0_10empty_typeEbEEZZNS1_14partition_implILS5_8ELb0ES3_jN6thrust23THRUST_200600_302600_NS6detail15normal_iteratorINSA_10device_ptrIjEEEEPS6_PKS6_NS0_5tupleIJSF_S6_EEENSJ_IJSG_SG_EEENS0_18inequality_wrapperINSA_8equal_toIjEEEEPmJS6_EEE10hipError_tPvRmT3_T4_T5_T6_T7_T9_mT8_P12ihipStream_tbDpT10_ENKUlT_T0_E_clISt17integral_constantIbLb1EES19_IbLb0EEEEDaS15_S16_EUlS15_E_NS1_11comp_targetILNS1_3genE4ELNS1_11target_archE910ELNS1_3gpuE8ELNS1_3repE0EEENS1_30default_config_static_selectorELNS0_4arch9wavefront6targetE1EEEvT1_,"axG",@progbits,_ZN7rocprim17ROCPRIM_400000_NS6detail17trampoline_kernelINS0_14default_configENS1_25partition_config_selectorILNS1_17partition_subalgoE8EjNS0_10empty_typeEbEEZZNS1_14partition_implILS5_8ELb0ES3_jN6thrust23THRUST_200600_302600_NS6detail15normal_iteratorINSA_10device_ptrIjEEEEPS6_PKS6_NS0_5tupleIJSF_S6_EEENSJ_IJSG_SG_EEENS0_18inequality_wrapperINSA_8equal_toIjEEEEPmJS6_EEE10hipError_tPvRmT3_T4_T5_T6_T7_T9_mT8_P12ihipStream_tbDpT10_ENKUlT_T0_E_clISt17integral_constantIbLb1EES19_IbLb0EEEEDaS15_S16_EUlS15_E_NS1_11comp_targetILNS1_3genE4ELNS1_11target_archE910ELNS1_3gpuE8ELNS1_3repE0EEENS1_30default_config_static_selectorELNS0_4arch9wavefront6targetE1EEEvT1_,comdat
.Lfunc_end228:
	.size	_ZN7rocprim17ROCPRIM_400000_NS6detail17trampoline_kernelINS0_14default_configENS1_25partition_config_selectorILNS1_17partition_subalgoE8EjNS0_10empty_typeEbEEZZNS1_14partition_implILS5_8ELb0ES3_jN6thrust23THRUST_200600_302600_NS6detail15normal_iteratorINSA_10device_ptrIjEEEEPS6_PKS6_NS0_5tupleIJSF_S6_EEENSJ_IJSG_SG_EEENS0_18inequality_wrapperINSA_8equal_toIjEEEEPmJS6_EEE10hipError_tPvRmT3_T4_T5_T6_T7_T9_mT8_P12ihipStream_tbDpT10_ENKUlT_T0_E_clISt17integral_constantIbLb1EES19_IbLb0EEEEDaS15_S16_EUlS15_E_NS1_11comp_targetILNS1_3genE4ELNS1_11target_archE910ELNS1_3gpuE8ELNS1_3repE0EEENS1_30default_config_static_selectorELNS0_4arch9wavefront6targetE1EEEvT1_, .Lfunc_end228-_ZN7rocprim17ROCPRIM_400000_NS6detail17trampoline_kernelINS0_14default_configENS1_25partition_config_selectorILNS1_17partition_subalgoE8EjNS0_10empty_typeEbEEZZNS1_14partition_implILS5_8ELb0ES3_jN6thrust23THRUST_200600_302600_NS6detail15normal_iteratorINSA_10device_ptrIjEEEEPS6_PKS6_NS0_5tupleIJSF_S6_EEENSJ_IJSG_SG_EEENS0_18inequality_wrapperINSA_8equal_toIjEEEEPmJS6_EEE10hipError_tPvRmT3_T4_T5_T6_T7_T9_mT8_P12ihipStream_tbDpT10_ENKUlT_T0_E_clISt17integral_constantIbLb1EES19_IbLb0EEEEDaS15_S16_EUlS15_E_NS1_11comp_targetILNS1_3genE4ELNS1_11target_archE910ELNS1_3gpuE8ELNS1_3repE0EEENS1_30default_config_static_selectorELNS0_4arch9wavefront6targetE1EEEvT1_
                                        ; -- End function
	.set _ZN7rocprim17ROCPRIM_400000_NS6detail17trampoline_kernelINS0_14default_configENS1_25partition_config_selectorILNS1_17partition_subalgoE8EjNS0_10empty_typeEbEEZZNS1_14partition_implILS5_8ELb0ES3_jN6thrust23THRUST_200600_302600_NS6detail15normal_iteratorINSA_10device_ptrIjEEEEPS6_PKS6_NS0_5tupleIJSF_S6_EEENSJ_IJSG_SG_EEENS0_18inequality_wrapperINSA_8equal_toIjEEEEPmJS6_EEE10hipError_tPvRmT3_T4_T5_T6_T7_T9_mT8_P12ihipStream_tbDpT10_ENKUlT_T0_E_clISt17integral_constantIbLb1EES19_IbLb0EEEEDaS15_S16_EUlS15_E_NS1_11comp_targetILNS1_3genE4ELNS1_11target_archE910ELNS1_3gpuE8ELNS1_3repE0EEENS1_30default_config_static_selectorELNS0_4arch9wavefront6targetE1EEEvT1_.num_vgpr, 0
	.set _ZN7rocprim17ROCPRIM_400000_NS6detail17trampoline_kernelINS0_14default_configENS1_25partition_config_selectorILNS1_17partition_subalgoE8EjNS0_10empty_typeEbEEZZNS1_14partition_implILS5_8ELb0ES3_jN6thrust23THRUST_200600_302600_NS6detail15normal_iteratorINSA_10device_ptrIjEEEEPS6_PKS6_NS0_5tupleIJSF_S6_EEENSJ_IJSG_SG_EEENS0_18inequality_wrapperINSA_8equal_toIjEEEEPmJS6_EEE10hipError_tPvRmT3_T4_T5_T6_T7_T9_mT8_P12ihipStream_tbDpT10_ENKUlT_T0_E_clISt17integral_constantIbLb1EES19_IbLb0EEEEDaS15_S16_EUlS15_E_NS1_11comp_targetILNS1_3genE4ELNS1_11target_archE910ELNS1_3gpuE8ELNS1_3repE0EEENS1_30default_config_static_selectorELNS0_4arch9wavefront6targetE1EEEvT1_.num_agpr, 0
	.set _ZN7rocprim17ROCPRIM_400000_NS6detail17trampoline_kernelINS0_14default_configENS1_25partition_config_selectorILNS1_17partition_subalgoE8EjNS0_10empty_typeEbEEZZNS1_14partition_implILS5_8ELb0ES3_jN6thrust23THRUST_200600_302600_NS6detail15normal_iteratorINSA_10device_ptrIjEEEEPS6_PKS6_NS0_5tupleIJSF_S6_EEENSJ_IJSG_SG_EEENS0_18inequality_wrapperINSA_8equal_toIjEEEEPmJS6_EEE10hipError_tPvRmT3_T4_T5_T6_T7_T9_mT8_P12ihipStream_tbDpT10_ENKUlT_T0_E_clISt17integral_constantIbLb1EES19_IbLb0EEEEDaS15_S16_EUlS15_E_NS1_11comp_targetILNS1_3genE4ELNS1_11target_archE910ELNS1_3gpuE8ELNS1_3repE0EEENS1_30default_config_static_selectorELNS0_4arch9wavefront6targetE1EEEvT1_.numbered_sgpr, 0
	.set _ZN7rocprim17ROCPRIM_400000_NS6detail17trampoline_kernelINS0_14default_configENS1_25partition_config_selectorILNS1_17partition_subalgoE8EjNS0_10empty_typeEbEEZZNS1_14partition_implILS5_8ELb0ES3_jN6thrust23THRUST_200600_302600_NS6detail15normal_iteratorINSA_10device_ptrIjEEEEPS6_PKS6_NS0_5tupleIJSF_S6_EEENSJ_IJSG_SG_EEENS0_18inequality_wrapperINSA_8equal_toIjEEEEPmJS6_EEE10hipError_tPvRmT3_T4_T5_T6_T7_T9_mT8_P12ihipStream_tbDpT10_ENKUlT_T0_E_clISt17integral_constantIbLb1EES19_IbLb0EEEEDaS15_S16_EUlS15_E_NS1_11comp_targetILNS1_3genE4ELNS1_11target_archE910ELNS1_3gpuE8ELNS1_3repE0EEENS1_30default_config_static_selectorELNS0_4arch9wavefront6targetE1EEEvT1_.num_named_barrier, 0
	.set _ZN7rocprim17ROCPRIM_400000_NS6detail17trampoline_kernelINS0_14default_configENS1_25partition_config_selectorILNS1_17partition_subalgoE8EjNS0_10empty_typeEbEEZZNS1_14partition_implILS5_8ELb0ES3_jN6thrust23THRUST_200600_302600_NS6detail15normal_iteratorINSA_10device_ptrIjEEEEPS6_PKS6_NS0_5tupleIJSF_S6_EEENSJ_IJSG_SG_EEENS0_18inequality_wrapperINSA_8equal_toIjEEEEPmJS6_EEE10hipError_tPvRmT3_T4_T5_T6_T7_T9_mT8_P12ihipStream_tbDpT10_ENKUlT_T0_E_clISt17integral_constantIbLb1EES19_IbLb0EEEEDaS15_S16_EUlS15_E_NS1_11comp_targetILNS1_3genE4ELNS1_11target_archE910ELNS1_3gpuE8ELNS1_3repE0EEENS1_30default_config_static_selectorELNS0_4arch9wavefront6targetE1EEEvT1_.private_seg_size, 0
	.set _ZN7rocprim17ROCPRIM_400000_NS6detail17trampoline_kernelINS0_14default_configENS1_25partition_config_selectorILNS1_17partition_subalgoE8EjNS0_10empty_typeEbEEZZNS1_14partition_implILS5_8ELb0ES3_jN6thrust23THRUST_200600_302600_NS6detail15normal_iteratorINSA_10device_ptrIjEEEEPS6_PKS6_NS0_5tupleIJSF_S6_EEENSJ_IJSG_SG_EEENS0_18inequality_wrapperINSA_8equal_toIjEEEEPmJS6_EEE10hipError_tPvRmT3_T4_T5_T6_T7_T9_mT8_P12ihipStream_tbDpT10_ENKUlT_T0_E_clISt17integral_constantIbLb1EES19_IbLb0EEEEDaS15_S16_EUlS15_E_NS1_11comp_targetILNS1_3genE4ELNS1_11target_archE910ELNS1_3gpuE8ELNS1_3repE0EEENS1_30default_config_static_selectorELNS0_4arch9wavefront6targetE1EEEvT1_.uses_vcc, 0
	.set _ZN7rocprim17ROCPRIM_400000_NS6detail17trampoline_kernelINS0_14default_configENS1_25partition_config_selectorILNS1_17partition_subalgoE8EjNS0_10empty_typeEbEEZZNS1_14partition_implILS5_8ELb0ES3_jN6thrust23THRUST_200600_302600_NS6detail15normal_iteratorINSA_10device_ptrIjEEEEPS6_PKS6_NS0_5tupleIJSF_S6_EEENSJ_IJSG_SG_EEENS0_18inequality_wrapperINSA_8equal_toIjEEEEPmJS6_EEE10hipError_tPvRmT3_T4_T5_T6_T7_T9_mT8_P12ihipStream_tbDpT10_ENKUlT_T0_E_clISt17integral_constantIbLb1EES19_IbLb0EEEEDaS15_S16_EUlS15_E_NS1_11comp_targetILNS1_3genE4ELNS1_11target_archE910ELNS1_3gpuE8ELNS1_3repE0EEENS1_30default_config_static_selectorELNS0_4arch9wavefront6targetE1EEEvT1_.uses_flat_scratch, 0
	.set _ZN7rocprim17ROCPRIM_400000_NS6detail17trampoline_kernelINS0_14default_configENS1_25partition_config_selectorILNS1_17partition_subalgoE8EjNS0_10empty_typeEbEEZZNS1_14partition_implILS5_8ELb0ES3_jN6thrust23THRUST_200600_302600_NS6detail15normal_iteratorINSA_10device_ptrIjEEEEPS6_PKS6_NS0_5tupleIJSF_S6_EEENSJ_IJSG_SG_EEENS0_18inequality_wrapperINSA_8equal_toIjEEEEPmJS6_EEE10hipError_tPvRmT3_T4_T5_T6_T7_T9_mT8_P12ihipStream_tbDpT10_ENKUlT_T0_E_clISt17integral_constantIbLb1EES19_IbLb0EEEEDaS15_S16_EUlS15_E_NS1_11comp_targetILNS1_3genE4ELNS1_11target_archE910ELNS1_3gpuE8ELNS1_3repE0EEENS1_30default_config_static_selectorELNS0_4arch9wavefront6targetE1EEEvT1_.has_dyn_sized_stack, 0
	.set _ZN7rocprim17ROCPRIM_400000_NS6detail17trampoline_kernelINS0_14default_configENS1_25partition_config_selectorILNS1_17partition_subalgoE8EjNS0_10empty_typeEbEEZZNS1_14partition_implILS5_8ELb0ES3_jN6thrust23THRUST_200600_302600_NS6detail15normal_iteratorINSA_10device_ptrIjEEEEPS6_PKS6_NS0_5tupleIJSF_S6_EEENSJ_IJSG_SG_EEENS0_18inequality_wrapperINSA_8equal_toIjEEEEPmJS6_EEE10hipError_tPvRmT3_T4_T5_T6_T7_T9_mT8_P12ihipStream_tbDpT10_ENKUlT_T0_E_clISt17integral_constantIbLb1EES19_IbLb0EEEEDaS15_S16_EUlS15_E_NS1_11comp_targetILNS1_3genE4ELNS1_11target_archE910ELNS1_3gpuE8ELNS1_3repE0EEENS1_30default_config_static_selectorELNS0_4arch9wavefront6targetE1EEEvT1_.has_recursion, 0
	.set _ZN7rocprim17ROCPRIM_400000_NS6detail17trampoline_kernelINS0_14default_configENS1_25partition_config_selectorILNS1_17partition_subalgoE8EjNS0_10empty_typeEbEEZZNS1_14partition_implILS5_8ELb0ES3_jN6thrust23THRUST_200600_302600_NS6detail15normal_iteratorINSA_10device_ptrIjEEEEPS6_PKS6_NS0_5tupleIJSF_S6_EEENSJ_IJSG_SG_EEENS0_18inequality_wrapperINSA_8equal_toIjEEEEPmJS6_EEE10hipError_tPvRmT3_T4_T5_T6_T7_T9_mT8_P12ihipStream_tbDpT10_ENKUlT_T0_E_clISt17integral_constantIbLb1EES19_IbLb0EEEEDaS15_S16_EUlS15_E_NS1_11comp_targetILNS1_3genE4ELNS1_11target_archE910ELNS1_3gpuE8ELNS1_3repE0EEENS1_30default_config_static_selectorELNS0_4arch9wavefront6targetE1EEEvT1_.has_indirect_call, 0
	.section	.AMDGPU.csdata,"",@progbits
; Kernel info:
; codeLenInByte = 0
; TotalNumSgprs: 4
; NumVgprs: 0
; ScratchSize: 0
; MemoryBound: 0
; FloatMode: 240
; IeeeMode: 1
; LDSByteSize: 0 bytes/workgroup (compile time only)
; SGPRBlocks: 0
; VGPRBlocks: 0
; NumSGPRsForWavesPerEU: 4
; NumVGPRsForWavesPerEU: 1
; Occupancy: 10
; WaveLimiterHint : 0
; COMPUTE_PGM_RSRC2:SCRATCH_EN: 0
; COMPUTE_PGM_RSRC2:USER_SGPR: 6
; COMPUTE_PGM_RSRC2:TRAP_HANDLER: 0
; COMPUTE_PGM_RSRC2:TGID_X_EN: 1
; COMPUTE_PGM_RSRC2:TGID_Y_EN: 0
; COMPUTE_PGM_RSRC2:TGID_Z_EN: 0
; COMPUTE_PGM_RSRC2:TIDIG_COMP_CNT: 0
	.section	.text._ZN7rocprim17ROCPRIM_400000_NS6detail17trampoline_kernelINS0_14default_configENS1_25partition_config_selectorILNS1_17partition_subalgoE8EjNS0_10empty_typeEbEEZZNS1_14partition_implILS5_8ELb0ES3_jN6thrust23THRUST_200600_302600_NS6detail15normal_iteratorINSA_10device_ptrIjEEEEPS6_PKS6_NS0_5tupleIJSF_S6_EEENSJ_IJSG_SG_EEENS0_18inequality_wrapperINSA_8equal_toIjEEEEPmJS6_EEE10hipError_tPvRmT3_T4_T5_T6_T7_T9_mT8_P12ihipStream_tbDpT10_ENKUlT_T0_E_clISt17integral_constantIbLb1EES19_IbLb0EEEEDaS15_S16_EUlS15_E_NS1_11comp_targetILNS1_3genE3ELNS1_11target_archE908ELNS1_3gpuE7ELNS1_3repE0EEENS1_30default_config_static_selectorELNS0_4arch9wavefront6targetE1EEEvT1_,"axG",@progbits,_ZN7rocprim17ROCPRIM_400000_NS6detail17trampoline_kernelINS0_14default_configENS1_25partition_config_selectorILNS1_17partition_subalgoE8EjNS0_10empty_typeEbEEZZNS1_14partition_implILS5_8ELb0ES3_jN6thrust23THRUST_200600_302600_NS6detail15normal_iteratorINSA_10device_ptrIjEEEEPS6_PKS6_NS0_5tupleIJSF_S6_EEENSJ_IJSG_SG_EEENS0_18inequality_wrapperINSA_8equal_toIjEEEEPmJS6_EEE10hipError_tPvRmT3_T4_T5_T6_T7_T9_mT8_P12ihipStream_tbDpT10_ENKUlT_T0_E_clISt17integral_constantIbLb1EES19_IbLb0EEEEDaS15_S16_EUlS15_E_NS1_11comp_targetILNS1_3genE3ELNS1_11target_archE908ELNS1_3gpuE7ELNS1_3repE0EEENS1_30default_config_static_selectorELNS0_4arch9wavefront6targetE1EEEvT1_,comdat
	.protected	_ZN7rocprim17ROCPRIM_400000_NS6detail17trampoline_kernelINS0_14default_configENS1_25partition_config_selectorILNS1_17partition_subalgoE8EjNS0_10empty_typeEbEEZZNS1_14partition_implILS5_8ELb0ES3_jN6thrust23THRUST_200600_302600_NS6detail15normal_iteratorINSA_10device_ptrIjEEEEPS6_PKS6_NS0_5tupleIJSF_S6_EEENSJ_IJSG_SG_EEENS0_18inequality_wrapperINSA_8equal_toIjEEEEPmJS6_EEE10hipError_tPvRmT3_T4_T5_T6_T7_T9_mT8_P12ihipStream_tbDpT10_ENKUlT_T0_E_clISt17integral_constantIbLb1EES19_IbLb0EEEEDaS15_S16_EUlS15_E_NS1_11comp_targetILNS1_3genE3ELNS1_11target_archE908ELNS1_3gpuE7ELNS1_3repE0EEENS1_30default_config_static_selectorELNS0_4arch9wavefront6targetE1EEEvT1_ ; -- Begin function _ZN7rocprim17ROCPRIM_400000_NS6detail17trampoline_kernelINS0_14default_configENS1_25partition_config_selectorILNS1_17partition_subalgoE8EjNS0_10empty_typeEbEEZZNS1_14partition_implILS5_8ELb0ES3_jN6thrust23THRUST_200600_302600_NS6detail15normal_iteratorINSA_10device_ptrIjEEEEPS6_PKS6_NS0_5tupleIJSF_S6_EEENSJ_IJSG_SG_EEENS0_18inequality_wrapperINSA_8equal_toIjEEEEPmJS6_EEE10hipError_tPvRmT3_T4_T5_T6_T7_T9_mT8_P12ihipStream_tbDpT10_ENKUlT_T0_E_clISt17integral_constantIbLb1EES19_IbLb0EEEEDaS15_S16_EUlS15_E_NS1_11comp_targetILNS1_3genE3ELNS1_11target_archE908ELNS1_3gpuE7ELNS1_3repE0EEENS1_30default_config_static_selectorELNS0_4arch9wavefront6targetE1EEEvT1_
	.globl	_ZN7rocprim17ROCPRIM_400000_NS6detail17trampoline_kernelINS0_14default_configENS1_25partition_config_selectorILNS1_17partition_subalgoE8EjNS0_10empty_typeEbEEZZNS1_14partition_implILS5_8ELb0ES3_jN6thrust23THRUST_200600_302600_NS6detail15normal_iteratorINSA_10device_ptrIjEEEEPS6_PKS6_NS0_5tupleIJSF_S6_EEENSJ_IJSG_SG_EEENS0_18inequality_wrapperINSA_8equal_toIjEEEEPmJS6_EEE10hipError_tPvRmT3_T4_T5_T6_T7_T9_mT8_P12ihipStream_tbDpT10_ENKUlT_T0_E_clISt17integral_constantIbLb1EES19_IbLb0EEEEDaS15_S16_EUlS15_E_NS1_11comp_targetILNS1_3genE3ELNS1_11target_archE908ELNS1_3gpuE7ELNS1_3repE0EEENS1_30default_config_static_selectorELNS0_4arch9wavefront6targetE1EEEvT1_
	.p2align	8
	.type	_ZN7rocprim17ROCPRIM_400000_NS6detail17trampoline_kernelINS0_14default_configENS1_25partition_config_selectorILNS1_17partition_subalgoE8EjNS0_10empty_typeEbEEZZNS1_14partition_implILS5_8ELb0ES3_jN6thrust23THRUST_200600_302600_NS6detail15normal_iteratorINSA_10device_ptrIjEEEEPS6_PKS6_NS0_5tupleIJSF_S6_EEENSJ_IJSG_SG_EEENS0_18inequality_wrapperINSA_8equal_toIjEEEEPmJS6_EEE10hipError_tPvRmT3_T4_T5_T6_T7_T9_mT8_P12ihipStream_tbDpT10_ENKUlT_T0_E_clISt17integral_constantIbLb1EES19_IbLb0EEEEDaS15_S16_EUlS15_E_NS1_11comp_targetILNS1_3genE3ELNS1_11target_archE908ELNS1_3gpuE7ELNS1_3repE0EEENS1_30default_config_static_selectorELNS0_4arch9wavefront6targetE1EEEvT1_,@function
_ZN7rocprim17ROCPRIM_400000_NS6detail17trampoline_kernelINS0_14default_configENS1_25partition_config_selectorILNS1_17partition_subalgoE8EjNS0_10empty_typeEbEEZZNS1_14partition_implILS5_8ELb0ES3_jN6thrust23THRUST_200600_302600_NS6detail15normal_iteratorINSA_10device_ptrIjEEEEPS6_PKS6_NS0_5tupleIJSF_S6_EEENSJ_IJSG_SG_EEENS0_18inequality_wrapperINSA_8equal_toIjEEEEPmJS6_EEE10hipError_tPvRmT3_T4_T5_T6_T7_T9_mT8_P12ihipStream_tbDpT10_ENKUlT_T0_E_clISt17integral_constantIbLb1EES19_IbLb0EEEEDaS15_S16_EUlS15_E_NS1_11comp_targetILNS1_3genE3ELNS1_11target_archE908ELNS1_3gpuE7ELNS1_3repE0EEENS1_30default_config_static_selectorELNS0_4arch9wavefront6targetE1EEEvT1_: ; @_ZN7rocprim17ROCPRIM_400000_NS6detail17trampoline_kernelINS0_14default_configENS1_25partition_config_selectorILNS1_17partition_subalgoE8EjNS0_10empty_typeEbEEZZNS1_14partition_implILS5_8ELb0ES3_jN6thrust23THRUST_200600_302600_NS6detail15normal_iteratorINSA_10device_ptrIjEEEEPS6_PKS6_NS0_5tupleIJSF_S6_EEENSJ_IJSG_SG_EEENS0_18inequality_wrapperINSA_8equal_toIjEEEEPmJS6_EEE10hipError_tPvRmT3_T4_T5_T6_T7_T9_mT8_P12ihipStream_tbDpT10_ENKUlT_T0_E_clISt17integral_constantIbLb1EES19_IbLb0EEEEDaS15_S16_EUlS15_E_NS1_11comp_targetILNS1_3genE3ELNS1_11target_archE908ELNS1_3gpuE7ELNS1_3repE0EEENS1_30default_config_static_selectorELNS0_4arch9wavefront6targetE1EEEvT1_
; %bb.0:
	.section	.rodata,"a",@progbits
	.p2align	6, 0x0
	.amdhsa_kernel _ZN7rocprim17ROCPRIM_400000_NS6detail17trampoline_kernelINS0_14default_configENS1_25partition_config_selectorILNS1_17partition_subalgoE8EjNS0_10empty_typeEbEEZZNS1_14partition_implILS5_8ELb0ES3_jN6thrust23THRUST_200600_302600_NS6detail15normal_iteratorINSA_10device_ptrIjEEEEPS6_PKS6_NS0_5tupleIJSF_S6_EEENSJ_IJSG_SG_EEENS0_18inequality_wrapperINSA_8equal_toIjEEEEPmJS6_EEE10hipError_tPvRmT3_T4_T5_T6_T7_T9_mT8_P12ihipStream_tbDpT10_ENKUlT_T0_E_clISt17integral_constantIbLb1EES19_IbLb0EEEEDaS15_S16_EUlS15_E_NS1_11comp_targetILNS1_3genE3ELNS1_11target_archE908ELNS1_3gpuE7ELNS1_3repE0EEENS1_30default_config_static_selectorELNS0_4arch9wavefront6targetE1EEEvT1_
		.amdhsa_group_segment_fixed_size 0
		.amdhsa_private_segment_fixed_size 0
		.amdhsa_kernarg_size 112
		.amdhsa_user_sgpr_count 6
		.amdhsa_user_sgpr_private_segment_buffer 1
		.amdhsa_user_sgpr_dispatch_ptr 0
		.amdhsa_user_sgpr_queue_ptr 0
		.amdhsa_user_sgpr_kernarg_segment_ptr 1
		.amdhsa_user_sgpr_dispatch_id 0
		.amdhsa_user_sgpr_flat_scratch_init 0
		.amdhsa_user_sgpr_private_segment_size 0
		.amdhsa_uses_dynamic_stack 0
		.amdhsa_system_sgpr_private_segment_wavefront_offset 0
		.amdhsa_system_sgpr_workgroup_id_x 1
		.amdhsa_system_sgpr_workgroup_id_y 0
		.amdhsa_system_sgpr_workgroup_id_z 0
		.amdhsa_system_sgpr_workgroup_info 0
		.amdhsa_system_vgpr_workitem_id 0
		.amdhsa_next_free_vgpr 1
		.amdhsa_next_free_sgpr 0
		.amdhsa_reserve_vcc 0
		.amdhsa_reserve_flat_scratch 0
		.amdhsa_float_round_mode_32 0
		.amdhsa_float_round_mode_16_64 0
		.amdhsa_float_denorm_mode_32 3
		.amdhsa_float_denorm_mode_16_64 3
		.amdhsa_dx10_clamp 1
		.amdhsa_ieee_mode 1
		.amdhsa_fp16_overflow 0
		.amdhsa_exception_fp_ieee_invalid_op 0
		.amdhsa_exception_fp_denorm_src 0
		.amdhsa_exception_fp_ieee_div_zero 0
		.amdhsa_exception_fp_ieee_overflow 0
		.amdhsa_exception_fp_ieee_underflow 0
		.amdhsa_exception_fp_ieee_inexact 0
		.amdhsa_exception_int_div_zero 0
	.end_amdhsa_kernel
	.section	.text._ZN7rocprim17ROCPRIM_400000_NS6detail17trampoline_kernelINS0_14default_configENS1_25partition_config_selectorILNS1_17partition_subalgoE8EjNS0_10empty_typeEbEEZZNS1_14partition_implILS5_8ELb0ES3_jN6thrust23THRUST_200600_302600_NS6detail15normal_iteratorINSA_10device_ptrIjEEEEPS6_PKS6_NS0_5tupleIJSF_S6_EEENSJ_IJSG_SG_EEENS0_18inequality_wrapperINSA_8equal_toIjEEEEPmJS6_EEE10hipError_tPvRmT3_T4_T5_T6_T7_T9_mT8_P12ihipStream_tbDpT10_ENKUlT_T0_E_clISt17integral_constantIbLb1EES19_IbLb0EEEEDaS15_S16_EUlS15_E_NS1_11comp_targetILNS1_3genE3ELNS1_11target_archE908ELNS1_3gpuE7ELNS1_3repE0EEENS1_30default_config_static_selectorELNS0_4arch9wavefront6targetE1EEEvT1_,"axG",@progbits,_ZN7rocprim17ROCPRIM_400000_NS6detail17trampoline_kernelINS0_14default_configENS1_25partition_config_selectorILNS1_17partition_subalgoE8EjNS0_10empty_typeEbEEZZNS1_14partition_implILS5_8ELb0ES3_jN6thrust23THRUST_200600_302600_NS6detail15normal_iteratorINSA_10device_ptrIjEEEEPS6_PKS6_NS0_5tupleIJSF_S6_EEENSJ_IJSG_SG_EEENS0_18inequality_wrapperINSA_8equal_toIjEEEEPmJS6_EEE10hipError_tPvRmT3_T4_T5_T6_T7_T9_mT8_P12ihipStream_tbDpT10_ENKUlT_T0_E_clISt17integral_constantIbLb1EES19_IbLb0EEEEDaS15_S16_EUlS15_E_NS1_11comp_targetILNS1_3genE3ELNS1_11target_archE908ELNS1_3gpuE7ELNS1_3repE0EEENS1_30default_config_static_selectorELNS0_4arch9wavefront6targetE1EEEvT1_,comdat
.Lfunc_end229:
	.size	_ZN7rocprim17ROCPRIM_400000_NS6detail17trampoline_kernelINS0_14default_configENS1_25partition_config_selectorILNS1_17partition_subalgoE8EjNS0_10empty_typeEbEEZZNS1_14partition_implILS5_8ELb0ES3_jN6thrust23THRUST_200600_302600_NS6detail15normal_iteratorINSA_10device_ptrIjEEEEPS6_PKS6_NS0_5tupleIJSF_S6_EEENSJ_IJSG_SG_EEENS0_18inequality_wrapperINSA_8equal_toIjEEEEPmJS6_EEE10hipError_tPvRmT3_T4_T5_T6_T7_T9_mT8_P12ihipStream_tbDpT10_ENKUlT_T0_E_clISt17integral_constantIbLb1EES19_IbLb0EEEEDaS15_S16_EUlS15_E_NS1_11comp_targetILNS1_3genE3ELNS1_11target_archE908ELNS1_3gpuE7ELNS1_3repE0EEENS1_30default_config_static_selectorELNS0_4arch9wavefront6targetE1EEEvT1_, .Lfunc_end229-_ZN7rocprim17ROCPRIM_400000_NS6detail17trampoline_kernelINS0_14default_configENS1_25partition_config_selectorILNS1_17partition_subalgoE8EjNS0_10empty_typeEbEEZZNS1_14partition_implILS5_8ELb0ES3_jN6thrust23THRUST_200600_302600_NS6detail15normal_iteratorINSA_10device_ptrIjEEEEPS6_PKS6_NS0_5tupleIJSF_S6_EEENSJ_IJSG_SG_EEENS0_18inequality_wrapperINSA_8equal_toIjEEEEPmJS6_EEE10hipError_tPvRmT3_T4_T5_T6_T7_T9_mT8_P12ihipStream_tbDpT10_ENKUlT_T0_E_clISt17integral_constantIbLb1EES19_IbLb0EEEEDaS15_S16_EUlS15_E_NS1_11comp_targetILNS1_3genE3ELNS1_11target_archE908ELNS1_3gpuE7ELNS1_3repE0EEENS1_30default_config_static_selectorELNS0_4arch9wavefront6targetE1EEEvT1_
                                        ; -- End function
	.set _ZN7rocprim17ROCPRIM_400000_NS6detail17trampoline_kernelINS0_14default_configENS1_25partition_config_selectorILNS1_17partition_subalgoE8EjNS0_10empty_typeEbEEZZNS1_14partition_implILS5_8ELb0ES3_jN6thrust23THRUST_200600_302600_NS6detail15normal_iteratorINSA_10device_ptrIjEEEEPS6_PKS6_NS0_5tupleIJSF_S6_EEENSJ_IJSG_SG_EEENS0_18inequality_wrapperINSA_8equal_toIjEEEEPmJS6_EEE10hipError_tPvRmT3_T4_T5_T6_T7_T9_mT8_P12ihipStream_tbDpT10_ENKUlT_T0_E_clISt17integral_constantIbLb1EES19_IbLb0EEEEDaS15_S16_EUlS15_E_NS1_11comp_targetILNS1_3genE3ELNS1_11target_archE908ELNS1_3gpuE7ELNS1_3repE0EEENS1_30default_config_static_selectorELNS0_4arch9wavefront6targetE1EEEvT1_.num_vgpr, 0
	.set _ZN7rocprim17ROCPRIM_400000_NS6detail17trampoline_kernelINS0_14default_configENS1_25partition_config_selectorILNS1_17partition_subalgoE8EjNS0_10empty_typeEbEEZZNS1_14partition_implILS5_8ELb0ES3_jN6thrust23THRUST_200600_302600_NS6detail15normal_iteratorINSA_10device_ptrIjEEEEPS6_PKS6_NS0_5tupleIJSF_S6_EEENSJ_IJSG_SG_EEENS0_18inequality_wrapperINSA_8equal_toIjEEEEPmJS6_EEE10hipError_tPvRmT3_T4_T5_T6_T7_T9_mT8_P12ihipStream_tbDpT10_ENKUlT_T0_E_clISt17integral_constantIbLb1EES19_IbLb0EEEEDaS15_S16_EUlS15_E_NS1_11comp_targetILNS1_3genE3ELNS1_11target_archE908ELNS1_3gpuE7ELNS1_3repE0EEENS1_30default_config_static_selectorELNS0_4arch9wavefront6targetE1EEEvT1_.num_agpr, 0
	.set _ZN7rocprim17ROCPRIM_400000_NS6detail17trampoline_kernelINS0_14default_configENS1_25partition_config_selectorILNS1_17partition_subalgoE8EjNS0_10empty_typeEbEEZZNS1_14partition_implILS5_8ELb0ES3_jN6thrust23THRUST_200600_302600_NS6detail15normal_iteratorINSA_10device_ptrIjEEEEPS6_PKS6_NS0_5tupleIJSF_S6_EEENSJ_IJSG_SG_EEENS0_18inequality_wrapperINSA_8equal_toIjEEEEPmJS6_EEE10hipError_tPvRmT3_T4_T5_T6_T7_T9_mT8_P12ihipStream_tbDpT10_ENKUlT_T0_E_clISt17integral_constantIbLb1EES19_IbLb0EEEEDaS15_S16_EUlS15_E_NS1_11comp_targetILNS1_3genE3ELNS1_11target_archE908ELNS1_3gpuE7ELNS1_3repE0EEENS1_30default_config_static_selectorELNS0_4arch9wavefront6targetE1EEEvT1_.numbered_sgpr, 0
	.set _ZN7rocprim17ROCPRIM_400000_NS6detail17trampoline_kernelINS0_14default_configENS1_25partition_config_selectorILNS1_17partition_subalgoE8EjNS0_10empty_typeEbEEZZNS1_14partition_implILS5_8ELb0ES3_jN6thrust23THRUST_200600_302600_NS6detail15normal_iteratorINSA_10device_ptrIjEEEEPS6_PKS6_NS0_5tupleIJSF_S6_EEENSJ_IJSG_SG_EEENS0_18inequality_wrapperINSA_8equal_toIjEEEEPmJS6_EEE10hipError_tPvRmT3_T4_T5_T6_T7_T9_mT8_P12ihipStream_tbDpT10_ENKUlT_T0_E_clISt17integral_constantIbLb1EES19_IbLb0EEEEDaS15_S16_EUlS15_E_NS1_11comp_targetILNS1_3genE3ELNS1_11target_archE908ELNS1_3gpuE7ELNS1_3repE0EEENS1_30default_config_static_selectorELNS0_4arch9wavefront6targetE1EEEvT1_.num_named_barrier, 0
	.set _ZN7rocprim17ROCPRIM_400000_NS6detail17trampoline_kernelINS0_14default_configENS1_25partition_config_selectorILNS1_17partition_subalgoE8EjNS0_10empty_typeEbEEZZNS1_14partition_implILS5_8ELb0ES3_jN6thrust23THRUST_200600_302600_NS6detail15normal_iteratorINSA_10device_ptrIjEEEEPS6_PKS6_NS0_5tupleIJSF_S6_EEENSJ_IJSG_SG_EEENS0_18inequality_wrapperINSA_8equal_toIjEEEEPmJS6_EEE10hipError_tPvRmT3_T4_T5_T6_T7_T9_mT8_P12ihipStream_tbDpT10_ENKUlT_T0_E_clISt17integral_constantIbLb1EES19_IbLb0EEEEDaS15_S16_EUlS15_E_NS1_11comp_targetILNS1_3genE3ELNS1_11target_archE908ELNS1_3gpuE7ELNS1_3repE0EEENS1_30default_config_static_selectorELNS0_4arch9wavefront6targetE1EEEvT1_.private_seg_size, 0
	.set _ZN7rocprim17ROCPRIM_400000_NS6detail17trampoline_kernelINS0_14default_configENS1_25partition_config_selectorILNS1_17partition_subalgoE8EjNS0_10empty_typeEbEEZZNS1_14partition_implILS5_8ELb0ES3_jN6thrust23THRUST_200600_302600_NS6detail15normal_iteratorINSA_10device_ptrIjEEEEPS6_PKS6_NS0_5tupleIJSF_S6_EEENSJ_IJSG_SG_EEENS0_18inequality_wrapperINSA_8equal_toIjEEEEPmJS6_EEE10hipError_tPvRmT3_T4_T5_T6_T7_T9_mT8_P12ihipStream_tbDpT10_ENKUlT_T0_E_clISt17integral_constantIbLb1EES19_IbLb0EEEEDaS15_S16_EUlS15_E_NS1_11comp_targetILNS1_3genE3ELNS1_11target_archE908ELNS1_3gpuE7ELNS1_3repE0EEENS1_30default_config_static_selectorELNS0_4arch9wavefront6targetE1EEEvT1_.uses_vcc, 0
	.set _ZN7rocprim17ROCPRIM_400000_NS6detail17trampoline_kernelINS0_14default_configENS1_25partition_config_selectorILNS1_17partition_subalgoE8EjNS0_10empty_typeEbEEZZNS1_14partition_implILS5_8ELb0ES3_jN6thrust23THRUST_200600_302600_NS6detail15normal_iteratorINSA_10device_ptrIjEEEEPS6_PKS6_NS0_5tupleIJSF_S6_EEENSJ_IJSG_SG_EEENS0_18inequality_wrapperINSA_8equal_toIjEEEEPmJS6_EEE10hipError_tPvRmT3_T4_T5_T6_T7_T9_mT8_P12ihipStream_tbDpT10_ENKUlT_T0_E_clISt17integral_constantIbLb1EES19_IbLb0EEEEDaS15_S16_EUlS15_E_NS1_11comp_targetILNS1_3genE3ELNS1_11target_archE908ELNS1_3gpuE7ELNS1_3repE0EEENS1_30default_config_static_selectorELNS0_4arch9wavefront6targetE1EEEvT1_.uses_flat_scratch, 0
	.set _ZN7rocprim17ROCPRIM_400000_NS6detail17trampoline_kernelINS0_14default_configENS1_25partition_config_selectorILNS1_17partition_subalgoE8EjNS0_10empty_typeEbEEZZNS1_14partition_implILS5_8ELb0ES3_jN6thrust23THRUST_200600_302600_NS6detail15normal_iteratorINSA_10device_ptrIjEEEEPS6_PKS6_NS0_5tupleIJSF_S6_EEENSJ_IJSG_SG_EEENS0_18inequality_wrapperINSA_8equal_toIjEEEEPmJS6_EEE10hipError_tPvRmT3_T4_T5_T6_T7_T9_mT8_P12ihipStream_tbDpT10_ENKUlT_T0_E_clISt17integral_constantIbLb1EES19_IbLb0EEEEDaS15_S16_EUlS15_E_NS1_11comp_targetILNS1_3genE3ELNS1_11target_archE908ELNS1_3gpuE7ELNS1_3repE0EEENS1_30default_config_static_selectorELNS0_4arch9wavefront6targetE1EEEvT1_.has_dyn_sized_stack, 0
	.set _ZN7rocprim17ROCPRIM_400000_NS6detail17trampoline_kernelINS0_14default_configENS1_25partition_config_selectorILNS1_17partition_subalgoE8EjNS0_10empty_typeEbEEZZNS1_14partition_implILS5_8ELb0ES3_jN6thrust23THRUST_200600_302600_NS6detail15normal_iteratorINSA_10device_ptrIjEEEEPS6_PKS6_NS0_5tupleIJSF_S6_EEENSJ_IJSG_SG_EEENS0_18inequality_wrapperINSA_8equal_toIjEEEEPmJS6_EEE10hipError_tPvRmT3_T4_T5_T6_T7_T9_mT8_P12ihipStream_tbDpT10_ENKUlT_T0_E_clISt17integral_constantIbLb1EES19_IbLb0EEEEDaS15_S16_EUlS15_E_NS1_11comp_targetILNS1_3genE3ELNS1_11target_archE908ELNS1_3gpuE7ELNS1_3repE0EEENS1_30default_config_static_selectorELNS0_4arch9wavefront6targetE1EEEvT1_.has_recursion, 0
	.set _ZN7rocprim17ROCPRIM_400000_NS6detail17trampoline_kernelINS0_14default_configENS1_25partition_config_selectorILNS1_17partition_subalgoE8EjNS0_10empty_typeEbEEZZNS1_14partition_implILS5_8ELb0ES3_jN6thrust23THRUST_200600_302600_NS6detail15normal_iteratorINSA_10device_ptrIjEEEEPS6_PKS6_NS0_5tupleIJSF_S6_EEENSJ_IJSG_SG_EEENS0_18inequality_wrapperINSA_8equal_toIjEEEEPmJS6_EEE10hipError_tPvRmT3_T4_T5_T6_T7_T9_mT8_P12ihipStream_tbDpT10_ENKUlT_T0_E_clISt17integral_constantIbLb1EES19_IbLb0EEEEDaS15_S16_EUlS15_E_NS1_11comp_targetILNS1_3genE3ELNS1_11target_archE908ELNS1_3gpuE7ELNS1_3repE0EEENS1_30default_config_static_selectorELNS0_4arch9wavefront6targetE1EEEvT1_.has_indirect_call, 0
	.section	.AMDGPU.csdata,"",@progbits
; Kernel info:
; codeLenInByte = 0
; TotalNumSgprs: 4
; NumVgprs: 0
; ScratchSize: 0
; MemoryBound: 0
; FloatMode: 240
; IeeeMode: 1
; LDSByteSize: 0 bytes/workgroup (compile time only)
; SGPRBlocks: 0
; VGPRBlocks: 0
; NumSGPRsForWavesPerEU: 4
; NumVGPRsForWavesPerEU: 1
; Occupancy: 10
; WaveLimiterHint : 0
; COMPUTE_PGM_RSRC2:SCRATCH_EN: 0
; COMPUTE_PGM_RSRC2:USER_SGPR: 6
; COMPUTE_PGM_RSRC2:TRAP_HANDLER: 0
; COMPUTE_PGM_RSRC2:TGID_X_EN: 1
; COMPUTE_PGM_RSRC2:TGID_Y_EN: 0
; COMPUTE_PGM_RSRC2:TGID_Z_EN: 0
; COMPUTE_PGM_RSRC2:TIDIG_COMP_CNT: 0
	.section	.text._ZN7rocprim17ROCPRIM_400000_NS6detail17trampoline_kernelINS0_14default_configENS1_25partition_config_selectorILNS1_17partition_subalgoE8EjNS0_10empty_typeEbEEZZNS1_14partition_implILS5_8ELb0ES3_jN6thrust23THRUST_200600_302600_NS6detail15normal_iteratorINSA_10device_ptrIjEEEEPS6_PKS6_NS0_5tupleIJSF_S6_EEENSJ_IJSG_SG_EEENS0_18inequality_wrapperINSA_8equal_toIjEEEEPmJS6_EEE10hipError_tPvRmT3_T4_T5_T6_T7_T9_mT8_P12ihipStream_tbDpT10_ENKUlT_T0_E_clISt17integral_constantIbLb1EES19_IbLb0EEEEDaS15_S16_EUlS15_E_NS1_11comp_targetILNS1_3genE2ELNS1_11target_archE906ELNS1_3gpuE6ELNS1_3repE0EEENS1_30default_config_static_selectorELNS0_4arch9wavefront6targetE1EEEvT1_,"axG",@progbits,_ZN7rocprim17ROCPRIM_400000_NS6detail17trampoline_kernelINS0_14default_configENS1_25partition_config_selectorILNS1_17partition_subalgoE8EjNS0_10empty_typeEbEEZZNS1_14partition_implILS5_8ELb0ES3_jN6thrust23THRUST_200600_302600_NS6detail15normal_iteratorINSA_10device_ptrIjEEEEPS6_PKS6_NS0_5tupleIJSF_S6_EEENSJ_IJSG_SG_EEENS0_18inequality_wrapperINSA_8equal_toIjEEEEPmJS6_EEE10hipError_tPvRmT3_T4_T5_T6_T7_T9_mT8_P12ihipStream_tbDpT10_ENKUlT_T0_E_clISt17integral_constantIbLb1EES19_IbLb0EEEEDaS15_S16_EUlS15_E_NS1_11comp_targetILNS1_3genE2ELNS1_11target_archE906ELNS1_3gpuE6ELNS1_3repE0EEENS1_30default_config_static_selectorELNS0_4arch9wavefront6targetE1EEEvT1_,comdat
	.protected	_ZN7rocprim17ROCPRIM_400000_NS6detail17trampoline_kernelINS0_14default_configENS1_25partition_config_selectorILNS1_17partition_subalgoE8EjNS0_10empty_typeEbEEZZNS1_14partition_implILS5_8ELb0ES3_jN6thrust23THRUST_200600_302600_NS6detail15normal_iteratorINSA_10device_ptrIjEEEEPS6_PKS6_NS0_5tupleIJSF_S6_EEENSJ_IJSG_SG_EEENS0_18inequality_wrapperINSA_8equal_toIjEEEEPmJS6_EEE10hipError_tPvRmT3_T4_T5_T6_T7_T9_mT8_P12ihipStream_tbDpT10_ENKUlT_T0_E_clISt17integral_constantIbLb1EES19_IbLb0EEEEDaS15_S16_EUlS15_E_NS1_11comp_targetILNS1_3genE2ELNS1_11target_archE906ELNS1_3gpuE6ELNS1_3repE0EEENS1_30default_config_static_selectorELNS0_4arch9wavefront6targetE1EEEvT1_ ; -- Begin function _ZN7rocprim17ROCPRIM_400000_NS6detail17trampoline_kernelINS0_14default_configENS1_25partition_config_selectorILNS1_17partition_subalgoE8EjNS0_10empty_typeEbEEZZNS1_14partition_implILS5_8ELb0ES3_jN6thrust23THRUST_200600_302600_NS6detail15normal_iteratorINSA_10device_ptrIjEEEEPS6_PKS6_NS0_5tupleIJSF_S6_EEENSJ_IJSG_SG_EEENS0_18inequality_wrapperINSA_8equal_toIjEEEEPmJS6_EEE10hipError_tPvRmT3_T4_T5_T6_T7_T9_mT8_P12ihipStream_tbDpT10_ENKUlT_T0_E_clISt17integral_constantIbLb1EES19_IbLb0EEEEDaS15_S16_EUlS15_E_NS1_11comp_targetILNS1_3genE2ELNS1_11target_archE906ELNS1_3gpuE6ELNS1_3repE0EEENS1_30default_config_static_selectorELNS0_4arch9wavefront6targetE1EEEvT1_
	.globl	_ZN7rocprim17ROCPRIM_400000_NS6detail17trampoline_kernelINS0_14default_configENS1_25partition_config_selectorILNS1_17partition_subalgoE8EjNS0_10empty_typeEbEEZZNS1_14partition_implILS5_8ELb0ES3_jN6thrust23THRUST_200600_302600_NS6detail15normal_iteratorINSA_10device_ptrIjEEEEPS6_PKS6_NS0_5tupleIJSF_S6_EEENSJ_IJSG_SG_EEENS0_18inequality_wrapperINSA_8equal_toIjEEEEPmJS6_EEE10hipError_tPvRmT3_T4_T5_T6_T7_T9_mT8_P12ihipStream_tbDpT10_ENKUlT_T0_E_clISt17integral_constantIbLb1EES19_IbLb0EEEEDaS15_S16_EUlS15_E_NS1_11comp_targetILNS1_3genE2ELNS1_11target_archE906ELNS1_3gpuE6ELNS1_3repE0EEENS1_30default_config_static_selectorELNS0_4arch9wavefront6targetE1EEEvT1_
	.p2align	8
	.type	_ZN7rocprim17ROCPRIM_400000_NS6detail17trampoline_kernelINS0_14default_configENS1_25partition_config_selectorILNS1_17partition_subalgoE8EjNS0_10empty_typeEbEEZZNS1_14partition_implILS5_8ELb0ES3_jN6thrust23THRUST_200600_302600_NS6detail15normal_iteratorINSA_10device_ptrIjEEEEPS6_PKS6_NS0_5tupleIJSF_S6_EEENSJ_IJSG_SG_EEENS0_18inequality_wrapperINSA_8equal_toIjEEEEPmJS6_EEE10hipError_tPvRmT3_T4_T5_T6_T7_T9_mT8_P12ihipStream_tbDpT10_ENKUlT_T0_E_clISt17integral_constantIbLb1EES19_IbLb0EEEEDaS15_S16_EUlS15_E_NS1_11comp_targetILNS1_3genE2ELNS1_11target_archE906ELNS1_3gpuE6ELNS1_3repE0EEENS1_30default_config_static_selectorELNS0_4arch9wavefront6targetE1EEEvT1_,@function
_ZN7rocprim17ROCPRIM_400000_NS6detail17trampoline_kernelINS0_14default_configENS1_25partition_config_selectorILNS1_17partition_subalgoE8EjNS0_10empty_typeEbEEZZNS1_14partition_implILS5_8ELb0ES3_jN6thrust23THRUST_200600_302600_NS6detail15normal_iteratorINSA_10device_ptrIjEEEEPS6_PKS6_NS0_5tupleIJSF_S6_EEENSJ_IJSG_SG_EEENS0_18inequality_wrapperINSA_8equal_toIjEEEEPmJS6_EEE10hipError_tPvRmT3_T4_T5_T6_T7_T9_mT8_P12ihipStream_tbDpT10_ENKUlT_T0_E_clISt17integral_constantIbLb1EES19_IbLb0EEEEDaS15_S16_EUlS15_E_NS1_11comp_targetILNS1_3genE2ELNS1_11target_archE906ELNS1_3gpuE6ELNS1_3repE0EEENS1_30default_config_static_selectorELNS0_4arch9wavefront6targetE1EEEvT1_: ; @_ZN7rocprim17ROCPRIM_400000_NS6detail17trampoline_kernelINS0_14default_configENS1_25partition_config_selectorILNS1_17partition_subalgoE8EjNS0_10empty_typeEbEEZZNS1_14partition_implILS5_8ELb0ES3_jN6thrust23THRUST_200600_302600_NS6detail15normal_iteratorINSA_10device_ptrIjEEEEPS6_PKS6_NS0_5tupleIJSF_S6_EEENSJ_IJSG_SG_EEENS0_18inequality_wrapperINSA_8equal_toIjEEEEPmJS6_EEE10hipError_tPvRmT3_T4_T5_T6_T7_T9_mT8_P12ihipStream_tbDpT10_ENKUlT_T0_E_clISt17integral_constantIbLb1EES19_IbLb0EEEEDaS15_S16_EUlS15_E_NS1_11comp_targetILNS1_3genE2ELNS1_11target_archE906ELNS1_3gpuE6ELNS1_3repE0EEENS1_30default_config_static_selectorELNS0_4arch9wavefront6targetE1EEEvT1_
; %bb.0:
	s_endpgm
	.section	.rodata,"a",@progbits
	.p2align	6, 0x0
	.amdhsa_kernel _ZN7rocprim17ROCPRIM_400000_NS6detail17trampoline_kernelINS0_14default_configENS1_25partition_config_selectorILNS1_17partition_subalgoE8EjNS0_10empty_typeEbEEZZNS1_14partition_implILS5_8ELb0ES3_jN6thrust23THRUST_200600_302600_NS6detail15normal_iteratorINSA_10device_ptrIjEEEEPS6_PKS6_NS0_5tupleIJSF_S6_EEENSJ_IJSG_SG_EEENS0_18inequality_wrapperINSA_8equal_toIjEEEEPmJS6_EEE10hipError_tPvRmT3_T4_T5_T6_T7_T9_mT8_P12ihipStream_tbDpT10_ENKUlT_T0_E_clISt17integral_constantIbLb1EES19_IbLb0EEEEDaS15_S16_EUlS15_E_NS1_11comp_targetILNS1_3genE2ELNS1_11target_archE906ELNS1_3gpuE6ELNS1_3repE0EEENS1_30default_config_static_selectorELNS0_4arch9wavefront6targetE1EEEvT1_
		.amdhsa_group_segment_fixed_size 0
		.amdhsa_private_segment_fixed_size 0
		.amdhsa_kernarg_size 112
		.amdhsa_user_sgpr_count 6
		.amdhsa_user_sgpr_private_segment_buffer 1
		.amdhsa_user_sgpr_dispatch_ptr 0
		.amdhsa_user_sgpr_queue_ptr 0
		.amdhsa_user_sgpr_kernarg_segment_ptr 1
		.amdhsa_user_sgpr_dispatch_id 0
		.amdhsa_user_sgpr_flat_scratch_init 0
		.amdhsa_user_sgpr_private_segment_size 0
		.amdhsa_uses_dynamic_stack 0
		.amdhsa_system_sgpr_private_segment_wavefront_offset 0
		.amdhsa_system_sgpr_workgroup_id_x 1
		.amdhsa_system_sgpr_workgroup_id_y 0
		.amdhsa_system_sgpr_workgroup_id_z 0
		.amdhsa_system_sgpr_workgroup_info 0
		.amdhsa_system_vgpr_workitem_id 0
		.amdhsa_next_free_vgpr 1
		.amdhsa_next_free_sgpr 0
		.amdhsa_reserve_vcc 0
		.amdhsa_reserve_flat_scratch 0
		.amdhsa_float_round_mode_32 0
		.amdhsa_float_round_mode_16_64 0
		.amdhsa_float_denorm_mode_32 3
		.amdhsa_float_denorm_mode_16_64 3
		.amdhsa_dx10_clamp 1
		.amdhsa_ieee_mode 1
		.amdhsa_fp16_overflow 0
		.amdhsa_exception_fp_ieee_invalid_op 0
		.amdhsa_exception_fp_denorm_src 0
		.amdhsa_exception_fp_ieee_div_zero 0
		.amdhsa_exception_fp_ieee_overflow 0
		.amdhsa_exception_fp_ieee_underflow 0
		.amdhsa_exception_fp_ieee_inexact 0
		.amdhsa_exception_int_div_zero 0
	.end_amdhsa_kernel
	.section	.text._ZN7rocprim17ROCPRIM_400000_NS6detail17trampoline_kernelINS0_14default_configENS1_25partition_config_selectorILNS1_17partition_subalgoE8EjNS0_10empty_typeEbEEZZNS1_14partition_implILS5_8ELb0ES3_jN6thrust23THRUST_200600_302600_NS6detail15normal_iteratorINSA_10device_ptrIjEEEEPS6_PKS6_NS0_5tupleIJSF_S6_EEENSJ_IJSG_SG_EEENS0_18inequality_wrapperINSA_8equal_toIjEEEEPmJS6_EEE10hipError_tPvRmT3_T4_T5_T6_T7_T9_mT8_P12ihipStream_tbDpT10_ENKUlT_T0_E_clISt17integral_constantIbLb1EES19_IbLb0EEEEDaS15_S16_EUlS15_E_NS1_11comp_targetILNS1_3genE2ELNS1_11target_archE906ELNS1_3gpuE6ELNS1_3repE0EEENS1_30default_config_static_selectorELNS0_4arch9wavefront6targetE1EEEvT1_,"axG",@progbits,_ZN7rocprim17ROCPRIM_400000_NS6detail17trampoline_kernelINS0_14default_configENS1_25partition_config_selectorILNS1_17partition_subalgoE8EjNS0_10empty_typeEbEEZZNS1_14partition_implILS5_8ELb0ES3_jN6thrust23THRUST_200600_302600_NS6detail15normal_iteratorINSA_10device_ptrIjEEEEPS6_PKS6_NS0_5tupleIJSF_S6_EEENSJ_IJSG_SG_EEENS0_18inequality_wrapperINSA_8equal_toIjEEEEPmJS6_EEE10hipError_tPvRmT3_T4_T5_T6_T7_T9_mT8_P12ihipStream_tbDpT10_ENKUlT_T0_E_clISt17integral_constantIbLb1EES19_IbLb0EEEEDaS15_S16_EUlS15_E_NS1_11comp_targetILNS1_3genE2ELNS1_11target_archE906ELNS1_3gpuE6ELNS1_3repE0EEENS1_30default_config_static_selectorELNS0_4arch9wavefront6targetE1EEEvT1_,comdat
.Lfunc_end230:
	.size	_ZN7rocprim17ROCPRIM_400000_NS6detail17trampoline_kernelINS0_14default_configENS1_25partition_config_selectorILNS1_17partition_subalgoE8EjNS0_10empty_typeEbEEZZNS1_14partition_implILS5_8ELb0ES3_jN6thrust23THRUST_200600_302600_NS6detail15normal_iteratorINSA_10device_ptrIjEEEEPS6_PKS6_NS0_5tupleIJSF_S6_EEENSJ_IJSG_SG_EEENS0_18inequality_wrapperINSA_8equal_toIjEEEEPmJS6_EEE10hipError_tPvRmT3_T4_T5_T6_T7_T9_mT8_P12ihipStream_tbDpT10_ENKUlT_T0_E_clISt17integral_constantIbLb1EES19_IbLb0EEEEDaS15_S16_EUlS15_E_NS1_11comp_targetILNS1_3genE2ELNS1_11target_archE906ELNS1_3gpuE6ELNS1_3repE0EEENS1_30default_config_static_selectorELNS0_4arch9wavefront6targetE1EEEvT1_, .Lfunc_end230-_ZN7rocprim17ROCPRIM_400000_NS6detail17trampoline_kernelINS0_14default_configENS1_25partition_config_selectorILNS1_17partition_subalgoE8EjNS0_10empty_typeEbEEZZNS1_14partition_implILS5_8ELb0ES3_jN6thrust23THRUST_200600_302600_NS6detail15normal_iteratorINSA_10device_ptrIjEEEEPS6_PKS6_NS0_5tupleIJSF_S6_EEENSJ_IJSG_SG_EEENS0_18inequality_wrapperINSA_8equal_toIjEEEEPmJS6_EEE10hipError_tPvRmT3_T4_T5_T6_T7_T9_mT8_P12ihipStream_tbDpT10_ENKUlT_T0_E_clISt17integral_constantIbLb1EES19_IbLb0EEEEDaS15_S16_EUlS15_E_NS1_11comp_targetILNS1_3genE2ELNS1_11target_archE906ELNS1_3gpuE6ELNS1_3repE0EEENS1_30default_config_static_selectorELNS0_4arch9wavefront6targetE1EEEvT1_
                                        ; -- End function
	.set _ZN7rocprim17ROCPRIM_400000_NS6detail17trampoline_kernelINS0_14default_configENS1_25partition_config_selectorILNS1_17partition_subalgoE8EjNS0_10empty_typeEbEEZZNS1_14partition_implILS5_8ELb0ES3_jN6thrust23THRUST_200600_302600_NS6detail15normal_iteratorINSA_10device_ptrIjEEEEPS6_PKS6_NS0_5tupleIJSF_S6_EEENSJ_IJSG_SG_EEENS0_18inequality_wrapperINSA_8equal_toIjEEEEPmJS6_EEE10hipError_tPvRmT3_T4_T5_T6_T7_T9_mT8_P12ihipStream_tbDpT10_ENKUlT_T0_E_clISt17integral_constantIbLb1EES19_IbLb0EEEEDaS15_S16_EUlS15_E_NS1_11comp_targetILNS1_3genE2ELNS1_11target_archE906ELNS1_3gpuE6ELNS1_3repE0EEENS1_30default_config_static_selectorELNS0_4arch9wavefront6targetE1EEEvT1_.num_vgpr, 0
	.set _ZN7rocprim17ROCPRIM_400000_NS6detail17trampoline_kernelINS0_14default_configENS1_25partition_config_selectorILNS1_17partition_subalgoE8EjNS0_10empty_typeEbEEZZNS1_14partition_implILS5_8ELb0ES3_jN6thrust23THRUST_200600_302600_NS6detail15normal_iteratorINSA_10device_ptrIjEEEEPS6_PKS6_NS0_5tupleIJSF_S6_EEENSJ_IJSG_SG_EEENS0_18inequality_wrapperINSA_8equal_toIjEEEEPmJS6_EEE10hipError_tPvRmT3_T4_T5_T6_T7_T9_mT8_P12ihipStream_tbDpT10_ENKUlT_T0_E_clISt17integral_constantIbLb1EES19_IbLb0EEEEDaS15_S16_EUlS15_E_NS1_11comp_targetILNS1_3genE2ELNS1_11target_archE906ELNS1_3gpuE6ELNS1_3repE0EEENS1_30default_config_static_selectorELNS0_4arch9wavefront6targetE1EEEvT1_.num_agpr, 0
	.set _ZN7rocprim17ROCPRIM_400000_NS6detail17trampoline_kernelINS0_14default_configENS1_25partition_config_selectorILNS1_17partition_subalgoE8EjNS0_10empty_typeEbEEZZNS1_14partition_implILS5_8ELb0ES3_jN6thrust23THRUST_200600_302600_NS6detail15normal_iteratorINSA_10device_ptrIjEEEEPS6_PKS6_NS0_5tupleIJSF_S6_EEENSJ_IJSG_SG_EEENS0_18inequality_wrapperINSA_8equal_toIjEEEEPmJS6_EEE10hipError_tPvRmT3_T4_T5_T6_T7_T9_mT8_P12ihipStream_tbDpT10_ENKUlT_T0_E_clISt17integral_constantIbLb1EES19_IbLb0EEEEDaS15_S16_EUlS15_E_NS1_11comp_targetILNS1_3genE2ELNS1_11target_archE906ELNS1_3gpuE6ELNS1_3repE0EEENS1_30default_config_static_selectorELNS0_4arch9wavefront6targetE1EEEvT1_.numbered_sgpr, 0
	.set _ZN7rocprim17ROCPRIM_400000_NS6detail17trampoline_kernelINS0_14default_configENS1_25partition_config_selectorILNS1_17partition_subalgoE8EjNS0_10empty_typeEbEEZZNS1_14partition_implILS5_8ELb0ES3_jN6thrust23THRUST_200600_302600_NS6detail15normal_iteratorINSA_10device_ptrIjEEEEPS6_PKS6_NS0_5tupleIJSF_S6_EEENSJ_IJSG_SG_EEENS0_18inequality_wrapperINSA_8equal_toIjEEEEPmJS6_EEE10hipError_tPvRmT3_T4_T5_T6_T7_T9_mT8_P12ihipStream_tbDpT10_ENKUlT_T0_E_clISt17integral_constantIbLb1EES19_IbLb0EEEEDaS15_S16_EUlS15_E_NS1_11comp_targetILNS1_3genE2ELNS1_11target_archE906ELNS1_3gpuE6ELNS1_3repE0EEENS1_30default_config_static_selectorELNS0_4arch9wavefront6targetE1EEEvT1_.num_named_barrier, 0
	.set _ZN7rocprim17ROCPRIM_400000_NS6detail17trampoline_kernelINS0_14default_configENS1_25partition_config_selectorILNS1_17partition_subalgoE8EjNS0_10empty_typeEbEEZZNS1_14partition_implILS5_8ELb0ES3_jN6thrust23THRUST_200600_302600_NS6detail15normal_iteratorINSA_10device_ptrIjEEEEPS6_PKS6_NS0_5tupleIJSF_S6_EEENSJ_IJSG_SG_EEENS0_18inequality_wrapperINSA_8equal_toIjEEEEPmJS6_EEE10hipError_tPvRmT3_T4_T5_T6_T7_T9_mT8_P12ihipStream_tbDpT10_ENKUlT_T0_E_clISt17integral_constantIbLb1EES19_IbLb0EEEEDaS15_S16_EUlS15_E_NS1_11comp_targetILNS1_3genE2ELNS1_11target_archE906ELNS1_3gpuE6ELNS1_3repE0EEENS1_30default_config_static_selectorELNS0_4arch9wavefront6targetE1EEEvT1_.private_seg_size, 0
	.set _ZN7rocprim17ROCPRIM_400000_NS6detail17trampoline_kernelINS0_14default_configENS1_25partition_config_selectorILNS1_17partition_subalgoE8EjNS0_10empty_typeEbEEZZNS1_14partition_implILS5_8ELb0ES3_jN6thrust23THRUST_200600_302600_NS6detail15normal_iteratorINSA_10device_ptrIjEEEEPS6_PKS6_NS0_5tupleIJSF_S6_EEENSJ_IJSG_SG_EEENS0_18inequality_wrapperINSA_8equal_toIjEEEEPmJS6_EEE10hipError_tPvRmT3_T4_T5_T6_T7_T9_mT8_P12ihipStream_tbDpT10_ENKUlT_T0_E_clISt17integral_constantIbLb1EES19_IbLb0EEEEDaS15_S16_EUlS15_E_NS1_11comp_targetILNS1_3genE2ELNS1_11target_archE906ELNS1_3gpuE6ELNS1_3repE0EEENS1_30default_config_static_selectorELNS0_4arch9wavefront6targetE1EEEvT1_.uses_vcc, 0
	.set _ZN7rocprim17ROCPRIM_400000_NS6detail17trampoline_kernelINS0_14default_configENS1_25partition_config_selectorILNS1_17partition_subalgoE8EjNS0_10empty_typeEbEEZZNS1_14partition_implILS5_8ELb0ES3_jN6thrust23THRUST_200600_302600_NS6detail15normal_iteratorINSA_10device_ptrIjEEEEPS6_PKS6_NS0_5tupleIJSF_S6_EEENSJ_IJSG_SG_EEENS0_18inequality_wrapperINSA_8equal_toIjEEEEPmJS6_EEE10hipError_tPvRmT3_T4_T5_T6_T7_T9_mT8_P12ihipStream_tbDpT10_ENKUlT_T0_E_clISt17integral_constantIbLb1EES19_IbLb0EEEEDaS15_S16_EUlS15_E_NS1_11comp_targetILNS1_3genE2ELNS1_11target_archE906ELNS1_3gpuE6ELNS1_3repE0EEENS1_30default_config_static_selectorELNS0_4arch9wavefront6targetE1EEEvT1_.uses_flat_scratch, 0
	.set _ZN7rocprim17ROCPRIM_400000_NS6detail17trampoline_kernelINS0_14default_configENS1_25partition_config_selectorILNS1_17partition_subalgoE8EjNS0_10empty_typeEbEEZZNS1_14partition_implILS5_8ELb0ES3_jN6thrust23THRUST_200600_302600_NS6detail15normal_iteratorINSA_10device_ptrIjEEEEPS6_PKS6_NS0_5tupleIJSF_S6_EEENSJ_IJSG_SG_EEENS0_18inequality_wrapperINSA_8equal_toIjEEEEPmJS6_EEE10hipError_tPvRmT3_T4_T5_T6_T7_T9_mT8_P12ihipStream_tbDpT10_ENKUlT_T0_E_clISt17integral_constantIbLb1EES19_IbLb0EEEEDaS15_S16_EUlS15_E_NS1_11comp_targetILNS1_3genE2ELNS1_11target_archE906ELNS1_3gpuE6ELNS1_3repE0EEENS1_30default_config_static_selectorELNS0_4arch9wavefront6targetE1EEEvT1_.has_dyn_sized_stack, 0
	.set _ZN7rocprim17ROCPRIM_400000_NS6detail17trampoline_kernelINS0_14default_configENS1_25partition_config_selectorILNS1_17partition_subalgoE8EjNS0_10empty_typeEbEEZZNS1_14partition_implILS5_8ELb0ES3_jN6thrust23THRUST_200600_302600_NS6detail15normal_iteratorINSA_10device_ptrIjEEEEPS6_PKS6_NS0_5tupleIJSF_S6_EEENSJ_IJSG_SG_EEENS0_18inequality_wrapperINSA_8equal_toIjEEEEPmJS6_EEE10hipError_tPvRmT3_T4_T5_T6_T7_T9_mT8_P12ihipStream_tbDpT10_ENKUlT_T0_E_clISt17integral_constantIbLb1EES19_IbLb0EEEEDaS15_S16_EUlS15_E_NS1_11comp_targetILNS1_3genE2ELNS1_11target_archE906ELNS1_3gpuE6ELNS1_3repE0EEENS1_30default_config_static_selectorELNS0_4arch9wavefront6targetE1EEEvT1_.has_recursion, 0
	.set _ZN7rocprim17ROCPRIM_400000_NS6detail17trampoline_kernelINS0_14default_configENS1_25partition_config_selectorILNS1_17partition_subalgoE8EjNS0_10empty_typeEbEEZZNS1_14partition_implILS5_8ELb0ES3_jN6thrust23THRUST_200600_302600_NS6detail15normal_iteratorINSA_10device_ptrIjEEEEPS6_PKS6_NS0_5tupleIJSF_S6_EEENSJ_IJSG_SG_EEENS0_18inequality_wrapperINSA_8equal_toIjEEEEPmJS6_EEE10hipError_tPvRmT3_T4_T5_T6_T7_T9_mT8_P12ihipStream_tbDpT10_ENKUlT_T0_E_clISt17integral_constantIbLb1EES19_IbLb0EEEEDaS15_S16_EUlS15_E_NS1_11comp_targetILNS1_3genE2ELNS1_11target_archE906ELNS1_3gpuE6ELNS1_3repE0EEENS1_30default_config_static_selectorELNS0_4arch9wavefront6targetE1EEEvT1_.has_indirect_call, 0
	.section	.AMDGPU.csdata,"",@progbits
; Kernel info:
; codeLenInByte = 4
; TotalNumSgprs: 4
; NumVgprs: 0
; ScratchSize: 0
; MemoryBound: 0
; FloatMode: 240
; IeeeMode: 1
; LDSByteSize: 0 bytes/workgroup (compile time only)
; SGPRBlocks: 0
; VGPRBlocks: 0
; NumSGPRsForWavesPerEU: 4
; NumVGPRsForWavesPerEU: 1
; Occupancy: 10
; WaveLimiterHint : 0
; COMPUTE_PGM_RSRC2:SCRATCH_EN: 0
; COMPUTE_PGM_RSRC2:USER_SGPR: 6
; COMPUTE_PGM_RSRC2:TRAP_HANDLER: 0
; COMPUTE_PGM_RSRC2:TGID_X_EN: 1
; COMPUTE_PGM_RSRC2:TGID_Y_EN: 0
; COMPUTE_PGM_RSRC2:TGID_Z_EN: 0
; COMPUTE_PGM_RSRC2:TIDIG_COMP_CNT: 0
	.section	.text._ZN7rocprim17ROCPRIM_400000_NS6detail17trampoline_kernelINS0_14default_configENS1_25partition_config_selectorILNS1_17partition_subalgoE8EjNS0_10empty_typeEbEEZZNS1_14partition_implILS5_8ELb0ES3_jN6thrust23THRUST_200600_302600_NS6detail15normal_iteratorINSA_10device_ptrIjEEEEPS6_PKS6_NS0_5tupleIJSF_S6_EEENSJ_IJSG_SG_EEENS0_18inequality_wrapperINSA_8equal_toIjEEEEPmJS6_EEE10hipError_tPvRmT3_T4_T5_T6_T7_T9_mT8_P12ihipStream_tbDpT10_ENKUlT_T0_E_clISt17integral_constantIbLb1EES19_IbLb0EEEEDaS15_S16_EUlS15_E_NS1_11comp_targetILNS1_3genE10ELNS1_11target_archE1200ELNS1_3gpuE4ELNS1_3repE0EEENS1_30default_config_static_selectorELNS0_4arch9wavefront6targetE1EEEvT1_,"axG",@progbits,_ZN7rocprim17ROCPRIM_400000_NS6detail17trampoline_kernelINS0_14default_configENS1_25partition_config_selectorILNS1_17partition_subalgoE8EjNS0_10empty_typeEbEEZZNS1_14partition_implILS5_8ELb0ES3_jN6thrust23THRUST_200600_302600_NS6detail15normal_iteratorINSA_10device_ptrIjEEEEPS6_PKS6_NS0_5tupleIJSF_S6_EEENSJ_IJSG_SG_EEENS0_18inequality_wrapperINSA_8equal_toIjEEEEPmJS6_EEE10hipError_tPvRmT3_T4_T5_T6_T7_T9_mT8_P12ihipStream_tbDpT10_ENKUlT_T0_E_clISt17integral_constantIbLb1EES19_IbLb0EEEEDaS15_S16_EUlS15_E_NS1_11comp_targetILNS1_3genE10ELNS1_11target_archE1200ELNS1_3gpuE4ELNS1_3repE0EEENS1_30default_config_static_selectorELNS0_4arch9wavefront6targetE1EEEvT1_,comdat
	.protected	_ZN7rocprim17ROCPRIM_400000_NS6detail17trampoline_kernelINS0_14default_configENS1_25partition_config_selectorILNS1_17partition_subalgoE8EjNS0_10empty_typeEbEEZZNS1_14partition_implILS5_8ELb0ES3_jN6thrust23THRUST_200600_302600_NS6detail15normal_iteratorINSA_10device_ptrIjEEEEPS6_PKS6_NS0_5tupleIJSF_S6_EEENSJ_IJSG_SG_EEENS0_18inequality_wrapperINSA_8equal_toIjEEEEPmJS6_EEE10hipError_tPvRmT3_T4_T5_T6_T7_T9_mT8_P12ihipStream_tbDpT10_ENKUlT_T0_E_clISt17integral_constantIbLb1EES19_IbLb0EEEEDaS15_S16_EUlS15_E_NS1_11comp_targetILNS1_3genE10ELNS1_11target_archE1200ELNS1_3gpuE4ELNS1_3repE0EEENS1_30default_config_static_selectorELNS0_4arch9wavefront6targetE1EEEvT1_ ; -- Begin function _ZN7rocprim17ROCPRIM_400000_NS6detail17trampoline_kernelINS0_14default_configENS1_25partition_config_selectorILNS1_17partition_subalgoE8EjNS0_10empty_typeEbEEZZNS1_14partition_implILS5_8ELb0ES3_jN6thrust23THRUST_200600_302600_NS6detail15normal_iteratorINSA_10device_ptrIjEEEEPS6_PKS6_NS0_5tupleIJSF_S6_EEENSJ_IJSG_SG_EEENS0_18inequality_wrapperINSA_8equal_toIjEEEEPmJS6_EEE10hipError_tPvRmT3_T4_T5_T6_T7_T9_mT8_P12ihipStream_tbDpT10_ENKUlT_T0_E_clISt17integral_constantIbLb1EES19_IbLb0EEEEDaS15_S16_EUlS15_E_NS1_11comp_targetILNS1_3genE10ELNS1_11target_archE1200ELNS1_3gpuE4ELNS1_3repE0EEENS1_30default_config_static_selectorELNS0_4arch9wavefront6targetE1EEEvT1_
	.globl	_ZN7rocprim17ROCPRIM_400000_NS6detail17trampoline_kernelINS0_14default_configENS1_25partition_config_selectorILNS1_17partition_subalgoE8EjNS0_10empty_typeEbEEZZNS1_14partition_implILS5_8ELb0ES3_jN6thrust23THRUST_200600_302600_NS6detail15normal_iteratorINSA_10device_ptrIjEEEEPS6_PKS6_NS0_5tupleIJSF_S6_EEENSJ_IJSG_SG_EEENS0_18inequality_wrapperINSA_8equal_toIjEEEEPmJS6_EEE10hipError_tPvRmT3_T4_T5_T6_T7_T9_mT8_P12ihipStream_tbDpT10_ENKUlT_T0_E_clISt17integral_constantIbLb1EES19_IbLb0EEEEDaS15_S16_EUlS15_E_NS1_11comp_targetILNS1_3genE10ELNS1_11target_archE1200ELNS1_3gpuE4ELNS1_3repE0EEENS1_30default_config_static_selectorELNS0_4arch9wavefront6targetE1EEEvT1_
	.p2align	8
	.type	_ZN7rocprim17ROCPRIM_400000_NS6detail17trampoline_kernelINS0_14default_configENS1_25partition_config_selectorILNS1_17partition_subalgoE8EjNS0_10empty_typeEbEEZZNS1_14partition_implILS5_8ELb0ES3_jN6thrust23THRUST_200600_302600_NS6detail15normal_iteratorINSA_10device_ptrIjEEEEPS6_PKS6_NS0_5tupleIJSF_S6_EEENSJ_IJSG_SG_EEENS0_18inequality_wrapperINSA_8equal_toIjEEEEPmJS6_EEE10hipError_tPvRmT3_T4_T5_T6_T7_T9_mT8_P12ihipStream_tbDpT10_ENKUlT_T0_E_clISt17integral_constantIbLb1EES19_IbLb0EEEEDaS15_S16_EUlS15_E_NS1_11comp_targetILNS1_3genE10ELNS1_11target_archE1200ELNS1_3gpuE4ELNS1_3repE0EEENS1_30default_config_static_selectorELNS0_4arch9wavefront6targetE1EEEvT1_,@function
_ZN7rocprim17ROCPRIM_400000_NS6detail17trampoline_kernelINS0_14default_configENS1_25partition_config_selectorILNS1_17partition_subalgoE8EjNS0_10empty_typeEbEEZZNS1_14partition_implILS5_8ELb0ES3_jN6thrust23THRUST_200600_302600_NS6detail15normal_iteratorINSA_10device_ptrIjEEEEPS6_PKS6_NS0_5tupleIJSF_S6_EEENSJ_IJSG_SG_EEENS0_18inequality_wrapperINSA_8equal_toIjEEEEPmJS6_EEE10hipError_tPvRmT3_T4_T5_T6_T7_T9_mT8_P12ihipStream_tbDpT10_ENKUlT_T0_E_clISt17integral_constantIbLb1EES19_IbLb0EEEEDaS15_S16_EUlS15_E_NS1_11comp_targetILNS1_3genE10ELNS1_11target_archE1200ELNS1_3gpuE4ELNS1_3repE0EEENS1_30default_config_static_selectorELNS0_4arch9wavefront6targetE1EEEvT1_: ; @_ZN7rocprim17ROCPRIM_400000_NS6detail17trampoline_kernelINS0_14default_configENS1_25partition_config_selectorILNS1_17partition_subalgoE8EjNS0_10empty_typeEbEEZZNS1_14partition_implILS5_8ELb0ES3_jN6thrust23THRUST_200600_302600_NS6detail15normal_iteratorINSA_10device_ptrIjEEEEPS6_PKS6_NS0_5tupleIJSF_S6_EEENSJ_IJSG_SG_EEENS0_18inequality_wrapperINSA_8equal_toIjEEEEPmJS6_EEE10hipError_tPvRmT3_T4_T5_T6_T7_T9_mT8_P12ihipStream_tbDpT10_ENKUlT_T0_E_clISt17integral_constantIbLb1EES19_IbLb0EEEEDaS15_S16_EUlS15_E_NS1_11comp_targetILNS1_3genE10ELNS1_11target_archE1200ELNS1_3gpuE4ELNS1_3repE0EEENS1_30default_config_static_selectorELNS0_4arch9wavefront6targetE1EEEvT1_
; %bb.0:
	.section	.rodata,"a",@progbits
	.p2align	6, 0x0
	.amdhsa_kernel _ZN7rocprim17ROCPRIM_400000_NS6detail17trampoline_kernelINS0_14default_configENS1_25partition_config_selectorILNS1_17partition_subalgoE8EjNS0_10empty_typeEbEEZZNS1_14partition_implILS5_8ELb0ES3_jN6thrust23THRUST_200600_302600_NS6detail15normal_iteratorINSA_10device_ptrIjEEEEPS6_PKS6_NS0_5tupleIJSF_S6_EEENSJ_IJSG_SG_EEENS0_18inequality_wrapperINSA_8equal_toIjEEEEPmJS6_EEE10hipError_tPvRmT3_T4_T5_T6_T7_T9_mT8_P12ihipStream_tbDpT10_ENKUlT_T0_E_clISt17integral_constantIbLb1EES19_IbLb0EEEEDaS15_S16_EUlS15_E_NS1_11comp_targetILNS1_3genE10ELNS1_11target_archE1200ELNS1_3gpuE4ELNS1_3repE0EEENS1_30default_config_static_selectorELNS0_4arch9wavefront6targetE1EEEvT1_
		.amdhsa_group_segment_fixed_size 0
		.amdhsa_private_segment_fixed_size 0
		.amdhsa_kernarg_size 112
		.amdhsa_user_sgpr_count 6
		.amdhsa_user_sgpr_private_segment_buffer 1
		.amdhsa_user_sgpr_dispatch_ptr 0
		.amdhsa_user_sgpr_queue_ptr 0
		.amdhsa_user_sgpr_kernarg_segment_ptr 1
		.amdhsa_user_sgpr_dispatch_id 0
		.amdhsa_user_sgpr_flat_scratch_init 0
		.amdhsa_user_sgpr_private_segment_size 0
		.amdhsa_uses_dynamic_stack 0
		.amdhsa_system_sgpr_private_segment_wavefront_offset 0
		.amdhsa_system_sgpr_workgroup_id_x 1
		.amdhsa_system_sgpr_workgroup_id_y 0
		.amdhsa_system_sgpr_workgroup_id_z 0
		.amdhsa_system_sgpr_workgroup_info 0
		.amdhsa_system_vgpr_workitem_id 0
		.amdhsa_next_free_vgpr 1
		.amdhsa_next_free_sgpr 0
		.amdhsa_reserve_vcc 0
		.amdhsa_reserve_flat_scratch 0
		.amdhsa_float_round_mode_32 0
		.amdhsa_float_round_mode_16_64 0
		.amdhsa_float_denorm_mode_32 3
		.amdhsa_float_denorm_mode_16_64 3
		.amdhsa_dx10_clamp 1
		.amdhsa_ieee_mode 1
		.amdhsa_fp16_overflow 0
		.amdhsa_exception_fp_ieee_invalid_op 0
		.amdhsa_exception_fp_denorm_src 0
		.amdhsa_exception_fp_ieee_div_zero 0
		.amdhsa_exception_fp_ieee_overflow 0
		.amdhsa_exception_fp_ieee_underflow 0
		.amdhsa_exception_fp_ieee_inexact 0
		.amdhsa_exception_int_div_zero 0
	.end_amdhsa_kernel
	.section	.text._ZN7rocprim17ROCPRIM_400000_NS6detail17trampoline_kernelINS0_14default_configENS1_25partition_config_selectorILNS1_17partition_subalgoE8EjNS0_10empty_typeEbEEZZNS1_14partition_implILS5_8ELb0ES3_jN6thrust23THRUST_200600_302600_NS6detail15normal_iteratorINSA_10device_ptrIjEEEEPS6_PKS6_NS0_5tupleIJSF_S6_EEENSJ_IJSG_SG_EEENS0_18inequality_wrapperINSA_8equal_toIjEEEEPmJS6_EEE10hipError_tPvRmT3_T4_T5_T6_T7_T9_mT8_P12ihipStream_tbDpT10_ENKUlT_T0_E_clISt17integral_constantIbLb1EES19_IbLb0EEEEDaS15_S16_EUlS15_E_NS1_11comp_targetILNS1_3genE10ELNS1_11target_archE1200ELNS1_3gpuE4ELNS1_3repE0EEENS1_30default_config_static_selectorELNS0_4arch9wavefront6targetE1EEEvT1_,"axG",@progbits,_ZN7rocprim17ROCPRIM_400000_NS6detail17trampoline_kernelINS0_14default_configENS1_25partition_config_selectorILNS1_17partition_subalgoE8EjNS0_10empty_typeEbEEZZNS1_14partition_implILS5_8ELb0ES3_jN6thrust23THRUST_200600_302600_NS6detail15normal_iteratorINSA_10device_ptrIjEEEEPS6_PKS6_NS0_5tupleIJSF_S6_EEENSJ_IJSG_SG_EEENS0_18inequality_wrapperINSA_8equal_toIjEEEEPmJS6_EEE10hipError_tPvRmT3_T4_T5_T6_T7_T9_mT8_P12ihipStream_tbDpT10_ENKUlT_T0_E_clISt17integral_constantIbLb1EES19_IbLb0EEEEDaS15_S16_EUlS15_E_NS1_11comp_targetILNS1_3genE10ELNS1_11target_archE1200ELNS1_3gpuE4ELNS1_3repE0EEENS1_30default_config_static_selectorELNS0_4arch9wavefront6targetE1EEEvT1_,comdat
.Lfunc_end231:
	.size	_ZN7rocprim17ROCPRIM_400000_NS6detail17trampoline_kernelINS0_14default_configENS1_25partition_config_selectorILNS1_17partition_subalgoE8EjNS0_10empty_typeEbEEZZNS1_14partition_implILS5_8ELb0ES3_jN6thrust23THRUST_200600_302600_NS6detail15normal_iteratorINSA_10device_ptrIjEEEEPS6_PKS6_NS0_5tupleIJSF_S6_EEENSJ_IJSG_SG_EEENS0_18inequality_wrapperINSA_8equal_toIjEEEEPmJS6_EEE10hipError_tPvRmT3_T4_T5_T6_T7_T9_mT8_P12ihipStream_tbDpT10_ENKUlT_T0_E_clISt17integral_constantIbLb1EES19_IbLb0EEEEDaS15_S16_EUlS15_E_NS1_11comp_targetILNS1_3genE10ELNS1_11target_archE1200ELNS1_3gpuE4ELNS1_3repE0EEENS1_30default_config_static_selectorELNS0_4arch9wavefront6targetE1EEEvT1_, .Lfunc_end231-_ZN7rocprim17ROCPRIM_400000_NS6detail17trampoline_kernelINS0_14default_configENS1_25partition_config_selectorILNS1_17partition_subalgoE8EjNS0_10empty_typeEbEEZZNS1_14partition_implILS5_8ELb0ES3_jN6thrust23THRUST_200600_302600_NS6detail15normal_iteratorINSA_10device_ptrIjEEEEPS6_PKS6_NS0_5tupleIJSF_S6_EEENSJ_IJSG_SG_EEENS0_18inequality_wrapperINSA_8equal_toIjEEEEPmJS6_EEE10hipError_tPvRmT3_T4_T5_T6_T7_T9_mT8_P12ihipStream_tbDpT10_ENKUlT_T0_E_clISt17integral_constantIbLb1EES19_IbLb0EEEEDaS15_S16_EUlS15_E_NS1_11comp_targetILNS1_3genE10ELNS1_11target_archE1200ELNS1_3gpuE4ELNS1_3repE0EEENS1_30default_config_static_selectorELNS0_4arch9wavefront6targetE1EEEvT1_
                                        ; -- End function
	.set _ZN7rocprim17ROCPRIM_400000_NS6detail17trampoline_kernelINS0_14default_configENS1_25partition_config_selectorILNS1_17partition_subalgoE8EjNS0_10empty_typeEbEEZZNS1_14partition_implILS5_8ELb0ES3_jN6thrust23THRUST_200600_302600_NS6detail15normal_iteratorINSA_10device_ptrIjEEEEPS6_PKS6_NS0_5tupleIJSF_S6_EEENSJ_IJSG_SG_EEENS0_18inequality_wrapperINSA_8equal_toIjEEEEPmJS6_EEE10hipError_tPvRmT3_T4_T5_T6_T7_T9_mT8_P12ihipStream_tbDpT10_ENKUlT_T0_E_clISt17integral_constantIbLb1EES19_IbLb0EEEEDaS15_S16_EUlS15_E_NS1_11comp_targetILNS1_3genE10ELNS1_11target_archE1200ELNS1_3gpuE4ELNS1_3repE0EEENS1_30default_config_static_selectorELNS0_4arch9wavefront6targetE1EEEvT1_.num_vgpr, 0
	.set _ZN7rocprim17ROCPRIM_400000_NS6detail17trampoline_kernelINS0_14default_configENS1_25partition_config_selectorILNS1_17partition_subalgoE8EjNS0_10empty_typeEbEEZZNS1_14partition_implILS5_8ELb0ES3_jN6thrust23THRUST_200600_302600_NS6detail15normal_iteratorINSA_10device_ptrIjEEEEPS6_PKS6_NS0_5tupleIJSF_S6_EEENSJ_IJSG_SG_EEENS0_18inequality_wrapperINSA_8equal_toIjEEEEPmJS6_EEE10hipError_tPvRmT3_T4_T5_T6_T7_T9_mT8_P12ihipStream_tbDpT10_ENKUlT_T0_E_clISt17integral_constantIbLb1EES19_IbLb0EEEEDaS15_S16_EUlS15_E_NS1_11comp_targetILNS1_3genE10ELNS1_11target_archE1200ELNS1_3gpuE4ELNS1_3repE0EEENS1_30default_config_static_selectorELNS0_4arch9wavefront6targetE1EEEvT1_.num_agpr, 0
	.set _ZN7rocprim17ROCPRIM_400000_NS6detail17trampoline_kernelINS0_14default_configENS1_25partition_config_selectorILNS1_17partition_subalgoE8EjNS0_10empty_typeEbEEZZNS1_14partition_implILS5_8ELb0ES3_jN6thrust23THRUST_200600_302600_NS6detail15normal_iteratorINSA_10device_ptrIjEEEEPS6_PKS6_NS0_5tupleIJSF_S6_EEENSJ_IJSG_SG_EEENS0_18inequality_wrapperINSA_8equal_toIjEEEEPmJS6_EEE10hipError_tPvRmT3_T4_T5_T6_T7_T9_mT8_P12ihipStream_tbDpT10_ENKUlT_T0_E_clISt17integral_constantIbLb1EES19_IbLb0EEEEDaS15_S16_EUlS15_E_NS1_11comp_targetILNS1_3genE10ELNS1_11target_archE1200ELNS1_3gpuE4ELNS1_3repE0EEENS1_30default_config_static_selectorELNS0_4arch9wavefront6targetE1EEEvT1_.numbered_sgpr, 0
	.set _ZN7rocprim17ROCPRIM_400000_NS6detail17trampoline_kernelINS0_14default_configENS1_25partition_config_selectorILNS1_17partition_subalgoE8EjNS0_10empty_typeEbEEZZNS1_14partition_implILS5_8ELb0ES3_jN6thrust23THRUST_200600_302600_NS6detail15normal_iteratorINSA_10device_ptrIjEEEEPS6_PKS6_NS0_5tupleIJSF_S6_EEENSJ_IJSG_SG_EEENS0_18inequality_wrapperINSA_8equal_toIjEEEEPmJS6_EEE10hipError_tPvRmT3_T4_T5_T6_T7_T9_mT8_P12ihipStream_tbDpT10_ENKUlT_T0_E_clISt17integral_constantIbLb1EES19_IbLb0EEEEDaS15_S16_EUlS15_E_NS1_11comp_targetILNS1_3genE10ELNS1_11target_archE1200ELNS1_3gpuE4ELNS1_3repE0EEENS1_30default_config_static_selectorELNS0_4arch9wavefront6targetE1EEEvT1_.num_named_barrier, 0
	.set _ZN7rocprim17ROCPRIM_400000_NS6detail17trampoline_kernelINS0_14default_configENS1_25partition_config_selectorILNS1_17partition_subalgoE8EjNS0_10empty_typeEbEEZZNS1_14partition_implILS5_8ELb0ES3_jN6thrust23THRUST_200600_302600_NS6detail15normal_iteratorINSA_10device_ptrIjEEEEPS6_PKS6_NS0_5tupleIJSF_S6_EEENSJ_IJSG_SG_EEENS0_18inequality_wrapperINSA_8equal_toIjEEEEPmJS6_EEE10hipError_tPvRmT3_T4_T5_T6_T7_T9_mT8_P12ihipStream_tbDpT10_ENKUlT_T0_E_clISt17integral_constantIbLb1EES19_IbLb0EEEEDaS15_S16_EUlS15_E_NS1_11comp_targetILNS1_3genE10ELNS1_11target_archE1200ELNS1_3gpuE4ELNS1_3repE0EEENS1_30default_config_static_selectorELNS0_4arch9wavefront6targetE1EEEvT1_.private_seg_size, 0
	.set _ZN7rocprim17ROCPRIM_400000_NS6detail17trampoline_kernelINS0_14default_configENS1_25partition_config_selectorILNS1_17partition_subalgoE8EjNS0_10empty_typeEbEEZZNS1_14partition_implILS5_8ELb0ES3_jN6thrust23THRUST_200600_302600_NS6detail15normal_iteratorINSA_10device_ptrIjEEEEPS6_PKS6_NS0_5tupleIJSF_S6_EEENSJ_IJSG_SG_EEENS0_18inequality_wrapperINSA_8equal_toIjEEEEPmJS6_EEE10hipError_tPvRmT3_T4_T5_T6_T7_T9_mT8_P12ihipStream_tbDpT10_ENKUlT_T0_E_clISt17integral_constantIbLb1EES19_IbLb0EEEEDaS15_S16_EUlS15_E_NS1_11comp_targetILNS1_3genE10ELNS1_11target_archE1200ELNS1_3gpuE4ELNS1_3repE0EEENS1_30default_config_static_selectorELNS0_4arch9wavefront6targetE1EEEvT1_.uses_vcc, 0
	.set _ZN7rocprim17ROCPRIM_400000_NS6detail17trampoline_kernelINS0_14default_configENS1_25partition_config_selectorILNS1_17partition_subalgoE8EjNS0_10empty_typeEbEEZZNS1_14partition_implILS5_8ELb0ES3_jN6thrust23THRUST_200600_302600_NS6detail15normal_iteratorINSA_10device_ptrIjEEEEPS6_PKS6_NS0_5tupleIJSF_S6_EEENSJ_IJSG_SG_EEENS0_18inequality_wrapperINSA_8equal_toIjEEEEPmJS6_EEE10hipError_tPvRmT3_T4_T5_T6_T7_T9_mT8_P12ihipStream_tbDpT10_ENKUlT_T0_E_clISt17integral_constantIbLb1EES19_IbLb0EEEEDaS15_S16_EUlS15_E_NS1_11comp_targetILNS1_3genE10ELNS1_11target_archE1200ELNS1_3gpuE4ELNS1_3repE0EEENS1_30default_config_static_selectorELNS0_4arch9wavefront6targetE1EEEvT1_.uses_flat_scratch, 0
	.set _ZN7rocprim17ROCPRIM_400000_NS6detail17trampoline_kernelINS0_14default_configENS1_25partition_config_selectorILNS1_17partition_subalgoE8EjNS0_10empty_typeEbEEZZNS1_14partition_implILS5_8ELb0ES3_jN6thrust23THRUST_200600_302600_NS6detail15normal_iteratorINSA_10device_ptrIjEEEEPS6_PKS6_NS0_5tupleIJSF_S6_EEENSJ_IJSG_SG_EEENS0_18inequality_wrapperINSA_8equal_toIjEEEEPmJS6_EEE10hipError_tPvRmT3_T4_T5_T6_T7_T9_mT8_P12ihipStream_tbDpT10_ENKUlT_T0_E_clISt17integral_constantIbLb1EES19_IbLb0EEEEDaS15_S16_EUlS15_E_NS1_11comp_targetILNS1_3genE10ELNS1_11target_archE1200ELNS1_3gpuE4ELNS1_3repE0EEENS1_30default_config_static_selectorELNS0_4arch9wavefront6targetE1EEEvT1_.has_dyn_sized_stack, 0
	.set _ZN7rocprim17ROCPRIM_400000_NS6detail17trampoline_kernelINS0_14default_configENS1_25partition_config_selectorILNS1_17partition_subalgoE8EjNS0_10empty_typeEbEEZZNS1_14partition_implILS5_8ELb0ES3_jN6thrust23THRUST_200600_302600_NS6detail15normal_iteratorINSA_10device_ptrIjEEEEPS6_PKS6_NS0_5tupleIJSF_S6_EEENSJ_IJSG_SG_EEENS0_18inequality_wrapperINSA_8equal_toIjEEEEPmJS6_EEE10hipError_tPvRmT3_T4_T5_T6_T7_T9_mT8_P12ihipStream_tbDpT10_ENKUlT_T0_E_clISt17integral_constantIbLb1EES19_IbLb0EEEEDaS15_S16_EUlS15_E_NS1_11comp_targetILNS1_3genE10ELNS1_11target_archE1200ELNS1_3gpuE4ELNS1_3repE0EEENS1_30default_config_static_selectorELNS0_4arch9wavefront6targetE1EEEvT1_.has_recursion, 0
	.set _ZN7rocprim17ROCPRIM_400000_NS6detail17trampoline_kernelINS0_14default_configENS1_25partition_config_selectorILNS1_17partition_subalgoE8EjNS0_10empty_typeEbEEZZNS1_14partition_implILS5_8ELb0ES3_jN6thrust23THRUST_200600_302600_NS6detail15normal_iteratorINSA_10device_ptrIjEEEEPS6_PKS6_NS0_5tupleIJSF_S6_EEENSJ_IJSG_SG_EEENS0_18inequality_wrapperINSA_8equal_toIjEEEEPmJS6_EEE10hipError_tPvRmT3_T4_T5_T6_T7_T9_mT8_P12ihipStream_tbDpT10_ENKUlT_T0_E_clISt17integral_constantIbLb1EES19_IbLb0EEEEDaS15_S16_EUlS15_E_NS1_11comp_targetILNS1_3genE10ELNS1_11target_archE1200ELNS1_3gpuE4ELNS1_3repE0EEENS1_30default_config_static_selectorELNS0_4arch9wavefront6targetE1EEEvT1_.has_indirect_call, 0
	.section	.AMDGPU.csdata,"",@progbits
; Kernel info:
; codeLenInByte = 0
; TotalNumSgprs: 4
; NumVgprs: 0
; ScratchSize: 0
; MemoryBound: 0
; FloatMode: 240
; IeeeMode: 1
; LDSByteSize: 0 bytes/workgroup (compile time only)
; SGPRBlocks: 0
; VGPRBlocks: 0
; NumSGPRsForWavesPerEU: 4
; NumVGPRsForWavesPerEU: 1
; Occupancy: 10
; WaveLimiterHint : 0
; COMPUTE_PGM_RSRC2:SCRATCH_EN: 0
; COMPUTE_PGM_RSRC2:USER_SGPR: 6
; COMPUTE_PGM_RSRC2:TRAP_HANDLER: 0
; COMPUTE_PGM_RSRC2:TGID_X_EN: 1
; COMPUTE_PGM_RSRC2:TGID_Y_EN: 0
; COMPUTE_PGM_RSRC2:TGID_Z_EN: 0
; COMPUTE_PGM_RSRC2:TIDIG_COMP_CNT: 0
	.section	.text._ZN7rocprim17ROCPRIM_400000_NS6detail17trampoline_kernelINS0_14default_configENS1_25partition_config_selectorILNS1_17partition_subalgoE8EjNS0_10empty_typeEbEEZZNS1_14partition_implILS5_8ELb0ES3_jN6thrust23THRUST_200600_302600_NS6detail15normal_iteratorINSA_10device_ptrIjEEEEPS6_PKS6_NS0_5tupleIJSF_S6_EEENSJ_IJSG_SG_EEENS0_18inequality_wrapperINSA_8equal_toIjEEEEPmJS6_EEE10hipError_tPvRmT3_T4_T5_T6_T7_T9_mT8_P12ihipStream_tbDpT10_ENKUlT_T0_E_clISt17integral_constantIbLb1EES19_IbLb0EEEEDaS15_S16_EUlS15_E_NS1_11comp_targetILNS1_3genE9ELNS1_11target_archE1100ELNS1_3gpuE3ELNS1_3repE0EEENS1_30default_config_static_selectorELNS0_4arch9wavefront6targetE1EEEvT1_,"axG",@progbits,_ZN7rocprim17ROCPRIM_400000_NS6detail17trampoline_kernelINS0_14default_configENS1_25partition_config_selectorILNS1_17partition_subalgoE8EjNS0_10empty_typeEbEEZZNS1_14partition_implILS5_8ELb0ES3_jN6thrust23THRUST_200600_302600_NS6detail15normal_iteratorINSA_10device_ptrIjEEEEPS6_PKS6_NS0_5tupleIJSF_S6_EEENSJ_IJSG_SG_EEENS0_18inequality_wrapperINSA_8equal_toIjEEEEPmJS6_EEE10hipError_tPvRmT3_T4_T5_T6_T7_T9_mT8_P12ihipStream_tbDpT10_ENKUlT_T0_E_clISt17integral_constantIbLb1EES19_IbLb0EEEEDaS15_S16_EUlS15_E_NS1_11comp_targetILNS1_3genE9ELNS1_11target_archE1100ELNS1_3gpuE3ELNS1_3repE0EEENS1_30default_config_static_selectorELNS0_4arch9wavefront6targetE1EEEvT1_,comdat
	.protected	_ZN7rocprim17ROCPRIM_400000_NS6detail17trampoline_kernelINS0_14default_configENS1_25partition_config_selectorILNS1_17partition_subalgoE8EjNS0_10empty_typeEbEEZZNS1_14partition_implILS5_8ELb0ES3_jN6thrust23THRUST_200600_302600_NS6detail15normal_iteratorINSA_10device_ptrIjEEEEPS6_PKS6_NS0_5tupleIJSF_S6_EEENSJ_IJSG_SG_EEENS0_18inequality_wrapperINSA_8equal_toIjEEEEPmJS6_EEE10hipError_tPvRmT3_T4_T5_T6_T7_T9_mT8_P12ihipStream_tbDpT10_ENKUlT_T0_E_clISt17integral_constantIbLb1EES19_IbLb0EEEEDaS15_S16_EUlS15_E_NS1_11comp_targetILNS1_3genE9ELNS1_11target_archE1100ELNS1_3gpuE3ELNS1_3repE0EEENS1_30default_config_static_selectorELNS0_4arch9wavefront6targetE1EEEvT1_ ; -- Begin function _ZN7rocprim17ROCPRIM_400000_NS6detail17trampoline_kernelINS0_14default_configENS1_25partition_config_selectorILNS1_17partition_subalgoE8EjNS0_10empty_typeEbEEZZNS1_14partition_implILS5_8ELb0ES3_jN6thrust23THRUST_200600_302600_NS6detail15normal_iteratorINSA_10device_ptrIjEEEEPS6_PKS6_NS0_5tupleIJSF_S6_EEENSJ_IJSG_SG_EEENS0_18inequality_wrapperINSA_8equal_toIjEEEEPmJS6_EEE10hipError_tPvRmT3_T4_T5_T6_T7_T9_mT8_P12ihipStream_tbDpT10_ENKUlT_T0_E_clISt17integral_constantIbLb1EES19_IbLb0EEEEDaS15_S16_EUlS15_E_NS1_11comp_targetILNS1_3genE9ELNS1_11target_archE1100ELNS1_3gpuE3ELNS1_3repE0EEENS1_30default_config_static_selectorELNS0_4arch9wavefront6targetE1EEEvT1_
	.globl	_ZN7rocprim17ROCPRIM_400000_NS6detail17trampoline_kernelINS0_14default_configENS1_25partition_config_selectorILNS1_17partition_subalgoE8EjNS0_10empty_typeEbEEZZNS1_14partition_implILS5_8ELb0ES3_jN6thrust23THRUST_200600_302600_NS6detail15normal_iteratorINSA_10device_ptrIjEEEEPS6_PKS6_NS0_5tupleIJSF_S6_EEENSJ_IJSG_SG_EEENS0_18inequality_wrapperINSA_8equal_toIjEEEEPmJS6_EEE10hipError_tPvRmT3_T4_T5_T6_T7_T9_mT8_P12ihipStream_tbDpT10_ENKUlT_T0_E_clISt17integral_constantIbLb1EES19_IbLb0EEEEDaS15_S16_EUlS15_E_NS1_11comp_targetILNS1_3genE9ELNS1_11target_archE1100ELNS1_3gpuE3ELNS1_3repE0EEENS1_30default_config_static_selectorELNS0_4arch9wavefront6targetE1EEEvT1_
	.p2align	8
	.type	_ZN7rocprim17ROCPRIM_400000_NS6detail17trampoline_kernelINS0_14default_configENS1_25partition_config_selectorILNS1_17partition_subalgoE8EjNS0_10empty_typeEbEEZZNS1_14partition_implILS5_8ELb0ES3_jN6thrust23THRUST_200600_302600_NS6detail15normal_iteratorINSA_10device_ptrIjEEEEPS6_PKS6_NS0_5tupleIJSF_S6_EEENSJ_IJSG_SG_EEENS0_18inequality_wrapperINSA_8equal_toIjEEEEPmJS6_EEE10hipError_tPvRmT3_T4_T5_T6_T7_T9_mT8_P12ihipStream_tbDpT10_ENKUlT_T0_E_clISt17integral_constantIbLb1EES19_IbLb0EEEEDaS15_S16_EUlS15_E_NS1_11comp_targetILNS1_3genE9ELNS1_11target_archE1100ELNS1_3gpuE3ELNS1_3repE0EEENS1_30default_config_static_selectorELNS0_4arch9wavefront6targetE1EEEvT1_,@function
_ZN7rocprim17ROCPRIM_400000_NS6detail17trampoline_kernelINS0_14default_configENS1_25partition_config_selectorILNS1_17partition_subalgoE8EjNS0_10empty_typeEbEEZZNS1_14partition_implILS5_8ELb0ES3_jN6thrust23THRUST_200600_302600_NS6detail15normal_iteratorINSA_10device_ptrIjEEEEPS6_PKS6_NS0_5tupleIJSF_S6_EEENSJ_IJSG_SG_EEENS0_18inequality_wrapperINSA_8equal_toIjEEEEPmJS6_EEE10hipError_tPvRmT3_T4_T5_T6_T7_T9_mT8_P12ihipStream_tbDpT10_ENKUlT_T0_E_clISt17integral_constantIbLb1EES19_IbLb0EEEEDaS15_S16_EUlS15_E_NS1_11comp_targetILNS1_3genE9ELNS1_11target_archE1100ELNS1_3gpuE3ELNS1_3repE0EEENS1_30default_config_static_selectorELNS0_4arch9wavefront6targetE1EEEvT1_: ; @_ZN7rocprim17ROCPRIM_400000_NS6detail17trampoline_kernelINS0_14default_configENS1_25partition_config_selectorILNS1_17partition_subalgoE8EjNS0_10empty_typeEbEEZZNS1_14partition_implILS5_8ELb0ES3_jN6thrust23THRUST_200600_302600_NS6detail15normal_iteratorINSA_10device_ptrIjEEEEPS6_PKS6_NS0_5tupleIJSF_S6_EEENSJ_IJSG_SG_EEENS0_18inequality_wrapperINSA_8equal_toIjEEEEPmJS6_EEE10hipError_tPvRmT3_T4_T5_T6_T7_T9_mT8_P12ihipStream_tbDpT10_ENKUlT_T0_E_clISt17integral_constantIbLb1EES19_IbLb0EEEEDaS15_S16_EUlS15_E_NS1_11comp_targetILNS1_3genE9ELNS1_11target_archE1100ELNS1_3gpuE3ELNS1_3repE0EEENS1_30default_config_static_selectorELNS0_4arch9wavefront6targetE1EEEvT1_
; %bb.0:
	.section	.rodata,"a",@progbits
	.p2align	6, 0x0
	.amdhsa_kernel _ZN7rocprim17ROCPRIM_400000_NS6detail17trampoline_kernelINS0_14default_configENS1_25partition_config_selectorILNS1_17partition_subalgoE8EjNS0_10empty_typeEbEEZZNS1_14partition_implILS5_8ELb0ES3_jN6thrust23THRUST_200600_302600_NS6detail15normal_iteratorINSA_10device_ptrIjEEEEPS6_PKS6_NS0_5tupleIJSF_S6_EEENSJ_IJSG_SG_EEENS0_18inequality_wrapperINSA_8equal_toIjEEEEPmJS6_EEE10hipError_tPvRmT3_T4_T5_T6_T7_T9_mT8_P12ihipStream_tbDpT10_ENKUlT_T0_E_clISt17integral_constantIbLb1EES19_IbLb0EEEEDaS15_S16_EUlS15_E_NS1_11comp_targetILNS1_3genE9ELNS1_11target_archE1100ELNS1_3gpuE3ELNS1_3repE0EEENS1_30default_config_static_selectorELNS0_4arch9wavefront6targetE1EEEvT1_
		.amdhsa_group_segment_fixed_size 0
		.amdhsa_private_segment_fixed_size 0
		.amdhsa_kernarg_size 112
		.amdhsa_user_sgpr_count 6
		.amdhsa_user_sgpr_private_segment_buffer 1
		.amdhsa_user_sgpr_dispatch_ptr 0
		.amdhsa_user_sgpr_queue_ptr 0
		.amdhsa_user_sgpr_kernarg_segment_ptr 1
		.amdhsa_user_sgpr_dispatch_id 0
		.amdhsa_user_sgpr_flat_scratch_init 0
		.amdhsa_user_sgpr_private_segment_size 0
		.amdhsa_uses_dynamic_stack 0
		.amdhsa_system_sgpr_private_segment_wavefront_offset 0
		.amdhsa_system_sgpr_workgroup_id_x 1
		.amdhsa_system_sgpr_workgroup_id_y 0
		.amdhsa_system_sgpr_workgroup_id_z 0
		.amdhsa_system_sgpr_workgroup_info 0
		.amdhsa_system_vgpr_workitem_id 0
		.amdhsa_next_free_vgpr 1
		.amdhsa_next_free_sgpr 0
		.amdhsa_reserve_vcc 0
		.amdhsa_reserve_flat_scratch 0
		.amdhsa_float_round_mode_32 0
		.amdhsa_float_round_mode_16_64 0
		.amdhsa_float_denorm_mode_32 3
		.amdhsa_float_denorm_mode_16_64 3
		.amdhsa_dx10_clamp 1
		.amdhsa_ieee_mode 1
		.amdhsa_fp16_overflow 0
		.amdhsa_exception_fp_ieee_invalid_op 0
		.amdhsa_exception_fp_denorm_src 0
		.amdhsa_exception_fp_ieee_div_zero 0
		.amdhsa_exception_fp_ieee_overflow 0
		.amdhsa_exception_fp_ieee_underflow 0
		.amdhsa_exception_fp_ieee_inexact 0
		.amdhsa_exception_int_div_zero 0
	.end_amdhsa_kernel
	.section	.text._ZN7rocprim17ROCPRIM_400000_NS6detail17trampoline_kernelINS0_14default_configENS1_25partition_config_selectorILNS1_17partition_subalgoE8EjNS0_10empty_typeEbEEZZNS1_14partition_implILS5_8ELb0ES3_jN6thrust23THRUST_200600_302600_NS6detail15normal_iteratorINSA_10device_ptrIjEEEEPS6_PKS6_NS0_5tupleIJSF_S6_EEENSJ_IJSG_SG_EEENS0_18inequality_wrapperINSA_8equal_toIjEEEEPmJS6_EEE10hipError_tPvRmT3_T4_T5_T6_T7_T9_mT8_P12ihipStream_tbDpT10_ENKUlT_T0_E_clISt17integral_constantIbLb1EES19_IbLb0EEEEDaS15_S16_EUlS15_E_NS1_11comp_targetILNS1_3genE9ELNS1_11target_archE1100ELNS1_3gpuE3ELNS1_3repE0EEENS1_30default_config_static_selectorELNS0_4arch9wavefront6targetE1EEEvT1_,"axG",@progbits,_ZN7rocprim17ROCPRIM_400000_NS6detail17trampoline_kernelINS0_14default_configENS1_25partition_config_selectorILNS1_17partition_subalgoE8EjNS0_10empty_typeEbEEZZNS1_14partition_implILS5_8ELb0ES3_jN6thrust23THRUST_200600_302600_NS6detail15normal_iteratorINSA_10device_ptrIjEEEEPS6_PKS6_NS0_5tupleIJSF_S6_EEENSJ_IJSG_SG_EEENS0_18inequality_wrapperINSA_8equal_toIjEEEEPmJS6_EEE10hipError_tPvRmT3_T4_T5_T6_T7_T9_mT8_P12ihipStream_tbDpT10_ENKUlT_T0_E_clISt17integral_constantIbLb1EES19_IbLb0EEEEDaS15_S16_EUlS15_E_NS1_11comp_targetILNS1_3genE9ELNS1_11target_archE1100ELNS1_3gpuE3ELNS1_3repE0EEENS1_30default_config_static_selectorELNS0_4arch9wavefront6targetE1EEEvT1_,comdat
.Lfunc_end232:
	.size	_ZN7rocprim17ROCPRIM_400000_NS6detail17trampoline_kernelINS0_14default_configENS1_25partition_config_selectorILNS1_17partition_subalgoE8EjNS0_10empty_typeEbEEZZNS1_14partition_implILS5_8ELb0ES3_jN6thrust23THRUST_200600_302600_NS6detail15normal_iteratorINSA_10device_ptrIjEEEEPS6_PKS6_NS0_5tupleIJSF_S6_EEENSJ_IJSG_SG_EEENS0_18inequality_wrapperINSA_8equal_toIjEEEEPmJS6_EEE10hipError_tPvRmT3_T4_T5_T6_T7_T9_mT8_P12ihipStream_tbDpT10_ENKUlT_T0_E_clISt17integral_constantIbLb1EES19_IbLb0EEEEDaS15_S16_EUlS15_E_NS1_11comp_targetILNS1_3genE9ELNS1_11target_archE1100ELNS1_3gpuE3ELNS1_3repE0EEENS1_30default_config_static_selectorELNS0_4arch9wavefront6targetE1EEEvT1_, .Lfunc_end232-_ZN7rocprim17ROCPRIM_400000_NS6detail17trampoline_kernelINS0_14default_configENS1_25partition_config_selectorILNS1_17partition_subalgoE8EjNS0_10empty_typeEbEEZZNS1_14partition_implILS5_8ELb0ES3_jN6thrust23THRUST_200600_302600_NS6detail15normal_iteratorINSA_10device_ptrIjEEEEPS6_PKS6_NS0_5tupleIJSF_S6_EEENSJ_IJSG_SG_EEENS0_18inequality_wrapperINSA_8equal_toIjEEEEPmJS6_EEE10hipError_tPvRmT3_T4_T5_T6_T7_T9_mT8_P12ihipStream_tbDpT10_ENKUlT_T0_E_clISt17integral_constantIbLb1EES19_IbLb0EEEEDaS15_S16_EUlS15_E_NS1_11comp_targetILNS1_3genE9ELNS1_11target_archE1100ELNS1_3gpuE3ELNS1_3repE0EEENS1_30default_config_static_selectorELNS0_4arch9wavefront6targetE1EEEvT1_
                                        ; -- End function
	.set _ZN7rocprim17ROCPRIM_400000_NS6detail17trampoline_kernelINS0_14default_configENS1_25partition_config_selectorILNS1_17partition_subalgoE8EjNS0_10empty_typeEbEEZZNS1_14partition_implILS5_8ELb0ES3_jN6thrust23THRUST_200600_302600_NS6detail15normal_iteratorINSA_10device_ptrIjEEEEPS6_PKS6_NS0_5tupleIJSF_S6_EEENSJ_IJSG_SG_EEENS0_18inequality_wrapperINSA_8equal_toIjEEEEPmJS6_EEE10hipError_tPvRmT3_T4_T5_T6_T7_T9_mT8_P12ihipStream_tbDpT10_ENKUlT_T0_E_clISt17integral_constantIbLb1EES19_IbLb0EEEEDaS15_S16_EUlS15_E_NS1_11comp_targetILNS1_3genE9ELNS1_11target_archE1100ELNS1_3gpuE3ELNS1_3repE0EEENS1_30default_config_static_selectorELNS0_4arch9wavefront6targetE1EEEvT1_.num_vgpr, 0
	.set _ZN7rocprim17ROCPRIM_400000_NS6detail17trampoline_kernelINS0_14default_configENS1_25partition_config_selectorILNS1_17partition_subalgoE8EjNS0_10empty_typeEbEEZZNS1_14partition_implILS5_8ELb0ES3_jN6thrust23THRUST_200600_302600_NS6detail15normal_iteratorINSA_10device_ptrIjEEEEPS6_PKS6_NS0_5tupleIJSF_S6_EEENSJ_IJSG_SG_EEENS0_18inequality_wrapperINSA_8equal_toIjEEEEPmJS6_EEE10hipError_tPvRmT3_T4_T5_T6_T7_T9_mT8_P12ihipStream_tbDpT10_ENKUlT_T0_E_clISt17integral_constantIbLb1EES19_IbLb0EEEEDaS15_S16_EUlS15_E_NS1_11comp_targetILNS1_3genE9ELNS1_11target_archE1100ELNS1_3gpuE3ELNS1_3repE0EEENS1_30default_config_static_selectorELNS0_4arch9wavefront6targetE1EEEvT1_.num_agpr, 0
	.set _ZN7rocprim17ROCPRIM_400000_NS6detail17trampoline_kernelINS0_14default_configENS1_25partition_config_selectorILNS1_17partition_subalgoE8EjNS0_10empty_typeEbEEZZNS1_14partition_implILS5_8ELb0ES3_jN6thrust23THRUST_200600_302600_NS6detail15normal_iteratorINSA_10device_ptrIjEEEEPS6_PKS6_NS0_5tupleIJSF_S6_EEENSJ_IJSG_SG_EEENS0_18inequality_wrapperINSA_8equal_toIjEEEEPmJS6_EEE10hipError_tPvRmT3_T4_T5_T6_T7_T9_mT8_P12ihipStream_tbDpT10_ENKUlT_T0_E_clISt17integral_constantIbLb1EES19_IbLb0EEEEDaS15_S16_EUlS15_E_NS1_11comp_targetILNS1_3genE9ELNS1_11target_archE1100ELNS1_3gpuE3ELNS1_3repE0EEENS1_30default_config_static_selectorELNS0_4arch9wavefront6targetE1EEEvT1_.numbered_sgpr, 0
	.set _ZN7rocprim17ROCPRIM_400000_NS6detail17trampoline_kernelINS0_14default_configENS1_25partition_config_selectorILNS1_17partition_subalgoE8EjNS0_10empty_typeEbEEZZNS1_14partition_implILS5_8ELb0ES3_jN6thrust23THRUST_200600_302600_NS6detail15normal_iteratorINSA_10device_ptrIjEEEEPS6_PKS6_NS0_5tupleIJSF_S6_EEENSJ_IJSG_SG_EEENS0_18inequality_wrapperINSA_8equal_toIjEEEEPmJS6_EEE10hipError_tPvRmT3_T4_T5_T6_T7_T9_mT8_P12ihipStream_tbDpT10_ENKUlT_T0_E_clISt17integral_constantIbLb1EES19_IbLb0EEEEDaS15_S16_EUlS15_E_NS1_11comp_targetILNS1_3genE9ELNS1_11target_archE1100ELNS1_3gpuE3ELNS1_3repE0EEENS1_30default_config_static_selectorELNS0_4arch9wavefront6targetE1EEEvT1_.num_named_barrier, 0
	.set _ZN7rocprim17ROCPRIM_400000_NS6detail17trampoline_kernelINS0_14default_configENS1_25partition_config_selectorILNS1_17partition_subalgoE8EjNS0_10empty_typeEbEEZZNS1_14partition_implILS5_8ELb0ES3_jN6thrust23THRUST_200600_302600_NS6detail15normal_iteratorINSA_10device_ptrIjEEEEPS6_PKS6_NS0_5tupleIJSF_S6_EEENSJ_IJSG_SG_EEENS0_18inequality_wrapperINSA_8equal_toIjEEEEPmJS6_EEE10hipError_tPvRmT3_T4_T5_T6_T7_T9_mT8_P12ihipStream_tbDpT10_ENKUlT_T0_E_clISt17integral_constantIbLb1EES19_IbLb0EEEEDaS15_S16_EUlS15_E_NS1_11comp_targetILNS1_3genE9ELNS1_11target_archE1100ELNS1_3gpuE3ELNS1_3repE0EEENS1_30default_config_static_selectorELNS0_4arch9wavefront6targetE1EEEvT1_.private_seg_size, 0
	.set _ZN7rocprim17ROCPRIM_400000_NS6detail17trampoline_kernelINS0_14default_configENS1_25partition_config_selectorILNS1_17partition_subalgoE8EjNS0_10empty_typeEbEEZZNS1_14partition_implILS5_8ELb0ES3_jN6thrust23THRUST_200600_302600_NS6detail15normal_iteratorINSA_10device_ptrIjEEEEPS6_PKS6_NS0_5tupleIJSF_S6_EEENSJ_IJSG_SG_EEENS0_18inequality_wrapperINSA_8equal_toIjEEEEPmJS6_EEE10hipError_tPvRmT3_T4_T5_T6_T7_T9_mT8_P12ihipStream_tbDpT10_ENKUlT_T0_E_clISt17integral_constantIbLb1EES19_IbLb0EEEEDaS15_S16_EUlS15_E_NS1_11comp_targetILNS1_3genE9ELNS1_11target_archE1100ELNS1_3gpuE3ELNS1_3repE0EEENS1_30default_config_static_selectorELNS0_4arch9wavefront6targetE1EEEvT1_.uses_vcc, 0
	.set _ZN7rocprim17ROCPRIM_400000_NS6detail17trampoline_kernelINS0_14default_configENS1_25partition_config_selectorILNS1_17partition_subalgoE8EjNS0_10empty_typeEbEEZZNS1_14partition_implILS5_8ELb0ES3_jN6thrust23THRUST_200600_302600_NS6detail15normal_iteratorINSA_10device_ptrIjEEEEPS6_PKS6_NS0_5tupleIJSF_S6_EEENSJ_IJSG_SG_EEENS0_18inequality_wrapperINSA_8equal_toIjEEEEPmJS6_EEE10hipError_tPvRmT3_T4_T5_T6_T7_T9_mT8_P12ihipStream_tbDpT10_ENKUlT_T0_E_clISt17integral_constantIbLb1EES19_IbLb0EEEEDaS15_S16_EUlS15_E_NS1_11comp_targetILNS1_3genE9ELNS1_11target_archE1100ELNS1_3gpuE3ELNS1_3repE0EEENS1_30default_config_static_selectorELNS0_4arch9wavefront6targetE1EEEvT1_.uses_flat_scratch, 0
	.set _ZN7rocprim17ROCPRIM_400000_NS6detail17trampoline_kernelINS0_14default_configENS1_25partition_config_selectorILNS1_17partition_subalgoE8EjNS0_10empty_typeEbEEZZNS1_14partition_implILS5_8ELb0ES3_jN6thrust23THRUST_200600_302600_NS6detail15normal_iteratorINSA_10device_ptrIjEEEEPS6_PKS6_NS0_5tupleIJSF_S6_EEENSJ_IJSG_SG_EEENS0_18inequality_wrapperINSA_8equal_toIjEEEEPmJS6_EEE10hipError_tPvRmT3_T4_T5_T6_T7_T9_mT8_P12ihipStream_tbDpT10_ENKUlT_T0_E_clISt17integral_constantIbLb1EES19_IbLb0EEEEDaS15_S16_EUlS15_E_NS1_11comp_targetILNS1_3genE9ELNS1_11target_archE1100ELNS1_3gpuE3ELNS1_3repE0EEENS1_30default_config_static_selectorELNS0_4arch9wavefront6targetE1EEEvT1_.has_dyn_sized_stack, 0
	.set _ZN7rocprim17ROCPRIM_400000_NS6detail17trampoline_kernelINS0_14default_configENS1_25partition_config_selectorILNS1_17partition_subalgoE8EjNS0_10empty_typeEbEEZZNS1_14partition_implILS5_8ELb0ES3_jN6thrust23THRUST_200600_302600_NS6detail15normal_iteratorINSA_10device_ptrIjEEEEPS6_PKS6_NS0_5tupleIJSF_S6_EEENSJ_IJSG_SG_EEENS0_18inequality_wrapperINSA_8equal_toIjEEEEPmJS6_EEE10hipError_tPvRmT3_T4_T5_T6_T7_T9_mT8_P12ihipStream_tbDpT10_ENKUlT_T0_E_clISt17integral_constantIbLb1EES19_IbLb0EEEEDaS15_S16_EUlS15_E_NS1_11comp_targetILNS1_3genE9ELNS1_11target_archE1100ELNS1_3gpuE3ELNS1_3repE0EEENS1_30default_config_static_selectorELNS0_4arch9wavefront6targetE1EEEvT1_.has_recursion, 0
	.set _ZN7rocprim17ROCPRIM_400000_NS6detail17trampoline_kernelINS0_14default_configENS1_25partition_config_selectorILNS1_17partition_subalgoE8EjNS0_10empty_typeEbEEZZNS1_14partition_implILS5_8ELb0ES3_jN6thrust23THRUST_200600_302600_NS6detail15normal_iteratorINSA_10device_ptrIjEEEEPS6_PKS6_NS0_5tupleIJSF_S6_EEENSJ_IJSG_SG_EEENS0_18inequality_wrapperINSA_8equal_toIjEEEEPmJS6_EEE10hipError_tPvRmT3_T4_T5_T6_T7_T9_mT8_P12ihipStream_tbDpT10_ENKUlT_T0_E_clISt17integral_constantIbLb1EES19_IbLb0EEEEDaS15_S16_EUlS15_E_NS1_11comp_targetILNS1_3genE9ELNS1_11target_archE1100ELNS1_3gpuE3ELNS1_3repE0EEENS1_30default_config_static_selectorELNS0_4arch9wavefront6targetE1EEEvT1_.has_indirect_call, 0
	.section	.AMDGPU.csdata,"",@progbits
; Kernel info:
; codeLenInByte = 0
; TotalNumSgprs: 4
; NumVgprs: 0
; ScratchSize: 0
; MemoryBound: 0
; FloatMode: 240
; IeeeMode: 1
; LDSByteSize: 0 bytes/workgroup (compile time only)
; SGPRBlocks: 0
; VGPRBlocks: 0
; NumSGPRsForWavesPerEU: 4
; NumVGPRsForWavesPerEU: 1
; Occupancy: 10
; WaveLimiterHint : 0
; COMPUTE_PGM_RSRC2:SCRATCH_EN: 0
; COMPUTE_PGM_RSRC2:USER_SGPR: 6
; COMPUTE_PGM_RSRC2:TRAP_HANDLER: 0
; COMPUTE_PGM_RSRC2:TGID_X_EN: 1
; COMPUTE_PGM_RSRC2:TGID_Y_EN: 0
; COMPUTE_PGM_RSRC2:TGID_Z_EN: 0
; COMPUTE_PGM_RSRC2:TIDIG_COMP_CNT: 0
	.section	.text._ZN7rocprim17ROCPRIM_400000_NS6detail17trampoline_kernelINS0_14default_configENS1_25partition_config_selectorILNS1_17partition_subalgoE8EjNS0_10empty_typeEbEEZZNS1_14partition_implILS5_8ELb0ES3_jN6thrust23THRUST_200600_302600_NS6detail15normal_iteratorINSA_10device_ptrIjEEEEPS6_PKS6_NS0_5tupleIJSF_S6_EEENSJ_IJSG_SG_EEENS0_18inequality_wrapperINSA_8equal_toIjEEEEPmJS6_EEE10hipError_tPvRmT3_T4_T5_T6_T7_T9_mT8_P12ihipStream_tbDpT10_ENKUlT_T0_E_clISt17integral_constantIbLb1EES19_IbLb0EEEEDaS15_S16_EUlS15_E_NS1_11comp_targetILNS1_3genE8ELNS1_11target_archE1030ELNS1_3gpuE2ELNS1_3repE0EEENS1_30default_config_static_selectorELNS0_4arch9wavefront6targetE1EEEvT1_,"axG",@progbits,_ZN7rocprim17ROCPRIM_400000_NS6detail17trampoline_kernelINS0_14default_configENS1_25partition_config_selectorILNS1_17partition_subalgoE8EjNS0_10empty_typeEbEEZZNS1_14partition_implILS5_8ELb0ES3_jN6thrust23THRUST_200600_302600_NS6detail15normal_iteratorINSA_10device_ptrIjEEEEPS6_PKS6_NS0_5tupleIJSF_S6_EEENSJ_IJSG_SG_EEENS0_18inequality_wrapperINSA_8equal_toIjEEEEPmJS6_EEE10hipError_tPvRmT3_T4_T5_T6_T7_T9_mT8_P12ihipStream_tbDpT10_ENKUlT_T0_E_clISt17integral_constantIbLb1EES19_IbLb0EEEEDaS15_S16_EUlS15_E_NS1_11comp_targetILNS1_3genE8ELNS1_11target_archE1030ELNS1_3gpuE2ELNS1_3repE0EEENS1_30default_config_static_selectorELNS0_4arch9wavefront6targetE1EEEvT1_,comdat
	.protected	_ZN7rocprim17ROCPRIM_400000_NS6detail17trampoline_kernelINS0_14default_configENS1_25partition_config_selectorILNS1_17partition_subalgoE8EjNS0_10empty_typeEbEEZZNS1_14partition_implILS5_8ELb0ES3_jN6thrust23THRUST_200600_302600_NS6detail15normal_iteratorINSA_10device_ptrIjEEEEPS6_PKS6_NS0_5tupleIJSF_S6_EEENSJ_IJSG_SG_EEENS0_18inequality_wrapperINSA_8equal_toIjEEEEPmJS6_EEE10hipError_tPvRmT3_T4_T5_T6_T7_T9_mT8_P12ihipStream_tbDpT10_ENKUlT_T0_E_clISt17integral_constantIbLb1EES19_IbLb0EEEEDaS15_S16_EUlS15_E_NS1_11comp_targetILNS1_3genE8ELNS1_11target_archE1030ELNS1_3gpuE2ELNS1_3repE0EEENS1_30default_config_static_selectorELNS0_4arch9wavefront6targetE1EEEvT1_ ; -- Begin function _ZN7rocprim17ROCPRIM_400000_NS6detail17trampoline_kernelINS0_14default_configENS1_25partition_config_selectorILNS1_17partition_subalgoE8EjNS0_10empty_typeEbEEZZNS1_14partition_implILS5_8ELb0ES3_jN6thrust23THRUST_200600_302600_NS6detail15normal_iteratorINSA_10device_ptrIjEEEEPS6_PKS6_NS0_5tupleIJSF_S6_EEENSJ_IJSG_SG_EEENS0_18inequality_wrapperINSA_8equal_toIjEEEEPmJS6_EEE10hipError_tPvRmT3_T4_T5_T6_T7_T9_mT8_P12ihipStream_tbDpT10_ENKUlT_T0_E_clISt17integral_constantIbLb1EES19_IbLb0EEEEDaS15_S16_EUlS15_E_NS1_11comp_targetILNS1_3genE8ELNS1_11target_archE1030ELNS1_3gpuE2ELNS1_3repE0EEENS1_30default_config_static_selectorELNS0_4arch9wavefront6targetE1EEEvT1_
	.globl	_ZN7rocprim17ROCPRIM_400000_NS6detail17trampoline_kernelINS0_14default_configENS1_25partition_config_selectorILNS1_17partition_subalgoE8EjNS0_10empty_typeEbEEZZNS1_14partition_implILS5_8ELb0ES3_jN6thrust23THRUST_200600_302600_NS6detail15normal_iteratorINSA_10device_ptrIjEEEEPS6_PKS6_NS0_5tupleIJSF_S6_EEENSJ_IJSG_SG_EEENS0_18inequality_wrapperINSA_8equal_toIjEEEEPmJS6_EEE10hipError_tPvRmT3_T4_T5_T6_T7_T9_mT8_P12ihipStream_tbDpT10_ENKUlT_T0_E_clISt17integral_constantIbLb1EES19_IbLb0EEEEDaS15_S16_EUlS15_E_NS1_11comp_targetILNS1_3genE8ELNS1_11target_archE1030ELNS1_3gpuE2ELNS1_3repE0EEENS1_30default_config_static_selectorELNS0_4arch9wavefront6targetE1EEEvT1_
	.p2align	8
	.type	_ZN7rocprim17ROCPRIM_400000_NS6detail17trampoline_kernelINS0_14default_configENS1_25partition_config_selectorILNS1_17partition_subalgoE8EjNS0_10empty_typeEbEEZZNS1_14partition_implILS5_8ELb0ES3_jN6thrust23THRUST_200600_302600_NS6detail15normal_iteratorINSA_10device_ptrIjEEEEPS6_PKS6_NS0_5tupleIJSF_S6_EEENSJ_IJSG_SG_EEENS0_18inequality_wrapperINSA_8equal_toIjEEEEPmJS6_EEE10hipError_tPvRmT3_T4_T5_T6_T7_T9_mT8_P12ihipStream_tbDpT10_ENKUlT_T0_E_clISt17integral_constantIbLb1EES19_IbLb0EEEEDaS15_S16_EUlS15_E_NS1_11comp_targetILNS1_3genE8ELNS1_11target_archE1030ELNS1_3gpuE2ELNS1_3repE0EEENS1_30default_config_static_selectorELNS0_4arch9wavefront6targetE1EEEvT1_,@function
_ZN7rocprim17ROCPRIM_400000_NS6detail17trampoline_kernelINS0_14default_configENS1_25partition_config_selectorILNS1_17partition_subalgoE8EjNS0_10empty_typeEbEEZZNS1_14partition_implILS5_8ELb0ES3_jN6thrust23THRUST_200600_302600_NS6detail15normal_iteratorINSA_10device_ptrIjEEEEPS6_PKS6_NS0_5tupleIJSF_S6_EEENSJ_IJSG_SG_EEENS0_18inequality_wrapperINSA_8equal_toIjEEEEPmJS6_EEE10hipError_tPvRmT3_T4_T5_T6_T7_T9_mT8_P12ihipStream_tbDpT10_ENKUlT_T0_E_clISt17integral_constantIbLb1EES19_IbLb0EEEEDaS15_S16_EUlS15_E_NS1_11comp_targetILNS1_3genE8ELNS1_11target_archE1030ELNS1_3gpuE2ELNS1_3repE0EEENS1_30default_config_static_selectorELNS0_4arch9wavefront6targetE1EEEvT1_: ; @_ZN7rocprim17ROCPRIM_400000_NS6detail17trampoline_kernelINS0_14default_configENS1_25partition_config_selectorILNS1_17partition_subalgoE8EjNS0_10empty_typeEbEEZZNS1_14partition_implILS5_8ELb0ES3_jN6thrust23THRUST_200600_302600_NS6detail15normal_iteratorINSA_10device_ptrIjEEEEPS6_PKS6_NS0_5tupleIJSF_S6_EEENSJ_IJSG_SG_EEENS0_18inequality_wrapperINSA_8equal_toIjEEEEPmJS6_EEE10hipError_tPvRmT3_T4_T5_T6_T7_T9_mT8_P12ihipStream_tbDpT10_ENKUlT_T0_E_clISt17integral_constantIbLb1EES19_IbLb0EEEEDaS15_S16_EUlS15_E_NS1_11comp_targetILNS1_3genE8ELNS1_11target_archE1030ELNS1_3gpuE2ELNS1_3repE0EEENS1_30default_config_static_selectorELNS0_4arch9wavefront6targetE1EEEvT1_
; %bb.0:
	.section	.rodata,"a",@progbits
	.p2align	6, 0x0
	.amdhsa_kernel _ZN7rocprim17ROCPRIM_400000_NS6detail17trampoline_kernelINS0_14default_configENS1_25partition_config_selectorILNS1_17partition_subalgoE8EjNS0_10empty_typeEbEEZZNS1_14partition_implILS5_8ELb0ES3_jN6thrust23THRUST_200600_302600_NS6detail15normal_iteratorINSA_10device_ptrIjEEEEPS6_PKS6_NS0_5tupleIJSF_S6_EEENSJ_IJSG_SG_EEENS0_18inequality_wrapperINSA_8equal_toIjEEEEPmJS6_EEE10hipError_tPvRmT3_T4_T5_T6_T7_T9_mT8_P12ihipStream_tbDpT10_ENKUlT_T0_E_clISt17integral_constantIbLb1EES19_IbLb0EEEEDaS15_S16_EUlS15_E_NS1_11comp_targetILNS1_3genE8ELNS1_11target_archE1030ELNS1_3gpuE2ELNS1_3repE0EEENS1_30default_config_static_selectorELNS0_4arch9wavefront6targetE1EEEvT1_
		.amdhsa_group_segment_fixed_size 0
		.amdhsa_private_segment_fixed_size 0
		.amdhsa_kernarg_size 112
		.amdhsa_user_sgpr_count 6
		.amdhsa_user_sgpr_private_segment_buffer 1
		.amdhsa_user_sgpr_dispatch_ptr 0
		.amdhsa_user_sgpr_queue_ptr 0
		.amdhsa_user_sgpr_kernarg_segment_ptr 1
		.amdhsa_user_sgpr_dispatch_id 0
		.amdhsa_user_sgpr_flat_scratch_init 0
		.amdhsa_user_sgpr_private_segment_size 0
		.amdhsa_uses_dynamic_stack 0
		.amdhsa_system_sgpr_private_segment_wavefront_offset 0
		.amdhsa_system_sgpr_workgroup_id_x 1
		.amdhsa_system_sgpr_workgroup_id_y 0
		.amdhsa_system_sgpr_workgroup_id_z 0
		.amdhsa_system_sgpr_workgroup_info 0
		.amdhsa_system_vgpr_workitem_id 0
		.amdhsa_next_free_vgpr 1
		.amdhsa_next_free_sgpr 0
		.amdhsa_reserve_vcc 0
		.amdhsa_reserve_flat_scratch 0
		.amdhsa_float_round_mode_32 0
		.amdhsa_float_round_mode_16_64 0
		.amdhsa_float_denorm_mode_32 3
		.amdhsa_float_denorm_mode_16_64 3
		.amdhsa_dx10_clamp 1
		.amdhsa_ieee_mode 1
		.amdhsa_fp16_overflow 0
		.amdhsa_exception_fp_ieee_invalid_op 0
		.amdhsa_exception_fp_denorm_src 0
		.amdhsa_exception_fp_ieee_div_zero 0
		.amdhsa_exception_fp_ieee_overflow 0
		.amdhsa_exception_fp_ieee_underflow 0
		.amdhsa_exception_fp_ieee_inexact 0
		.amdhsa_exception_int_div_zero 0
	.end_amdhsa_kernel
	.section	.text._ZN7rocprim17ROCPRIM_400000_NS6detail17trampoline_kernelINS0_14default_configENS1_25partition_config_selectorILNS1_17partition_subalgoE8EjNS0_10empty_typeEbEEZZNS1_14partition_implILS5_8ELb0ES3_jN6thrust23THRUST_200600_302600_NS6detail15normal_iteratorINSA_10device_ptrIjEEEEPS6_PKS6_NS0_5tupleIJSF_S6_EEENSJ_IJSG_SG_EEENS0_18inequality_wrapperINSA_8equal_toIjEEEEPmJS6_EEE10hipError_tPvRmT3_T4_T5_T6_T7_T9_mT8_P12ihipStream_tbDpT10_ENKUlT_T0_E_clISt17integral_constantIbLb1EES19_IbLb0EEEEDaS15_S16_EUlS15_E_NS1_11comp_targetILNS1_3genE8ELNS1_11target_archE1030ELNS1_3gpuE2ELNS1_3repE0EEENS1_30default_config_static_selectorELNS0_4arch9wavefront6targetE1EEEvT1_,"axG",@progbits,_ZN7rocprim17ROCPRIM_400000_NS6detail17trampoline_kernelINS0_14default_configENS1_25partition_config_selectorILNS1_17partition_subalgoE8EjNS0_10empty_typeEbEEZZNS1_14partition_implILS5_8ELb0ES3_jN6thrust23THRUST_200600_302600_NS6detail15normal_iteratorINSA_10device_ptrIjEEEEPS6_PKS6_NS0_5tupleIJSF_S6_EEENSJ_IJSG_SG_EEENS0_18inequality_wrapperINSA_8equal_toIjEEEEPmJS6_EEE10hipError_tPvRmT3_T4_T5_T6_T7_T9_mT8_P12ihipStream_tbDpT10_ENKUlT_T0_E_clISt17integral_constantIbLb1EES19_IbLb0EEEEDaS15_S16_EUlS15_E_NS1_11comp_targetILNS1_3genE8ELNS1_11target_archE1030ELNS1_3gpuE2ELNS1_3repE0EEENS1_30default_config_static_selectorELNS0_4arch9wavefront6targetE1EEEvT1_,comdat
.Lfunc_end233:
	.size	_ZN7rocprim17ROCPRIM_400000_NS6detail17trampoline_kernelINS0_14default_configENS1_25partition_config_selectorILNS1_17partition_subalgoE8EjNS0_10empty_typeEbEEZZNS1_14partition_implILS5_8ELb0ES3_jN6thrust23THRUST_200600_302600_NS6detail15normal_iteratorINSA_10device_ptrIjEEEEPS6_PKS6_NS0_5tupleIJSF_S6_EEENSJ_IJSG_SG_EEENS0_18inequality_wrapperINSA_8equal_toIjEEEEPmJS6_EEE10hipError_tPvRmT3_T4_T5_T6_T7_T9_mT8_P12ihipStream_tbDpT10_ENKUlT_T0_E_clISt17integral_constantIbLb1EES19_IbLb0EEEEDaS15_S16_EUlS15_E_NS1_11comp_targetILNS1_3genE8ELNS1_11target_archE1030ELNS1_3gpuE2ELNS1_3repE0EEENS1_30default_config_static_selectorELNS0_4arch9wavefront6targetE1EEEvT1_, .Lfunc_end233-_ZN7rocprim17ROCPRIM_400000_NS6detail17trampoline_kernelINS0_14default_configENS1_25partition_config_selectorILNS1_17partition_subalgoE8EjNS0_10empty_typeEbEEZZNS1_14partition_implILS5_8ELb0ES3_jN6thrust23THRUST_200600_302600_NS6detail15normal_iteratorINSA_10device_ptrIjEEEEPS6_PKS6_NS0_5tupleIJSF_S6_EEENSJ_IJSG_SG_EEENS0_18inequality_wrapperINSA_8equal_toIjEEEEPmJS6_EEE10hipError_tPvRmT3_T4_T5_T6_T7_T9_mT8_P12ihipStream_tbDpT10_ENKUlT_T0_E_clISt17integral_constantIbLb1EES19_IbLb0EEEEDaS15_S16_EUlS15_E_NS1_11comp_targetILNS1_3genE8ELNS1_11target_archE1030ELNS1_3gpuE2ELNS1_3repE0EEENS1_30default_config_static_selectorELNS0_4arch9wavefront6targetE1EEEvT1_
                                        ; -- End function
	.set _ZN7rocprim17ROCPRIM_400000_NS6detail17trampoline_kernelINS0_14default_configENS1_25partition_config_selectorILNS1_17partition_subalgoE8EjNS0_10empty_typeEbEEZZNS1_14partition_implILS5_8ELb0ES3_jN6thrust23THRUST_200600_302600_NS6detail15normal_iteratorINSA_10device_ptrIjEEEEPS6_PKS6_NS0_5tupleIJSF_S6_EEENSJ_IJSG_SG_EEENS0_18inequality_wrapperINSA_8equal_toIjEEEEPmJS6_EEE10hipError_tPvRmT3_T4_T5_T6_T7_T9_mT8_P12ihipStream_tbDpT10_ENKUlT_T0_E_clISt17integral_constantIbLb1EES19_IbLb0EEEEDaS15_S16_EUlS15_E_NS1_11comp_targetILNS1_3genE8ELNS1_11target_archE1030ELNS1_3gpuE2ELNS1_3repE0EEENS1_30default_config_static_selectorELNS0_4arch9wavefront6targetE1EEEvT1_.num_vgpr, 0
	.set _ZN7rocprim17ROCPRIM_400000_NS6detail17trampoline_kernelINS0_14default_configENS1_25partition_config_selectorILNS1_17partition_subalgoE8EjNS0_10empty_typeEbEEZZNS1_14partition_implILS5_8ELb0ES3_jN6thrust23THRUST_200600_302600_NS6detail15normal_iteratorINSA_10device_ptrIjEEEEPS6_PKS6_NS0_5tupleIJSF_S6_EEENSJ_IJSG_SG_EEENS0_18inequality_wrapperINSA_8equal_toIjEEEEPmJS6_EEE10hipError_tPvRmT3_T4_T5_T6_T7_T9_mT8_P12ihipStream_tbDpT10_ENKUlT_T0_E_clISt17integral_constantIbLb1EES19_IbLb0EEEEDaS15_S16_EUlS15_E_NS1_11comp_targetILNS1_3genE8ELNS1_11target_archE1030ELNS1_3gpuE2ELNS1_3repE0EEENS1_30default_config_static_selectorELNS0_4arch9wavefront6targetE1EEEvT1_.num_agpr, 0
	.set _ZN7rocprim17ROCPRIM_400000_NS6detail17trampoline_kernelINS0_14default_configENS1_25partition_config_selectorILNS1_17partition_subalgoE8EjNS0_10empty_typeEbEEZZNS1_14partition_implILS5_8ELb0ES3_jN6thrust23THRUST_200600_302600_NS6detail15normal_iteratorINSA_10device_ptrIjEEEEPS6_PKS6_NS0_5tupleIJSF_S6_EEENSJ_IJSG_SG_EEENS0_18inequality_wrapperINSA_8equal_toIjEEEEPmJS6_EEE10hipError_tPvRmT3_T4_T5_T6_T7_T9_mT8_P12ihipStream_tbDpT10_ENKUlT_T0_E_clISt17integral_constantIbLb1EES19_IbLb0EEEEDaS15_S16_EUlS15_E_NS1_11comp_targetILNS1_3genE8ELNS1_11target_archE1030ELNS1_3gpuE2ELNS1_3repE0EEENS1_30default_config_static_selectorELNS0_4arch9wavefront6targetE1EEEvT1_.numbered_sgpr, 0
	.set _ZN7rocprim17ROCPRIM_400000_NS6detail17trampoline_kernelINS0_14default_configENS1_25partition_config_selectorILNS1_17partition_subalgoE8EjNS0_10empty_typeEbEEZZNS1_14partition_implILS5_8ELb0ES3_jN6thrust23THRUST_200600_302600_NS6detail15normal_iteratorINSA_10device_ptrIjEEEEPS6_PKS6_NS0_5tupleIJSF_S6_EEENSJ_IJSG_SG_EEENS0_18inequality_wrapperINSA_8equal_toIjEEEEPmJS6_EEE10hipError_tPvRmT3_T4_T5_T6_T7_T9_mT8_P12ihipStream_tbDpT10_ENKUlT_T0_E_clISt17integral_constantIbLb1EES19_IbLb0EEEEDaS15_S16_EUlS15_E_NS1_11comp_targetILNS1_3genE8ELNS1_11target_archE1030ELNS1_3gpuE2ELNS1_3repE0EEENS1_30default_config_static_selectorELNS0_4arch9wavefront6targetE1EEEvT1_.num_named_barrier, 0
	.set _ZN7rocprim17ROCPRIM_400000_NS6detail17trampoline_kernelINS0_14default_configENS1_25partition_config_selectorILNS1_17partition_subalgoE8EjNS0_10empty_typeEbEEZZNS1_14partition_implILS5_8ELb0ES3_jN6thrust23THRUST_200600_302600_NS6detail15normal_iteratorINSA_10device_ptrIjEEEEPS6_PKS6_NS0_5tupleIJSF_S6_EEENSJ_IJSG_SG_EEENS0_18inequality_wrapperINSA_8equal_toIjEEEEPmJS6_EEE10hipError_tPvRmT3_T4_T5_T6_T7_T9_mT8_P12ihipStream_tbDpT10_ENKUlT_T0_E_clISt17integral_constantIbLb1EES19_IbLb0EEEEDaS15_S16_EUlS15_E_NS1_11comp_targetILNS1_3genE8ELNS1_11target_archE1030ELNS1_3gpuE2ELNS1_3repE0EEENS1_30default_config_static_selectorELNS0_4arch9wavefront6targetE1EEEvT1_.private_seg_size, 0
	.set _ZN7rocprim17ROCPRIM_400000_NS6detail17trampoline_kernelINS0_14default_configENS1_25partition_config_selectorILNS1_17partition_subalgoE8EjNS0_10empty_typeEbEEZZNS1_14partition_implILS5_8ELb0ES3_jN6thrust23THRUST_200600_302600_NS6detail15normal_iteratorINSA_10device_ptrIjEEEEPS6_PKS6_NS0_5tupleIJSF_S6_EEENSJ_IJSG_SG_EEENS0_18inequality_wrapperINSA_8equal_toIjEEEEPmJS6_EEE10hipError_tPvRmT3_T4_T5_T6_T7_T9_mT8_P12ihipStream_tbDpT10_ENKUlT_T0_E_clISt17integral_constantIbLb1EES19_IbLb0EEEEDaS15_S16_EUlS15_E_NS1_11comp_targetILNS1_3genE8ELNS1_11target_archE1030ELNS1_3gpuE2ELNS1_3repE0EEENS1_30default_config_static_selectorELNS0_4arch9wavefront6targetE1EEEvT1_.uses_vcc, 0
	.set _ZN7rocprim17ROCPRIM_400000_NS6detail17trampoline_kernelINS0_14default_configENS1_25partition_config_selectorILNS1_17partition_subalgoE8EjNS0_10empty_typeEbEEZZNS1_14partition_implILS5_8ELb0ES3_jN6thrust23THRUST_200600_302600_NS6detail15normal_iteratorINSA_10device_ptrIjEEEEPS6_PKS6_NS0_5tupleIJSF_S6_EEENSJ_IJSG_SG_EEENS0_18inequality_wrapperINSA_8equal_toIjEEEEPmJS6_EEE10hipError_tPvRmT3_T4_T5_T6_T7_T9_mT8_P12ihipStream_tbDpT10_ENKUlT_T0_E_clISt17integral_constantIbLb1EES19_IbLb0EEEEDaS15_S16_EUlS15_E_NS1_11comp_targetILNS1_3genE8ELNS1_11target_archE1030ELNS1_3gpuE2ELNS1_3repE0EEENS1_30default_config_static_selectorELNS0_4arch9wavefront6targetE1EEEvT1_.uses_flat_scratch, 0
	.set _ZN7rocprim17ROCPRIM_400000_NS6detail17trampoline_kernelINS0_14default_configENS1_25partition_config_selectorILNS1_17partition_subalgoE8EjNS0_10empty_typeEbEEZZNS1_14partition_implILS5_8ELb0ES3_jN6thrust23THRUST_200600_302600_NS6detail15normal_iteratorINSA_10device_ptrIjEEEEPS6_PKS6_NS0_5tupleIJSF_S6_EEENSJ_IJSG_SG_EEENS0_18inequality_wrapperINSA_8equal_toIjEEEEPmJS6_EEE10hipError_tPvRmT3_T4_T5_T6_T7_T9_mT8_P12ihipStream_tbDpT10_ENKUlT_T0_E_clISt17integral_constantIbLb1EES19_IbLb0EEEEDaS15_S16_EUlS15_E_NS1_11comp_targetILNS1_3genE8ELNS1_11target_archE1030ELNS1_3gpuE2ELNS1_3repE0EEENS1_30default_config_static_selectorELNS0_4arch9wavefront6targetE1EEEvT1_.has_dyn_sized_stack, 0
	.set _ZN7rocprim17ROCPRIM_400000_NS6detail17trampoline_kernelINS0_14default_configENS1_25partition_config_selectorILNS1_17partition_subalgoE8EjNS0_10empty_typeEbEEZZNS1_14partition_implILS5_8ELb0ES3_jN6thrust23THRUST_200600_302600_NS6detail15normal_iteratorINSA_10device_ptrIjEEEEPS6_PKS6_NS0_5tupleIJSF_S6_EEENSJ_IJSG_SG_EEENS0_18inequality_wrapperINSA_8equal_toIjEEEEPmJS6_EEE10hipError_tPvRmT3_T4_T5_T6_T7_T9_mT8_P12ihipStream_tbDpT10_ENKUlT_T0_E_clISt17integral_constantIbLb1EES19_IbLb0EEEEDaS15_S16_EUlS15_E_NS1_11comp_targetILNS1_3genE8ELNS1_11target_archE1030ELNS1_3gpuE2ELNS1_3repE0EEENS1_30default_config_static_selectorELNS0_4arch9wavefront6targetE1EEEvT1_.has_recursion, 0
	.set _ZN7rocprim17ROCPRIM_400000_NS6detail17trampoline_kernelINS0_14default_configENS1_25partition_config_selectorILNS1_17partition_subalgoE8EjNS0_10empty_typeEbEEZZNS1_14partition_implILS5_8ELb0ES3_jN6thrust23THRUST_200600_302600_NS6detail15normal_iteratorINSA_10device_ptrIjEEEEPS6_PKS6_NS0_5tupleIJSF_S6_EEENSJ_IJSG_SG_EEENS0_18inequality_wrapperINSA_8equal_toIjEEEEPmJS6_EEE10hipError_tPvRmT3_T4_T5_T6_T7_T9_mT8_P12ihipStream_tbDpT10_ENKUlT_T0_E_clISt17integral_constantIbLb1EES19_IbLb0EEEEDaS15_S16_EUlS15_E_NS1_11comp_targetILNS1_3genE8ELNS1_11target_archE1030ELNS1_3gpuE2ELNS1_3repE0EEENS1_30default_config_static_selectorELNS0_4arch9wavefront6targetE1EEEvT1_.has_indirect_call, 0
	.section	.AMDGPU.csdata,"",@progbits
; Kernel info:
; codeLenInByte = 0
; TotalNumSgprs: 4
; NumVgprs: 0
; ScratchSize: 0
; MemoryBound: 0
; FloatMode: 240
; IeeeMode: 1
; LDSByteSize: 0 bytes/workgroup (compile time only)
; SGPRBlocks: 0
; VGPRBlocks: 0
; NumSGPRsForWavesPerEU: 4
; NumVGPRsForWavesPerEU: 1
; Occupancy: 10
; WaveLimiterHint : 0
; COMPUTE_PGM_RSRC2:SCRATCH_EN: 0
; COMPUTE_PGM_RSRC2:USER_SGPR: 6
; COMPUTE_PGM_RSRC2:TRAP_HANDLER: 0
; COMPUTE_PGM_RSRC2:TGID_X_EN: 1
; COMPUTE_PGM_RSRC2:TGID_Y_EN: 0
; COMPUTE_PGM_RSRC2:TGID_Z_EN: 0
; COMPUTE_PGM_RSRC2:TIDIG_COMP_CNT: 0
	.section	.text._ZN7rocprim17ROCPRIM_400000_NS6detail17trampoline_kernelINS0_14default_configENS1_25partition_config_selectorILNS1_17partition_subalgoE8EjNS0_10empty_typeEbEEZZNS1_14partition_implILS5_8ELb0ES3_jN6thrust23THRUST_200600_302600_NS6detail15normal_iteratorINSA_10device_ptrIjEEEEPS6_PKS6_NS0_5tupleIJSF_S6_EEENSJ_IJSG_SG_EEENS0_18inequality_wrapperINSA_8equal_toIjEEEEPmJS6_EEE10hipError_tPvRmT3_T4_T5_T6_T7_T9_mT8_P12ihipStream_tbDpT10_ENKUlT_T0_E_clISt17integral_constantIbLb0EES19_IbLb1EEEEDaS15_S16_EUlS15_E_NS1_11comp_targetILNS1_3genE0ELNS1_11target_archE4294967295ELNS1_3gpuE0ELNS1_3repE0EEENS1_30default_config_static_selectorELNS0_4arch9wavefront6targetE1EEEvT1_,"axG",@progbits,_ZN7rocprim17ROCPRIM_400000_NS6detail17trampoline_kernelINS0_14default_configENS1_25partition_config_selectorILNS1_17partition_subalgoE8EjNS0_10empty_typeEbEEZZNS1_14partition_implILS5_8ELb0ES3_jN6thrust23THRUST_200600_302600_NS6detail15normal_iteratorINSA_10device_ptrIjEEEEPS6_PKS6_NS0_5tupleIJSF_S6_EEENSJ_IJSG_SG_EEENS0_18inequality_wrapperINSA_8equal_toIjEEEEPmJS6_EEE10hipError_tPvRmT3_T4_T5_T6_T7_T9_mT8_P12ihipStream_tbDpT10_ENKUlT_T0_E_clISt17integral_constantIbLb0EES19_IbLb1EEEEDaS15_S16_EUlS15_E_NS1_11comp_targetILNS1_3genE0ELNS1_11target_archE4294967295ELNS1_3gpuE0ELNS1_3repE0EEENS1_30default_config_static_selectorELNS0_4arch9wavefront6targetE1EEEvT1_,comdat
	.protected	_ZN7rocprim17ROCPRIM_400000_NS6detail17trampoline_kernelINS0_14default_configENS1_25partition_config_selectorILNS1_17partition_subalgoE8EjNS0_10empty_typeEbEEZZNS1_14partition_implILS5_8ELb0ES3_jN6thrust23THRUST_200600_302600_NS6detail15normal_iteratorINSA_10device_ptrIjEEEEPS6_PKS6_NS0_5tupleIJSF_S6_EEENSJ_IJSG_SG_EEENS0_18inequality_wrapperINSA_8equal_toIjEEEEPmJS6_EEE10hipError_tPvRmT3_T4_T5_T6_T7_T9_mT8_P12ihipStream_tbDpT10_ENKUlT_T0_E_clISt17integral_constantIbLb0EES19_IbLb1EEEEDaS15_S16_EUlS15_E_NS1_11comp_targetILNS1_3genE0ELNS1_11target_archE4294967295ELNS1_3gpuE0ELNS1_3repE0EEENS1_30default_config_static_selectorELNS0_4arch9wavefront6targetE1EEEvT1_ ; -- Begin function _ZN7rocprim17ROCPRIM_400000_NS6detail17trampoline_kernelINS0_14default_configENS1_25partition_config_selectorILNS1_17partition_subalgoE8EjNS0_10empty_typeEbEEZZNS1_14partition_implILS5_8ELb0ES3_jN6thrust23THRUST_200600_302600_NS6detail15normal_iteratorINSA_10device_ptrIjEEEEPS6_PKS6_NS0_5tupleIJSF_S6_EEENSJ_IJSG_SG_EEENS0_18inequality_wrapperINSA_8equal_toIjEEEEPmJS6_EEE10hipError_tPvRmT3_T4_T5_T6_T7_T9_mT8_P12ihipStream_tbDpT10_ENKUlT_T0_E_clISt17integral_constantIbLb0EES19_IbLb1EEEEDaS15_S16_EUlS15_E_NS1_11comp_targetILNS1_3genE0ELNS1_11target_archE4294967295ELNS1_3gpuE0ELNS1_3repE0EEENS1_30default_config_static_selectorELNS0_4arch9wavefront6targetE1EEEvT1_
	.globl	_ZN7rocprim17ROCPRIM_400000_NS6detail17trampoline_kernelINS0_14default_configENS1_25partition_config_selectorILNS1_17partition_subalgoE8EjNS0_10empty_typeEbEEZZNS1_14partition_implILS5_8ELb0ES3_jN6thrust23THRUST_200600_302600_NS6detail15normal_iteratorINSA_10device_ptrIjEEEEPS6_PKS6_NS0_5tupleIJSF_S6_EEENSJ_IJSG_SG_EEENS0_18inequality_wrapperINSA_8equal_toIjEEEEPmJS6_EEE10hipError_tPvRmT3_T4_T5_T6_T7_T9_mT8_P12ihipStream_tbDpT10_ENKUlT_T0_E_clISt17integral_constantIbLb0EES19_IbLb1EEEEDaS15_S16_EUlS15_E_NS1_11comp_targetILNS1_3genE0ELNS1_11target_archE4294967295ELNS1_3gpuE0ELNS1_3repE0EEENS1_30default_config_static_selectorELNS0_4arch9wavefront6targetE1EEEvT1_
	.p2align	8
	.type	_ZN7rocprim17ROCPRIM_400000_NS6detail17trampoline_kernelINS0_14default_configENS1_25partition_config_selectorILNS1_17partition_subalgoE8EjNS0_10empty_typeEbEEZZNS1_14partition_implILS5_8ELb0ES3_jN6thrust23THRUST_200600_302600_NS6detail15normal_iteratorINSA_10device_ptrIjEEEEPS6_PKS6_NS0_5tupleIJSF_S6_EEENSJ_IJSG_SG_EEENS0_18inequality_wrapperINSA_8equal_toIjEEEEPmJS6_EEE10hipError_tPvRmT3_T4_T5_T6_T7_T9_mT8_P12ihipStream_tbDpT10_ENKUlT_T0_E_clISt17integral_constantIbLb0EES19_IbLb1EEEEDaS15_S16_EUlS15_E_NS1_11comp_targetILNS1_3genE0ELNS1_11target_archE4294967295ELNS1_3gpuE0ELNS1_3repE0EEENS1_30default_config_static_selectorELNS0_4arch9wavefront6targetE1EEEvT1_,@function
_ZN7rocprim17ROCPRIM_400000_NS6detail17trampoline_kernelINS0_14default_configENS1_25partition_config_selectorILNS1_17partition_subalgoE8EjNS0_10empty_typeEbEEZZNS1_14partition_implILS5_8ELb0ES3_jN6thrust23THRUST_200600_302600_NS6detail15normal_iteratorINSA_10device_ptrIjEEEEPS6_PKS6_NS0_5tupleIJSF_S6_EEENSJ_IJSG_SG_EEENS0_18inequality_wrapperINSA_8equal_toIjEEEEPmJS6_EEE10hipError_tPvRmT3_T4_T5_T6_T7_T9_mT8_P12ihipStream_tbDpT10_ENKUlT_T0_E_clISt17integral_constantIbLb0EES19_IbLb1EEEEDaS15_S16_EUlS15_E_NS1_11comp_targetILNS1_3genE0ELNS1_11target_archE4294967295ELNS1_3gpuE0ELNS1_3repE0EEENS1_30default_config_static_selectorELNS0_4arch9wavefront6targetE1EEEvT1_: ; @_ZN7rocprim17ROCPRIM_400000_NS6detail17trampoline_kernelINS0_14default_configENS1_25partition_config_selectorILNS1_17partition_subalgoE8EjNS0_10empty_typeEbEEZZNS1_14partition_implILS5_8ELb0ES3_jN6thrust23THRUST_200600_302600_NS6detail15normal_iteratorINSA_10device_ptrIjEEEEPS6_PKS6_NS0_5tupleIJSF_S6_EEENSJ_IJSG_SG_EEENS0_18inequality_wrapperINSA_8equal_toIjEEEEPmJS6_EEE10hipError_tPvRmT3_T4_T5_T6_T7_T9_mT8_P12ihipStream_tbDpT10_ENKUlT_T0_E_clISt17integral_constantIbLb0EES19_IbLb1EEEEDaS15_S16_EUlS15_E_NS1_11comp_targetILNS1_3genE0ELNS1_11target_archE4294967295ELNS1_3gpuE0ELNS1_3repE0EEENS1_30default_config_static_selectorELNS0_4arch9wavefront6targetE1EEEvT1_
; %bb.0:
	.section	.rodata,"a",@progbits
	.p2align	6, 0x0
	.amdhsa_kernel _ZN7rocprim17ROCPRIM_400000_NS6detail17trampoline_kernelINS0_14default_configENS1_25partition_config_selectorILNS1_17partition_subalgoE8EjNS0_10empty_typeEbEEZZNS1_14partition_implILS5_8ELb0ES3_jN6thrust23THRUST_200600_302600_NS6detail15normal_iteratorINSA_10device_ptrIjEEEEPS6_PKS6_NS0_5tupleIJSF_S6_EEENSJ_IJSG_SG_EEENS0_18inequality_wrapperINSA_8equal_toIjEEEEPmJS6_EEE10hipError_tPvRmT3_T4_T5_T6_T7_T9_mT8_P12ihipStream_tbDpT10_ENKUlT_T0_E_clISt17integral_constantIbLb0EES19_IbLb1EEEEDaS15_S16_EUlS15_E_NS1_11comp_targetILNS1_3genE0ELNS1_11target_archE4294967295ELNS1_3gpuE0ELNS1_3repE0EEENS1_30default_config_static_selectorELNS0_4arch9wavefront6targetE1EEEvT1_
		.amdhsa_group_segment_fixed_size 0
		.amdhsa_private_segment_fixed_size 0
		.amdhsa_kernarg_size 128
		.amdhsa_user_sgpr_count 6
		.amdhsa_user_sgpr_private_segment_buffer 1
		.amdhsa_user_sgpr_dispatch_ptr 0
		.amdhsa_user_sgpr_queue_ptr 0
		.amdhsa_user_sgpr_kernarg_segment_ptr 1
		.amdhsa_user_sgpr_dispatch_id 0
		.amdhsa_user_sgpr_flat_scratch_init 0
		.amdhsa_user_sgpr_private_segment_size 0
		.amdhsa_uses_dynamic_stack 0
		.amdhsa_system_sgpr_private_segment_wavefront_offset 0
		.amdhsa_system_sgpr_workgroup_id_x 1
		.amdhsa_system_sgpr_workgroup_id_y 0
		.amdhsa_system_sgpr_workgroup_id_z 0
		.amdhsa_system_sgpr_workgroup_info 0
		.amdhsa_system_vgpr_workitem_id 0
		.amdhsa_next_free_vgpr 1
		.amdhsa_next_free_sgpr 0
		.amdhsa_reserve_vcc 0
		.amdhsa_reserve_flat_scratch 0
		.amdhsa_float_round_mode_32 0
		.amdhsa_float_round_mode_16_64 0
		.amdhsa_float_denorm_mode_32 3
		.amdhsa_float_denorm_mode_16_64 3
		.amdhsa_dx10_clamp 1
		.amdhsa_ieee_mode 1
		.amdhsa_fp16_overflow 0
		.amdhsa_exception_fp_ieee_invalid_op 0
		.amdhsa_exception_fp_denorm_src 0
		.amdhsa_exception_fp_ieee_div_zero 0
		.amdhsa_exception_fp_ieee_overflow 0
		.amdhsa_exception_fp_ieee_underflow 0
		.amdhsa_exception_fp_ieee_inexact 0
		.amdhsa_exception_int_div_zero 0
	.end_amdhsa_kernel
	.section	.text._ZN7rocprim17ROCPRIM_400000_NS6detail17trampoline_kernelINS0_14default_configENS1_25partition_config_selectorILNS1_17partition_subalgoE8EjNS0_10empty_typeEbEEZZNS1_14partition_implILS5_8ELb0ES3_jN6thrust23THRUST_200600_302600_NS6detail15normal_iteratorINSA_10device_ptrIjEEEEPS6_PKS6_NS0_5tupleIJSF_S6_EEENSJ_IJSG_SG_EEENS0_18inequality_wrapperINSA_8equal_toIjEEEEPmJS6_EEE10hipError_tPvRmT3_T4_T5_T6_T7_T9_mT8_P12ihipStream_tbDpT10_ENKUlT_T0_E_clISt17integral_constantIbLb0EES19_IbLb1EEEEDaS15_S16_EUlS15_E_NS1_11comp_targetILNS1_3genE0ELNS1_11target_archE4294967295ELNS1_3gpuE0ELNS1_3repE0EEENS1_30default_config_static_selectorELNS0_4arch9wavefront6targetE1EEEvT1_,"axG",@progbits,_ZN7rocprim17ROCPRIM_400000_NS6detail17trampoline_kernelINS0_14default_configENS1_25partition_config_selectorILNS1_17partition_subalgoE8EjNS0_10empty_typeEbEEZZNS1_14partition_implILS5_8ELb0ES3_jN6thrust23THRUST_200600_302600_NS6detail15normal_iteratorINSA_10device_ptrIjEEEEPS6_PKS6_NS0_5tupleIJSF_S6_EEENSJ_IJSG_SG_EEENS0_18inequality_wrapperINSA_8equal_toIjEEEEPmJS6_EEE10hipError_tPvRmT3_T4_T5_T6_T7_T9_mT8_P12ihipStream_tbDpT10_ENKUlT_T0_E_clISt17integral_constantIbLb0EES19_IbLb1EEEEDaS15_S16_EUlS15_E_NS1_11comp_targetILNS1_3genE0ELNS1_11target_archE4294967295ELNS1_3gpuE0ELNS1_3repE0EEENS1_30default_config_static_selectorELNS0_4arch9wavefront6targetE1EEEvT1_,comdat
.Lfunc_end234:
	.size	_ZN7rocprim17ROCPRIM_400000_NS6detail17trampoline_kernelINS0_14default_configENS1_25partition_config_selectorILNS1_17partition_subalgoE8EjNS0_10empty_typeEbEEZZNS1_14partition_implILS5_8ELb0ES3_jN6thrust23THRUST_200600_302600_NS6detail15normal_iteratorINSA_10device_ptrIjEEEEPS6_PKS6_NS0_5tupleIJSF_S6_EEENSJ_IJSG_SG_EEENS0_18inequality_wrapperINSA_8equal_toIjEEEEPmJS6_EEE10hipError_tPvRmT3_T4_T5_T6_T7_T9_mT8_P12ihipStream_tbDpT10_ENKUlT_T0_E_clISt17integral_constantIbLb0EES19_IbLb1EEEEDaS15_S16_EUlS15_E_NS1_11comp_targetILNS1_3genE0ELNS1_11target_archE4294967295ELNS1_3gpuE0ELNS1_3repE0EEENS1_30default_config_static_selectorELNS0_4arch9wavefront6targetE1EEEvT1_, .Lfunc_end234-_ZN7rocprim17ROCPRIM_400000_NS6detail17trampoline_kernelINS0_14default_configENS1_25partition_config_selectorILNS1_17partition_subalgoE8EjNS0_10empty_typeEbEEZZNS1_14partition_implILS5_8ELb0ES3_jN6thrust23THRUST_200600_302600_NS6detail15normal_iteratorINSA_10device_ptrIjEEEEPS6_PKS6_NS0_5tupleIJSF_S6_EEENSJ_IJSG_SG_EEENS0_18inequality_wrapperINSA_8equal_toIjEEEEPmJS6_EEE10hipError_tPvRmT3_T4_T5_T6_T7_T9_mT8_P12ihipStream_tbDpT10_ENKUlT_T0_E_clISt17integral_constantIbLb0EES19_IbLb1EEEEDaS15_S16_EUlS15_E_NS1_11comp_targetILNS1_3genE0ELNS1_11target_archE4294967295ELNS1_3gpuE0ELNS1_3repE0EEENS1_30default_config_static_selectorELNS0_4arch9wavefront6targetE1EEEvT1_
                                        ; -- End function
	.set _ZN7rocprim17ROCPRIM_400000_NS6detail17trampoline_kernelINS0_14default_configENS1_25partition_config_selectorILNS1_17partition_subalgoE8EjNS0_10empty_typeEbEEZZNS1_14partition_implILS5_8ELb0ES3_jN6thrust23THRUST_200600_302600_NS6detail15normal_iteratorINSA_10device_ptrIjEEEEPS6_PKS6_NS0_5tupleIJSF_S6_EEENSJ_IJSG_SG_EEENS0_18inequality_wrapperINSA_8equal_toIjEEEEPmJS6_EEE10hipError_tPvRmT3_T4_T5_T6_T7_T9_mT8_P12ihipStream_tbDpT10_ENKUlT_T0_E_clISt17integral_constantIbLb0EES19_IbLb1EEEEDaS15_S16_EUlS15_E_NS1_11comp_targetILNS1_3genE0ELNS1_11target_archE4294967295ELNS1_3gpuE0ELNS1_3repE0EEENS1_30default_config_static_selectorELNS0_4arch9wavefront6targetE1EEEvT1_.num_vgpr, 0
	.set _ZN7rocprim17ROCPRIM_400000_NS6detail17trampoline_kernelINS0_14default_configENS1_25partition_config_selectorILNS1_17partition_subalgoE8EjNS0_10empty_typeEbEEZZNS1_14partition_implILS5_8ELb0ES3_jN6thrust23THRUST_200600_302600_NS6detail15normal_iteratorINSA_10device_ptrIjEEEEPS6_PKS6_NS0_5tupleIJSF_S6_EEENSJ_IJSG_SG_EEENS0_18inequality_wrapperINSA_8equal_toIjEEEEPmJS6_EEE10hipError_tPvRmT3_T4_T5_T6_T7_T9_mT8_P12ihipStream_tbDpT10_ENKUlT_T0_E_clISt17integral_constantIbLb0EES19_IbLb1EEEEDaS15_S16_EUlS15_E_NS1_11comp_targetILNS1_3genE0ELNS1_11target_archE4294967295ELNS1_3gpuE0ELNS1_3repE0EEENS1_30default_config_static_selectorELNS0_4arch9wavefront6targetE1EEEvT1_.num_agpr, 0
	.set _ZN7rocprim17ROCPRIM_400000_NS6detail17trampoline_kernelINS0_14default_configENS1_25partition_config_selectorILNS1_17partition_subalgoE8EjNS0_10empty_typeEbEEZZNS1_14partition_implILS5_8ELb0ES3_jN6thrust23THRUST_200600_302600_NS6detail15normal_iteratorINSA_10device_ptrIjEEEEPS6_PKS6_NS0_5tupleIJSF_S6_EEENSJ_IJSG_SG_EEENS0_18inequality_wrapperINSA_8equal_toIjEEEEPmJS6_EEE10hipError_tPvRmT3_T4_T5_T6_T7_T9_mT8_P12ihipStream_tbDpT10_ENKUlT_T0_E_clISt17integral_constantIbLb0EES19_IbLb1EEEEDaS15_S16_EUlS15_E_NS1_11comp_targetILNS1_3genE0ELNS1_11target_archE4294967295ELNS1_3gpuE0ELNS1_3repE0EEENS1_30default_config_static_selectorELNS0_4arch9wavefront6targetE1EEEvT1_.numbered_sgpr, 0
	.set _ZN7rocprim17ROCPRIM_400000_NS6detail17trampoline_kernelINS0_14default_configENS1_25partition_config_selectorILNS1_17partition_subalgoE8EjNS0_10empty_typeEbEEZZNS1_14partition_implILS5_8ELb0ES3_jN6thrust23THRUST_200600_302600_NS6detail15normal_iteratorINSA_10device_ptrIjEEEEPS6_PKS6_NS0_5tupleIJSF_S6_EEENSJ_IJSG_SG_EEENS0_18inequality_wrapperINSA_8equal_toIjEEEEPmJS6_EEE10hipError_tPvRmT3_T4_T5_T6_T7_T9_mT8_P12ihipStream_tbDpT10_ENKUlT_T0_E_clISt17integral_constantIbLb0EES19_IbLb1EEEEDaS15_S16_EUlS15_E_NS1_11comp_targetILNS1_3genE0ELNS1_11target_archE4294967295ELNS1_3gpuE0ELNS1_3repE0EEENS1_30default_config_static_selectorELNS0_4arch9wavefront6targetE1EEEvT1_.num_named_barrier, 0
	.set _ZN7rocprim17ROCPRIM_400000_NS6detail17trampoline_kernelINS0_14default_configENS1_25partition_config_selectorILNS1_17partition_subalgoE8EjNS0_10empty_typeEbEEZZNS1_14partition_implILS5_8ELb0ES3_jN6thrust23THRUST_200600_302600_NS6detail15normal_iteratorINSA_10device_ptrIjEEEEPS6_PKS6_NS0_5tupleIJSF_S6_EEENSJ_IJSG_SG_EEENS0_18inequality_wrapperINSA_8equal_toIjEEEEPmJS6_EEE10hipError_tPvRmT3_T4_T5_T6_T7_T9_mT8_P12ihipStream_tbDpT10_ENKUlT_T0_E_clISt17integral_constantIbLb0EES19_IbLb1EEEEDaS15_S16_EUlS15_E_NS1_11comp_targetILNS1_3genE0ELNS1_11target_archE4294967295ELNS1_3gpuE0ELNS1_3repE0EEENS1_30default_config_static_selectorELNS0_4arch9wavefront6targetE1EEEvT1_.private_seg_size, 0
	.set _ZN7rocprim17ROCPRIM_400000_NS6detail17trampoline_kernelINS0_14default_configENS1_25partition_config_selectorILNS1_17partition_subalgoE8EjNS0_10empty_typeEbEEZZNS1_14partition_implILS5_8ELb0ES3_jN6thrust23THRUST_200600_302600_NS6detail15normal_iteratorINSA_10device_ptrIjEEEEPS6_PKS6_NS0_5tupleIJSF_S6_EEENSJ_IJSG_SG_EEENS0_18inequality_wrapperINSA_8equal_toIjEEEEPmJS6_EEE10hipError_tPvRmT3_T4_T5_T6_T7_T9_mT8_P12ihipStream_tbDpT10_ENKUlT_T0_E_clISt17integral_constantIbLb0EES19_IbLb1EEEEDaS15_S16_EUlS15_E_NS1_11comp_targetILNS1_3genE0ELNS1_11target_archE4294967295ELNS1_3gpuE0ELNS1_3repE0EEENS1_30default_config_static_selectorELNS0_4arch9wavefront6targetE1EEEvT1_.uses_vcc, 0
	.set _ZN7rocprim17ROCPRIM_400000_NS6detail17trampoline_kernelINS0_14default_configENS1_25partition_config_selectorILNS1_17partition_subalgoE8EjNS0_10empty_typeEbEEZZNS1_14partition_implILS5_8ELb0ES3_jN6thrust23THRUST_200600_302600_NS6detail15normal_iteratorINSA_10device_ptrIjEEEEPS6_PKS6_NS0_5tupleIJSF_S6_EEENSJ_IJSG_SG_EEENS0_18inequality_wrapperINSA_8equal_toIjEEEEPmJS6_EEE10hipError_tPvRmT3_T4_T5_T6_T7_T9_mT8_P12ihipStream_tbDpT10_ENKUlT_T0_E_clISt17integral_constantIbLb0EES19_IbLb1EEEEDaS15_S16_EUlS15_E_NS1_11comp_targetILNS1_3genE0ELNS1_11target_archE4294967295ELNS1_3gpuE0ELNS1_3repE0EEENS1_30default_config_static_selectorELNS0_4arch9wavefront6targetE1EEEvT1_.uses_flat_scratch, 0
	.set _ZN7rocprim17ROCPRIM_400000_NS6detail17trampoline_kernelINS0_14default_configENS1_25partition_config_selectorILNS1_17partition_subalgoE8EjNS0_10empty_typeEbEEZZNS1_14partition_implILS5_8ELb0ES3_jN6thrust23THRUST_200600_302600_NS6detail15normal_iteratorINSA_10device_ptrIjEEEEPS6_PKS6_NS0_5tupleIJSF_S6_EEENSJ_IJSG_SG_EEENS0_18inequality_wrapperINSA_8equal_toIjEEEEPmJS6_EEE10hipError_tPvRmT3_T4_T5_T6_T7_T9_mT8_P12ihipStream_tbDpT10_ENKUlT_T0_E_clISt17integral_constantIbLb0EES19_IbLb1EEEEDaS15_S16_EUlS15_E_NS1_11comp_targetILNS1_3genE0ELNS1_11target_archE4294967295ELNS1_3gpuE0ELNS1_3repE0EEENS1_30default_config_static_selectorELNS0_4arch9wavefront6targetE1EEEvT1_.has_dyn_sized_stack, 0
	.set _ZN7rocprim17ROCPRIM_400000_NS6detail17trampoline_kernelINS0_14default_configENS1_25partition_config_selectorILNS1_17partition_subalgoE8EjNS0_10empty_typeEbEEZZNS1_14partition_implILS5_8ELb0ES3_jN6thrust23THRUST_200600_302600_NS6detail15normal_iteratorINSA_10device_ptrIjEEEEPS6_PKS6_NS0_5tupleIJSF_S6_EEENSJ_IJSG_SG_EEENS0_18inequality_wrapperINSA_8equal_toIjEEEEPmJS6_EEE10hipError_tPvRmT3_T4_T5_T6_T7_T9_mT8_P12ihipStream_tbDpT10_ENKUlT_T0_E_clISt17integral_constantIbLb0EES19_IbLb1EEEEDaS15_S16_EUlS15_E_NS1_11comp_targetILNS1_3genE0ELNS1_11target_archE4294967295ELNS1_3gpuE0ELNS1_3repE0EEENS1_30default_config_static_selectorELNS0_4arch9wavefront6targetE1EEEvT1_.has_recursion, 0
	.set _ZN7rocprim17ROCPRIM_400000_NS6detail17trampoline_kernelINS0_14default_configENS1_25partition_config_selectorILNS1_17partition_subalgoE8EjNS0_10empty_typeEbEEZZNS1_14partition_implILS5_8ELb0ES3_jN6thrust23THRUST_200600_302600_NS6detail15normal_iteratorINSA_10device_ptrIjEEEEPS6_PKS6_NS0_5tupleIJSF_S6_EEENSJ_IJSG_SG_EEENS0_18inequality_wrapperINSA_8equal_toIjEEEEPmJS6_EEE10hipError_tPvRmT3_T4_T5_T6_T7_T9_mT8_P12ihipStream_tbDpT10_ENKUlT_T0_E_clISt17integral_constantIbLb0EES19_IbLb1EEEEDaS15_S16_EUlS15_E_NS1_11comp_targetILNS1_3genE0ELNS1_11target_archE4294967295ELNS1_3gpuE0ELNS1_3repE0EEENS1_30default_config_static_selectorELNS0_4arch9wavefront6targetE1EEEvT1_.has_indirect_call, 0
	.section	.AMDGPU.csdata,"",@progbits
; Kernel info:
; codeLenInByte = 0
; TotalNumSgprs: 4
; NumVgprs: 0
; ScratchSize: 0
; MemoryBound: 0
; FloatMode: 240
; IeeeMode: 1
; LDSByteSize: 0 bytes/workgroup (compile time only)
; SGPRBlocks: 0
; VGPRBlocks: 0
; NumSGPRsForWavesPerEU: 4
; NumVGPRsForWavesPerEU: 1
; Occupancy: 10
; WaveLimiterHint : 0
; COMPUTE_PGM_RSRC2:SCRATCH_EN: 0
; COMPUTE_PGM_RSRC2:USER_SGPR: 6
; COMPUTE_PGM_RSRC2:TRAP_HANDLER: 0
; COMPUTE_PGM_RSRC2:TGID_X_EN: 1
; COMPUTE_PGM_RSRC2:TGID_Y_EN: 0
; COMPUTE_PGM_RSRC2:TGID_Z_EN: 0
; COMPUTE_PGM_RSRC2:TIDIG_COMP_CNT: 0
	.section	.text._ZN7rocprim17ROCPRIM_400000_NS6detail17trampoline_kernelINS0_14default_configENS1_25partition_config_selectorILNS1_17partition_subalgoE8EjNS0_10empty_typeEbEEZZNS1_14partition_implILS5_8ELb0ES3_jN6thrust23THRUST_200600_302600_NS6detail15normal_iteratorINSA_10device_ptrIjEEEEPS6_PKS6_NS0_5tupleIJSF_S6_EEENSJ_IJSG_SG_EEENS0_18inequality_wrapperINSA_8equal_toIjEEEEPmJS6_EEE10hipError_tPvRmT3_T4_T5_T6_T7_T9_mT8_P12ihipStream_tbDpT10_ENKUlT_T0_E_clISt17integral_constantIbLb0EES19_IbLb1EEEEDaS15_S16_EUlS15_E_NS1_11comp_targetILNS1_3genE5ELNS1_11target_archE942ELNS1_3gpuE9ELNS1_3repE0EEENS1_30default_config_static_selectorELNS0_4arch9wavefront6targetE1EEEvT1_,"axG",@progbits,_ZN7rocprim17ROCPRIM_400000_NS6detail17trampoline_kernelINS0_14default_configENS1_25partition_config_selectorILNS1_17partition_subalgoE8EjNS0_10empty_typeEbEEZZNS1_14partition_implILS5_8ELb0ES3_jN6thrust23THRUST_200600_302600_NS6detail15normal_iteratorINSA_10device_ptrIjEEEEPS6_PKS6_NS0_5tupleIJSF_S6_EEENSJ_IJSG_SG_EEENS0_18inequality_wrapperINSA_8equal_toIjEEEEPmJS6_EEE10hipError_tPvRmT3_T4_T5_T6_T7_T9_mT8_P12ihipStream_tbDpT10_ENKUlT_T0_E_clISt17integral_constantIbLb0EES19_IbLb1EEEEDaS15_S16_EUlS15_E_NS1_11comp_targetILNS1_3genE5ELNS1_11target_archE942ELNS1_3gpuE9ELNS1_3repE0EEENS1_30default_config_static_selectorELNS0_4arch9wavefront6targetE1EEEvT1_,comdat
	.protected	_ZN7rocprim17ROCPRIM_400000_NS6detail17trampoline_kernelINS0_14default_configENS1_25partition_config_selectorILNS1_17partition_subalgoE8EjNS0_10empty_typeEbEEZZNS1_14partition_implILS5_8ELb0ES3_jN6thrust23THRUST_200600_302600_NS6detail15normal_iteratorINSA_10device_ptrIjEEEEPS6_PKS6_NS0_5tupleIJSF_S6_EEENSJ_IJSG_SG_EEENS0_18inequality_wrapperINSA_8equal_toIjEEEEPmJS6_EEE10hipError_tPvRmT3_T4_T5_T6_T7_T9_mT8_P12ihipStream_tbDpT10_ENKUlT_T0_E_clISt17integral_constantIbLb0EES19_IbLb1EEEEDaS15_S16_EUlS15_E_NS1_11comp_targetILNS1_3genE5ELNS1_11target_archE942ELNS1_3gpuE9ELNS1_3repE0EEENS1_30default_config_static_selectorELNS0_4arch9wavefront6targetE1EEEvT1_ ; -- Begin function _ZN7rocprim17ROCPRIM_400000_NS6detail17trampoline_kernelINS0_14default_configENS1_25partition_config_selectorILNS1_17partition_subalgoE8EjNS0_10empty_typeEbEEZZNS1_14partition_implILS5_8ELb0ES3_jN6thrust23THRUST_200600_302600_NS6detail15normal_iteratorINSA_10device_ptrIjEEEEPS6_PKS6_NS0_5tupleIJSF_S6_EEENSJ_IJSG_SG_EEENS0_18inequality_wrapperINSA_8equal_toIjEEEEPmJS6_EEE10hipError_tPvRmT3_T4_T5_T6_T7_T9_mT8_P12ihipStream_tbDpT10_ENKUlT_T0_E_clISt17integral_constantIbLb0EES19_IbLb1EEEEDaS15_S16_EUlS15_E_NS1_11comp_targetILNS1_3genE5ELNS1_11target_archE942ELNS1_3gpuE9ELNS1_3repE0EEENS1_30default_config_static_selectorELNS0_4arch9wavefront6targetE1EEEvT1_
	.globl	_ZN7rocprim17ROCPRIM_400000_NS6detail17trampoline_kernelINS0_14default_configENS1_25partition_config_selectorILNS1_17partition_subalgoE8EjNS0_10empty_typeEbEEZZNS1_14partition_implILS5_8ELb0ES3_jN6thrust23THRUST_200600_302600_NS6detail15normal_iteratorINSA_10device_ptrIjEEEEPS6_PKS6_NS0_5tupleIJSF_S6_EEENSJ_IJSG_SG_EEENS0_18inequality_wrapperINSA_8equal_toIjEEEEPmJS6_EEE10hipError_tPvRmT3_T4_T5_T6_T7_T9_mT8_P12ihipStream_tbDpT10_ENKUlT_T0_E_clISt17integral_constantIbLb0EES19_IbLb1EEEEDaS15_S16_EUlS15_E_NS1_11comp_targetILNS1_3genE5ELNS1_11target_archE942ELNS1_3gpuE9ELNS1_3repE0EEENS1_30default_config_static_selectorELNS0_4arch9wavefront6targetE1EEEvT1_
	.p2align	8
	.type	_ZN7rocprim17ROCPRIM_400000_NS6detail17trampoline_kernelINS0_14default_configENS1_25partition_config_selectorILNS1_17partition_subalgoE8EjNS0_10empty_typeEbEEZZNS1_14partition_implILS5_8ELb0ES3_jN6thrust23THRUST_200600_302600_NS6detail15normal_iteratorINSA_10device_ptrIjEEEEPS6_PKS6_NS0_5tupleIJSF_S6_EEENSJ_IJSG_SG_EEENS0_18inequality_wrapperINSA_8equal_toIjEEEEPmJS6_EEE10hipError_tPvRmT3_T4_T5_T6_T7_T9_mT8_P12ihipStream_tbDpT10_ENKUlT_T0_E_clISt17integral_constantIbLb0EES19_IbLb1EEEEDaS15_S16_EUlS15_E_NS1_11comp_targetILNS1_3genE5ELNS1_11target_archE942ELNS1_3gpuE9ELNS1_3repE0EEENS1_30default_config_static_selectorELNS0_4arch9wavefront6targetE1EEEvT1_,@function
_ZN7rocprim17ROCPRIM_400000_NS6detail17trampoline_kernelINS0_14default_configENS1_25partition_config_selectorILNS1_17partition_subalgoE8EjNS0_10empty_typeEbEEZZNS1_14partition_implILS5_8ELb0ES3_jN6thrust23THRUST_200600_302600_NS6detail15normal_iteratorINSA_10device_ptrIjEEEEPS6_PKS6_NS0_5tupleIJSF_S6_EEENSJ_IJSG_SG_EEENS0_18inequality_wrapperINSA_8equal_toIjEEEEPmJS6_EEE10hipError_tPvRmT3_T4_T5_T6_T7_T9_mT8_P12ihipStream_tbDpT10_ENKUlT_T0_E_clISt17integral_constantIbLb0EES19_IbLb1EEEEDaS15_S16_EUlS15_E_NS1_11comp_targetILNS1_3genE5ELNS1_11target_archE942ELNS1_3gpuE9ELNS1_3repE0EEENS1_30default_config_static_selectorELNS0_4arch9wavefront6targetE1EEEvT1_: ; @_ZN7rocprim17ROCPRIM_400000_NS6detail17trampoline_kernelINS0_14default_configENS1_25partition_config_selectorILNS1_17partition_subalgoE8EjNS0_10empty_typeEbEEZZNS1_14partition_implILS5_8ELb0ES3_jN6thrust23THRUST_200600_302600_NS6detail15normal_iteratorINSA_10device_ptrIjEEEEPS6_PKS6_NS0_5tupleIJSF_S6_EEENSJ_IJSG_SG_EEENS0_18inequality_wrapperINSA_8equal_toIjEEEEPmJS6_EEE10hipError_tPvRmT3_T4_T5_T6_T7_T9_mT8_P12ihipStream_tbDpT10_ENKUlT_T0_E_clISt17integral_constantIbLb0EES19_IbLb1EEEEDaS15_S16_EUlS15_E_NS1_11comp_targetILNS1_3genE5ELNS1_11target_archE942ELNS1_3gpuE9ELNS1_3repE0EEENS1_30default_config_static_selectorELNS0_4arch9wavefront6targetE1EEEvT1_
; %bb.0:
	.section	.rodata,"a",@progbits
	.p2align	6, 0x0
	.amdhsa_kernel _ZN7rocprim17ROCPRIM_400000_NS6detail17trampoline_kernelINS0_14default_configENS1_25partition_config_selectorILNS1_17partition_subalgoE8EjNS0_10empty_typeEbEEZZNS1_14partition_implILS5_8ELb0ES3_jN6thrust23THRUST_200600_302600_NS6detail15normal_iteratorINSA_10device_ptrIjEEEEPS6_PKS6_NS0_5tupleIJSF_S6_EEENSJ_IJSG_SG_EEENS0_18inequality_wrapperINSA_8equal_toIjEEEEPmJS6_EEE10hipError_tPvRmT3_T4_T5_T6_T7_T9_mT8_P12ihipStream_tbDpT10_ENKUlT_T0_E_clISt17integral_constantIbLb0EES19_IbLb1EEEEDaS15_S16_EUlS15_E_NS1_11comp_targetILNS1_3genE5ELNS1_11target_archE942ELNS1_3gpuE9ELNS1_3repE0EEENS1_30default_config_static_selectorELNS0_4arch9wavefront6targetE1EEEvT1_
		.amdhsa_group_segment_fixed_size 0
		.amdhsa_private_segment_fixed_size 0
		.amdhsa_kernarg_size 128
		.amdhsa_user_sgpr_count 6
		.amdhsa_user_sgpr_private_segment_buffer 1
		.amdhsa_user_sgpr_dispatch_ptr 0
		.amdhsa_user_sgpr_queue_ptr 0
		.amdhsa_user_sgpr_kernarg_segment_ptr 1
		.amdhsa_user_sgpr_dispatch_id 0
		.amdhsa_user_sgpr_flat_scratch_init 0
		.amdhsa_user_sgpr_private_segment_size 0
		.amdhsa_uses_dynamic_stack 0
		.amdhsa_system_sgpr_private_segment_wavefront_offset 0
		.amdhsa_system_sgpr_workgroup_id_x 1
		.amdhsa_system_sgpr_workgroup_id_y 0
		.amdhsa_system_sgpr_workgroup_id_z 0
		.amdhsa_system_sgpr_workgroup_info 0
		.amdhsa_system_vgpr_workitem_id 0
		.amdhsa_next_free_vgpr 1
		.amdhsa_next_free_sgpr 0
		.amdhsa_reserve_vcc 0
		.amdhsa_reserve_flat_scratch 0
		.amdhsa_float_round_mode_32 0
		.amdhsa_float_round_mode_16_64 0
		.amdhsa_float_denorm_mode_32 3
		.amdhsa_float_denorm_mode_16_64 3
		.amdhsa_dx10_clamp 1
		.amdhsa_ieee_mode 1
		.amdhsa_fp16_overflow 0
		.amdhsa_exception_fp_ieee_invalid_op 0
		.amdhsa_exception_fp_denorm_src 0
		.amdhsa_exception_fp_ieee_div_zero 0
		.amdhsa_exception_fp_ieee_overflow 0
		.amdhsa_exception_fp_ieee_underflow 0
		.amdhsa_exception_fp_ieee_inexact 0
		.amdhsa_exception_int_div_zero 0
	.end_amdhsa_kernel
	.section	.text._ZN7rocprim17ROCPRIM_400000_NS6detail17trampoline_kernelINS0_14default_configENS1_25partition_config_selectorILNS1_17partition_subalgoE8EjNS0_10empty_typeEbEEZZNS1_14partition_implILS5_8ELb0ES3_jN6thrust23THRUST_200600_302600_NS6detail15normal_iteratorINSA_10device_ptrIjEEEEPS6_PKS6_NS0_5tupleIJSF_S6_EEENSJ_IJSG_SG_EEENS0_18inequality_wrapperINSA_8equal_toIjEEEEPmJS6_EEE10hipError_tPvRmT3_T4_T5_T6_T7_T9_mT8_P12ihipStream_tbDpT10_ENKUlT_T0_E_clISt17integral_constantIbLb0EES19_IbLb1EEEEDaS15_S16_EUlS15_E_NS1_11comp_targetILNS1_3genE5ELNS1_11target_archE942ELNS1_3gpuE9ELNS1_3repE0EEENS1_30default_config_static_selectorELNS0_4arch9wavefront6targetE1EEEvT1_,"axG",@progbits,_ZN7rocprim17ROCPRIM_400000_NS6detail17trampoline_kernelINS0_14default_configENS1_25partition_config_selectorILNS1_17partition_subalgoE8EjNS0_10empty_typeEbEEZZNS1_14partition_implILS5_8ELb0ES3_jN6thrust23THRUST_200600_302600_NS6detail15normal_iteratorINSA_10device_ptrIjEEEEPS6_PKS6_NS0_5tupleIJSF_S6_EEENSJ_IJSG_SG_EEENS0_18inequality_wrapperINSA_8equal_toIjEEEEPmJS6_EEE10hipError_tPvRmT3_T4_T5_T6_T7_T9_mT8_P12ihipStream_tbDpT10_ENKUlT_T0_E_clISt17integral_constantIbLb0EES19_IbLb1EEEEDaS15_S16_EUlS15_E_NS1_11comp_targetILNS1_3genE5ELNS1_11target_archE942ELNS1_3gpuE9ELNS1_3repE0EEENS1_30default_config_static_selectorELNS0_4arch9wavefront6targetE1EEEvT1_,comdat
.Lfunc_end235:
	.size	_ZN7rocprim17ROCPRIM_400000_NS6detail17trampoline_kernelINS0_14default_configENS1_25partition_config_selectorILNS1_17partition_subalgoE8EjNS0_10empty_typeEbEEZZNS1_14partition_implILS5_8ELb0ES3_jN6thrust23THRUST_200600_302600_NS6detail15normal_iteratorINSA_10device_ptrIjEEEEPS6_PKS6_NS0_5tupleIJSF_S6_EEENSJ_IJSG_SG_EEENS0_18inequality_wrapperINSA_8equal_toIjEEEEPmJS6_EEE10hipError_tPvRmT3_T4_T5_T6_T7_T9_mT8_P12ihipStream_tbDpT10_ENKUlT_T0_E_clISt17integral_constantIbLb0EES19_IbLb1EEEEDaS15_S16_EUlS15_E_NS1_11comp_targetILNS1_3genE5ELNS1_11target_archE942ELNS1_3gpuE9ELNS1_3repE0EEENS1_30default_config_static_selectorELNS0_4arch9wavefront6targetE1EEEvT1_, .Lfunc_end235-_ZN7rocprim17ROCPRIM_400000_NS6detail17trampoline_kernelINS0_14default_configENS1_25partition_config_selectorILNS1_17partition_subalgoE8EjNS0_10empty_typeEbEEZZNS1_14partition_implILS5_8ELb0ES3_jN6thrust23THRUST_200600_302600_NS6detail15normal_iteratorINSA_10device_ptrIjEEEEPS6_PKS6_NS0_5tupleIJSF_S6_EEENSJ_IJSG_SG_EEENS0_18inequality_wrapperINSA_8equal_toIjEEEEPmJS6_EEE10hipError_tPvRmT3_T4_T5_T6_T7_T9_mT8_P12ihipStream_tbDpT10_ENKUlT_T0_E_clISt17integral_constantIbLb0EES19_IbLb1EEEEDaS15_S16_EUlS15_E_NS1_11comp_targetILNS1_3genE5ELNS1_11target_archE942ELNS1_3gpuE9ELNS1_3repE0EEENS1_30default_config_static_selectorELNS0_4arch9wavefront6targetE1EEEvT1_
                                        ; -- End function
	.set _ZN7rocprim17ROCPRIM_400000_NS6detail17trampoline_kernelINS0_14default_configENS1_25partition_config_selectorILNS1_17partition_subalgoE8EjNS0_10empty_typeEbEEZZNS1_14partition_implILS5_8ELb0ES3_jN6thrust23THRUST_200600_302600_NS6detail15normal_iteratorINSA_10device_ptrIjEEEEPS6_PKS6_NS0_5tupleIJSF_S6_EEENSJ_IJSG_SG_EEENS0_18inequality_wrapperINSA_8equal_toIjEEEEPmJS6_EEE10hipError_tPvRmT3_T4_T5_T6_T7_T9_mT8_P12ihipStream_tbDpT10_ENKUlT_T0_E_clISt17integral_constantIbLb0EES19_IbLb1EEEEDaS15_S16_EUlS15_E_NS1_11comp_targetILNS1_3genE5ELNS1_11target_archE942ELNS1_3gpuE9ELNS1_3repE0EEENS1_30default_config_static_selectorELNS0_4arch9wavefront6targetE1EEEvT1_.num_vgpr, 0
	.set _ZN7rocprim17ROCPRIM_400000_NS6detail17trampoline_kernelINS0_14default_configENS1_25partition_config_selectorILNS1_17partition_subalgoE8EjNS0_10empty_typeEbEEZZNS1_14partition_implILS5_8ELb0ES3_jN6thrust23THRUST_200600_302600_NS6detail15normal_iteratorINSA_10device_ptrIjEEEEPS6_PKS6_NS0_5tupleIJSF_S6_EEENSJ_IJSG_SG_EEENS0_18inequality_wrapperINSA_8equal_toIjEEEEPmJS6_EEE10hipError_tPvRmT3_T4_T5_T6_T7_T9_mT8_P12ihipStream_tbDpT10_ENKUlT_T0_E_clISt17integral_constantIbLb0EES19_IbLb1EEEEDaS15_S16_EUlS15_E_NS1_11comp_targetILNS1_3genE5ELNS1_11target_archE942ELNS1_3gpuE9ELNS1_3repE0EEENS1_30default_config_static_selectorELNS0_4arch9wavefront6targetE1EEEvT1_.num_agpr, 0
	.set _ZN7rocprim17ROCPRIM_400000_NS6detail17trampoline_kernelINS0_14default_configENS1_25partition_config_selectorILNS1_17partition_subalgoE8EjNS0_10empty_typeEbEEZZNS1_14partition_implILS5_8ELb0ES3_jN6thrust23THRUST_200600_302600_NS6detail15normal_iteratorINSA_10device_ptrIjEEEEPS6_PKS6_NS0_5tupleIJSF_S6_EEENSJ_IJSG_SG_EEENS0_18inequality_wrapperINSA_8equal_toIjEEEEPmJS6_EEE10hipError_tPvRmT3_T4_T5_T6_T7_T9_mT8_P12ihipStream_tbDpT10_ENKUlT_T0_E_clISt17integral_constantIbLb0EES19_IbLb1EEEEDaS15_S16_EUlS15_E_NS1_11comp_targetILNS1_3genE5ELNS1_11target_archE942ELNS1_3gpuE9ELNS1_3repE0EEENS1_30default_config_static_selectorELNS0_4arch9wavefront6targetE1EEEvT1_.numbered_sgpr, 0
	.set _ZN7rocprim17ROCPRIM_400000_NS6detail17trampoline_kernelINS0_14default_configENS1_25partition_config_selectorILNS1_17partition_subalgoE8EjNS0_10empty_typeEbEEZZNS1_14partition_implILS5_8ELb0ES3_jN6thrust23THRUST_200600_302600_NS6detail15normal_iteratorINSA_10device_ptrIjEEEEPS6_PKS6_NS0_5tupleIJSF_S6_EEENSJ_IJSG_SG_EEENS0_18inequality_wrapperINSA_8equal_toIjEEEEPmJS6_EEE10hipError_tPvRmT3_T4_T5_T6_T7_T9_mT8_P12ihipStream_tbDpT10_ENKUlT_T0_E_clISt17integral_constantIbLb0EES19_IbLb1EEEEDaS15_S16_EUlS15_E_NS1_11comp_targetILNS1_3genE5ELNS1_11target_archE942ELNS1_3gpuE9ELNS1_3repE0EEENS1_30default_config_static_selectorELNS0_4arch9wavefront6targetE1EEEvT1_.num_named_barrier, 0
	.set _ZN7rocprim17ROCPRIM_400000_NS6detail17trampoline_kernelINS0_14default_configENS1_25partition_config_selectorILNS1_17partition_subalgoE8EjNS0_10empty_typeEbEEZZNS1_14partition_implILS5_8ELb0ES3_jN6thrust23THRUST_200600_302600_NS6detail15normal_iteratorINSA_10device_ptrIjEEEEPS6_PKS6_NS0_5tupleIJSF_S6_EEENSJ_IJSG_SG_EEENS0_18inequality_wrapperINSA_8equal_toIjEEEEPmJS6_EEE10hipError_tPvRmT3_T4_T5_T6_T7_T9_mT8_P12ihipStream_tbDpT10_ENKUlT_T0_E_clISt17integral_constantIbLb0EES19_IbLb1EEEEDaS15_S16_EUlS15_E_NS1_11comp_targetILNS1_3genE5ELNS1_11target_archE942ELNS1_3gpuE9ELNS1_3repE0EEENS1_30default_config_static_selectorELNS0_4arch9wavefront6targetE1EEEvT1_.private_seg_size, 0
	.set _ZN7rocprim17ROCPRIM_400000_NS6detail17trampoline_kernelINS0_14default_configENS1_25partition_config_selectorILNS1_17partition_subalgoE8EjNS0_10empty_typeEbEEZZNS1_14partition_implILS5_8ELb0ES3_jN6thrust23THRUST_200600_302600_NS6detail15normal_iteratorINSA_10device_ptrIjEEEEPS6_PKS6_NS0_5tupleIJSF_S6_EEENSJ_IJSG_SG_EEENS0_18inequality_wrapperINSA_8equal_toIjEEEEPmJS6_EEE10hipError_tPvRmT3_T4_T5_T6_T7_T9_mT8_P12ihipStream_tbDpT10_ENKUlT_T0_E_clISt17integral_constantIbLb0EES19_IbLb1EEEEDaS15_S16_EUlS15_E_NS1_11comp_targetILNS1_3genE5ELNS1_11target_archE942ELNS1_3gpuE9ELNS1_3repE0EEENS1_30default_config_static_selectorELNS0_4arch9wavefront6targetE1EEEvT1_.uses_vcc, 0
	.set _ZN7rocprim17ROCPRIM_400000_NS6detail17trampoline_kernelINS0_14default_configENS1_25partition_config_selectorILNS1_17partition_subalgoE8EjNS0_10empty_typeEbEEZZNS1_14partition_implILS5_8ELb0ES3_jN6thrust23THRUST_200600_302600_NS6detail15normal_iteratorINSA_10device_ptrIjEEEEPS6_PKS6_NS0_5tupleIJSF_S6_EEENSJ_IJSG_SG_EEENS0_18inequality_wrapperINSA_8equal_toIjEEEEPmJS6_EEE10hipError_tPvRmT3_T4_T5_T6_T7_T9_mT8_P12ihipStream_tbDpT10_ENKUlT_T0_E_clISt17integral_constantIbLb0EES19_IbLb1EEEEDaS15_S16_EUlS15_E_NS1_11comp_targetILNS1_3genE5ELNS1_11target_archE942ELNS1_3gpuE9ELNS1_3repE0EEENS1_30default_config_static_selectorELNS0_4arch9wavefront6targetE1EEEvT1_.uses_flat_scratch, 0
	.set _ZN7rocprim17ROCPRIM_400000_NS6detail17trampoline_kernelINS0_14default_configENS1_25partition_config_selectorILNS1_17partition_subalgoE8EjNS0_10empty_typeEbEEZZNS1_14partition_implILS5_8ELb0ES3_jN6thrust23THRUST_200600_302600_NS6detail15normal_iteratorINSA_10device_ptrIjEEEEPS6_PKS6_NS0_5tupleIJSF_S6_EEENSJ_IJSG_SG_EEENS0_18inequality_wrapperINSA_8equal_toIjEEEEPmJS6_EEE10hipError_tPvRmT3_T4_T5_T6_T7_T9_mT8_P12ihipStream_tbDpT10_ENKUlT_T0_E_clISt17integral_constantIbLb0EES19_IbLb1EEEEDaS15_S16_EUlS15_E_NS1_11comp_targetILNS1_3genE5ELNS1_11target_archE942ELNS1_3gpuE9ELNS1_3repE0EEENS1_30default_config_static_selectorELNS0_4arch9wavefront6targetE1EEEvT1_.has_dyn_sized_stack, 0
	.set _ZN7rocprim17ROCPRIM_400000_NS6detail17trampoline_kernelINS0_14default_configENS1_25partition_config_selectorILNS1_17partition_subalgoE8EjNS0_10empty_typeEbEEZZNS1_14partition_implILS5_8ELb0ES3_jN6thrust23THRUST_200600_302600_NS6detail15normal_iteratorINSA_10device_ptrIjEEEEPS6_PKS6_NS0_5tupleIJSF_S6_EEENSJ_IJSG_SG_EEENS0_18inequality_wrapperINSA_8equal_toIjEEEEPmJS6_EEE10hipError_tPvRmT3_T4_T5_T6_T7_T9_mT8_P12ihipStream_tbDpT10_ENKUlT_T0_E_clISt17integral_constantIbLb0EES19_IbLb1EEEEDaS15_S16_EUlS15_E_NS1_11comp_targetILNS1_3genE5ELNS1_11target_archE942ELNS1_3gpuE9ELNS1_3repE0EEENS1_30default_config_static_selectorELNS0_4arch9wavefront6targetE1EEEvT1_.has_recursion, 0
	.set _ZN7rocprim17ROCPRIM_400000_NS6detail17trampoline_kernelINS0_14default_configENS1_25partition_config_selectorILNS1_17partition_subalgoE8EjNS0_10empty_typeEbEEZZNS1_14partition_implILS5_8ELb0ES3_jN6thrust23THRUST_200600_302600_NS6detail15normal_iteratorINSA_10device_ptrIjEEEEPS6_PKS6_NS0_5tupleIJSF_S6_EEENSJ_IJSG_SG_EEENS0_18inequality_wrapperINSA_8equal_toIjEEEEPmJS6_EEE10hipError_tPvRmT3_T4_T5_T6_T7_T9_mT8_P12ihipStream_tbDpT10_ENKUlT_T0_E_clISt17integral_constantIbLb0EES19_IbLb1EEEEDaS15_S16_EUlS15_E_NS1_11comp_targetILNS1_3genE5ELNS1_11target_archE942ELNS1_3gpuE9ELNS1_3repE0EEENS1_30default_config_static_selectorELNS0_4arch9wavefront6targetE1EEEvT1_.has_indirect_call, 0
	.section	.AMDGPU.csdata,"",@progbits
; Kernel info:
; codeLenInByte = 0
; TotalNumSgprs: 4
; NumVgprs: 0
; ScratchSize: 0
; MemoryBound: 0
; FloatMode: 240
; IeeeMode: 1
; LDSByteSize: 0 bytes/workgroup (compile time only)
; SGPRBlocks: 0
; VGPRBlocks: 0
; NumSGPRsForWavesPerEU: 4
; NumVGPRsForWavesPerEU: 1
; Occupancy: 10
; WaveLimiterHint : 0
; COMPUTE_PGM_RSRC2:SCRATCH_EN: 0
; COMPUTE_PGM_RSRC2:USER_SGPR: 6
; COMPUTE_PGM_RSRC2:TRAP_HANDLER: 0
; COMPUTE_PGM_RSRC2:TGID_X_EN: 1
; COMPUTE_PGM_RSRC2:TGID_Y_EN: 0
; COMPUTE_PGM_RSRC2:TGID_Z_EN: 0
; COMPUTE_PGM_RSRC2:TIDIG_COMP_CNT: 0
	.section	.text._ZN7rocprim17ROCPRIM_400000_NS6detail17trampoline_kernelINS0_14default_configENS1_25partition_config_selectorILNS1_17partition_subalgoE8EjNS0_10empty_typeEbEEZZNS1_14partition_implILS5_8ELb0ES3_jN6thrust23THRUST_200600_302600_NS6detail15normal_iteratorINSA_10device_ptrIjEEEEPS6_PKS6_NS0_5tupleIJSF_S6_EEENSJ_IJSG_SG_EEENS0_18inequality_wrapperINSA_8equal_toIjEEEEPmJS6_EEE10hipError_tPvRmT3_T4_T5_T6_T7_T9_mT8_P12ihipStream_tbDpT10_ENKUlT_T0_E_clISt17integral_constantIbLb0EES19_IbLb1EEEEDaS15_S16_EUlS15_E_NS1_11comp_targetILNS1_3genE4ELNS1_11target_archE910ELNS1_3gpuE8ELNS1_3repE0EEENS1_30default_config_static_selectorELNS0_4arch9wavefront6targetE1EEEvT1_,"axG",@progbits,_ZN7rocprim17ROCPRIM_400000_NS6detail17trampoline_kernelINS0_14default_configENS1_25partition_config_selectorILNS1_17partition_subalgoE8EjNS0_10empty_typeEbEEZZNS1_14partition_implILS5_8ELb0ES3_jN6thrust23THRUST_200600_302600_NS6detail15normal_iteratorINSA_10device_ptrIjEEEEPS6_PKS6_NS0_5tupleIJSF_S6_EEENSJ_IJSG_SG_EEENS0_18inequality_wrapperINSA_8equal_toIjEEEEPmJS6_EEE10hipError_tPvRmT3_T4_T5_T6_T7_T9_mT8_P12ihipStream_tbDpT10_ENKUlT_T0_E_clISt17integral_constantIbLb0EES19_IbLb1EEEEDaS15_S16_EUlS15_E_NS1_11comp_targetILNS1_3genE4ELNS1_11target_archE910ELNS1_3gpuE8ELNS1_3repE0EEENS1_30default_config_static_selectorELNS0_4arch9wavefront6targetE1EEEvT1_,comdat
	.protected	_ZN7rocprim17ROCPRIM_400000_NS6detail17trampoline_kernelINS0_14default_configENS1_25partition_config_selectorILNS1_17partition_subalgoE8EjNS0_10empty_typeEbEEZZNS1_14partition_implILS5_8ELb0ES3_jN6thrust23THRUST_200600_302600_NS6detail15normal_iteratorINSA_10device_ptrIjEEEEPS6_PKS6_NS0_5tupleIJSF_S6_EEENSJ_IJSG_SG_EEENS0_18inequality_wrapperINSA_8equal_toIjEEEEPmJS6_EEE10hipError_tPvRmT3_T4_T5_T6_T7_T9_mT8_P12ihipStream_tbDpT10_ENKUlT_T0_E_clISt17integral_constantIbLb0EES19_IbLb1EEEEDaS15_S16_EUlS15_E_NS1_11comp_targetILNS1_3genE4ELNS1_11target_archE910ELNS1_3gpuE8ELNS1_3repE0EEENS1_30default_config_static_selectorELNS0_4arch9wavefront6targetE1EEEvT1_ ; -- Begin function _ZN7rocprim17ROCPRIM_400000_NS6detail17trampoline_kernelINS0_14default_configENS1_25partition_config_selectorILNS1_17partition_subalgoE8EjNS0_10empty_typeEbEEZZNS1_14partition_implILS5_8ELb0ES3_jN6thrust23THRUST_200600_302600_NS6detail15normal_iteratorINSA_10device_ptrIjEEEEPS6_PKS6_NS0_5tupleIJSF_S6_EEENSJ_IJSG_SG_EEENS0_18inequality_wrapperINSA_8equal_toIjEEEEPmJS6_EEE10hipError_tPvRmT3_T4_T5_T6_T7_T9_mT8_P12ihipStream_tbDpT10_ENKUlT_T0_E_clISt17integral_constantIbLb0EES19_IbLb1EEEEDaS15_S16_EUlS15_E_NS1_11comp_targetILNS1_3genE4ELNS1_11target_archE910ELNS1_3gpuE8ELNS1_3repE0EEENS1_30default_config_static_selectorELNS0_4arch9wavefront6targetE1EEEvT1_
	.globl	_ZN7rocprim17ROCPRIM_400000_NS6detail17trampoline_kernelINS0_14default_configENS1_25partition_config_selectorILNS1_17partition_subalgoE8EjNS0_10empty_typeEbEEZZNS1_14partition_implILS5_8ELb0ES3_jN6thrust23THRUST_200600_302600_NS6detail15normal_iteratorINSA_10device_ptrIjEEEEPS6_PKS6_NS0_5tupleIJSF_S6_EEENSJ_IJSG_SG_EEENS0_18inequality_wrapperINSA_8equal_toIjEEEEPmJS6_EEE10hipError_tPvRmT3_T4_T5_T6_T7_T9_mT8_P12ihipStream_tbDpT10_ENKUlT_T0_E_clISt17integral_constantIbLb0EES19_IbLb1EEEEDaS15_S16_EUlS15_E_NS1_11comp_targetILNS1_3genE4ELNS1_11target_archE910ELNS1_3gpuE8ELNS1_3repE0EEENS1_30default_config_static_selectorELNS0_4arch9wavefront6targetE1EEEvT1_
	.p2align	8
	.type	_ZN7rocprim17ROCPRIM_400000_NS6detail17trampoline_kernelINS0_14default_configENS1_25partition_config_selectorILNS1_17partition_subalgoE8EjNS0_10empty_typeEbEEZZNS1_14partition_implILS5_8ELb0ES3_jN6thrust23THRUST_200600_302600_NS6detail15normal_iteratorINSA_10device_ptrIjEEEEPS6_PKS6_NS0_5tupleIJSF_S6_EEENSJ_IJSG_SG_EEENS0_18inequality_wrapperINSA_8equal_toIjEEEEPmJS6_EEE10hipError_tPvRmT3_T4_T5_T6_T7_T9_mT8_P12ihipStream_tbDpT10_ENKUlT_T0_E_clISt17integral_constantIbLb0EES19_IbLb1EEEEDaS15_S16_EUlS15_E_NS1_11comp_targetILNS1_3genE4ELNS1_11target_archE910ELNS1_3gpuE8ELNS1_3repE0EEENS1_30default_config_static_selectorELNS0_4arch9wavefront6targetE1EEEvT1_,@function
_ZN7rocprim17ROCPRIM_400000_NS6detail17trampoline_kernelINS0_14default_configENS1_25partition_config_selectorILNS1_17partition_subalgoE8EjNS0_10empty_typeEbEEZZNS1_14partition_implILS5_8ELb0ES3_jN6thrust23THRUST_200600_302600_NS6detail15normal_iteratorINSA_10device_ptrIjEEEEPS6_PKS6_NS0_5tupleIJSF_S6_EEENSJ_IJSG_SG_EEENS0_18inequality_wrapperINSA_8equal_toIjEEEEPmJS6_EEE10hipError_tPvRmT3_T4_T5_T6_T7_T9_mT8_P12ihipStream_tbDpT10_ENKUlT_T0_E_clISt17integral_constantIbLb0EES19_IbLb1EEEEDaS15_S16_EUlS15_E_NS1_11comp_targetILNS1_3genE4ELNS1_11target_archE910ELNS1_3gpuE8ELNS1_3repE0EEENS1_30default_config_static_selectorELNS0_4arch9wavefront6targetE1EEEvT1_: ; @_ZN7rocprim17ROCPRIM_400000_NS6detail17trampoline_kernelINS0_14default_configENS1_25partition_config_selectorILNS1_17partition_subalgoE8EjNS0_10empty_typeEbEEZZNS1_14partition_implILS5_8ELb0ES3_jN6thrust23THRUST_200600_302600_NS6detail15normal_iteratorINSA_10device_ptrIjEEEEPS6_PKS6_NS0_5tupleIJSF_S6_EEENSJ_IJSG_SG_EEENS0_18inequality_wrapperINSA_8equal_toIjEEEEPmJS6_EEE10hipError_tPvRmT3_T4_T5_T6_T7_T9_mT8_P12ihipStream_tbDpT10_ENKUlT_T0_E_clISt17integral_constantIbLb0EES19_IbLb1EEEEDaS15_S16_EUlS15_E_NS1_11comp_targetILNS1_3genE4ELNS1_11target_archE910ELNS1_3gpuE8ELNS1_3repE0EEENS1_30default_config_static_selectorELNS0_4arch9wavefront6targetE1EEEvT1_
; %bb.0:
	.section	.rodata,"a",@progbits
	.p2align	6, 0x0
	.amdhsa_kernel _ZN7rocprim17ROCPRIM_400000_NS6detail17trampoline_kernelINS0_14default_configENS1_25partition_config_selectorILNS1_17partition_subalgoE8EjNS0_10empty_typeEbEEZZNS1_14partition_implILS5_8ELb0ES3_jN6thrust23THRUST_200600_302600_NS6detail15normal_iteratorINSA_10device_ptrIjEEEEPS6_PKS6_NS0_5tupleIJSF_S6_EEENSJ_IJSG_SG_EEENS0_18inequality_wrapperINSA_8equal_toIjEEEEPmJS6_EEE10hipError_tPvRmT3_T4_T5_T6_T7_T9_mT8_P12ihipStream_tbDpT10_ENKUlT_T0_E_clISt17integral_constantIbLb0EES19_IbLb1EEEEDaS15_S16_EUlS15_E_NS1_11comp_targetILNS1_3genE4ELNS1_11target_archE910ELNS1_3gpuE8ELNS1_3repE0EEENS1_30default_config_static_selectorELNS0_4arch9wavefront6targetE1EEEvT1_
		.amdhsa_group_segment_fixed_size 0
		.amdhsa_private_segment_fixed_size 0
		.amdhsa_kernarg_size 128
		.amdhsa_user_sgpr_count 6
		.amdhsa_user_sgpr_private_segment_buffer 1
		.amdhsa_user_sgpr_dispatch_ptr 0
		.amdhsa_user_sgpr_queue_ptr 0
		.amdhsa_user_sgpr_kernarg_segment_ptr 1
		.amdhsa_user_sgpr_dispatch_id 0
		.amdhsa_user_sgpr_flat_scratch_init 0
		.amdhsa_user_sgpr_private_segment_size 0
		.amdhsa_uses_dynamic_stack 0
		.amdhsa_system_sgpr_private_segment_wavefront_offset 0
		.amdhsa_system_sgpr_workgroup_id_x 1
		.amdhsa_system_sgpr_workgroup_id_y 0
		.amdhsa_system_sgpr_workgroup_id_z 0
		.amdhsa_system_sgpr_workgroup_info 0
		.amdhsa_system_vgpr_workitem_id 0
		.amdhsa_next_free_vgpr 1
		.amdhsa_next_free_sgpr 0
		.amdhsa_reserve_vcc 0
		.amdhsa_reserve_flat_scratch 0
		.amdhsa_float_round_mode_32 0
		.amdhsa_float_round_mode_16_64 0
		.amdhsa_float_denorm_mode_32 3
		.amdhsa_float_denorm_mode_16_64 3
		.amdhsa_dx10_clamp 1
		.amdhsa_ieee_mode 1
		.amdhsa_fp16_overflow 0
		.amdhsa_exception_fp_ieee_invalid_op 0
		.amdhsa_exception_fp_denorm_src 0
		.amdhsa_exception_fp_ieee_div_zero 0
		.amdhsa_exception_fp_ieee_overflow 0
		.amdhsa_exception_fp_ieee_underflow 0
		.amdhsa_exception_fp_ieee_inexact 0
		.amdhsa_exception_int_div_zero 0
	.end_amdhsa_kernel
	.section	.text._ZN7rocprim17ROCPRIM_400000_NS6detail17trampoline_kernelINS0_14default_configENS1_25partition_config_selectorILNS1_17partition_subalgoE8EjNS0_10empty_typeEbEEZZNS1_14partition_implILS5_8ELb0ES3_jN6thrust23THRUST_200600_302600_NS6detail15normal_iteratorINSA_10device_ptrIjEEEEPS6_PKS6_NS0_5tupleIJSF_S6_EEENSJ_IJSG_SG_EEENS0_18inequality_wrapperINSA_8equal_toIjEEEEPmJS6_EEE10hipError_tPvRmT3_T4_T5_T6_T7_T9_mT8_P12ihipStream_tbDpT10_ENKUlT_T0_E_clISt17integral_constantIbLb0EES19_IbLb1EEEEDaS15_S16_EUlS15_E_NS1_11comp_targetILNS1_3genE4ELNS1_11target_archE910ELNS1_3gpuE8ELNS1_3repE0EEENS1_30default_config_static_selectorELNS0_4arch9wavefront6targetE1EEEvT1_,"axG",@progbits,_ZN7rocprim17ROCPRIM_400000_NS6detail17trampoline_kernelINS0_14default_configENS1_25partition_config_selectorILNS1_17partition_subalgoE8EjNS0_10empty_typeEbEEZZNS1_14partition_implILS5_8ELb0ES3_jN6thrust23THRUST_200600_302600_NS6detail15normal_iteratorINSA_10device_ptrIjEEEEPS6_PKS6_NS0_5tupleIJSF_S6_EEENSJ_IJSG_SG_EEENS0_18inequality_wrapperINSA_8equal_toIjEEEEPmJS6_EEE10hipError_tPvRmT3_T4_T5_T6_T7_T9_mT8_P12ihipStream_tbDpT10_ENKUlT_T0_E_clISt17integral_constantIbLb0EES19_IbLb1EEEEDaS15_S16_EUlS15_E_NS1_11comp_targetILNS1_3genE4ELNS1_11target_archE910ELNS1_3gpuE8ELNS1_3repE0EEENS1_30default_config_static_selectorELNS0_4arch9wavefront6targetE1EEEvT1_,comdat
.Lfunc_end236:
	.size	_ZN7rocprim17ROCPRIM_400000_NS6detail17trampoline_kernelINS0_14default_configENS1_25partition_config_selectorILNS1_17partition_subalgoE8EjNS0_10empty_typeEbEEZZNS1_14partition_implILS5_8ELb0ES3_jN6thrust23THRUST_200600_302600_NS6detail15normal_iteratorINSA_10device_ptrIjEEEEPS6_PKS6_NS0_5tupleIJSF_S6_EEENSJ_IJSG_SG_EEENS0_18inequality_wrapperINSA_8equal_toIjEEEEPmJS6_EEE10hipError_tPvRmT3_T4_T5_T6_T7_T9_mT8_P12ihipStream_tbDpT10_ENKUlT_T0_E_clISt17integral_constantIbLb0EES19_IbLb1EEEEDaS15_S16_EUlS15_E_NS1_11comp_targetILNS1_3genE4ELNS1_11target_archE910ELNS1_3gpuE8ELNS1_3repE0EEENS1_30default_config_static_selectorELNS0_4arch9wavefront6targetE1EEEvT1_, .Lfunc_end236-_ZN7rocprim17ROCPRIM_400000_NS6detail17trampoline_kernelINS0_14default_configENS1_25partition_config_selectorILNS1_17partition_subalgoE8EjNS0_10empty_typeEbEEZZNS1_14partition_implILS5_8ELb0ES3_jN6thrust23THRUST_200600_302600_NS6detail15normal_iteratorINSA_10device_ptrIjEEEEPS6_PKS6_NS0_5tupleIJSF_S6_EEENSJ_IJSG_SG_EEENS0_18inequality_wrapperINSA_8equal_toIjEEEEPmJS6_EEE10hipError_tPvRmT3_T4_T5_T6_T7_T9_mT8_P12ihipStream_tbDpT10_ENKUlT_T0_E_clISt17integral_constantIbLb0EES19_IbLb1EEEEDaS15_S16_EUlS15_E_NS1_11comp_targetILNS1_3genE4ELNS1_11target_archE910ELNS1_3gpuE8ELNS1_3repE0EEENS1_30default_config_static_selectorELNS0_4arch9wavefront6targetE1EEEvT1_
                                        ; -- End function
	.set _ZN7rocprim17ROCPRIM_400000_NS6detail17trampoline_kernelINS0_14default_configENS1_25partition_config_selectorILNS1_17partition_subalgoE8EjNS0_10empty_typeEbEEZZNS1_14partition_implILS5_8ELb0ES3_jN6thrust23THRUST_200600_302600_NS6detail15normal_iteratorINSA_10device_ptrIjEEEEPS6_PKS6_NS0_5tupleIJSF_S6_EEENSJ_IJSG_SG_EEENS0_18inequality_wrapperINSA_8equal_toIjEEEEPmJS6_EEE10hipError_tPvRmT3_T4_T5_T6_T7_T9_mT8_P12ihipStream_tbDpT10_ENKUlT_T0_E_clISt17integral_constantIbLb0EES19_IbLb1EEEEDaS15_S16_EUlS15_E_NS1_11comp_targetILNS1_3genE4ELNS1_11target_archE910ELNS1_3gpuE8ELNS1_3repE0EEENS1_30default_config_static_selectorELNS0_4arch9wavefront6targetE1EEEvT1_.num_vgpr, 0
	.set _ZN7rocprim17ROCPRIM_400000_NS6detail17trampoline_kernelINS0_14default_configENS1_25partition_config_selectorILNS1_17partition_subalgoE8EjNS0_10empty_typeEbEEZZNS1_14partition_implILS5_8ELb0ES3_jN6thrust23THRUST_200600_302600_NS6detail15normal_iteratorINSA_10device_ptrIjEEEEPS6_PKS6_NS0_5tupleIJSF_S6_EEENSJ_IJSG_SG_EEENS0_18inequality_wrapperINSA_8equal_toIjEEEEPmJS6_EEE10hipError_tPvRmT3_T4_T5_T6_T7_T9_mT8_P12ihipStream_tbDpT10_ENKUlT_T0_E_clISt17integral_constantIbLb0EES19_IbLb1EEEEDaS15_S16_EUlS15_E_NS1_11comp_targetILNS1_3genE4ELNS1_11target_archE910ELNS1_3gpuE8ELNS1_3repE0EEENS1_30default_config_static_selectorELNS0_4arch9wavefront6targetE1EEEvT1_.num_agpr, 0
	.set _ZN7rocprim17ROCPRIM_400000_NS6detail17trampoline_kernelINS0_14default_configENS1_25partition_config_selectorILNS1_17partition_subalgoE8EjNS0_10empty_typeEbEEZZNS1_14partition_implILS5_8ELb0ES3_jN6thrust23THRUST_200600_302600_NS6detail15normal_iteratorINSA_10device_ptrIjEEEEPS6_PKS6_NS0_5tupleIJSF_S6_EEENSJ_IJSG_SG_EEENS0_18inequality_wrapperINSA_8equal_toIjEEEEPmJS6_EEE10hipError_tPvRmT3_T4_T5_T6_T7_T9_mT8_P12ihipStream_tbDpT10_ENKUlT_T0_E_clISt17integral_constantIbLb0EES19_IbLb1EEEEDaS15_S16_EUlS15_E_NS1_11comp_targetILNS1_3genE4ELNS1_11target_archE910ELNS1_3gpuE8ELNS1_3repE0EEENS1_30default_config_static_selectorELNS0_4arch9wavefront6targetE1EEEvT1_.numbered_sgpr, 0
	.set _ZN7rocprim17ROCPRIM_400000_NS6detail17trampoline_kernelINS0_14default_configENS1_25partition_config_selectorILNS1_17partition_subalgoE8EjNS0_10empty_typeEbEEZZNS1_14partition_implILS5_8ELb0ES3_jN6thrust23THRUST_200600_302600_NS6detail15normal_iteratorINSA_10device_ptrIjEEEEPS6_PKS6_NS0_5tupleIJSF_S6_EEENSJ_IJSG_SG_EEENS0_18inequality_wrapperINSA_8equal_toIjEEEEPmJS6_EEE10hipError_tPvRmT3_T4_T5_T6_T7_T9_mT8_P12ihipStream_tbDpT10_ENKUlT_T0_E_clISt17integral_constantIbLb0EES19_IbLb1EEEEDaS15_S16_EUlS15_E_NS1_11comp_targetILNS1_3genE4ELNS1_11target_archE910ELNS1_3gpuE8ELNS1_3repE0EEENS1_30default_config_static_selectorELNS0_4arch9wavefront6targetE1EEEvT1_.num_named_barrier, 0
	.set _ZN7rocprim17ROCPRIM_400000_NS6detail17trampoline_kernelINS0_14default_configENS1_25partition_config_selectorILNS1_17partition_subalgoE8EjNS0_10empty_typeEbEEZZNS1_14partition_implILS5_8ELb0ES3_jN6thrust23THRUST_200600_302600_NS6detail15normal_iteratorINSA_10device_ptrIjEEEEPS6_PKS6_NS0_5tupleIJSF_S6_EEENSJ_IJSG_SG_EEENS0_18inequality_wrapperINSA_8equal_toIjEEEEPmJS6_EEE10hipError_tPvRmT3_T4_T5_T6_T7_T9_mT8_P12ihipStream_tbDpT10_ENKUlT_T0_E_clISt17integral_constantIbLb0EES19_IbLb1EEEEDaS15_S16_EUlS15_E_NS1_11comp_targetILNS1_3genE4ELNS1_11target_archE910ELNS1_3gpuE8ELNS1_3repE0EEENS1_30default_config_static_selectorELNS0_4arch9wavefront6targetE1EEEvT1_.private_seg_size, 0
	.set _ZN7rocprim17ROCPRIM_400000_NS6detail17trampoline_kernelINS0_14default_configENS1_25partition_config_selectorILNS1_17partition_subalgoE8EjNS0_10empty_typeEbEEZZNS1_14partition_implILS5_8ELb0ES3_jN6thrust23THRUST_200600_302600_NS6detail15normal_iteratorINSA_10device_ptrIjEEEEPS6_PKS6_NS0_5tupleIJSF_S6_EEENSJ_IJSG_SG_EEENS0_18inequality_wrapperINSA_8equal_toIjEEEEPmJS6_EEE10hipError_tPvRmT3_T4_T5_T6_T7_T9_mT8_P12ihipStream_tbDpT10_ENKUlT_T0_E_clISt17integral_constantIbLb0EES19_IbLb1EEEEDaS15_S16_EUlS15_E_NS1_11comp_targetILNS1_3genE4ELNS1_11target_archE910ELNS1_3gpuE8ELNS1_3repE0EEENS1_30default_config_static_selectorELNS0_4arch9wavefront6targetE1EEEvT1_.uses_vcc, 0
	.set _ZN7rocprim17ROCPRIM_400000_NS6detail17trampoline_kernelINS0_14default_configENS1_25partition_config_selectorILNS1_17partition_subalgoE8EjNS0_10empty_typeEbEEZZNS1_14partition_implILS5_8ELb0ES3_jN6thrust23THRUST_200600_302600_NS6detail15normal_iteratorINSA_10device_ptrIjEEEEPS6_PKS6_NS0_5tupleIJSF_S6_EEENSJ_IJSG_SG_EEENS0_18inequality_wrapperINSA_8equal_toIjEEEEPmJS6_EEE10hipError_tPvRmT3_T4_T5_T6_T7_T9_mT8_P12ihipStream_tbDpT10_ENKUlT_T0_E_clISt17integral_constantIbLb0EES19_IbLb1EEEEDaS15_S16_EUlS15_E_NS1_11comp_targetILNS1_3genE4ELNS1_11target_archE910ELNS1_3gpuE8ELNS1_3repE0EEENS1_30default_config_static_selectorELNS0_4arch9wavefront6targetE1EEEvT1_.uses_flat_scratch, 0
	.set _ZN7rocprim17ROCPRIM_400000_NS6detail17trampoline_kernelINS0_14default_configENS1_25partition_config_selectorILNS1_17partition_subalgoE8EjNS0_10empty_typeEbEEZZNS1_14partition_implILS5_8ELb0ES3_jN6thrust23THRUST_200600_302600_NS6detail15normal_iteratorINSA_10device_ptrIjEEEEPS6_PKS6_NS0_5tupleIJSF_S6_EEENSJ_IJSG_SG_EEENS0_18inequality_wrapperINSA_8equal_toIjEEEEPmJS6_EEE10hipError_tPvRmT3_T4_T5_T6_T7_T9_mT8_P12ihipStream_tbDpT10_ENKUlT_T0_E_clISt17integral_constantIbLb0EES19_IbLb1EEEEDaS15_S16_EUlS15_E_NS1_11comp_targetILNS1_3genE4ELNS1_11target_archE910ELNS1_3gpuE8ELNS1_3repE0EEENS1_30default_config_static_selectorELNS0_4arch9wavefront6targetE1EEEvT1_.has_dyn_sized_stack, 0
	.set _ZN7rocprim17ROCPRIM_400000_NS6detail17trampoline_kernelINS0_14default_configENS1_25partition_config_selectorILNS1_17partition_subalgoE8EjNS0_10empty_typeEbEEZZNS1_14partition_implILS5_8ELb0ES3_jN6thrust23THRUST_200600_302600_NS6detail15normal_iteratorINSA_10device_ptrIjEEEEPS6_PKS6_NS0_5tupleIJSF_S6_EEENSJ_IJSG_SG_EEENS0_18inequality_wrapperINSA_8equal_toIjEEEEPmJS6_EEE10hipError_tPvRmT3_T4_T5_T6_T7_T9_mT8_P12ihipStream_tbDpT10_ENKUlT_T0_E_clISt17integral_constantIbLb0EES19_IbLb1EEEEDaS15_S16_EUlS15_E_NS1_11comp_targetILNS1_3genE4ELNS1_11target_archE910ELNS1_3gpuE8ELNS1_3repE0EEENS1_30default_config_static_selectorELNS0_4arch9wavefront6targetE1EEEvT1_.has_recursion, 0
	.set _ZN7rocprim17ROCPRIM_400000_NS6detail17trampoline_kernelINS0_14default_configENS1_25partition_config_selectorILNS1_17partition_subalgoE8EjNS0_10empty_typeEbEEZZNS1_14partition_implILS5_8ELb0ES3_jN6thrust23THRUST_200600_302600_NS6detail15normal_iteratorINSA_10device_ptrIjEEEEPS6_PKS6_NS0_5tupleIJSF_S6_EEENSJ_IJSG_SG_EEENS0_18inequality_wrapperINSA_8equal_toIjEEEEPmJS6_EEE10hipError_tPvRmT3_T4_T5_T6_T7_T9_mT8_P12ihipStream_tbDpT10_ENKUlT_T0_E_clISt17integral_constantIbLb0EES19_IbLb1EEEEDaS15_S16_EUlS15_E_NS1_11comp_targetILNS1_3genE4ELNS1_11target_archE910ELNS1_3gpuE8ELNS1_3repE0EEENS1_30default_config_static_selectorELNS0_4arch9wavefront6targetE1EEEvT1_.has_indirect_call, 0
	.section	.AMDGPU.csdata,"",@progbits
; Kernel info:
; codeLenInByte = 0
; TotalNumSgprs: 4
; NumVgprs: 0
; ScratchSize: 0
; MemoryBound: 0
; FloatMode: 240
; IeeeMode: 1
; LDSByteSize: 0 bytes/workgroup (compile time only)
; SGPRBlocks: 0
; VGPRBlocks: 0
; NumSGPRsForWavesPerEU: 4
; NumVGPRsForWavesPerEU: 1
; Occupancy: 10
; WaveLimiterHint : 0
; COMPUTE_PGM_RSRC2:SCRATCH_EN: 0
; COMPUTE_PGM_RSRC2:USER_SGPR: 6
; COMPUTE_PGM_RSRC2:TRAP_HANDLER: 0
; COMPUTE_PGM_RSRC2:TGID_X_EN: 1
; COMPUTE_PGM_RSRC2:TGID_Y_EN: 0
; COMPUTE_PGM_RSRC2:TGID_Z_EN: 0
; COMPUTE_PGM_RSRC2:TIDIG_COMP_CNT: 0
	.section	.text._ZN7rocprim17ROCPRIM_400000_NS6detail17trampoline_kernelINS0_14default_configENS1_25partition_config_selectorILNS1_17partition_subalgoE8EjNS0_10empty_typeEbEEZZNS1_14partition_implILS5_8ELb0ES3_jN6thrust23THRUST_200600_302600_NS6detail15normal_iteratorINSA_10device_ptrIjEEEEPS6_PKS6_NS0_5tupleIJSF_S6_EEENSJ_IJSG_SG_EEENS0_18inequality_wrapperINSA_8equal_toIjEEEEPmJS6_EEE10hipError_tPvRmT3_T4_T5_T6_T7_T9_mT8_P12ihipStream_tbDpT10_ENKUlT_T0_E_clISt17integral_constantIbLb0EES19_IbLb1EEEEDaS15_S16_EUlS15_E_NS1_11comp_targetILNS1_3genE3ELNS1_11target_archE908ELNS1_3gpuE7ELNS1_3repE0EEENS1_30default_config_static_selectorELNS0_4arch9wavefront6targetE1EEEvT1_,"axG",@progbits,_ZN7rocprim17ROCPRIM_400000_NS6detail17trampoline_kernelINS0_14default_configENS1_25partition_config_selectorILNS1_17partition_subalgoE8EjNS0_10empty_typeEbEEZZNS1_14partition_implILS5_8ELb0ES3_jN6thrust23THRUST_200600_302600_NS6detail15normal_iteratorINSA_10device_ptrIjEEEEPS6_PKS6_NS0_5tupleIJSF_S6_EEENSJ_IJSG_SG_EEENS0_18inequality_wrapperINSA_8equal_toIjEEEEPmJS6_EEE10hipError_tPvRmT3_T4_T5_T6_T7_T9_mT8_P12ihipStream_tbDpT10_ENKUlT_T0_E_clISt17integral_constantIbLb0EES19_IbLb1EEEEDaS15_S16_EUlS15_E_NS1_11comp_targetILNS1_3genE3ELNS1_11target_archE908ELNS1_3gpuE7ELNS1_3repE0EEENS1_30default_config_static_selectorELNS0_4arch9wavefront6targetE1EEEvT1_,comdat
	.protected	_ZN7rocprim17ROCPRIM_400000_NS6detail17trampoline_kernelINS0_14default_configENS1_25partition_config_selectorILNS1_17partition_subalgoE8EjNS0_10empty_typeEbEEZZNS1_14partition_implILS5_8ELb0ES3_jN6thrust23THRUST_200600_302600_NS6detail15normal_iteratorINSA_10device_ptrIjEEEEPS6_PKS6_NS0_5tupleIJSF_S6_EEENSJ_IJSG_SG_EEENS0_18inequality_wrapperINSA_8equal_toIjEEEEPmJS6_EEE10hipError_tPvRmT3_T4_T5_T6_T7_T9_mT8_P12ihipStream_tbDpT10_ENKUlT_T0_E_clISt17integral_constantIbLb0EES19_IbLb1EEEEDaS15_S16_EUlS15_E_NS1_11comp_targetILNS1_3genE3ELNS1_11target_archE908ELNS1_3gpuE7ELNS1_3repE0EEENS1_30default_config_static_selectorELNS0_4arch9wavefront6targetE1EEEvT1_ ; -- Begin function _ZN7rocprim17ROCPRIM_400000_NS6detail17trampoline_kernelINS0_14default_configENS1_25partition_config_selectorILNS1_17partition_subalgoE8EjNS0_10empty_typeEbEEZZNS1_14partition_implILS5_8ELb0ES3_jN6thrust23THRUST_200600_302600_NS6detail15normal_iteratorINSA_10device_ptrIjEEEEPS6_PKS6_NS0_5tupleIJSF_S6_EEENSJ_IJSG_SG_EEENS0_18inequality_wrapperINSA_8equal_toIjEEEEPmJS6_EEE10hipError_tPvRmT3_T4_T5_T6_T7_T9_mT8_P12ihipStream_tbDpT10_ENKUlT_T0_E_clISt17integral_constantIbLb0EES19_IbLb1EEEEDaS15_S16_EUlS15_E_NS1_11comp_targetILNS1_3genE3ELNS1_11target_archE908ELNS1_3gpuE7ELNS1_3repE0EEENS1_30default_config_static_selectorELNS0_4arch9wavefront6targetE1EEEvT1_
	.globl	_ZN7rocprim17ROCPRIM_400000_NS6detail17trampoline_kernelINS0_14default_configENS1_25partition_config_selectorILNS1_17partition_subalgoE8EjNS0_10empty_typeEbEEZZNS1_14partition_implILS5_8ELb0ES3_jN6thrust23THRUST_200600_302600_NS6detail15normal_iteratorINSA_10device_ptrIjEEEEPS6_PKS6_NS0_5tupleIJSF_S6_EEENSJ_IJSG_SG_EEENS0_18inequality_wrapperINSA_8equal_toIjEEEEPmJS6_EEE10hipError_tPvRmT3_T4_T5_T6_T7_T9_mT8_P12ihipStream_tbDpT10_ENKUlT_T0_E_clISt17integral_constantIbLb0EES19_IbLb1EEEEDaS15_S16_EUlS15_E_NS1_11comp_targetILNS1_3genE3ELNS1_11target_archE908ELNS1_3gpuE7ELNS1_3repE0EEENS1_30default_config_static_selectorELNS0_4arch9wavefront6targetE1EEEvT1_
	.p2align	8
	.type	_ZN7rocprim17ROCPRIM_400000_NS6detail17trampoline_kernelINS0_14default_configENS1_25partition_config_selectorILNS1_17partition_subalgoE8EjNS0_10empty_typeEbEEZZNS1_14partition_implILS5_8ELb0ES3_jN6thrust23THRUST_200600_302600_NS6detail15normal_iteratorINSA_10device_ptrIjEEEEPS6_PKS6_NS0_5tupleIJSF_S6_EEENSJ_IJSG_SG_EEENS0_18inequality_wrapperINSA_8equal_toIjEEEEPmJS6_EEE10hipError_tPvRmT3_T4_T5_T6_T7_T9_mT8_P12ihipStream_tbDpT10_ENKUlT_T0_E_clISt17integral_constantIbLb0EES19_IbLb1EEEEDaS15_S16_EUlS15_E_NS1_11comp_targetILNS1_3genE3ELNS1_11target_archE908ELNS1_3gpuE7ELNS1_3repE0EEENS1_30default_config_static_selectorELNS0_4arch9wavefront6targetE1EEEvT1_,@function
_ZN7rocprim17ROCPRIM_400000_NS6detail17trampoline_kernelINS0_14default_configENS1_25partition_config_selectorILNS1_17partition_subalgoE8EjNS0_10empty_typeEbEEZZNS1_14partition_implILS5_8ELb0ES3_jN6thrust23THRUST_200600_302600_NS6detail15normal_iteratorINSA_10device_ptrIjEEEEPS6_PKS6_NS0_5tupleIJSF_S6_EEENSJ_IJSG_SG_EEENS0_18inequality_wrapperINSA_8equal_toIjEEEEPmJS6_EEE10hipError_tPvRmT3_T4_T5_T6_T7_T9_mT8_P12ihipStream_tbDpT10_ENKUlT_T0_E_clISt17integral_constantIbLb0EES19_IbLb1EEEEDaS15_S16_EUlS15_E_NS1_11comp_targetILNS1_3genE3ELNS1_11target_archE908ELNS1_3gpuE7ELNS1_3repE0EEENS1_30default_config_static_selectorELNS0_4arch9wavefront6targetE1EEEvT1_: ; @_ZN7rocprim17ROCPRIM_400000_NS6detail17trampoline_kernelINS0_14default_configENS1_25partition_config_selectorILNS1_17partition_subalgoE8EjNS0_10empty_typeEbEEZZNS1_14partition_implILS5_8ELb0ES3_jN6thrust23THRUST_200600_302600_NS6detail15normal_iteratorINSA_10device_ptrIjEEEEPS6_PKS6_NS0_5tupleIJSF_S6_EEENSJ_IJSG_SG_EEENS0_18inequality_wrapperINSA_8equal_toIjEEEEPmJS6_EEE10hipError_tPvRmT3_T4_T5_T6_T7_T9_mT8_P12ihipStream_tbDpT10_ENKUlT_T0_E_clISt17integral_constantIbLb0EES19_IbLb1EEEEDaS15_S16_EUlS15_E_NS1_11comp_targetILNS1_3genE3ELNS1_11target_archE908ELNS1_3gpuE7ELNS1_3repE0EEENS1_30default_config_static_selectorELNS0_4arch9wavefront6targetE1EEEvT1_
; %bb.0:
	.section	.rodata,"a",@progbits
	.p2align	6, 0x0
	.amdhsa_kernel _ZN7rocprim17ROCPRIM_400000_NS6detail17trampoline_kernelINS0_14default_configENS1_25partition_config_selectorILNS1_17partition_subalgoE8EjNS0_10empty_typeEbEEZZNS1_14partition_implILS5_8ELb0ES3_jN6thrust23THRUST_200600_302600_NS6detail15normal_iteratorINSA_10device_ptrIjEEEEPS6_PKS6_NS0_5tupleIJSF_S6_EEENSJ_IJSG_SG_EEENS0_18inequality_wrapperINSA_8equal_toIjEEEEPmJS6_EEE10hipError_tPvRmT3_T4_T5_T6_T7_T9_mT8_P12ihipStream_tbDpT10_ENKUlT_T0_E_clISt17integral_constantIbLb0EES19_IbLb1EEEEDaS15_S16_EUlS15_E_NS1_11comp_targetILNS1_3genE3ELNS1_11target_archE908ELNS1_3gpuE7ELNS1_3repE0EEENS1_30default_config_static_selectorELNS0_4arch9wavefront6targetE1EEEvT1_
		.amdhsa_group_segment_fixed_size 0
		.amdhsa_private_segment_fixed_size 0
		.amdhsa_kernarg_size 128
		.amdhsa_user_sgpr_count 6
		.amdhsa_user_sgpr_private_segment_buffer 1
		.amdhsa_user_sgpr_dispatch_ptr 0
		.amdhsa_user_sgpr_queue_ptr 0
		.amdhsa_user_sgpr_kernarg_segment_ptr 1
		.amdhsa_user_sgpr_dispatch_id 0
		.amdhsa_user_sgpr_flat_scratch_init 0
		.amdhsa_user_sgpr_private_segment_size 0
		.amdhsa_uses_dynamic_stack 0
		.amdhsa_system_sgpr_private_segment_wavefront_offset 0
		.amdhsa_system_sgpr_workgroup_id_x 1
		.amdhsa_system_sgpr_workgroup_id_y 0
		.amdhsa_system_sgpr_workgroup_id_z 0
		.amdhsa_system_sgpr_workgroup_info 0
		.amdhsa_system_vgpr_workitem_id 0
		.amdhsa_next_free_vgpr 1
		.amdhsa_next_free_sgpr 0
		.amdhsa_reserve_vcc 0
		.amdhsa_reserve_flat_scratch 0
		.amdhsa_float_round_mode_32 0
		.amdhsa_float_round_mode_16_64 0
		.amdhsa_float_denorm_mode_32 3
		.amdhsa_float_denorm_mode_16_64 3
		.amdhsa_dx10_clamp 1
		.amdhsa_ieee_mode 1
		.amdhsa_fp16_overflow 0
		.amdhsa_exception_fp_ieee_invalid_op 0
		.amdhsa_exception_fp_denorm_src 0
		.amdhsa_exception_fp_ieee_div_zero 0
		.amdhsa_exception_fp_ieee_overflow 0
		.amdhsa_exception_fp_ieee_underflow 0
		.amdhsa_exception_fp_ieee_inexact 0
		.amdhsa_exception_int_div_zero 0
	.end_amdhsa_kernel
	.section	.text._ZN7rocprim17ROCPRIM_400000_NS6detail17trampoline_kernelINS0_14default_configENS1_25partition_config_selectorILNS1_17partition_subalgoE8EjNS0_10empty_typeEbEEZZNS1_14partition_implILS5_8ELb0ES3_jN6thrust23THRUST_200600_302600_NS6detail15normal_iteratorINSA_10device_ptrIjEEEEPS6_PKS6_NS0_5tupleIJSF_S6_EEENSJ_IJSG_SG_EEENS0_18inequality_wrapperINSA_8equal_toIjEEEEPmJS6_EEE10hipError_tPvRmT3_T4_T5_T6_T7_T9_mT8_P12ihipStream_tbDpT10_ENKUlT_T0_E_clISt17integral_constantIbLb0EES19_IbLb1EEEEDaS15_S16_EUlS15_E_NS1_11comp_targetILNS1_3genE3ELNS1_11target_archE908ELNS1_3gpuE7ELNS1_3repE0EEENS1_30default_config_static_selectorELNS0_4arch9wavefront6targetE1EEEvT1_,"axG",@progbits,_ZN7rocprim17ROCPRIM_400000_NS6detail17trampoline_kernelINS0_14default_configENS1_25partition_config_selectorILNS1_17partition_subalgoE8EjNS0_10empty_typeEbEEZZNS1_14partition_implILS5_8ELb0ES3_jN6thrust23THRUST_200600_302600_NS6detail15normal_iteratorINSA_10device_ptrIjEEEEPS6_PKS6_NS0_5tupleIJSF_S6_EEENSJ_IJSG_SG_EEENS0_18inequality_wrapperINSA_8equal_toIjEEEEPmJS6_EEE10hipError_tPvRmT3_T4_T5_T6_T7_T9_mT8_P12ihipStream_tbDpT10_ENKUlT_T0_E_clISt17integral_constantIbLb0EES19_IbLb1EEEEDaS15_S16_EUlS15_E_NS1_11comp_targetILNS1_3genE3ELNS1_11target_archE908ELNS1_3gpuE7ELNS1_3repE0EEENS1_30default_config_static_selectorELNS0_4arch9wavefront6targetE1EEEvT1_,comdat
.Lfunc_end237:
	.size	_ZN7rocprim17ROCPRIM_400000_NS6detail17trampoline_kernelINS0_14default_configENS1_25partition_config_selectorILNS1_17partition_subalgoE8EjNS0_10empty_typeEbEEZZNS1_14partition_implILS5_8ELb0ES3_jN6thrust23THRUST_200600_302600_NS6detail15normal_iteratorINSA_10device_ptrIjEEEEPS6_PKS6_NS0_5tupleIJSF_S6_EEENSJ_IJSG_SG_EEENS0_18inequality_wrapperINSA_8equal_toIjEEEEPmJS6_EEE10hipError_tPvRmT3_T4_T5_T6_T7_T9_mT8_P12ihipStream_tbDpT10_ENKUlT_T0_E_clISt17integral_constantIbLb0EES19_IbLb1EEEEDaS15_S16_EUlS15_E_NS1_11comp_targetILNS1_3genE3ELNS1_11target_archE908ELNS1_3gpuE7ELNS1_3repE0EEENS1_30default_config_static_selectorELNS0_4arch9wavefront6targetE1EEEvT1_, .Lfunc_end237-_ZN7rocprim17ROCPRIM_400000_NS6detail17trampoline_kernelINS0_14default_configENS1_25partition_config_selectorILNS1_17partition_subalgoE8EjNS0_10empty_typeEbEEZZNS1_14partition_implILS5_8ELb0ES3_jN6thrust23THRUST_200600_302600_NS6detail15normal_iteratorINSA_10device_ptrIjEEEEPS6_PKS6_NS0_5tupleIJSF_S6_EEENSJ_IJSG_SG_EEENS0_18inequality_wrapperINSA_8equal_toIjEEEEPmJS6_EEE10hipError_tPvRmT3_T4_T5_T6_T7_T9_mT8_P12ihipStream_tbDpT10_ENKUlT_T0_E_clISt17integral_constantIbLb0EES19_IbLb1EEEEDaS15_S16_EUlS15_E_NS1_11comp_targetILNS1_3genE3ELNS1_11target_archE908ELNS1_3gpuE7ELNS1_3repE0EEENS1_30default_config_static_selectorELNS0_4arch9wavefront6targetE1EEEvT1_
                                        ; -- End function
	.set _ZN7rocprim17ROCPRIM_400000_NS6detail17trampoline_kernelINS0_14default_configENS1_25partition_config_selectorILNS1_17partition_subalgoE8EjNS0_10empty_typeEbEEZZNS1_14partition_implILS5_8ELb0ES3_jN6thrust23THRUST_200600_302600_NS6detail15normal_iteratorINSA_10device_ptrIjEEEEPS6_PKS6_NS0_5tupleIJSF_S6_EEENSJ_IJSG_SG_EEENS0_18inequality_wrapperINSA_8equal_toIjEEEEPmJS6_EEE10hipError_tPvRmT3_T4_T5_T6_T7_T9_mT8_P12ihipStream_tbDpT10_ENKUlT_T0_E_clISt17integral_constantIbLb0EES19_IbLb1EEEEDaS15_S16_EUlS15_E_NS1_11comp_targetILNS1_3genE3ELNS1_11target_archE908ELNS1_3gpuE7ELNS1_3repE0EEENS1_30default_config_static_selectorELNS0_4arch9wavefront6targetE1EEEvT1_.num_vgpr, 0
	.set _ZN7rocprim17ROCPRIM_400000_NS6detail17trampoline_kernelINS0_14default_configENS1_25partition_config_selectorILNS1_17partition_subalgoE8EjNS0_10empty_typeEbEEZZNS1_14partition_implILS5_8ELb0ES3_jN6thrust23THRUST_200600_302600_NS6detail15normal_iteratorINSA_10device_ptrIjEEEEPS6_PKS6_NS0_5tupleIJSF_S6_EEENSJ_IJSG_SG_EEENS0_18inequality_wrapperINSA_8equal_toIjEEEEPmJS6_EEE10hipError_tPvRmT3_T4_T5_T6_T7_T9_mT8_P12ihipStream_tbDpT10_ENKUlT_T0_E_clISt17integral_constantIbLb0EES19_IbLb1EEEEDaS15_S16_EUlS15_E_NS1_11comp_targetILNS1_3genE3ELNS1_11target_archE908ELNS1_3gpuE7ELNS1_3repE0EEENS1_30default_config_static_selectorELNS0_4arch9wavefront6targetE1EEEvT1_.num_agpr, 0
	.set _ZN7rocprim17ROCPRIM_400000_NS6detail17trampoline_kernelINS0_14default_configENS1_25partition_config_selectorILNS1_17partition_subalgoE8EjNS0_10empty_typeEbEEZZNS1_14partition_implILS5_8ELb0ES3_jN6thrust23THRUST_200600_302600_NS6detail15normal_iteratorINSA_10device_ptrIjEEEEPS6_PKS6_NS0_5tupleIJSF_S6_EEENSJ_IJSG_SG_EEENS0_18inequality_wrapperINSA_8equal_toIjEEEEPmJS6_EEE10hipError_tPvRmT3_T4_T5_T6_T7_T9_mT8_P12ihipStream_tbDpT10_ENKUlT_T0_E_clISt17integral_constantIbLb0EES19_IbLb1EEEEDaS15_S16_EUlS15_E_NS1_11comp_targetILNS1_3genE3ELNS1_11target_archE908ELNS1_3gpuE7ELNS1_3repE0EEENS1_30default_config_static_selectorELNS0_4arch9wavefront6targetE1EEEvT1_.numbered_sgpr, 0
	.set _ZN7rocprim17ROCPRIM_400000_NS6detail17trampoline_kernelINS0_14default_configENS1_25partition_config_selectorILNS1_17partition_subalgoE8EjNS0_10empty_typeEbEEZZNS1_14partition_implILS5_8ELb0ES3_jN6thrust23THRUST_200600_302600_NS6detail15normal_iteratorINSA_10device_ptrIjEEEEPS6_PKS6_NS0_5tupleIJSF_S6_EEENSJ_IJSG_SG_EEENS0_18inequality_wrapperINSA_8equal_toIjEEEEPmJS6_EEE10hipError_tPvRmT3_T4_T5_T6_T7_T9_mT8_P12ihipStream_tbDpT10_ENKUlT_T0_E_clISt17integral_constantIbLb0EES19_IbLb1EEEEDaS15_S16_EUlS15_E_NS1_11comp_targetILNS1_3genE3ELNS1_11target_archE908ELNS1_3gpuE7ELNS1_3repE0EEENS1_30default_config_static_selectorELNS0_4arch9wavefront6targetE1EEEvT1_.num_named_barrier, 0
	.set _ZN7rocprim17ROCPRIM_400000_NS6detail17trampoline_kernelINS0_14default_configENS1_25partition_config_selectorILNS1_17partition_subalgoE8EjNS0_10empty_typeEbEEZZNS1_14partition_implILS5_8ELb0ES3_jN6thrust23THRUST_200600_302600_NS6detail15normal_iteratorINSA_10device_ptrIjEEEEPS6_PKS6_NS0_5tupleIJSF_S6_EEENSJ_IJSG_SG_EEENS0_18inequality_wrapperINSA_8equal_toIjEEEEPmJS6_EEE10hipError_tPvRmT3_T4_T5_T6_T7_T9_mT8_P12ihipStream_tbDpT10_ENKUlT_T0_E_clISt17integral_constantIbLb0EES19_IbLb1EEEEDaS15_S16_EUlS15_E_NS1_11comp_targetILNS1_3genE3ELNS1_11target_archE908ELNS1_3gpuE7ELNS1_3repE0EEENS1_30default_config_static_selectorELNS0_4arch9wavefront6targetE1EEEvT1_.private_seg_size, 0
	.set _ZN7rocprim17ROCPRIM_400000_NS6detail17trampoline_kernelINS0_14default_configENS1_25partition_config_selectorILNS1_17partition_subalgoE8EjNS0_10empty_typeEbEEZZNS1_14partition_implILS5_8ELb0ES3_jN6thrust23THRUST_200600_302600_NS6detail15normal_iteratorINSA_10device_ptrIjEEEEPS6_PKS6_NS0_5tupleIJSF_S6_EEENSJ_IJSG_SG_EEENS0_18inequality_wrapperINSA_8equal_toIjEEEEPmJS6_EEE10hipError_tPvRmT3_T4_T5_T6_T7_T9_mT8_P12ihipStream_tbDpT10_ENKUlT_T0_E_clISt17integral_constantIbLb0EES19_IbLb1EEEEDaS15_S16_EUlS15_E_NS1_11comp_targetILNS1_3genE3ELNS1_11target_archE908ELNS1_3gpuE7ELNS1_3repE0EEENS1_30default_config_static_selectorELNS0_4arch9wavefront6targetE1EEEvT1_.uses_vcc, 0
	.set _ZN7rocprim17ROCPRIM_400000_NS6detail17trampoline_kernelINS0_14default_configENS1_25partition_config_selectorILNS1_17partition_subalgoE8EjNS0_10empty_typeEbEEZZNS1_14partition_implILS5_8ELb0ES3_jN6thrust23THRUST_200600_302600_NS6detail15normal_iteratorINSA_10device_ptrIjEEEEPS6_PKS6_NS0_5tupleIJSF_S6_EEENSJ_IJSG_SG_EEENS0_18inequality_wrapperINSA_8equal_toIjEEEEPmJS6_EEE10hipError_tPvRmT3_T4_T5_T6_T7_T9_mT8_P12ihipStream_tbDpT10_ENKUlT_T0_E_clISt17integral_constantIbLb0EES19_IbLb1EEEEDaS15_S16_EUlS15_E_NS1_11comp_targetILNS1_3genE3ELNS1_11target_archE908ELNS1_3gpuE7ELNS1_3repE0EEENS1_30default_config_static_selectorELNS0_4arch9wavefront6targetE1EEEvT1_.uses_flat_scratch, 0
	.set _ZN7rocprim17ROCPRIM_400000_NS6detail17trampoline_kernelINS0_14default_configENS1_25partition_config_selectorILNS1_17partition_subalgoE8EjNS0_10empty_typeEbEEZZNS1_14partition_implILS5_8ELb0ES3_jN6thrust23THRUST_200600_302600_NS6detail15normal_iteratorINSA_10device_ptrIjEEEEPS6_PKS6_NS0_5tupleIJSF_S6_EEENSJ_IJSG_SG_EEENS0_18inequality_wrapperINSA_8equal_toIjEEEEPmJS6_EEE10hipError_tPvRmT3_T4_T5_T6_T7_T9_mT8_P12ihipStream_tbDpT10_ENKUlT_T0_E_clISt17integral_constantIbLb0EES19_IbLb1EEEEDaS15_S16_EUlS15_E_NS1_11comp_targetILNS1_3genE3ELNS1_11target_archE908ELNS1_3gpuE7ELNS1_3repE0EEENS1_30default_config_static_selectorELNS0_4arch9wavefront6targetE1EEEvT1_.has_dyn_sized_stack, 0
	.set _ZN7rocprim17ROCPRIM_400000_NS6detail17trampoline_kernelINS0_14default_configENS1_25partition_config_selectorILNS1_17partition_subalgoE8EjNS0_10empty_typeEbEEZZNS1_14partition_implILS5_8ELb0ES3_jN6thrust23THRUST_200600_302600_NS6detail15normal_iteratorINSA_10device_ptrIjEEEEPS6_PKS6_NS0_5tupleIJSF_S6_EEENSJ_IJSG_SG_EEENS0_18inequality_wrapperINSA_8equal_toIjEEEEPmJS6_EEE10hipError_tPvRmT3_T4_T5_T6_T7_T9_mT8_P12ihipStream_tbDpT10_ENKUlT_T0_E_clISt17integral_constantIbLb0EES19_IbLb1EEEEDaS15_S16_EUlS15_E_NS1_11comp_targetILNS1_3genE3ELNS1_11target_archE908ELNS1_3gpuE7ELNS1_3repE0EEENS1_30default_config_static_selectorELNS0_4arch9wavefront6targetE1EEEvT1_.has_recursion, 0
	.set _ZN7rocprim17ROCPRIM_400000_NS6detail17trampoline_kernelINS0_14default_configENS1_25partition_config_selectorILNS1_17partition_subalgoE8EjNS0_10empty_typeEbEEZZNS1_14partition_implILS5_8ELb0ES3_jN6thrust23THRUST_200600_302600_NS6detail15normal_iteratorINSA_10device_ptrIjEEEEPS6_PKS6_NS0_5tupleIJSF_S6_EEENSJ_IJSG_SG_EEENS0_18inequality_wrapperINSA_8equal_toIjEEEEPmJS6_EEE10hipError_tPvRmT3_T4_T5_T6_T7_T9_mT8_P12ihipStream_tbDpT10_ENKUlT_T0_E_clISt17integral_constantIbLb0EES19_IbLb1EEEEDaS15_S16_EUlS15_E_NS1_11comp_targetILNS1_3genE3ELNS1_11target_archE908ELNS1_3gpuE7ELNS1_3repE0EEENS1_30default_config_static_selectorELNS0_4arch9wavefront6targetE1EEEvT1_.has_indirect_call, 0
	.section	.AMDGPU.csdata,"",@progbits
; Kernel info:
; codeLenInByte = 0
; TotalNumSgprs: 4
; NumVgprs: 0
; ScratchSize: 0
; MemoryBound: 0
; FloatMode: 240
; IeeeMode: 1
; LDSByteSize: 0 bytes/workgroup (compile time only)
; SGPRBlocks: 0
; VGPRBlocks: 0
; NumSGPRsForWavesPerEU: 4
; NumVGPRsForWavesPerEU: 1
; Occupancy: 10
; WaveLimiterHint : 0
; COMPUTE_PGM_RSRC2:SCRATCH_EN: 0
; COMPUTE_PGM_RSRC2:USER_SGPR: 6
; COMPUTE_PGM_RSRC2:TRAP_HANDLER: 0
; COMPUTE_PGM_RSRC2:TGID_X_EN: 1
; COMPUTE_PGM_RSRC2:TGID_Y_EN: 0
; COMPUTE_PGM_RSRC2:TGID_Z_EN: 0
; COMPUTE_PGM_RSRC2:TIDIG_COMP_CNT: 0
	.section	.text._ZN7rocprim17ROCPRIM_400000_NS6detail17trampoline_kernelINS0_14default_configENS1_25partition_config_selectorILNS1_17partition_subalgoE8EjNS0_10empty_typeEbEEZZNS1_14partition_implILS5_8ELb0ES3_jN6thrust23THRUST_200600_302600_NS6detail15normal_iteratorINSA_10device_ptrIjEEEEPS6_PKS6_NS0_5tupleIJSF_S6_EEENSJ_IJSG_SG_EEENS0_18inequality_wrapperINSA_8equal_toIjEEEEPmJS6_EEE10hipError_tPvRmT3_T4_T5_T6_T7_T9_mT8_P12ihipStream_tbDpT10_ENKUlT_T0_E_clISt17integral_constantIbLb0EES19_IbLb1EEEEDaS15_S16_EUlS15_E_NS1_11comp_targetILNS1_3genE2ELNS1_11target_archE906ELNS1_3gpuE6ELNS1_3repE0EEENS1_30default_config_static_selectorELNS0_4arch9wavefront6targetE1EEEvT1_,"axG",@progbits,_ZN7rocprim17ROCPRIM_400000_NS6detail17trampoline_kernelINS0_14default_configENS1_25partition_config_selectorILNS1_17partition_subalgoE8EjNS0_10empty_typeEbEEZZNS1_14partition_implILS5_8ELb0ES3_jN6thrust23THRUST_200600_302600_NS6detail15normal_iteratorINSA_10device_ptrIjEEEEPS6_PKS6_NS0_5tupleIJSF_S6_EEENSJ_IJSG_SG_EEENS0_18inequality_wrapperINSA_8equal_toIjEEEEPmJS6_EEE10hipError_tPvRmT3_T4_T5_T6_T7_T9_mT8_P12ihipStream_tbDpT10_ENKUlT_T0_E_clISt17integral_constantIbLb0EES19_IbLb1EEEEDaS15_S16_EUlS15_E_NS1_11comp_targetILNS1_3genE2ELNS1_11target_archE906ELNS1_3gpuE6ELNS1_3repE0EEENS1_30default_config_static_selectorELNS0_4arch9wavefront6targetE1EEEvT1_,comdat
	.protected	_ZN7rocprim17ROCPRIM_400000_NS6detail17trampoline_kernelINS0_14default_configENS1_25partition_config_selectorILNS1_17partition_subalgoE8EjNS0_10empty_typeEbEEZZNS1_14partition_implILS5_8ELb0ES3_jN6thrust23THRUST_200600_302600_NS6detail15normal_iteratorINSA_10device_ptrIjEEEEPS6_PKS6_NS0_5tupleIJSF_S6_EEENSJ_IJSG_SG_EEENS0_18inequality_wrapperINSA_8equal_toIjEEEEPmJS6_EEE10hipError_tPvRmT3_T4_T5_T6_T7_T9_mT8_P12ihipStream_tbDpT10_ENKUlT_T0_E_clISt17integral_constantIbLb0EES19_IbLb1EEEEDaS15_S16_EUlS15_E_NS1_11comp_targetILNS1_3genE2ELNS1_11target_archE906ELNS1_3gpuE6ELNS1_3repE0EEENS1_30default_config_static_selectorELNS0_4arch9wavefront6targetE1EEEvT1_ ; -- Begin function _ZN7rocprim17ROCPRIM_400000_NS6detail17trampoline_kernelINS0_14default_configENS1_25partition_config_selectorILNS1_17partition_subalgoE8EjNS0_10empty_typeEbEEZZNS1_14partition_implILS5_8ELb0ES3_jN6thrust23THRUST_200600_302600_NS6detail15normal_iteratorINSA_10device_ptrIjEEEEPS6_PKS6_NS0_5tupleIJSF_S6_EEENSJ_IJSG_SG_EEENS0_18inequality_wrapperINSA_8equal_toIjEEEEPmJS6_EEE10hipError_tPvRmT3_T4_T5_T6_T7_T9_mT8_P12ihipStream_tbDpT10_ENKUlT_T0_E_clISt17integral_constantIbLb0EES19_IbLb1EEEEDaS15_S16_EUlS15_E_NS1_11comp_targetILNS1_3genE2ELNS1_11target_archE906ELNS1_3gpuE6ELNS1_3repE0EEENS1_30default_config_static_selectorELNS0_4arch9wavefront6targetE1EEEvT1_
	.globl	_ZN7rocprim17ROCPRIM_400000_NS6detail17trampoline_kernelINS0_14default_configENS1_25partition_config_selectorILNS1_17partition_subalgoE8EjNS0_10empty_typeEbEEZZNS1_14partition_implILS5_8ELb0ES3_jN6thrust23THRUST_200600_302600_NS6detail15normal_iteratorINSA_10device_ptrIjEEEEPS6_PKS6_NS0_5tupleIJSF_S6_EEENSJ_IJSG_SG_EEENS0_18inequality_wrapperINSA_8equal_toIjEEEEPmJS6_EEE10hipError_tPvRmT3_T4_T5_T6_T7_T9_mT8_P12ihipStream_tbDpT10_ENKUlT_T0_E_clISt17integral_constantIbLb0EES19_IbLb1EEEEDaS15_S16_EUlS15_E_NS1_11comp_targetILNS1_3genE2ELNS1_11target_archE906ELNS1_3gpuE6ELNS1_3repE0EEENS1_30default_config_static_selectorELNS0_4arch9wavefront6targetE1EEEvT1_
	.p2align	8
	.type	_ZN7rocprim17ROCPRIM_400000_NS6detail17trampoline_kernelINS0_14default_configENS1_25partition_config_selectorILNS1_17partition_subalgoE8EjNS0_10empty_typeEbEEZZNS1_14partition_implILS5_8ELb0ES3_jN6thrust23THRUST_200600_302600_NS6detail15normal_iteratorINSA_10device_ptrIjEEEEPS6_PKS6_NS0_5tupleIJSF_S6_EEENSJ_IJSG_SG_EEENS0_18inequality_wrapperINSA_8equal_toIjEEEEPmJS6_EEE10hipError_tPvRmT3_T4_T5_T6_T7_T9_mT8_P12ihipStream_tbDpT10_ENKUlT_T0_E_clISt17integral_constantIbLb0EES19_IbLb1EEEEDaS15_S16_EUlS15_E_NS1_11comp_targetILNS1_3genE2ELNS1_11target_archE906ELNS1_3gpuE6ELNS1_3repE0EEENS1_30default_config_static_selectorELNS0_4arch9wavefront6targetE1EEEvT1_,@function
_ZN7rocprim17ROCPRIM_400000_NS6detail17trampoline_kernelINS0_14default_configENS1_25partition_config_selectorILNS1_17partition_subalgoE8EjNS0_10empty_typeEbEEZZNS1_14partition_implILS5_8ELb0ES3_jN6thrust23THRUST_200600_302600_NS6detail15normal_iteratorINSA_10device_ptrIjEEEEPS6_PKS6_NS0_5tupleIJSF_S6_EEENSJ_IJSG_SG_EEENS0_18inequality_wrapperINSA_8equal_toIjEEEEPmJS6_EEE10hipError_tPvRmT3_T4_T5_T6_T7_T9_mT8_P12ihipStream_tbDpT10_ENKUlT_T0_E_clISt17integral_constantIbLb0EES19_IbLb1EEEEDaS15_S16_EUlS15_E_NS1_11comp_targetILNS1_3genE2ELNS1_11target_archE906ELNS1_3gpuE6ELNS1_3repE0EEENS1_30default_config_static_selectorELNS0_4arch9wavefront6targetE1EEEvT1_: ; @_ZN7rocprim17ROCPRIM_400000_NS6detail17trampoline_kernelINS0_14default_configENS1_25partition_config_selectorILNS1_17partition_subalgoE8EjNS0_10empty_typeEbEEZZNS1_14partition_implILS5_8ELb0ES3_jN6thrust23THRUST_200600_302600_NS6detail15normal_iteratorINSA_10device_ptrIjEEEEPS6_PKS6_NS0_5tupleIJSF_S6_EEENSJ_IJSG_SG_EEENS0_18inequality_wrapperINSA_8equal_toIjEEEEPmJS6_EEE10hipError_tPvRmT3_T4_T5_T6_T7_T9_mT8_P12ihipStream_tbDpT10_ENKUlT_T0_E_clISt17integral_constantIbLb0EES19_IbLb1EEEEDaS15_S16_EUlS15_E_NS1_11comp_targetILNS1_3genE2ELNS1_11target_archE906ELNS1_3gpuE6ELNS1_3repE0EEENS1_30default_config_static_selectorELNS0_4arch9wavefront6targetE1EEEvT1_
; %bb.0:
	s_load_dwordx2 s[40:41], s[4:5], 0x28
	s_load_dwordx4 s[36:39], s[4:5], 0x40
	s_load_dwordx2 s[6:7], s[4:5], 0x50
	s_load_dwordx2 s[44:45], s[4:5], 0x60
	v_cmp_ne_u32_e64 s[2:3], 0, v0
	v_cmp_eq_u32_e64 s[0:1], 0, v0
	s_and_saveexec_b64 s[8:9], s[0:1]
	s_cbranch_execz .LBB238_4
; %bb.1:
	s_mov_b64 s[12:13], exec
	v_mbcnt_lo_u32_b32 v1, s12, 0
	v_mbcnt_hi_u32_b32 v1, s13, v1
	v_cmp_eq_u32_e32 vcc, 0, v1
                                        ; implicit-def: $vgpr2
	s_and_saveexec_b64 s[10:11], vcc
	s_cbranch_execz .LBB238_3
; %bb.2:
	s_load_dwordx2 s[14:15], s[4:5], 0x70
	s_bcnt1_i32_b64 s12, s[12:13]
	v_mov_b32_e32 v2, 0
	v_mov_b32_e32 v3, s12
	s_waitcnt lgkmcnt(0)
	global_atomic_add v2, v2, v3, s[14:15] glc
.LBB238_3:
	s_or_b64 exec, exec, s[10:11]
	s_waitcnt vmcnt(0)
	v_readfirstlane_b32 s10, v2
	v_add_u32_e32 v1, s10, v1
	v_mov_b32_e32 v2, 0
	ds_write_b32 v2, v1
.LBB238_4:
	s_or_b64 exec, exec, s[8:9]
	v_mov_b32_e32 v2, 0
	s_load_dwordx4 s[8:11], s[4:5], 0x8
	s_load_dword s12, s[4:5], 0x68
	s_waitcnt lgkmcnt(0)
	s_barrier
	ds_read_b32 v1, v2
	s_waitcnt lgkmcnt(0)
	s_barrier
	global_load_dwordx2 v[18:19], v2, s[38:39]
	s_lshl_b64 s[4:5], s[10:11], 2
	s_add_u32 s13, s8, s4
	s_addc_u32 s9, s9, s5
	s_add_i32 s14, s12, -1
	s_lshl_b32 s4, s14, 12
	s_add_i32 s8, s10, s4
	s_lshl_b32 s4, s12, 12
	s_add_u32 s4, s10, s4
	s_addc_u32 s5, s11, 0
	v_mov_b32_e32 v3, s4
	v_readfirstlane_b32 s33, v1
	v_lshlrev_b32_e32 v1, 12, v1
	v_mov_b32_e32 v4, s5
	v_cmp_le_u64_e32 vcc, s[6:7], v[3:4]
	s_cmp_eq_u32 s33, s14
	v_lshlrev_b64 v[1:2], 2, v[1:2]
	s_cselect_b64 s[38:39], -1, 0
	s_and_b64 s[46:47], vcc, s[38:39]
	v_mov_b32_e32 v3, s9
	v_add_co_u32_e32 v21, vcc, s13, v1
	s_xor_b64 s[42:43], s[46:47], -1
	v_addc_co_u32_e32 v22, vcc, v3, v2, vcc
	s_mov_b64 s[4:5], -1
	s_and_b64 vcc, exec, s[42:43]
	v_lshrrev_b32_e32 v20, 3, v0
	s_cbranch_vccz .LBB238_6
; %bb.5:
	v_lshlrev_b32_e32 v5, 2, v0
	v_add_co_u32_e32 v1, vcc, v21, v5
	v_addc_co_u32_e32 v2, vcc, 0, v22, vcc
	v_add_co_u32_e32 v3, vcc, 0x1000, v1
	v_addc_co_u32_e32 v4, vcc, 0, v2, vcc
	flat_load_dword v6, v[1:2]
	flat_load_dword v7, v[1:2] offset:1024
	flat_load_dword v8, v[1:2] offset:2048
	;; [unrolled: 1-line block ×3, first 2 shown]
	flat_load_dword v10, v[3:4]
	flat_load_dword v11, v[3:4] offset:1024
	flat_load_dword v12, v[3:4] offset:2048
	;; [unrolled: 1-line block ×3, first 2 shown]
	v_add_co_u32_e32 v3, vcc, 0x2000, v1
	v_addc_co_u32_e32 v4, vcc, 0, v2, vcc
	flat_load_dword v14, v[3:4]
	flat_load_dword v15, v[3:4] offset:1024
	flat_load_dword v16, v[3:4] offset:2048
	;; [unrolled: 1-line block ×3, first 2 shown]
	v_add_co_u32_e32 v1, vcc, 0x3000, v1
	v_addc_co_u32_e32 v2, vcc, 0, v2, vcc
	flat_load_dword v3, v[1:2]
	flat_load_dword v4, v[1:2] offset:1024
	flat_load_dword v23, v[1:2] offset:2048
	;; [unrolled: 1-line block ×3, first 2 shown]
	v_or_b32_e32 v2, 0x100, v0
	v_or_b32_e32 v25, 0x200, v0
	;; [unrolled: 1-line block ×9, first 2 shown]
	v_and_b32_e32 v1, 28, v20
	v_or_b32_e32 v33, 0xa00, v0
	v_lshrrev_b32_e32 v2, 3, v2
	v_lshrrev_b32_e32 v25, 3, v25
	;; [unrolled: 1-line block ×9, first 2 shown]
	v_add_u32_e32 v1, v1, v5
	v_lshrrev_b32_e32 v33, 3, v33
	v_and_b32_e32 v2, 60, v2
	v_and_b32_e32 v25, 0x5c, v25
	v_and_b32_e32 v26, 0x7c, v26
	v_and_b32_e32 v27, 0x9c, v27
	v_and_b32_e32 v28, 0xbc, v28
	v_and_b32_e32 v29, 0xdc, v29
	v_and_b32_e32 v30, 0xfc, v30
	v_and_b32_e32 v31, 0x11c, v31
	v_and_b32_e32 v32, 0x13c, v32
	v_add_u32_e32 v2, v2, v5
	v_add_u32_e32 v25, v25, v5
	v_add_u32_e32 v26, v26, v5
	v_add_u32_e32 v27, v27, v5
	v_add_u32_e32 v28, v28, v5
	v_add_u32_e32 v29, v29, v5
	v_add_u32_e32 v30, v30, v5
	v_add_u32_e32 v31, v31, v5
	v_add_u32_e32 v32, v32, v5
	s_mov_b64 s[4:5], 0
	s_waitcnt vmcnt(0) lgkmcnt(0)
	ds_write_b32 v1, v6
	ds_write_b32 v2, v7 offset:1024
	ds_write_b32 v25, v8 offset:2048
	;; [unrolled: 1-line block ×9, first 2 shown]
	v_and_b32_e32 v1, 0x15c, v33
	v_add_u32_e32 v1, v1, v5
	ds_write_b32 v1, v16 offset:10240
	v_or_b32_e32 v1, 0xb00, v0
	v_lshrrev_b32_e32 v1, 3, v1
	v_and_b32_e32 v1, 0x17c, v1
	v_add_u32_e32 v1, v1, v5
	ds_write_b32 v1, v17 offset:11264
	v_or_b32_e32 v1, 0xc00, v0
	v_lshrrev_b32_e32 v1, 3, v1
	;; [unrolled: 5-line block ×5, first 2 shown]
	v_and_b32_e32 v1, 0x1fc, v1
	v_add_u32_e32 v1, v1, v5
	ds_write_b32 v1, v24 offset:15360
	s_waitcnt lgkmcnt(0)
	s_barrier
.LBB238_6:
	s_andn2_b64 vcc, exec, s[4:5]
	s_sub_i32 s56, s6, s8
	s_cbranch_vccnz .LBB238_40
; %bb.7:
	v_mov_b32_e32 v1, 0
	v_cmp_gt_u32_e32 vcc, s56, v0
	v_mov_b32_e32 v2, v1
	v_mov_b32_e32 v3, v1
	;; [unrolled: 1-line block ×15, first 2 shown]
	s_and_saveexec_b64 s[4:5], vcc
	s_cbranch_execz .LBB238_9
; %bb.8:
	v_lshlrev_b32_e32 v2, 2, v0
	v_add_co_u32_e32 v2, vcc, v21, v2
	v_addc_co_u32_e32 v3, vcc, 0, v22, vcc
	flat_load_dword v2, v[2:3]
	v_mov_b32_e32 v3, v1
	v_mov_b32_e32 v4, v1
	;; [unrolled: 1-line block ×15, first 2 shown]
	s_waitcnt vmcnt(0) lgkmcnt(0)
	v_mov_b32_e32 v1, v2
	v_mov_b32_e32 v2, v3
	;; [unrolled: 1-line block ×16, first 2 shown]
.LBB238_9:
	s_or_b64 exec, exec, s[4:5]
	v_or_b32_e32 v17, 0x100, v0
	v_cmp_gt_u32_e32 vcc, s56, v17
	s_and_saveexec_b64 s[4:5], vcc
	s_cbranch_execz .LBB238_11
; %bb.10:
	v_lshlrev_b32_e32 v2, 2, v0
	v_add_co_u32_e32 v23, vcc, v21, v2
	v_addc_co_u32_e32 v24, vcc, 0, v22, vcc
	flat_load_dword v2, v[23:24] offset:1024
.LBB238_11:
	s_or_b64 exec, exec, s[4:5]
	v_or_b32_e32 v23, 0x200, v0
	v_cmp_gt_u32_e32 vcc, s56, v23
	s_and_saveexec_b64 s[4:5], vcc
	s_cbranch_execz .LBB238_13
; %bb.12:
	v_lshlrev_b32_e32 v3, 2, v0
	v_add_co_u32_e32 v24, vcc, v21, v3
	v_addc_co_u32_e32 v25, vcc, 0, v22, vcc
	flat_load_dword v3, v[24:25] offset:2048
.LBB238_13:
	;; [unrolled: 11-line block ×3, first 2 shown]
	s_or_b64 exec, exec, s[4:5]
	v_or_b32_e32 v25, 0x400, v0
	v_cmp_gt_u32_e32 vcc, s56, v25
	s_and_saveexec_b64 s[4:5], vcc
	s_cbranch_execz .LBB238_17
; %bb.16:
	v_lshlrev_b32_e32 v5, 2, v25
	v_add_co_u32_e32 v26, vcc, v21, v5
	v_addc_co_u32_e32 v27, vcc, 0, v22, vcc
	flat_load_dword v5, v[26:27]
.LBB238_17:
	s_or_b64 exec, exec, s[4:5]
	v_or_b32_e32 v26, 0x500, v0
	v_cmp_gt_u32_e32 vcc, s56, v26
	s_and_saveexec_b64 s[4:5], vcc
	s_cbranch_execz .LBB238_19
; %bb.18:
	v_lshlrev_b32_e32 v6, 2, v26
	v_add_co_u32_e32 v27, vcc, v21, v6
	v_addc_co_u32_e32 v28, vcc, 0, v22, vcc
	flat_load_dword v6, v[27:28]
.LBB238_19:
	;; [unrolled: 11-line block ×12, first 2 shown]
	s_or_b64 exec, exec, s[4:5]
	v_and_b32_e32 v20, 28, v20
	v_lshlrev_b32_e32 v37, 2, v0
	v_add_u32_e32 v20, v20, v37
	ds_write_b32 v20, v1
	v_lshrrev_b32_e32 v1, 3, v17
	v_and_b32_e32 v1, 60, v1
	v_add_u32_e32 v1, v1, v37
	s_waitcnt vmcnt(0) lgkmcnt(0)
	ds_write_b32 v1, v2 offset:1024
	v_lshrrev_b32_e32 v1, 3, v23
	v_and_b32_e32 v1, 0x7c, v1
	v_add_u32_e32 v1, v1, v37
	ds_write_b32 v1, v3 offset:2048
	v_lshrrev_b32_e32 v1, 3, v24
	v_and_b32_e32 v1, 0x7c, v1
	v_add_u32_e32 v1, v1, v37
	ds_write_b32 v1, v4 offset:3072
	v_lshrrev_b32_e32 v1, 3, v25
	v_and_b32_e32 v1, 0xfc, v1
	v_add_u32_e32 v1, v1, v37
	ds_write_b32 v1, v5 offset:4096
	v_lshrrev_b32_e32 v1, 3, v26
	v_and_b32_e32 v1, 0xfc, v1
	v_add_u32_e32 v1, v1, v37
	ds_write_b32 v1, v6 offset:5120
	v_lshrrev_b32_e32 v1, 3, v27
	v_and_b32_e32 v1, 0xfc, v1
	v_add_u32_e32 v1, v1, v37
	ds_write_b32 v1, v7 offset:6144
	v_lshrrev_b32_e32 v1, 3, v28
	v_and_b32_e32 v1, 0xfc, v1
	v_add_u32_e32 v1, v1, v37
	ds_write_b32 v1, v8 offset:7168
	v_lshrrev_b32_e32 v1, 3, v29
	v_and_b32_e32 v1, 0x1fc, v1
	v_add_u32_e32 v1, v1, v37
	ds_write_b32 v1, v9 offset:8192
	v_lshrrev_b32_e32 v1, 3, v30
	v_and_b32_e32 v1, 0x1fc, v1
	v_add_u32_e32 v1, v1, v37
	ds_write_b32 v1, v10 offset:9216
	v_lshrrev_b32_e32 v1, 3, v31
	v_and_b32_e32 v1, 0x1fc, v1
	v_add_u32_e32 v1, v1, v37
	ds_write_b32 v1, v11 offset:10240
	v_lshrrev_b32_e32 v1, 3, v32
	v_and_b32_e32 v1, 0x1fc, v1
	v_add_u32_e32 v1, v1, v37
	ds_write_b32 v1, v12 offset:11264
	v_lshrrev_b32_e32 v1, 3, v33
	v_and_b32_e32 v1, 0x1fc, v1
	v_add_u32_e32 v1, v1, v37
	ds_write_b32 v1, v13 offset:12288
	v_lshrrev_b32_e32 v1, 3, v34
	v_and_b32_e32 v1, 0x1fc, v1
	v_add_u32_e32 v1, v1, v37
	ds_write_b32 v1, v14 offset:13312
	v_lshrrev_b32_e32 v1, 3, v35
	v_and_b32_e32 v1, 0x1fc, v1
	v_add_u32_e32 v1, v1, v37
	ds_write_b32 v1, v15 offset:14336
	v_lshrrev_b32_e32 v1, 3, v36
	v_and_b32_e32 v1, 0x1fc, v1
	v_add_u32_e32 v1, v1, v37
	ds_write_b32 v1, v16 offset:15360
	s_waitcnt lgkmcnt(0)
	s_barrier
.LBB238_40:
	v_lshlrev_b32_e32 v1, 1, v0
	v_and_b32_e32 v1, 0x1fc, v1
	v_lshl_add_u32 v1, v0, 6, v1
	ds_read2_b32 v[15:16], v1 offset1:1
	ds_read2_b32 v[13:14], v1 offset0:2 offset1:3
	ds_read2_b32 v[11:12], v1 offset0:4 offset1:5
	;; [unrolled: 1-line block ×7, first 2 shown]
	s_cmp_lg_u32 s33, 0
	s_cselect_b64 s[48:49], -1, 0
	s_cmp_lg_u64 s[10:11], 0
	s_cselect_b64 s[4:5], -1, 0
	s_or_b64 s[4:5], s[4:5], s[48:49]
	v_lshlrev_b32_e32 v20, 4, v0
	s_mov_b64 s[52:53], 0
	s_and_b64 vcc, exec, s[4:5]
	s_waitcnt vmcnt(0) lgkmcnt(0)
	s_barrier
	s_cbranch_vccz .LBB238_45
; %bb.41:
	v_add_co_u32_e32 v21, vcc, -4, v21
	v_addc_co_u32_e32 v22, vcc, -1, v22, vcc
	flat_load_dword v21, v[21:22]
	v_lshlrev_b32_e32 v22, 2, v0
	s_and_b64 vcc, exec, s[42:43]
	ds_write_b32 v22, v2
	s_cbranch_vccz .LBB238_46
; %bb.42:
	s_waitcnt vmcnt(0) lgkmcnt(0)
	v_mov_b32_e32 v23, v21
	s_barrier
	s_and_saveexec_b64 s[4:5], s[2:3]
; %bb.43:
	v_add_u32_e32 v17, -4, v22
	ds_read_b32 v23, v17
; %bb.44:
	s_or_b64 exec, exec, s[4:5]
	v_cmp_ne_u32_e32 vcc, v1, v2
	v_cndmask_b32_e64 v17, 0, 1, vcc
	v_cmp_ne_u32_e32 vcc, v4, v1
	v_cndmask_b32_e64 v54, 0, 1, vcc
	;; [unrolled: 2-line block ×15, first 2 shown]
	s_waitcnt lgkmcnt(0)
	v_cmp_ne_u32_e64 s[50:51], v23, v15
	s_branch .LBB238_50
.LBB238_45:
                                        ; implicit-def: $sgpr50_sgpr51
                                        ; implicit-def: $vgpr17
                                        ; implicit-def: $vgpr54
                                        ; implicit-def: $vgpr55
                                        ; implicit-def: $vgpr56
                                        ; implicit-def: $vgpr57
                                        ; implicit-def: $vgpr58
                                        ; implicit-def: $vgpr59
                                        ; implicit-def: $vgpr60
                                        ; implicit-def: $vgpr61
                                        ; implicit-def: $vgpr67
                                        ; implicit-def: $vgpr66
                                        ; implicit-def: $vgpr65
                                        ; implicit-def: $vgpr64
                                        ; implicit-def: $vgpr63
                                        ; implicit-def: $vgpr62
	s_branch .LBB238_51
.LBB238_46:
                                        ; implicit-def: $sgpr50_sgpr51
                                        ; implicit-def: $vgpr17
                                        ; implicit-def: $vgpr54
                                        ; implicit-def: $vgpr55
                                        ; implicit-def: $vgpr56
                                        ; implicit-def: $vgpr57
                                        ; implicit-def: $vgpr58
                                        ; implicit-def: $vgpr59
                                        ; implicit-def: $vgpr60
                                        ; implicit-def: $vgpr61
                                        ; implicit-def: $vgpr67
                                        ; implicit-def: $vgpr66
                                        ; implicit-def: $vgpr65
                                        ; implicit-def: $vgpr64
                                        ; implicit-def: $vgpr63
                                        ; implicit-def: $vgpr62
	s_cbranch_execz .LBB238_50
; %bb.47:
	s_waitcnt vmcnt(0) lgkmcnt(0)
	s_barrier
	s_and_saveexec_b64 s[4:5], s[2:3]
; %bb.48:
	v_add_u32_e32 v17, -4, v22
	ds_read_b32 v21, v17
; %bb.49:
	s_or_b64 exec, exec, s[4:5]
	v_or_b32_e32 v17, 15, v20
	v_cmp_gt_u32_e32 vcc, s56, v17
	v_cmp_ne_u32_e64 s[4:5], v1, v2
	s_and_b64 s[4:5], vcc, s[4:5]
	v_or_b32_e32 v22, 14, v20
	v_cndmask_b32_e64 v17, 0, 1, s[4:5]
	v_cmp_gt_u32_e32 vcc, s56, v22
	v_cmp_ne_u32_e64 s[4:5], v4, v1
	s_and_b64 s[4:5], vcc, s[4:5]
	v_or_b32_e32 v22, 13, v20
	v_cndmask_b32_e64 v54, 0, 1, s[4:5]
	v_cmp_gt_u32_e32 vcc, s56, v22
	v_cmp_ne_u32_e64 s[4:5], v3, v4
	s_and_b64 s[4:5], vcc, s[4:5]
	v_or_b32_e32 v22, 12, v20
	v_cndmask_b32_e64 v55, 0, 1, s[4:5]
	v_cmp_gt_u32_e32 vcc, s56, v22
	v_cmp_ne_u32_e64 s[4:5], v6, v3
	s_and_b64 s[4:5], vcc, s[4:5]
	v_or_b32_e32 v22, 11, v20
	v_cndmask_b32_e64 v56, 0, 1, s[4:5]
	v_cmp_gt_u32_e32 vcc, s56, v22
	v_cmp_ne_u32_e64 s[4:5], v5, v6
	s_and_b64 s[4:5], vcc, s[4:5]
	v_or_b32_e32 v22, 10, v20
	v_cndmask_b32_e64 v57, 0, 1, s[4:5]
	v_cmp_gt_u32_e32 vcc, s56, v22
	v_cmp_ne_u32_e64 s[4:5], v8, v5
	s_and_b64 s[4:5], vcc, s[4:5]
	v_or_b32_e32 v22, 9, v20
	v_cndmask_b32_e64 v58, 0, 1, s[4:5]
	v_cmp_gt_u32_e32 vcc, s56, v22
	v_cmp_ne_u32_e64 s[4:5], v7, v8
	s_and_b64 s[4:5], vcc, s[4:5]
	v_or_b32_e32 v22, 8, v20
	v_cndmask_b32_e64 v59, 0, 1, s[4:5]
	v_cmp_gt_u32_e32 vcc, s56, v22
	v_cmp_ne_u32_e64 s[4:5], v10, v7
	s_and_b64 s[4:5], vcc, s[4:5]
	v_or_b32_e32 v22, 7, v20
	v_cndmask_b32_e64 v60, 0, 1, s[4:5]
	v_cmp_gt_u32_e32 vcc, s56, v22
	v_cmp_ne_u32_e64 s[4:5], v9, v10
	s_and_b64 s[4:5], vcc, s[4:5]
	v_or_b32_e32 v22, 6, v20
	v_cndmask_b32_e64 v61, 0, 1, s[4:5]
	v_cmp_gt_u32_e32 vcc, s56, v22
	v_cmp_ne_u32_e64 s[4:5], v12, v9
	s_and_b64 s[4:5], vcc, s[4:5]
	v_or_b32_e32 v22, 5, v20
	v_cndmask_b32_e64 v62, 0, 1, s[4:5]
	v_cmp_gt_u32_e32 vcc, s56, v22
	v_cmp_ne_u32_e64 s[4:5], v11, v12
	s_and_b64 s[4:5], vcc, s[4:5]
	v_or_b32_e32 v22, 4, v20
	v_cndmask_b32_e64 v63, 0, 1, s[4:5]
	v_cmp_gt_u32_e32 vcc, s56, v22
	v_cmp_ne_u32_e64 s[4:5], v14, v11
	s_and_b64 s[4:5], vcc, s[4:5]
	v_or_b32_e32 v22, 3, v20
	v_cndmask_b32_e64 v64, 0, 1, s[4:5]
	v_cmp_gt_u32_e32 vcc, s56, v22
	v_cmp_ne_u32_e64 s[4:5], v13, v14
	s_and_b64 s[4:5], vcc, s[4:5]
	v_or_b32_e32 v22, 2, v20
	v_cndmask_b32_e64 v65, 0, 1, s[4:5]
	v_cmp_gt_u32_e32 vcc, s56, v22
	v_cmp_ne_u32_e64 s[4:5], v16, v13
	s_and_b64 s[4:5], vcc, s[4:5]
	v_or_b32_e32 v22, 1, v20
	v_cndmask_b32_e64 v66, 0, 1, s[4:5]
	v_cmp_gt_u32_e32 vcc, s56, v22
	v_cmp_ne_u32_e64 s[4:5], v15, v16
	s_and_b64 s[4:5], vcc, s[4:5]
	v_cndmask_b32_e64 v67, 0, 1, s[4:5]
	v_cmp_gt_u32_e32 vcc, s56, v20
	s_waitcnt lgkmcnt(0)
	v_cmp_ne_u32_e64 s[4:5], v21, v15
	s_and_b64 s[50:51], vcc, s[4:5]
.LBB238_50:
	s_mov_b64 s[52:53], -1
	s_cbranch_execnz .LBB238_59
.LBB238_51:
	s_waitcnt vmcnt(0) lgkmcnt(0)
	v_lshlrev_b32_e32 v21, 2, v0
	s_and_b64 vcc, exec, s[42:43]
	v_cmp_ne_u32_e64 s[4:5], v1, v2
	v_cmp_ne_u32_e64 s[6:7], v4, v1
	;; [unrolled: 1-line block ×15, first 2 shown]
	ds_write_b32 v21, v2
	s_cbranch_vccz .LBB238_55
; %bb.52:
	s_waitcnt lgkmcnt(0)
	s_barrier
                                        ; implicit-def: $sgpr50_sgpr51
	s_and_saveexec_b64 s[54:55], s[2:3]
	s_xor_b64 s[54:55], exec, s[54:55]
	s_cbranch_execz .LBB238_54
; %bb.53:
	v_add_u32_e32 v17, -4, v21
	ds_read_b32 v17, v17
	s_or_b64 s[52:53], s[52:53], exec
	s_waitcnt lgkmcnt(0)
	v_cmp_ne_u32_e64 s[50:51], v17, v15
.LBB238_54:
	s_or_b64 exec, exec, s[54:55]
	v_cndmask_b32_e64 v17, 0, 1, s[4:5]
	v_cndmask_b32_e64 v54, 0, 1, s[6:7]
	v_cndmask_b32_e64 v55, 0, 1, s[8:9]
	v_cndmask_b32_e64 v56, 0, 1, s[10:11]
	v_cndmask_b32_e64 v57, 0, 1, s[12:13]
	v_cndmask_b32_e64 v58, 0, 1, s[14:15]
	v_cndmask_b32_e64 v59, 0, 1, s[16:17]
	v_cndmask_b32_e64 v60, 0, 1, s[18:19]
	v_cndmask_b32_e64 v61, 0, 1, s[20:21]
	v_cndmask_b32_e64 v62, 0, 1, s[22:23]
	v_cndmask_b32_e64 v63, 0, 1, s[24:25]
	v_cndmask_b32_e64 v64, 0, 1, s[26:27]
	v_cndmask_b32_e64 v65, 0, 1, s[28:29]
	v_cndmask_b32_e64 v66, 0, 1, s[30:31]
	v_cndmask_b32_e64 v67, 0, 1, s[34:35]
	s_branch .LBB238_59
.LBB238_55:
                                        ; implicit-def: $sgpr50_sgpr51
                                        ; implicit-def: $vgpr17
                                        ; implicit-def: $vgpr54
                                        ; implicit-def: $vgpr55
                                        ; implicit-def: $vgpr56
                                        ; implicit-def: $vgpr57
                                        ; implicit-def: $vgpr58
                                        ; implicit-def: $vgpr59
                                        ; implicit-def: $vgpr60
                                        ; implicit-def: $vgpr61
                                        ; implicit-def: $vgpr67
                                        ; implicit-def: $vgpr66
                                        ; implicit-def: $vgpr65
                                        ; implicit-def: $vgpr64
                                        ; implicit-def: $vgpr63
                                        ; implicit-def: $vgpr62
	s_cbranch_execz .LBB238_59
; %bb.56:
	v_or_b32_e32 v17, 15, v20
	v_cmp_gt_u32_e32 vcc, s56, v17
	v_cmp_ne_u32_e64 s[4:5], v1, v2
	v_or_b32_e32 v17, 14, v20
	s_and_b64 s[6:7], vcc, s[4:5]
	v_cmp_gt_u32_e32 vcc, s56, v17
	v_cmp_ne_u32_e64 s[4:5], v4, v1
	v_or_b32_e32 v17, 13, v20
	s_and_b64 s[8:9], vcc, s[4:5]
	;; [unrolled: 4-line block ×14, first 2 shown]
	v_cmp_gt_u32_e32 vcc, s56, v17
	v_cmp_ne_u32_e64 s[4:5], v15, v16
	s_and_b64 s[4:5], vcc, s[4:5]
	s_waitcnt lgkmcnt(0)
	s_barrier
                                        ; implicit-def: $sgpr50_sgpr51
	s_and_saveexec_b64 s[54:55], s[2:3]
	s_cbranch_execz .LBB238_58
; %bb.57:
	v_add_u32_e32 v17, -4, v21
	ds_read_b32 v17, v17
	v_cmp_gt_u32_e32 vcc, s56, v20
	s_or_b64 s[52:53], s[52:53], exec
	s_waitcnt lgkmcnt(0)
	v_cmp_ne_u32_e64 s[2:3], v17, v15
	s_and_b64 s[50:51], vcc, s[2:3]
.LBB238_58:
	s_or_b64 exec, exec, s[54:55]
	v_cndmask_b32_e64 v17, 0, 1, s[6:7]
	v_cndmask_b32_e64 v54, 0, 1, s[8:9]
	;; [unrolled: 1-line block ×15, first 2 shown]
.LBB238_59:
	v_mov_b32_e32 v31, 1
	s_and_saveexec_b64 s[2:3], s[52:53]
; %bb.60:
	v_cndmask_b32_e64 v31, 0, 1, s[50:51]
; %bb.61:
	s_or_b64 exec, exec, s[2:3]
	s_andn2_b64 vcc, exec, s[46:47]
	s_cbranch_vccnz .LBB238_63
; %bb.62:
	v_cmp_gt_u32_e32 vcc, s56, v20
	s_waitcnt vmcnt(0) lgkmcnt(0)
	v_or_b32_e32 v21, 1, v20
	v_cndmask_b32_e32 v31, 0, v31, vcc
	v_cmp_gt_u32_e32 vcc, s56, v21
	v_or_b32_e32 v21, 2, v20
	v_cndmask_b32_e32 v67, 0, v67, vcc
	v_cmp_gt_u32_e32 vcc, s56, v21
	;; [unrolled: 3-line block ×15, first 2 shown]
	v_cndmask_b32_e32 v17, 0, v17, vcc
.LBB238_63:
	v_and_b32_e32 v40, 0xff, v65
	v_and_b32_e32 v42, 0xff, v64
	s_waitcnt vmcnt(0) lgkmcnt(0)
	v_add_u32_sdwa v21, v63, v62 dst_sel:DWORD dst_unused:UNUSED_PAD src0_sel:BYTE_0 src1_sel:BYTE_0
	v_and_b32_e32 v36, 0xff, v67
	v_and_b32_e32 v38, 0xff, v66
	v_add3_u32 v21, v21, v42, v40
	v_and_b32_e32 v34, 0xffff, v31
	v_and_b32_e32 v30, 0xff, v61
	v_add3_u32 v21, v21, v38, v36
	;; [unrolled: 3-line block ×6, first 2 shown]
	v_add3_u32 v47, v21, v43, v20
	v_mbcnt_lo_u32_b32 v20, -1, 0
	v_mbcnt_hi_u32_b32 v44, -1, v20
	v_and_b32_e32 v20, 15, v44
	v_cmp_eq_u32_e64 s[14:15], 0, v20
	v_cmp_lt_u32_e64 s[12:13], 1, v20
	v_cmp_lt_u32_e64 s[10:11], 3, v20
	;; [unrolled: 1-line block ×3, first 2 shown]
	v_and_b32_e32 v20, 16, v44
	v_cmp_eq_u32_e64 s[6:7], 0, v20
	v_or_b32_e32 v20, 63, v0
	v_cmp_lt_u32_e64 s[2:3], 31, v44
	v_lshrrev_b32_e32 v45, 6, v0
	v_cmp_eq_u32_e64 s[4:5], v0, v20
	s_and_b64 vcc, exec, s[48:49]
	s_barrier
	s_cbranch_vccz .LBB238_85
; %bb.64:
	v_mov_b32_dpp v20, v47 row_shr:1 row_mask:0xf bank_mask:0xf
	v_cndmask_b32_e64 v20, v20, 0, s[14:15]
	v_add_u32_e32 v20, v20, v47
	s_nop 1
	v_mov_b32_dpp v21, v20 row_shr:2 row_mask:0xf bank_mask:0xf
	v_cndmask_b32_e64 v21, 0, v21, s[12:13]
	v_add_u32_e32 v20, v20, v21
	s_nop 1
	;; [unrolled: 4-line block ×4, first 2 shown]
	v_mov_b32_dpp v21, v20 row_bcast:15 row_mask:0xf bank_mask:0xf
	v_cndmask_b32_e64 v21, v21, 0, s[6:7]
	v_add_u32_e32 v20, v20, v21
	s_nop 1
	v_mov_b32_dpp v21, v20 row_bcast:31 row_mask:0xf bank_mask:0xf
	v_cndmask_b32_e64 v21, 0, v21, s[2:3]
	v_add_u32_e32 v20, v20, v21
	s_and_saveexec_b64 s[16:17], s[4:5]
; %bb.65:
	v_lshlrev_b32_e32 v21, 2, v45
	ds_write_b32 v21, v20
; %bb.66:
	s_or_b64 exec, exec, s[16:17]
	v_cmp_gt_u32_e32 vcc, 4, v0
	s_waitcnt lgkmcnt(0)
	s_barrier
	s_and_saveexec_b64 s[16:17], vcc
	s_cbranch_execz .LBB238_68
; %bb.67:
	v_lshlrev_b32_e32 v21, 2, v0
	ds_read_b32 v22, v21
	v_and_b32_e32 v23, 3, v44
	v_cmp_ne_u32_e32 vcc, 0, v23
	s_waitcnt lgkmcnt(0)
	v_mov_b32_dpp v24, v22 row_shr:1 row_mask:0xf bank_mask:0xf
	v_cndmask_b32_e32 v24, 0, v24, vcc
	v_add_u32_e32 v22, v24, v22
	v_cmp_lt_u32_e32 vcc, 1, v23
	s_nop 0
	v_mov_b32_dpp v24, v22 row_shr:2 row_mask:0xf bank_mask:0xf
	v_cndmask_b32_e32 v23, 0, v24, vcc
	v_add_u32_e32 v22, v22, v23
	ds_write_b32 v21, v22
.LBB238_68:
	s_or_b64 exec, exec, s[16:17]
	v_cmp_gt_u32_e32 vcc, 64, v0
	v_cmp_lt_u32_e64 s[16:17], 63, v0
	s_waitcnt lgkmcnt(0)
	s_barrier
                                        ; implicit-def: $vgpr46
	s_and_saveexec_b64 s[18:19], s[16:17]
	s_cbranch_execz .LBB238_70
; %bb.69:
	v_lshl_add_u32 v21, v45, 2, -4
	ds_read_b32 v46, v21
	s_waitcnt lgkmcnt(0)
	v_add_u32_e32 v20, v46, v20
.LBB238_70:
	s_or_b64 exec, exec, s[18:19]
	v_subrev_co_u32_e64 v21, s[16:17], 1, v44
	v_and_b32_e32 v22, 64, v44
	v_cmp_lt_i32_e64 s[18:19], v21, v22
	v_cndmask_b32_e64 v21, v21, v44, s[18:19]
	v_lshlrev_b32_e32 v21, 2, v21
	ds_bpermute_b32 v48, v21, v20
	s_and_saveexec_b64 s[18:19], vcc
	s_cbranch_execz .LBB238_90
; %bb.71:
	v_mov_b32_e32 v26, 0
	ds_read_b32 v20, v26 offset:12
	s_and_saveexec_b64 s[20:21], s[16:17]
	s_cbranch_execz .LBB238_73
; %bb.72:
	s_add_i32 s22, s33, 64
	s_mov_b32 s23, 0
	s_lshl_b64 s[22:23], s[22:23], 3
	s_add_u32 s22, s44, s22
	v_mov_b32_e32 v21, 1
	s_addc_u32 s23, s45, s23
	s_waitcnt lgkmcnt(0)
	global_store_dwordx2 v26, v[20:21], s[22:23]
.LBB238_73:
	s_or_b64 exec, exec, s[20:21]
	v_xad_u32 v22, v44, -1, s33
	v_add_u32_e32 v25, 64, v22
	v_lshlrev_b64 v[23:24], 3, v[25:26]
	v_mov_b32_e32 v21, s45
	v_add_co_u32_e32 v27, vcc, s44, v23
	v_addc_co_u32_e32 v28, vcc, v21, v24, vcc
	global_load_dwordx2 v[24:25], v[27:28], off glc
	s_waitcnt vmcnt(0)
	v_cmp_eq_u16_sdwa s[22:23], v25, v26 src0_sel:BYTE_0 src1_sel:DWORD
	s_and_saveexec_b64 s[20:21], s[22:23]
	s_cbranch_execz .LBB238_77
; %bb.74:
	s_mov_b64 s[22:23], 0
	v_mov_b32_e32 v21, 0
.LBB238_75:                             ; =>This Inner Loop Header: Depth=1
	global_load_dwordx2 v[24:25], v[27:28], off glc
	s_waitcnt vmcnt(0)
	v_cmp_ne_u16_sdwa s[24:25], v25, v21 src0_sel:BYTE_0 src1_sel:DWORD
	s_or_b64 s[22:23], s[24:25], s[22:23]
	s_andn2_b64 exec, exec, s[22:23]
	s_cbranch_execnz .LBB238_75
; %bb.76:
	s_or_b64 exec, exec, s[22:23]
.LBB238_77:
	s_or_b64 exec, exec, s[20:21]
	v_and_b32_e32 v50, 63, v44
	v_mov_b32_e32 v49, 2
	v_lshlrev_b64 v[26:27], v44, -1
	v_cmp_ne_u32_e32 vcc, 63, v50
	v_cmp_eq_u16_sdwa s[20:21], v25, v49 src0_sel:BYTE_0 src1_sel:DWORD
	v_addc_co_u32_e32 v28, vcc, 0, v44, vcc
	v_and_b32_e32 v21, s21, v27
	v_lshlrev_b32_e32 v51, 2, v28
	v_or_b32_e32 v21, 0x80000000, v21
	ds_bpermute_b32 v28, v51, v24
	v_and_b32_e32 v23, s20, v26
	v_ffbl_b32_e32 v21, v21
	v_add_u32_e32 v21, 32, v21
	v_ffbl_b32_e32 v23, v23
	v_min_u32_e32 v21, v23, v21
	v_cmp_lt_u32_e32 vcc, v50, v21
	s_waitcnt lgkmcnt(0)
	v_cndmask_b32_e32 v23, 0, v28, vcc
	v_cmp_gt_u32_e32 vcc, 62, v50
	v_add_u32_e32 v23, v23, v24
	v_cndmask_b32_e64 v24, 0, 2, vcc
	v_add_lshl_u32 v52, v24, v44, 2
	ds_bpermute_b32 v24, v52, v23
	v_add_u32_e32 v53, 2, v50
	v_cmp_le_u32_e32 vcc, v53, v21
	v_add_u32_e32 v69, 4, v50
	v_add_u32_e32 v71, 8, v50
	s_waitcnt lgkmcnt(0)
	v_cndmask_b32_e32 v24, 0, v24, vcc
	v_cmp_gt_u32_e32 vcc, 60, v50
	v_add_u32_e32 v23, v23, v24
	v_cndmask_b32_e64 v24, 0, 4, vcc
	v_add_lshl_u32 v68, v24, v44, 2
	ds_bpermute_b32 v24, v68, v23
	v_cmp_le_u32_e32 vcc, v69, v21
	v_add_u32_e32 v73, 16, v50
	v_add_u32_e32 v75, 32, v50
	s_waitcnt lgkmcnt(0)
	v_cndmask_b32_e32 v24, 0, v24, vcc
	v_cmp_gt_u32_e32 vcc, 56, v50
	v_add_u32_e32 v23, v23, v24
	v_cndmask_b32_e64 v24, 0, 8, vcc
	v_add_lshl_u32 v70, v24, v44, 2
	ds_bpermute_b32 v24, v70, v23
	v_cmp_le_u32_e32 vcc, v71, v21
	s_waitcnt lgkmcnt(0)
	v_cndmask_b32_e32 v24, 0, v24, vcc
	v_cmp_gt_u32_e32 vcc, 48, v50
	v_add_u32_e32 v23, v23, v24
	v_cndmask_b32_e64 v24, 0, 16, vcc
	v_add_lshl_u32 v72, v24, v44, 2
	ds_bpermute_b32 v24, v72, v23
	v_cmp_le_u32_e32 vcc, v73, v21
	s_waitcnt lgkmcnt(0)
	v_cndmask_b32_e32 v24, 0, v24, vcc
	v_add_u32_e32 v23, v23, v24
	v_mov_b32_e32 v24, 0x80
	v_lshl_or_b32 v74, v44, 2, v24
	ds_bpermute_b32 v24, v74, v23
	v_cmp_le_u32_e32 vcc, v75, v21
	s_waitcnt lgkmcnt(0)
	v_cndmask_b32_e32 v21, 0, v24, vcc
	v_add_u32_e32 v24, v23, v21
	v_mov_b32_e32 v23, 0
	s_branch .LBB238_80
.LBB238_78:                             ;   in Loop: Header=BB238_80 Depth=1
	s_or_b64 exec, exec, s[20:21]
	v_cmp_eq_u16_sdwa s[20:21], v25, v49 src0_sel:BYTE_0 src1_sel:DWORD
	v_and_b32_e32 v28, s21, v27
	v_or_b32_e32 v28, 0x80000000, v28
	ds_bpermute_b32 v76, v51, v24
	v_and_b32_e32 v29, s20, v26
	v_ffbl_b32_e32 v28, v28
	v_add_u32_e32 v28, 32, v28
	v_ffbl_b32_e32 v29, v29
	v_min_u32_e32 v28, v29, v28
	v_cmp_lt_u32_e32 vcc, v50, v28
	s_waitcnt lgkmcnt(0)
	v_cndmask_b32_e32 v29, 0, v76, vcc
	v_add_u32_e32 v24, v29, v24
	ds_bpermute_b32 v29, v52, v24
	v_cmp_le_u32_e32 vcc, v53, v28
	v_subrev_u32_e32 v22, 64, v22
	s_mov_b64 s[20:21], 0
	s_waitcnt lgkmcnt(0)
	v_cndmask_b32_e32 v29, 0, v29, vcc
	v_add_u32_e32 v24, v24, v29
	ds_bpermute_b32 v29, v68, v24
	v_cmp_le_u32_e32 vcc, v69, v28
	s_waitcnt lgkmcnt(0)
	v_cndmask_b32_e32 v29, 0, v29, vcc
	v_add_u32_e32 v24, v24, v29
	ds_bpermute_b32 v29, v70, v24
	v_cmp_le_u32_e32 vcc, v71, v28
	;; [unrolled: 5-line block ×4, first 2 shown]
	s_waitcnt lgkmcnt(0)
	v_cndmask_b32_e32 v28, 0, v29, vcc
	v_add3_u32 v24, v28, v21, v24
.LBB238_79:                             ;   in Loop: Header=BB238_80 Depth=1
	s_and_b64 vcc, exec, s[20:21]
	s_cbranch_vccnz .LBB238_86
.LBB238_80:                             ; =>This Loop Header: Depth=1
                                        ;     Child Loop BB238_83 Depth 2
	v_cmp_ne_u16_sdwa s[20:21], v25, v49 src0_sel:BYTE_0 src1_sel:DWORD
	v_mov_b32_e32 v21, v24
	s_cmp_lg_u64 s[20:21], exec
	s_mov_b64 s[20:21], -1
                                        ; implicit-def: $vgpr24
                                        ; implicit-def: $vgpr25
	s_cbranch_scc1 .LBB238_79
; %bb.81:                               ;   in Loop: Header=BB238_80 Depth=1
	v_lshlrev_b64 v[24:25], 3, v[22:23]
	v_mov_b32_e32 v29, s45
	v_add_co_u32_e32 v28, vcc, s44, v24
	v_addc_co_u32_e32 v29, vcc, v29, v25, vcc
	global_load_dwordx2 v[24:25], v[28:29], off glc
	s_waitcnt vmcnt(0)
	v_cmp_eq_u16_sdwa s[22:23], v25, v23 src0_sel:BYTE_0 src1_sel:DWORD
	s_and_saveexec_b64 s[20:21], s[22:23]
	s_cbranch_execz .LBB238_78
; %bb.82:                               ;   in Loop: Header=BB238_80 Depth=1
	s_mov_b64 s[22:23], 0
.LBB238_83:                             ;   Parent Loop BB238_80 Depth=1
                                        ; =>  This Inner Loop Header: Depth=2
	global_load_dwordx2 v[24:25], v[28:29], off glc
	s_waitcnt vmcnt(0)
	v_cmp_ne_u16_sdwa s[24:25], v25, v23 src0_sel:BYTE_0 src1_sel:DWORD
	s_or_b64 s[22:23], s[24:25], s[22:23]
	s_andn2_b64 exec, exec, s[22:23]
	s_cbranch_execnz .LBB238_83
; %bb.84:                               ;   in Loop: Header=BB238_80 Depth=1
	s_or_b64 exec, exec, s[22:23]
	s_branch .LBB238_78
.LBB238_85:
                                        ; implicit-def: $vgpr21
                                        ; implicit-def: $vgpr46
	s_cbranch_execnz .LBB238_91
	s_branch .LBB238_100
.LBB238_86:
	s_and_saveexec_b64 s[20:21], s[16:17]
	s_cbranch_execz .LBB238_88
; %bb.87:
	s_add_i32 s22, s33, 64
	s_mov_b32 s23, 0
	s_lshl_b64 s[22:23], s[22:23], 3
	s_add_u32 s22, s44, s22
	v_add_u32_e32 v22, v21, v20
	v_mov_b32_e32 v23, 2
	s_addc_u32 s23, s45, s23
	v_mov_b32_e32 v24, 0
	global_store_dwordx2 v24, v[22:23], s[22:23]
	ds_write_b64 v24, v[20:21] offset:16896
.LBB238_88:
	s_or_b64 exec, exec, s[20:21]
	s_and_b64 exec, exec, s[0:1]
; %bb.89:
	v_mov_b32_e32 v20, 0
	ds_write_b32 v20, v21 offset:12
.LBB238_90:
	s_or_b64 exec, exec, s[18:19]
	v_mov_b32_e32 v20, 0
	s_waitcnt vmcnt(0) lgkmcnt(0)
	s_barrier
	ds_read_b32 v22, v20 offset:12
	s_waitcnt lgkmcnt(0)
	s_barrier
	ds_read_b64 v[20:21], v20 offset:16896
	v_cndmask_b32_e64 v23, v48, v46, s[16:17]
	v_cndmask_b32_e64 v23, v23, 0, s[0:1]
	v_add_u32_e32 v46, v22, v23
	s_branch .LBB238_100
.LBB238_91:
	s_waitcnt lgkmcnt(0)
	v_mov_b32_dpp v20, v47 row_shr:1 row_mask:0xf bank_mask:0xf
	v_cndmask_b32_e64 v20, v20, 0, s[14:15]
	v_add_u32_e32 v20, v20, v47
	s_nop 1
	v_mov_b32_dpp v21, v20 row_shr:2 row_mask:0xf bank_mask:0xf
	v_cndmask_b32_e64 v21, 0, v21, s[12:13]
	v_add_u32_e32 v20, v20, v21
	s_nop 1
	;; [unrolled: 4-line block ×4, first 2 shown]
	v_mov_b32_dpp v21, v20 row_bcast:15 row_mask:0xf bank_mask:0xf
	v_cndmask_b32_e64 v21, v21, 0, s[6:7]
	v_add_u32_e32 v20, v20, v21
	s_nop 1
	v_mov_b32_dpp v21, v20 row_bcast:31 row_mask:0xf bank_mask:0xf
	v_cndmask_b32_e64 v21, 0, v21, s[2:3]
	v_add_u32_e32 v20, v20, v21
	s_and_saveexec_b64 s[2:3], s[4:5]
; %bb.92:
	v_lshlrev_b32_e32 v21, 2, v45
	ds_write_b32 v21, v20
; %bb.93:
	s_or_b64 exec, exec, s[2:3]
	v_cmp_gt_u32_e32 vcc, 4, v0
	s_waitcnt lgkmcnt(0)
	s_barrier
	s_and_saveexec_b64 s[2:3], vcc
	s_cbranch_execz .LBB238_95
; %bb.94:
	v_lshlrev_b32_e32 v21, 2, v0
	ds_read_b32 v22, v21
	v_and_b32_e32 v23, 3, v44
	v_cmp_ne_u32_e32 vcc, 0, v23
	s_waitcnt lgkmcnt(0)
	v_mov_b32_dpp v24, v22 row_shr:1 row_mask:0xf bank_mask:0xf
	v_cndmask_b32_e32 v24, 0, v24, vcc
	v_add_u32_e32 v22, v24, v22
	v_cmp_lt_u32_e32 vcc, 1, v23
	s_nop 0
	v_mov_b32_dpp v24, v22 row_shr:2 row_mask:0xf bank_mask:0xf
	v_cndmask_b32_e32 v23, 0, v24, vcc
	v_add_u32_e32 v22, v22, v23
	ds_write_b32 v21, v22
.LBB238_95:
	s_or_b64 exec, exec, s[2:3]
	v_cmp_lt_u32_e32 vcc, 63, v0
	v_mov_b32_e32 v21, 0
	v_mov_b32_e32 v22, 0
	s_waitcnt lgkmcnt(0)
	s_barrier
	s_and_saveexec_b64 s[2:3], vcc
; %bb.96:
	v_lshl_add_u32 v22, v45, 2, -4
	ds_read_b32 v22, v22
; %bb.97:
	s_or_b64 exec, exec, s[2:3]
	v_subrev_co_u32_e32 v23, vcc, 1, v44
	v_and_b32_e32 v24, 64, v44
	v_cmp_lt_i32_e64 s[2:3], v23, v24
	v_cndmask_b32_e64 v23, v23, v44, s[2:3]
	s_waitcnt lgkmcnt(0)
	v_add_u32_e32 v20, v22, v20
	v_lshlrev_b32_e32 v23, 2, v23
	ds_bpermute_b32 v23, v23, v20
	ds_read_b32 v20, v21 offset:12
	s_and_saveexec_b64 s[2:3], s[0:1]
	s_cbranch_execz .LBB238_99
; %bb.98:
	v_mov_b32_e32 v24, 0
	v_mov_b32_e32 v21, 2
	s_waitcnt lgkmcnt(0)
	global_store_dwordx2 v24, v[20:21], s[44:45] offset:512
.LBB238_99:
	s_or_b64 exec, exec, s[2:3]
	s_waitcnt lgkmcnt(1)
	v_cndmask_b32_e32 v21, v23, v22, vcc
	v_cndmask_b32_e64 v46, v21, 0, s[0:1]
	s_waitcnt vmcnt(0) lgkmcnt(0)
	s_barrier
	v_mov_b32_e32 v21, 0
.LBB238_100:
	v_add_u32_e32 v52, v46, v34
	v_add_u32_e32 v50, v52, v36
	;; [unrolled: 1-line block ×5, first 2 shown]
	v_add_u32_sdwa v40, v42, v63 dst_sel:DWORD dst_unused:UNUSED_PAD src0_sel:DWORD src1_sel:BYTE_0
	v_add_u32_sdwa v38, v40, v62 dst_sel:DWORD dst_unused:UNUSED_PAD src0_sel:DWORD src1_sel:BYTE_0
	v_add_u32_e32 v36, v38, v30
	v_add_u32_e32 v34, v36, v32
	;; [unrolled: 1-line block ×6, first 2 shown]
	s_movk_i32 s4, 0x101
	v_add_u32_e32 v24, v26, v41
	s_waitcnt lgkmcnt(0)
	v_cmp_gt_u32_e32 vcc, s4, v20
	v_add_u32_e32 v22, v24, v43
	s_mov_b64 s[2:3], -1
	v_and_b32_e32 v68, 1, v31
	s_cbranch_vccnz .LBB238_104
; %bb.101:
	s_and_b64 vcc, exec, s[2:3]
	s_cbranch_vccnz .LBB238_137
.LBB238_102:
	s_and_b64 s[0:1], s[0:1], s[38:39]
	s_and_saveexec_b64 s[2:3], s[0:1]
	s_cbranch_execnz .LBB238_173
.LBB238_103:
	s_endpgm
.LBB238_104:
	v_lshlrev_b64 v[69:70], 2, v[18:19]
	v_mov_b32_e32 v25, s41
	v_add_co_u32_e32 v69, vcc, s40, v69
	v_add_u32_e32 v23, v21, v20
	v_addc_co_u32_e32 v70, vcc, v25, v70, vcc
	v_cmp_lt_u32_e32 vcc, v46, v23
	s_or_b64 s[2:3], s[42:43], vcc
	v_cmp_eq_u32_e32 vcc, 1, v68
	s_and_b64 s[4:5], s[2:3], vcc
	s_and_saveexec_b64 s[2:3], s[4:5]
	s_cbranch_execz .LBB238_106
; %bb.105:
	v_mov_b32_e32 v47, 0
	v_lshlrev_b64 v[71:72], 2, v[46:47]
	v_add_co_u32_e32 v71, vcc, v69, v71
	v_addc_co_u32_e32 v72, vcc, v70, v72, vcc
	global_store_dword v[71:72], v15, off
.LBB238_106:
	s_or_b64 exec, exec, s[2:3]
	v_cmp_lt_u32_e32 vcc, v52, v23
	v_and_b32_e32 v25, 1, v67
	s_or_b64 s[2:3], s[42:43], vcc
	v_cmp_eq_u32_e32 vcc, 1, v25
	s_and_b64 s[4:5], s[2:3], vcc
	s_and_saveexec_b64 s[2:3], s[4:5]
	s_cbranch_execz .LBB238_108
; %bb.107:
	v_mov_b32_e32 v53, 0
	v_lshlrev_b64 v[71:72], 2, v[52:53]
	v_add_co_u32_e32 v71, vcc, v69, v71
	v_addc_co_u32_e32 v72, vcc, v70, v72, vcc
	global_store_dword v[71:72], v16, off
.LBB238_108:
	s_or_b64 exec, exec, s[2:3]
	v_cmp_lt_u32_e32 vcc, v50, v23
	v_and_b32_e32 v25, 1, v66
	;; [unrolled: 15-line block ×15, first 2 shown]
	s_or_b64 s[2:3], s[42:43], vcc
	v_cmp_eq_u32_e32 vcc, 1, v23
	s_and_b64 s[4:5], s[2:3], vcc
	s_and_saveexec_b64 s[2:3], s[4:5]
	s_cbranch_execz .LBB238_136
; %bb.135:
	v_mov_b32_e32 v23, 0
	v_lshlrev_b64 v[71:72], 2, v[22:23]
	v_add_co_u32_e32 v69, vcc, v69, v71
	v_addc_co_u32_e32 v70, vcc, v70, v72, vcc
	global_store_dword v[69:70], v2, off
.LBB238_136:
	s_or_b64 exec, exec, s[2:3]
	s_branch .LBB238_102
.LBB238_137:
	v_cmp_eq_u32_e32 vcc, 1, v68
	s_and_saveexec_b64 s[2:3], vcc
; %bb.138:
	v_sub_u32_e32 v23, v46, v21
	v_lshlrev_b32_e32 v23, 2, v23
	ds_write_b32 v23, v15
; %bb.139:
	s_or_b64 exec, exec, s[2:3]
	v_and_b32_e32 v15, 1, v67
	v_cmp_eq_u32_e32 vcc, 1, v15
	s_and_saveexec_b64 s[2:3], vcc
; %bb.140:
	v_sub_u32_e32 v15, v52, v21
	v_lshlrev_b32_e32 v15, 2, v15
	ds_write_b32 v15, v16
; %bb.141:
	s_or_b64 exec, exec, s[2:3]
	v_and_b32_e32 v15, 1, v66
	;; [unrolled: 9-line block ×15, first 2 shown]
	v_cmp_eq_u32_e32 vcc, 1, v1
	s_and_saveexec_b64 s[2:3], vcc
; %bb.168:
	v_sub_u32_e32 v1, v22, v21
	v_lshlrev_b32_e32 v1, 2, v1
	ds_write_b32 v1, v2
; %bb.169:
	s_or_b64 exec, exec, s[2:3]
	v_cmp_lt_u32_e32 vcc, v0, v20
	s_waitcnt vmcnt(0) lgkmcnt(0)
	s_barrier
	s_and_saveexec_b64 s[4:5], vcc
	s_cbranch_execz .LBB238_172
; %bb.170:
	v_mov_b32_e32 v1, 0
	v_lshlrev_b64 v[4:5], 2, v[18:19]
	v_mov_b32_e32 v2, v21
	v_mov_b32_e32 v3, v1
	;; [unrolled: 1-line block ×3, first 2 shown]
	v_add_co_u32_e32 v4, vcc, s40, v4
	v_lshlrev_b64 v[2:3], 2, v[2:3]
	v_addc_co_u32_e32 v5, vcc, v6, v5, vcc
	v_add_co_u32_e32 v2, vcc, v4, v2
	v_addc_co_u32_e32 v3, vcc, v5, v3, vcc
	v_lshlrev_b32_e32 v4, 2, v0
	s_mov_b64 s[6:7], 0
.LBB238_171:                            ; =>This Inner Loop Header: Depth=1
	ds_read_b32 v7, v4
	v_lshlrev_b64 v[5:6], 2, v[0:1]
	v_add_u32_e32 v0, 0x100, v0
	v_cmp_ge_u32_e32 vcc, v0, v20
	v_add_co_u32_e64 v5, s[2:3], v2, v5
	v_add_u32_e32 v4, 0x400, v4
	v_addc_co_u32_e64 v6, s[2:3], v3, v6, s[2:3]
	s_or_b64 s[6:7], vcc, s[6:7]
	s_waitcnt lgkmcnt(0)
	global_store_dword v[5:6], v7, off
	s_andn2_b64 exec, exec, s[6:7]
	s_cbranch_execnz .LBB238_171
.LBB238_172:
	s_or_b64 exec, exec, s[4:5]
	s_and_b64 s[0:1], s[0:1], s[38:39]
	s_and_saveexec_b64 s[2:3], s[0:1]
	s_cbranch_execz .LBB238_103
.LBB238_173:
	v_add_co_u32_e32 v0, vcc, v18, v20
	v_addc_co_u32_e32 v1, vcc, 0, v19, vcc
	v_add_co_u32_e32 v0, vcc, v0, v21
	v_mov_b32_e32 v2, 0
	v_addc_co_u32_e32 v1, vcc, 0, v1, vcc
	global_store_dwordx2 v2, v[0:1], s[36:37]
	s_endpgm
	.section	.rodata,"a",@progbits
	.p2align	6, 0x0
	.amdhsa_kernel _ZN7rocprim17ROCPRIM_400000_NS6detail17trampoline_kernelINS0_14default_configENS1_25partition_config_selectorILNS1_17partition_subalgoE8EjNS0_10empty_typeEbEEZZNS1_14partition_implILS5_8ELb0ES3_jN6thrust23THRUST_200600_302600_NS6detail15normal_iteratorINSA_10device_ptrIjEEEEPS6_PKS6_NS0_5tupleIJSF_S6_EEENSJ_IJSG_SG_EEENS0_18inequality_wrapperINSA_8equal_toIjEEEEPmJS6_EEE10hipError_tPvRmT3_T4_T5_T6_T7_T9_mT8_P12ihipStream_tbDpT10_ENKUlT_T0_E_clISt17integral_constantIbLb0EES19_IbLb1EEEEDaS15_S16_EUlS15_E_NS1_11comp_targetILNS1_3genE2ELNS1_11target_archE906ELNS1_3gpuE6ELNS1_3repE0EEENS1_30default_config_static_selectorELNS0_4arch9wavefront6targetE1EEEvT1_
		.amdhsa_group_segment_fixed_size 16904
		.amdhsa_private_segment_fixed_size 0
		.amdhsa_kernarg_size 128
		.amdhsa_user_sgpr_count 6
		.amdhsa_user_sgpr_private_segment_buffer 1
		.amdhsa_user_sgpr_dispatch_ptr 0
		.amdhsa_user_sgpr_queue_ptr 0
		.amdhsa_user_sgpr_kernarg_segment_ptr 1
		.amdhsa_user_sgpr_dispatch_id 0
		.amdhsa_user_sgpr_flat_scratch_init 0
		.amdhsa_user_sgpr_private_segment_size 0
		.amdhsa_uses_dynamic_stack 0
		.amdhsa_system_sgpr_private_segment_wavefront_offset 0
		.amdhsa_system_sgpr_workgroup_id_x 1
		.amdhsa_system_sgpr_workgroup_id_y 0
		.amdhsa_system_sgpr_workgroup_id_z 0
		.amdhsa_system_sgpr_workgroup_info 0
		.amdhsa_system_vgpr_workitem_id 0
		.amdhsa_next_free_vgpr 77
		.amdhsa_next_free_sgpr 98
		.amdhsa_reserve_vcc 1
		.amdhsa_reserve_flat_scratch 0
		.amdhsa_float_round_mode_32 0
		.amdhsa_float_round_mode_16_64 0
		.amdhsa_float_denorm_mode_32 3
		.amdhsa_float_denorm_mode_16_64 3
		.amdhsa_dx10_clamp 1
		.amdhsa_ieee_mode 1
		.amdhsa_fp16_overflow 0
		.amdhsa_exception_fp_ieee_invalid_op 0
		.amdhsa_exception_fp_denorm_src 0
		.amdhsa_exception_fp_ieee_div_zero 0
		.amdhsa_exception_fp_ieee_overflow 0
		.amdhsa_exception_fp_ieee_underflow 0
		.amdhsa_exception_fp_ieee_inexact 0
		.amdhsa_exception_int_div_zero 0
	.end_amdhsa_kernel
	.section	.text._ZN7rocprim17ROCPRIM_400000_NS6detail17trampoline_kernelINS0_14default_configENS1_25partition_config_selectorILNS1_17partition_subalgoE8EjNS0_10empty_typeEbEEZZNS1_14partition_implILS5_8ELb0ES3_jN6thrust23THRUST_200600_302600_NS6detail15normal_iteratorINSA_10device_ptrIjEEEEPS6_PKS6_NS0_5tupleIJSF_S6_EEENSJ_IJSG_SG_EEENS0_18inequality_wrapperINSA_8equal_toIjEEEEPmJS6_EEE10hipError_tPvRmT3_T4_T5_T6_T7_T9_mT8_P12ihipStream_tbDpT10_ENKUlT_T0_E_clISt17integral_constantIbLb0EES19_IbLb1EEEEDaS15_S16_EUlS15_E_NS1_11comp_targetILNS1_3genE2ELNS1_11target_archE906ELNS1_3gpuE6ELNS1_3repE0EEENS1_30default_config_static_selectorELNS0_4arch9wavefront6targetE1EEEvT1_,"axG",@progbits,_ZN7rocprim17ROCPRIM_400000_NS6detail17trampoline_kernelINS0_14default_configENS1_25partition_config_selectorILNS1_17partition_subalgoE8EjNS0_10empty_typeEbEEZZNS1_14partition_implILS5_8ELb0ES3_jN6thrust23THRUST_200600_302600_NS6detail15normal_iteratorINSA_10device_ptrIjEEEEPS6_PKS6_NS0_5tupleIJSF_S6_EEENSJ_IJSG_SG_EEENS0_18inequality_wrapperINSA_8equal_toIjEEEEPmJS6_EEE10hipError_tPvRmT3_T4_T5_T6_T7_T9_mT8_P12ihipStream_tbDpT10_ENKUlT_T0_E_clISt17integral_constantIbLb0EES19_IbLb1EEEEDaS15_S16_EUlS15_E_NS1_11comp_targetILNS1_3genE2ELNS1_11target_archE906ELNS1_3gpuE6ELNS1_3repE0EEENS1_30default_config_static_selectorELNS0_4arch9wavefront6targetE1EEEvT1_,comdat
.Lfunc_end238:
	.size	_ZN7rocprim17ROCPRIM_400000_NS6detail17trampoline_kernelINS0_14default_configENS1_25partition_config_selectorILNS1_17partition_subalgoE8EjNS0_10empty_typeEbEEZZNS1_14partition_implILS5_8ELb0ES3_jN6thrust23THRUST_200600_302600_NS6detail15normal_iteratorINSA_10device_ptrIjEEEEPS6_PKS6_NS0_5tupleIJSF_S6_EEENSJ_IJSG_SG_EEENS0_18inequality_wrapperINSA_8equal_toIjEEEEPmJS6_EEE10hipError_tPvRmT3_T4_T5_T6_T7_T9_mT8_P12ihipStream_tbDpT10_ENKUlT_T0_E_clISt17integral_constantIbLb0EES19_IbLb1EEEEDaS15_S16_EUlS15_E_NS1_11comp_targetILNS1_3genE2ELNS1_11target_archE906ELNS1_3gpuE6ELNS1_3repE0EEENS1_30default_config_static_selectorELNS0_4arch9wavefront6targetE1EEEvT1_, .Lfunc_end238-_ZN7rocprim17ROCPRIM_400000_NS6detail17trampoline_kernelINS0_14default_configENS1_25partition_config_selectorILNS1_17partition_subalgoE8EjNS0_10empty_typeEbEEZZNS1_14partition_implILS5_8ELb0ES3_jN6thrust23THRUST_200600_302600_NS6detail15normal_iteratorINSA_10device_ptrIjEEEEPS6_PKS6_NS0_5tupleIJSF_S6_EEENSJ_IJSG_SG_EEENS0_18inequality_wrapperINSA_8equal_toIjEEEEPmJS6_EEE10hipError_tPvRmT3_T4_T5_T6_T7_T9_mT8_P12ihipStream_tbDpT10_ENKUlT_T0_E_clISt17integral_constantIbLb0EES19_IbLb1EEEEDaS15_S16_EUlS15_E_NS1_11comp_targetILNS1_3genE2ELNS1_11target_archE906ELNS1_3gpuE6ELNS1_3repE0EEENS1_30default_config_static_selectorELNS0_4arch9wavefront6targetE1EEEvT1_
                                        ; -- End function
	.set _ZN7rocprim17ROCPRIM_400000_NS6detail17trampoline_kernelINS0_14default_configENS1_25partition_config_selectorILNS1_17partition_subalgoE8EjNS0_10empty_typeEbEEZZNS1_14partition_implILS5_8ELb0ES3_jN6thrust23THRUST_200600_302600_NS6detail15normal_iteratorINSA_10device_ptrIjEEEEPS6_PKS6_NS0_5tupleIJSF_S6_EEENSJ_IJSG_SG_EEENS0_18inequality_wrapperINSA_8equal_toIjEEEEPmJS6_EEE10hipError_tPvRmT3_T4_T5_T6_T7_T9_mT8_P12ihipStream_tbDpT10_ENKUlT_T0_E_clISt17integral_constantIbLb0EES19_IbLb1EEEEDaS15_S16_EUlS15_E_NS1_11comp_targetILNS1_3genE2ELNS1_11target_archE906ELNS1_3gpuE6ELNS1_3repE0EEENS1_30default_config_static_selectorELNS0_4arch9wavefront6targetE1EEEvT1_.num_vgpr, 77
	.set _ZN7rocprim17ROCPRIM_400000_NS6detail17trampoline_kernelINS0_14default_configENS1_25partition_config_selectorILNS1_17partition_subalgoE8EjNS0_10empty_typeEbEEZZNS1_14partition_implILS5_8ELb0ES3_jN6thrust23THRUST_200600_302600_NS6detail15normal_iteratorINSA_10device_ptrIjEEEEPS6_PKS6_NS0_5tupleIJSF_S6_EEENSJ_IJSG_SG_EEENS0_18inequality_wrapperINSA_8equal_toIjEEEEPmJS6_EEE10hipError_tPvRmT3_T4_T5_T6_T7_T9_mT8_P12ihipStream_tbDpT10_ENKUlT_T0_E_clISt17integral_constantIbLb0EES19_IbLb1EEEEDaS15_S16_EUlS15_E_NS1_11comp_targetILNS1_3genE2ELNS1_11target_archE906ELNS1_3gpuE6ELNS1_3repE0EEENS1_30default_config_static_selectorELNS0_4arch9wavefront6targetE1EEEvT1_.num_agpr, 0
	.set _ZN7rocprim17ROCPRIM_400000_NS6detail17trampoline_kernelINS0_14default_configENS1_25partition_config_selectorILNS1_17partition_subalgoE8EjNS0_10empty_typeEbEEZZNS1_14partition_implILS5_8ELb0ES3_jN6thrust23THRUST_200600_302600_NS6detail15normal_iteratorINSA_10device_ptrIjEEEEPS6_PKS6_NS0_5tupleIJSF_S6_EEENSJ_IJSG_SG_EEENS0_18inequality_wrapperINSA_8equal_toIjEEEEPmJS6_EEE10hipError_tPvRmT3_T4_T5_T6_T7_T9_mT8_P12ihipStream_tbDpT10_ENKUlT_T0_E_clISt17integral_constantIbLb0EES19_IbLb1EEEEDaS15_S16_EUlS15_E_NS1_11comp_targetILNS1_3genE2ELNS1_11target_archE906ELNS1_3gpuE6ELNS1_3repE0EEENS1_30default_config_static_selectorELNS0_4arch9wavefront6targetE1EEEvT1_.numbered_sgpr, 57
	.set _ZN7rocprim17ROCPRIM_400000_NS6detail17trampoline_kernelINS0_14default_configENS1_25partition_config_selectorILNS1_17partition_subalgoE8EjNS0_10empty_typeEbEEZZNS1_14partition_implILS5_8ELb0ES3_jN6thrust23THRUST_200600_302600_NS6detail15normal_iteratorINSA_10device_ptrIjEEEEPS6_PKS6_NS0_5tupleIJSF_S6_EEENSJ_IJSG_SG_EEENS0_18inequality_wrapperINSA_8equal_toIjEEEEPmJS6_EEE10hipError_tPvRmT3_T4_T5_T6_T7_T9_mT8_P12ihipStream_tbDpT10_ENKUlT_T0_E_clISt17integral_constantIbLb0EES19_IbLb1EEEEDaS15_S16_EUlS15_E_NS1_11comp_targetILNS1_3genE2ELNS1_11target_archE906ELNS1_3gpuE6ELNS1_3repE0EEENS1_30default_config_static_selectorELNS0_4arch9wavefront6targetE1EEEvT1_.num_named_barrier, 0
	.set _ZN7rocprim17ROCPRIM_400000_NS6detail17trampoline_kernelINS0_14default_configENS1_25partition_config_selectorILNS1_17partition_subalgoE8EjNS0_10empty_typeEbEEZZNS1_14partition_implILS5_8ELb0ES3_jN6thrust23THRUST_200600_302600_NS6detail15normal_iteratorINSA_10device_ptrIjEEEEPS6_PKS6_NS0_5tupleIJSF_S6_EEENSJ_IJSG_SG_EEENS0_18inequality_wrapperINSA_8equal_toIjEEEEPmJS6_EEE10hipError_tPvRmT3_T4_T5_T6_T7_T9_mT8_P12ihipStream_tbDpT10_ENKUlT_T0_E_clISt17integral_constantIbLb0EES19_IbLb1EEEEDaS15_S16_EUlS15_E_NS1_11comp_targetILNS1_3genE2ELNS1_11target_archE906ELNS1_3gpuE6ELNS1_3repE0EEENS1_30default_config_static_selectorELNS0_4arch9wavefront6targetE1EEEvT1_.private_seg_size, 0
	.set _ZN7rocprim17ROCPRIM_400000_NS6detail17trampoline_kernelINS0_14default_configENS1_25partition_config_selectorILNS1_17partition_subalgoE8EjNS0_10empty_typeEbEEZZNS1_14partition_implILS5_8ELb0ES3_jN6thrust23THRUST_200600_302600_NS6detail15normal_iteratorINSA_10device_ptrIjEEEEPS6_PKS6_NS0_5tupleIJSF_S6_EEENSJ_IJSG_SG_EEENS0_18inequality_wrapperINSA_8equal_toIjEEEEPmJS6_EEE10hipError_tPvRmT3_T4_T5_T6_T7_T9_mT8_P12ihipStream_tbDpT10_ENKUlT_T0_E_clISt17integral_constantIbLb0EES19_IbLb1EEEEDaS15_S16_EUlS15_E_NS1_11comp_targetILNS1_3genE2ELNS1_11target_archE906ELNS1_3gpuE6ELNS1_3repE0EEENS1_30default_config_static_selectorELNS0_4arch9wavefront6targetE1EEEvT1_.uses_vcc, 1
	.set _ZN7rocprim17ROCPRIM_400000_NS6detail17trampoline_kernelINS0_14default_configENS1_25partition_config_selectorILNS1_17partition_subalgoE8EjNS0_10empty_typeEbEEZZNS1_14partition_implILS5_8ELb0ES3_jN6thrust23THRUST_200600_302600_NS6detail15normal_iteratorINSA_10device_ptrIjEEEEPS6_PKS6_NS0_5tupleIJSF_S6_EEENSJ_IJSG_SG_EEENS0_18inequality_wrapperINSA_8equal_toIjEEEEPmJS6_EEE10hipError_tPvRmT3_T4_T5_T6_T7_T9_mT8_P12ihipStream_tbDpT10_ENKUlT_T0_E_clISt17integral_constantIbLb0EES19_IbLb1EEEEDaS15_S16_EUlS15_E_NS1_11comp_targetILNS1_3genE2ELNS1_11target_archE906ELNS1_3gpuE6ELNS1_3repE0EEENS1_30default_config_static_selectorELNS0_4arch9wavefront6targetE1EEEvT1_.uses_flat_scratch, 0
	.set _ZN7rocprim17ROCPRIM_400000_NS6detail17trampoline_kernelINS0_14default_configENS1_25partition_config_selectorILNS1_17partition_subalgoE8EjNS0_10empty_typeEbEEZZNS1_14partition_implILS5_8ELb0ES3_jN6thrust23THRUST_200600_302600_NS6detail15normal_iteratorINSA_10device_ptrIjEEEEPS6_PKS6_NS0_5tupleIJSF_S6_EEENSJ_IJSG_SG_EEENS0_18inequality_wrapperINSA_8equal_toIjEEEEPmJS6_EEE10hipError_tPvRmT3_T4_T5_T6_T7_T9_mT8_P12ihipStream_tbDpT10_ENKUlT_T0_E_clISt17integral_constantIbLb0EES19_IbLb1EEEEDaS15_S16_EUlS15_E_NS1_11comp_targetILNS1_3genE2ELNS1_11target_archE906ELNS1_3gpuE6ELNS1_3repE0EEENS1_30default_config_static_selectorELNS0_4arch9wavefront6targetE1EEEvT1_.has_dyn_sized_stack, 0
	.set _ZN7rocprim17ROCPRIM_400000_NS6detail17trampoline_kernelINS0_14default_configENS1_25partition_config_selectorILNS1_17partition_subalgoE8EjNS0_10empty_typeEbEEZZNS1_14partition_implILS5_8ELb0ES3_jN6thrust23THRUST_200600_302600_NS6detail15normal_iteratorINSA_10device_ptrIjEEEEPS6_PKS6_NS0_5tupleIJSF_S6_EEENSJ_IJSG_SG_EEENS0_18inequality_wrapperINSA_8equal_toIjEEEEPmJS6_EEE10hipError_tPvRmT3_T4_T5_T6_T7_T9_mT8_P12ihipStream_tbDpT10_ENKUlT_T0_E_clISt17integral_constantIbLb0EES19_IbLb1EEEEDaS15_S16_EUlS15_E_NS1_11comp_targetILNS1_3genE2ELNS1_11target_archE906ELNS1_3gpuE6ELNS1_3repE0EEENS1_30default_config_static_selectorELNS0_4arch9wavefront6targetE1EEEvT1_.has_recursion, 0
	.set _ZN7rocprim17ROCPRIM_400000_NS6detail17trampoline_kernelINS0_14default_configENS1_25partition_config_selectorILNS1_17partition_subalgoE8EjNS0_10empty_typeEbEEZZNS1_14partition_implILS5_8ELb0ES3_jN6thrust23THRUST_200600_302600_NS6detail15normal_iteratorINSA_10device_ptrIjEEEEPS6_PKS6_NS0_5tupleIJSF_S6_EEENSJ_IJSG_SG_EEENS0_18inequality_wrapperINSA_8equal_toIjEEEEPmJS6_EEE10hipError_tPvRmT3_T4_T5_T6_T7_T9_mT8_P12ihipStream_tbDpT10_ENKUlT_T0_E_clISt17integral_constantIbLb0EES19_IbLb1EEEEDaS15_S16_EUlS15_E_NS1_11comp_targetILNS1_3genE2ELNS1_11target_archE906ELNS1_3gpuE6ELNS1_3repE0EEENS1_30default_config_static_selectorELNS0_4arch9wavefront6targetE1EEEvT1_.has_indirect_call, 0
	.section	.AMDGPU.csdata,"",@progbits
; Kernel info:
; codeLenInByte = 8020
; TotalNumSgprs: 61
; NumVgprs: 77
; ScratchSize: 0
; MemoryBound: 0
; FloatMode: 240
; IeeeMode: 1
; LDSByteSize: 16904 bytes/workgroup (compile time only)
; SGPRBlocks: 12
; VGPRBlocks: 19
; NumSGPRsForWavesPerEU: 102
; NumVGPRsForWavesPerEU: 77
; Occupancy: 3
; WaveLimiterHint : 1
; COMPUTE_PGM_RSRC2:SCRATCH_EN: 0
; COMPUTE_PGM_RSRC2:USER_SGPR: 6
; COMPUTE_PGM_RSRC2:TRAP_HANDLER: 0
; COMPUTE_PGM_RSRC2:TGID_X_EN: 1
; COMPUTE_PGM_RSRC2:TGID_Y_EN: 0
; COMPUTE_PGM_RSRC2:TGID_Z_EN: 0
; COMPUTE_PGM_RSRC2:TIDIG_COMP_CNT: 0
	.section	.text._ZN7rocprim17ROCPRIM_400000_NS6detail17trampoline_kernelINS0_14default_configENS1_25partition_config_selectorILNS1_17partition_subalgoE8EjNS0_10empty_typeEbEEZZNS1_14partition_implILS5_8ELb0ES3_jN6thrust23THRUST_200600_302600_NS6detail15normal_iteratorINSA_10device_ptrIjEEEEPS6_PKS6_NS0_5tupleIJSF_S6_EEENSJ_IJSG_SG_EEENS0_18inequality_wrapperINSA_8equal_toIjEEEEPmJS6_EEE10hipError_tPvRmT3_T4_T5_T6_T7_T9_mT8_P12ihipStream_tbDpT10_ENKUlT_T0_E_clISt17integral_constantIbLb0EES19_IbLb1EEEEDaS15_S16_EUlS15_E_NS1_11comp_targetILNS1_3genE10ELNS1_11target_archE1200ELNS1_3gpuE4ELNS1_3repE0EEENS1_30default_config_static_selectorELNS0_4arch9wavefront6targetE1EEEvT1_,"axG",@progbits,_ZN7rocprim17ROCPRIM_400000_NS6detail17trampoline_kernelINS0_14default_configENS1_25partition_config_selectorILNS1_17partition_subalgoE8EjNS0_10empty_typeEbEEZZNS1_14partition_implILS5_8ELb0ES3_jN6thrust23THRUST_200600_302600_NS6detail15normal_iteratorINSA_10device_ptrIjEEEEPS6_PKS6_NS0_5tupleIJSF_S6_EEENSJ_IJSG_SG_EEENS0_18inequality_wrapperINSA_8equal_toIjEEEEPmJS6_EEE10hipError_tPvRmT3_T4_T5_T6_T7_T9_mT8_P12ihipStream_tbDpT10_ENKUlT_T0_E_clISt17integral_constantIbLb0EES19_IbLb1EEEEDaS15_S16_EUlS15_E_NS1_11comp_targetILNS1_3genE10ELNS1_11target_archE1200ELNS1_3gpuE4ELNS1_3repE0EEENS1_30default_config_static_selectorELNS0_4arch9wavefront6targetE1EEEvT1_,comdat
	.protected	_ZN7rocprim17ROCPRIM_400000_NS6detail17trampoline_kernelINS0_14default_configENS1_25partition_config_selectorILNS1_17partition_subalgoE8EjNS0_10empty_typeEbEEZZNS1_14partition_implILS5_8ELb0ES3_jN6thrust23THRUST_200600_302600_NS6detail15normal_iteratorINSA_10device_ptrIjEEEEPS6_PKS6_NS0_5tupleIJSF_S6_EEENSJ_IJSG_SG_EEENS0_18inequality_wrapperINSA_8equal_toIjEEEEPmJS6_EEE10hipError_tPvRmT3_T4_T5_T6_T7_T9_mT8_P12ihipStream_tbDpT10_ENKUlT_T0_E_clISt17integral_constantIbLb0EES19_IbLb1EEEEDaS15_S16_EUlS15_E_NS1_11comp_targetILNS1_3genE10ELNS1_11target_archE1200ELNS1_3gpuE4ELNS1_3repE0EEENS1_30default_config_static_selectorELNS0_4arch9wavefront6targetE1EEEvT1_ ; -- Begin function _ZN7rocprim17ROCPRIM_400000_NS6detail17trampoline_kernelINS0_14default_configENS1_25partition_config_selectorILNS1_17partition_subalgoE8EjNS0_10empty_typeEbEEZZNS1_14partition_implILS5_8ELb0ES3_jN6thrust23THRUST_200600_302600_NS6detail15normal_iteratorINSA_10device_ptrIjEEEEPS6_PKS6_NS0_5tupleIJSF_S6_EEENSJ_IJSG_SG_EEENS0_18inequality_wrapperINSA_8equal_toIjEEEEPmJS6_EEE10hipError_tPvRmT3_T4_T5_T6_T7_T9_mT8_P12ihipStream_tbDpT10_ENKUlT_T0_E_clISt17integral_constantIbLb0EES19_IbLb1EEEEDaS15_S16_EUlS15_E_NS1_11comp_targetILNS1_3genE10ELNS1_11target_archE1200ELNS1_3gpuE4ELNS1_3repE0EEENS1_30default_config_static_selectorELNS0_4arch9wavefront6targetE1EEEvT1_
	.globl	_ZN7rocprim17ROCPRIM_400000_NS6detail17trampoline_kernelINS0_14default_configENS1_25partition_config_selectorILNS1_17partition_subalgoE8EjNS0_10empty_typeEbEEZZNS1_14partition_implILS5_8ELb0ES3_jN6thrust23THRUST_200600_302600_NS6detail15normal_iteratorINSA_10device_ptrIjEEEEPS6_PKS6_NS0_5tupleIJSF_S6_EEENSJ_IJSG_SG_EEENS0_18inequality_wrapperINSA_8equal_toIjEEEEPmJS6_EEE10hipError_tPvRmT3_T4_T5_T6_T7_T9_mT8_P12ihipStream_tbDpT10_ENKUlT_T0_E_clISt17integral_constantIbLb0EES19_IbLb1EEEEDaS15_S16_EUlS15_E_NS1_11comp_targetILNS1_3genE10ELNS1_11target_archE1200ELNS1_3gpuE4ELNS1_3repE0EEENS1_30default_config_static_selectorELNS0_4arch9wavefront6targetE1EEEvT1_
	.p2align	8
	.type	_ZN7rocprim17ROCPRIM_400000_NS6detail17trampoline_kernelINS0_14default_configENS1_25partition_config_selectorILNS1_17partition_subalgoE8EjNS0_10empty_typeEbEEZZNS1_14partition_implILS5_8ELb0ES3_jN6thrust23THRUST_200600_302600_NS6detail15normal_iteratorINSA_10device_ptrIjEEEEPS6_PKS6_NS0_5tupleIJSF_S6_EEENSJ_IJSG_SG_EEENS0_18inequality_wrapperINSA_8equal_toIjEEEEPmJS6_EEE10hipError_tPvRmT3_T4_T5_T6_T7_T9_mT8_P12ihipStream_tbDpT10_ENKUlT_T0_E_clISt17integral_constantIbLb0EES19_IbLb1EEEEDaS15_S16_EUlS15_E_NS1_11comp_targetILNS1_3genE10ELNS1_11target_archE1200ELNS1_3gpuE4ELNS1_3repE0EEENS1_30default_config_static_selectorELNS0_4arch9wavefront6targetE1EEEvT1_,@function
_ZN7rocprim17ROCPRIM_400000_NS6detail17trampoline_kernelINS0_14default_configENS1_25partition_config_selectorILNS1_17partition_subalgoE8EjNS0_10empty_typeEbEEZZNS1_14partition_implILS5_8ELb0ES3_jN6thrust23THRUST_200600_302600_NS6detail15normal_iteratorINSA_10device_ptrIjEEEEPS6_PKS6_NS0_5tupleIJSF_S6_EEENSJ_IJSG_SG_EEENS0_18inequality_wrapperINSA_8equal_toIjEEEEPmJS6_EEE10hipError_tPvRmT3_T4_T5_T6_T7_T9_mT8_P12ihipStream_tbDpT10_ENKUlT_T0_E_clISt17integral_constantIbLb0EES19_IbLb1EEEEDaS15_S16_EUlS15_E_NS1_11comp_targetILNS1_3genE10ELNS1_11target_archE1200ELNS1_3gpuE4ELNS1_3repE0EEENS1_30default_config_static_selectorELNS0_4arch9wavefront6targetE1EEEvT1_: ; @_ZN7rocprim17ROCPRIM_400000_NS6detail17trampoline_kernelINS0_14default_configENS1_25partition_config_selectorILNS1_17partition_subalgoE8EjNS0_10empty_typeEbEEZZNS1_14partition_implILS5_8ELb0ES3_jN6thrust23THRUST_200600_302600_NS6detail15normal_iteratorINSA_10device_ptrIjEEEEPS6_PKS6_NS0_5tupleIJSF_S6_EEENSJ_IJSG_SG_EEENS0_18inequality_wrapperINSA_8equal_toIjEEEEPmJS6_EEE10hipError_tPvRmT3_T4_T5_T6_T7_T9_mT8_P12ihipStream_tbDpT10_ENKUlT_T0_E_clISt17integral_constantIbLb0EES19_IbLb1EEEEDaS15_S16_EUlS15_E_NS1_11comp_targetILNS1_3genE10ELNS1_11target_archE1200ELNS1_3gpuE4ELNS1_3repE0EEENS1_30default_config_static_selectorELNS0_4arch9wavefront6targetE1EEEvT1_
; %bb.0:
	.section	.rodata,"a",@progbits
	.p2align	6, 0x0
	.amdhsa_kernel _ZN7rocprim17ROCPRIM_400000_NS6detail17trampoline_kernelINS0_14default_configENS1_25partition_config_selectorILNS1_17partition_subalgoE8EjNS0_10empty_typeEbEEZZNS1_14partition_implILS5_8ELb0ES3_jN6thrust23THRUST_200600_302600_NS6detail15normal_iteratorINSA_10device_ptrIjEEEEPS6_PKS6_NS0_5tupleIJSF_S6_EEENSJ_IJSG_SG_EEENS0_18inequality_wrapperINSA_8equal_toIjEEEEPmJS6_EEE10hipError_tPvRmT3_T4_T5_T6_T7_T9_mT8_P12ihipStream_tbDpT10_ENKUlT_T0_E_clISt17integral_constantIbLb0EES19_IbLb1EEEEDaS15_S16_EUlS15_E_NS1_11comp_targetILNS1_3genE10ELNS1_11target_archE1200ELNS1_3gpuE4ELNS1_3repE0EEENS1_30default_config_static_selectorELNS0_4arch9wavefront6targetE1EEEvT1_
		.amdhsa_group_segment_fixed_size 0
		.amdhsa_private_segment_fixed_size 0
		.amdhsa_kernarg_size 128
		.amdhsa_user_sgpr_count 6
		.amdhsa_user_sgpr_private_segment_buffer 1
		.amdhsa_user_sgpr_dispatch_ptr 0
		.amdhsa_user_sgpr_queue_ptr 0
		.amdhsa_user_sgpr_kernarg_segment_ptr 1
		.amdhsa_user_sgpr_dispatch_id 0
		.amdhsa_user_sgpr_flat_scratch_init 0
		.amdhsa_user_sgpr_private_segment_size 0
		.amdhsa_uses_dynamic_stack 0
		.amdhsa_system_sgpr_private_segment_wavefront_offset 0
		.amdhsa_system_sgpr_workgroup_id_x 1
		.amdhsa_system_sgpr_workgroup_id_y 0
		.amdhsa_system_sgpr_workgroup_id_z 0
		.amdhsa_system_sgpr_workgroup_info 0
		.amdhsa_system_vgpr_workitem_id 0
		.amdhsa_next_free_vgpr 1
		.amdhsa_next_free_sgpr 0
		.amdhsa_reserve_vcc 0
		.amdhsa_reserve_flat_scratch 0
		.amdhsa_float_round_mode_32 0
		.amdhsa_float_round_mode_16_64 0
		.amdhsa_float_denorm_mode_32 3
		.amdhsa_float_denorm_mode_16_64 3
		.amdhsa_dx10_clamp 1
		.amdhsa_ieee_mode 1
		.amdhsa_fp16_overflow 0
		.amdhsa_exception_fp_ieee_invalid_op 0
		.amdhsa_exception_fp_denorm_src 0
		.amdhsa_exception_fp_ieee_div_zero 0
		.amdhsa_exception_fp_ieee_overflow 0
		.amdhsa_exception_fp_ieee_underflow 0
		.amdhsa_exception_fp_ieee_inexact 0
		.amdhsa_exception_int_div_zero 0
	.end_amdhsa_kernel
	.section	.text._ZN7rocprim17ROCPRIM_400000_NS6detail17trampoline_kernelINS0_14default_configENS1_25partition_config_selectorILNS1_17partition_subalgoE8EjNS0_10empty_typeEbEEZZNS1_14partition_implILS5_8ELb0ES3_jN6thrust23THRUST_200600_302600_NS6detail15normal_iteratorINSA_10device_ptrIjEEEEPS6_PKS6_NS0_5tupleIJSF_S6_EEENSJ_IJSG_SG_EEENS0_18inequality_wrapperINSA_8equal_toIjEEEEPmJS6_EEE10hipError_tPvRmT3_T4_T5_T6_T7_T9_mT8_P12ihipStream_tbDpT10_ENKUlT_T0_E_clISt17integral_constantIbLb0EES19_IbLb1EEEEDaS15_S16_EUlS15_E_NS1_11comp_targetILNS1_3genE10ELNS1_11target_archE1200ELNS1_3gpuE4ELNS1_3repE0EEENS1_30default_config_static_selectorELNS0_4arch9wavefront6targetE1EEEvT1_,"axG",@progbits,_ZN7rocprim17ROCPRIM_400000_NS6detail17trampoline_kernelINS0_14default_configENS1_25partition_config_selectorILNS1_17partition_subalgoE8EjNS0_10empty_typeEbEEZZNS1_14partition_implILS5_8ELb0ES3_jN6thrust23THRUST_200600_302600_NS6detail15normal_iteratorINSA_10device_ptrIjEEEEPS6_PKS6_NS0_5tupleIJSF_S6_EEENSJ_IJSG_SG_EEENS0_18inequality_wrapperINSA_8equal_toIjEEEEPmJS6_EEE10hipError_tPvRmT3_T4_T5_T6_T7_T9_mT8_P12ihipStream_tbDpT10_ENKUlT_T0_E_clISt17integral_constantIbLb0EES19_IbLb1EEEEDaS15_S16_EUlS15_E_NS1_11comp_targetILNS1_3genE10ELNS1_11target_archE1200ELNS1_3gpuE4ELNS1_3repE0EEENS1_30default_config_static_selectorELNS0_4arch9wavefront6targetE1EEEvT1_,comdat
.Lfunc_end239:
	.size	_ZN7rocprim17ROCPRIM_400000_NS6detail17trampoline_kernelINS0_14default_configENS1_25partition_config_selectorILNS1_17partition_subalgoE8EjNS0_10empty_typeEbEEZZNS1_14partition_implILS5_8ELb0ES3_jN6thrust23THRUST_200600_302600_NS6detail15normal_iteratorINSA_10device_ptrIjEEEEPS6_PKS6_NS0_5tupleIJSF_S6_EEENSJ_IJSG_SG_EEENS0_18inequality_wrapperINSA_8equal_toIjEEEEPmJS6_EEE10hipError_tPvRmT3_T4_T5_T6_T7_T9_mT8_P12ihipStream_tbDpT10_ENKUlT_T0_E_clISt17integral_constantIbLb0EES19_IbLb1EEEEDaS15_S16_EUlS15_E_NS1_11comp_targetILNS1_3genE10ELNS1_11target_archE1200ELNS1_3gpuE4ELNS1_3repE0EEENS1_30default_config_static_selectorELNS0_4arch9wavefront6targetE1EEEvT1_, .Lfunc_end239-_ZN7rocprim17ROCPRIM_400000_NS6detail17trampoline_kernelINS0_14default_configENS1_25partition_config_selectorILNS1_17partition_subalgoE8EjNS0_10empty_typeEbEEZZNS1_14partition_implILS5_8ELb0ES3_jN6thrust23THRUST_200600_302600_NS6detail15normal_iteratorINSA_10device_ptrIjEEEEPS6_PKS6_NS0_5tupleIJSF_S6_EEENSJ_IJSG_SG_EEENS0_18inequality_wrapperINSA_8equal_toIjEEEEPmJS6_EEE10hipError_tPvRmT3_T4_T5_T6_T7_T9_mT8_P12ihipStream_tbDpT10_ENKUlT_T0_E_clISt17integral_constantIbLb0EES19_IbLb1EEEEDaS15_S16_EUlS15_E_NS1_11comp_targetILNS1_3genE10ELNS1_11target_archE1200ELNS1_3gpuE4ELNS1_3repE0EEENS1_30default_config_static_selectorELNS0_4arch9wavefront6targetE1EEEvT1_
                                        ; -- End function
	.set _ZN7rocprim17ROCPRIM_400000_NS6detail17trampoline_kernelINS0_14default_configENS1_25partition_config_selectorILNS1_17partition_subalgoE8EjNS0_10empty_typeEbEEZZNS1_14partition_implILS5_8ELb0ES3_jN6thrust23THRUST_200600_302600_NS6detail15normal_iteratorINSA_10device_ptrIjEEEEPS6_PKS6_NS0_5tupleIJSF_S6_EEENSJ_IJSG_SG_EEENS0_18inequality_wrapperINSA_8equal_toIjEEEEPmJS6_EEE10hipError_tPvRmT3_T4_T5_T6_T7_T9_mT8_P12ihipStream_tbDpT10_ENKUlT_T0_E_clISt17integral_constantIbLb0EES19_IbLb1EEEEDaS15_S16_EUlS15_E_NS1_11comp_targetILNS1_3genE10ELNS1_11target_archE1200ELNS1_3gpuE4ELNS1_3repE0EEENS1_30default_config_static_selectorELNS0_4arch9wavefront6targetE1EEEvT1_.num_vgpr, 0
	.set _ZN7rocprim17ROCPRIM_400000_NS6detail17trampoline_kernelINS0_14default_configENS1_25partition_config_selectorILNS1_17partition_subalgoE8EjNS0_10empty_typeEbEEZZNS1_14partition_implILS5_8ELb0ES3_jN6thrust23THRUST_200600_302600_NS6detail15normal_iteratorINSA_10device_ptrIjEEEEPS6_PKS6_NS0_5tupleIJSF_S6_EEENSJ_IJSG_SG_EEENS0_18inequality_wrapperINSA_8equal_toIjEEEEPmJS6_EEE10hipError_tPvRmT3_T4_T5_T6_T7_T9_mT8_P12ihipStream_tbDpT10_ENKUlT_T0_E_clISt17integral_constantIbLb0EES19_IbLb1EEEEDaS15_S16_EUlS15_E_NS1_11comp_targetILNS1_3genE10ELNS1_11target_archE1200ELNS1_3gpuE4ELNS1_3repE0EEENS1_30default_config_static_selectorELNS0_4arch9wavefront6targetE1EEEvT1_.num_agpr, 0
	.set _ZN7rocprim17ROCPRIM_400000_NS6detail17trampoline_kernelINS0_14default_configENS1_25partition_config_selectorILNS1_17partition_subalgoE8EjNS0_10empty_typeEbEEZZNS1_14partition_implILS5_8ELb0ES3_jN6thrust23THRUST_200600_302600_NS6detail15normal_iteratorINSA_10device_ptrIjEEEEPS6_PKS6_NS0_5tupleIJSF_S6_EEENSJ_IJSG_SG_EEENS0_18inequality_wrapperINSA_8equal_toIjEEEEPmJS6_EEE10hipError_tPvRmT3_T4_T5_T6_T7_T9_mT8_P12ihipStream_tbDpT10_ENKUlT_T0_E_clISt17integral_constantIbLb0EES19_IbLb1EEEEDaS15_S16_EUlS15_E_NS1_11comp_targetILNS1_3genE10ELNS1_11target_archE1200ELNS1_3gpuE4ELNS1_3repE0EEENS1_30default_config_static_selectorELNS0_4arch9wavefront6targetE1EEEvT1_.numbered_sgpr, 0
	.set _ZN7rocprim17ROCPRIM_400000_NS6detail17trampoline_kernelINS0_14default_configENS1_25partition_config_selectorILNS1_17partition_subalgoE8EjNS0_10empty_typeEbEEZZNS1_14partition_implILS5_8ELb0ES3_jN6thrust23THRUST_200600_302600_NS6detail15normal_iteratorINSA_10device_ptrIjEEEEPS6_PKS6_NS0_5tupleIJSF_S6_EEENSJ_IJSG_SG_EEENS0_18inequality_wrapperINSA_8equal_toIjEEEEPmJS6_EEE10hipError_tPvRmT3_T4_T5_T6_T7_T9_mT8_P12ihipStream_tbDpT10_ENKUlT_T0_E_clISt17integral_constantIbLb0EES19_IbLb1EEEEDaS15_S16_EUlS15_E_NS1_11comp_targetILNS1_3genE10ELNS1_11target_archE1200ELNS1_3gpuE4ELNS1_3repE0EEENS1_30default_config_static_selectorELNS0_4arch9wavefront6targetE1EEEvT1_.num_named_barrier, 0
	.set _ZN7rocprim17ROCPRIM_400000_NS6detail17trampoline_kernelINS0_14default_configENS1_25partition_config_selectorILNS1_17partition_subalgoE8EjNS0_10empty_typeEbEEZZNS1_14partition_implILS5_8ELb0ES3_jN6thrust23THRUST_200600_302600_NS6detail15normal_iteratorINSA_10device_ptrIjEEEEPS6_PKS6_NS0_5tupleIJSF_S6_EEENSJ_IJSG_SG_EEENS0_18inequality_wrapperINSA_8equal_toIjEEEEPmJS6_EEE10hipError_tPvRmT3_T4_T5_T6_T7_T9_mT8_P12ihipStream_tbDpT10_ENKUlT_T0_E_clISt17integral_constantIbLb0EES19_IbLb1EEEEDaS15_S16_EUlS15_E_NS1_11comp_targetILNS1_3genE10ELNS1_11target_archE1200ELNS1_3gpuE4ELNS1_3repE0EEENS1_30default_config_static_selectorELNS0_4arch9wavefront6targetE1EEEvT1_.private_seg_size, 0
	.set _ZN7rocprim17ROCPRIM_400000_NS6detail17trampoline_kernelINS0_14default_configENS1_25partition_config_selectorILNS1_17partition_subalgoE8EjNS0_10empty_typeEbEEZZNS1_14partition_implILS5_8ELb0ES3_jN6thrust23THRUST_200600_302600_NS6detail15normal_iteratorINSA_10device_ptrIjEEEEPS6_PKS6_NS0_5tupleIJSF_S6_EEENSJ_IJSG_SG_EEENS0_18inequality_wrapperINSA_8equal_toIjEEEEPmJS6_EEE10hipError_tPvRmT3_T4_T5_T6_T7_T9_mT8_P12ihipStream_tbDpT10_ENKUlT_T0_E_clISt17integral_constantIbLb0EES19_IbLb1EEEEDaS15_S16_EUlS15_E_NS1_11comp_targetILNS1_3genE10ELNS1_11target_archE1200ELNS1_3gpuE4ELNS1_3repE0EEENS1_30default_config_static_selectorELNS0_4arch9wavefront6targetE1EEEvT1_.uses_vcc, 0
	.set _ZN7rocprim17ROCPRIM_400000_NS6detail17trampoline_kernelINS0_14default_configENS1_25partition_config_selectorILNS1_17partition_subalgoE8EjNS0_10empty_typeEbEEZZNS1_14partition_implILS5_8ELb0ES3_jN6thrust23THRUST_200600_302600_NS6detail15normal_iteratorINSA_10device_ptrIjEEEEPS6_PKS6_NS0_5tupleIJSF_S6_EEENSJ_IJSG_SG_EEENS0_18inequality_wrapperINSA_8equal_toIjEEEEPmJS6_EEE10hipError_tPvRmT3_T4_T5_T6_T7_T9_mT8_P12ihipStream_tbDpT10_ENKUlT_T0_E_clISt17integral_constantIbLb0EES19_IbLb1EEEEDaS15_S16_EUlS15_E_NS1_11comp_targetILNS1_3genE10ELNS1_11target_archE1200ELNS1_3gpuE4ELNS1_3repE0EEENS1_30default_config_static_selectorELNS0_4arch9wavefront6targetE1EEEvT1_.uses_flat_scratch, 0
	.set _ZN7rocprim17ROCPRIM_400000_NS6detail17trampoline_kernelINS0_14default_configENS1_25partition_config_selectorILNS1_17partition_subalgoE8EjNS0_10empty_typeEbEEZZNS1_14partition_implILS5_8ELb0ES3_jN6thrust23THRUST_200600_302600_NS6detail15normal_iteratorINSA_10device_ptrIjEEEEPS6_PKS6_NS0_5tupleIJSF_S6_EEENSJ_IJSG_SG_EEENS0_18inequality_wrapperINSA_8equal_toIjEEEEPmJS6_EEE10hipError_tPvRmT3_T4_T5_T6_T7_T9_mT8_P12ihipStream_tbDpT10_ENKUlT_T0_E_clISt17integral_constantIbLb0EES19_IbLb1EEEEDaS15_S16_EUlS15_E_NS1_11comp_targetILNS1_3genE10ELNS1_11target_archE1200ELNS1_3gpuE4ELNS1_3repE0EEENS1_30default_config_static_selectorELNS0_4arch9wavefront6targetE1EEEvT1_.has_dyn_sized_stack, 0
	.set _ZN7rocprim17ROCPRIM_400000_NS6detail17trampoline_kernelINS0_14default_configENS1_25partition_config_selectorILNS1_17partition_subalgoE8EjNS0_10empty_typeEbEEZZNS1_14partition_implILS5_8ELb0ES3_jN6thrust23THRUST_200600_302600_NS6detail15normal_iteratorINSA_10device_ptrIjEEEEPS6_PKS6_NS0_5tupleIJSF_S6_EEENSJ_IJSG_SG_EEENS0_18inequality_wrapperINSA_8equal_toIjEEEEPmJS6_EEE10hipError_tPvRmT3_T4_T5_T6_T7_T9_mT8_P12ihipStream_tbDpT10_ENKUlT_T0_E_clISt17integral_constantIbLb0EES19_IbLb1EEEEDaS15_S16_EUlS15_E_NS1_11comp_targetILNS1_3genE10ELNS1_11target_archE1200ELNS1_3gpuE4ELNS1_3repE0EEENS1_30default_config_static_selectorELNS0_4arch9wavefront6targetE1EEEvT1_.has_recursion, 0
	.set _ZN7rocprim17ROCPRIM_400000_NS6detail17trampoline_kernelINS0_14default_configENS1_25partition_config_selectorILNS1_17partition_subalgoE8EjNS0_10empty_typeEbEEZZNS1_14partition_implILS5_8ELb0ES3_jN6thrust23THRUST_200600_302600_NS6detail15normal_iteratorINSA_10device_ptrIjEEEEPS6_PKS6_NS0_5tupleIJSF_S6_EEENSJ_IJSG_SG_EEENS0_18inequality_wrapperINSA_8equal_toIjEEEEPmJS6_EEE10hipError_tPvRmT3_T4_T5_T6_T7_T9_mT8_P12ihipStream_tbDpT10_ENKUlT_T0_E_clISt17integral_constantIbLb0EES19_IbLb1EEEEDaS15_S16_EUlS15_E_NS1_11comp_targetILNS1_3genE10ELNS1_11target_archE1200ELNS1_3gpuE4ELNS1_3repE0EEENS1_30default_config_static_selectorELNS0_4arch9wavefront6targetE1EEEvT1_.has_indirect_call, 0
	.section	.AMDGPU.csdata,"",@progbits
; Kernel info:
; codeLenInByte = 0
; TotalNumSgprs: 4
; NumVgprs: 0
; ScratchSize: 0
; MemoryBound: 0
; FloatMode: 240
; IeeeMode: 1
; LDSByteSize: 0 bytes/workgroup (compile time only)
; SGPRBlocks: 0
; VGPRBlocks: 0
; NumSGPRsForWavesPerEU: 4
; NumVGPRsForWavesPerEU: 1
; Occupancy: 10
; WaveLimiterHint : 0
; COMPUTE_PGM_RSRC2:SCRATCH_EN: 0
; COMPUTE_PGM_RSRC2:USER_SGPR: 6
; COMPUTE_PGM_RSRC2:TRAP_HANDLER: 0
; COMPUTE_PGM_RSRC2:TGID_X_EN: 1
; COMPUTE_PGM_RSRC2:TGID_Y_EN: 0
; COMPUTE_PGM_RSRC2:TGID_Z_EN: 0
; COMPUTE_PGM_RSRC2:TIDIG_COMP_CNT: 0
	.section	.text._ZN7rocprim17ROCPRIM_400000_NS6detail17trampoline_kernelINS0_14default_configENS1_25partition_config_selectorILNS1_17partition_subalgoE8EjNS0_10empty_typeEbEEZZNS1_14partition_implILS5_8ELb0ES3_jN6thrust23THRUST_200600_302600_NS6detail15normal_iteratorINSA_10device_ptrIjEEEEPS6_PKS6_NS0_5tupleIJSF_S6_EEENSJ_IJSG_SG_EEENS0_18inequality_wrapperINSA_8equal_toIjEEEEPmJS6_EEE10hipError_tPvRmT3_T4_T5_T6_T7_T9_mT8_P12ihipStream_tbDpT10_ENKUlT_T0_E_clISt17integral_constantIbLb0EES19_IbLb1EEEEDaS15_S16_EUlS15_E_NS1_11comp_targetILNS1_3genE9ELNS1_11target_archE1100ELNS1_3gpuE3ELNS1_3repE0EEENS1_30default_config_static_selectorELNS0_4arch9wavefront6targetE1EEEvT1_,"axG",@progbits,_ZN7rocprim17ROCPRIM_400000_NS6detail17trampoline_kernelINS0_14default_configENS1_25partition_config_selectorILNS1_17partition_subalgoE8EjNS0_10empty_typeEbEEZZNS1_14partition_implILS5_8ELb0ES3_jN6thrust23THRUST_200600_302600_NS6detail15normal_iteratorINSA_10device_ptrIjEEEEPS6_PKS6_NS0_5tupleIJSF_S6_EEENSJ_IJSG_SG_EEENS0_18inequality_wrapperINSA_8equal_toIjEEEEPmJS6_EEE10hipError_tPvRmT3_T4_T5_T6_T7_T9_mT8_P12ihipStream_tbDpT10_ENKUlT_T0_E_clISt17integral_constantIbLb0EES19_IbLb1EEEEDaS15_S16_EUlS15_E_NS1_11comp_targetILNS1_3genE9ELNS1_11target_archE1100ELNS1_3gpuE3ELNS1_3repE0EEENS1_30default_config_static_selectorELNS0_4arch9wavefront6targetE1EEEvT1_,comdat
	.protected	_ZN7rocprim17ROCPRIM_400000_NS6detail17trampoline_kernelINS0_14default_configENS1_25partition_config_selectorILNS1_17partition_subalgoE8EjNS0_10empty_typeEbEEZZNS1_14partition_implILS5_8ELb0ES3_jN6thrust23THRUST_200600_302600_NS6detail15normal_iteratorINSA_10device_ptrIjEEEEPS6_PKS6_NS0_5tupleIJSF_S6_EEENSJ_IJSG_SG_EEENS0_18inequality_wrapperINSA_8equal_toIjEEEEPmJS6_EEE10hipError_tPvRmT3_T4_T5_T6_T7_T9_mT8_P12ihipStream_tbDpT10_ENKUlT_T0_E_clISt17integral_constantIbLb0EES19_IbLb1EEEEDaS15_S16_EUlS15_E_NS1_11comp_targetILNS1_3genE9ELNS1_11target_archE1100ELNS1_3gpuE3ELNS1_3repE0EEENS1_30default_config_static_selectorELNS0_4arch9wavefront6targetE1EEEvT1_ ; -- Begin function _ZN7rocprim17ROCPRIM_400000_NS6detail17trampoline_kernelINS0_14default_configENS1_25partition_config_selectorILNS1_17partition_subalgoE8EjNS0_10empty_typeEbEEZZNS1_14partition_implILS5_8ELb0ES3_jN6thrust23THRUST_200600_302600_NS6detail15normal_iteratorINSA_10device_ptrIjEEEEPS6_PKS6_NS0_5tupleIJSF_S6_EEENSJ_IJSG_SG_EEENS0_18inequality_wrapperINSA_8equal_toIjEEEEPmJS6_EEE10hipError_tPvRmT3_T4_T5_T6_T7_T9_mT8_P12ihipStream_tbDpT10_ENKUlT_T0_E_clISt17integral_constantIbLb0EES19_IbLb1EEEEDaS15_S16_EUlS15_E_NS1_11comp_targetILNS1_3genE9ELNS1_11target_archE1100ELNS1_3gpuE3ELNS1_3repE0EEENS1_30default_config_static_selectorELNS0_4arch9wavefront6targetE1EEEvT1_
	.globl	_ZN7rocprim17ROCPRIM_400000_NS6detail17trampoline_kernelINS0_14default_configENS1_25partition_config_selectorILNS1_17partition_subalgoE8EjNS0_10empty_typeEbEEZZNS1_14partition_implILS5_8ELb0ES3_jN6thrust23THRUST_200600_302600_NS6detail15normal_iteratorINSA_10device_ptrIjEEEEPS6_PKS6_NS0_5tupleIJSF_S6_EEENSJ_IJSG_SG_EEENS0_18inequality_wrapperINSA_8equal_toIjEEEEPmJS6_EEE10hipError_tPvRmT3_T4_T5_T6_T7_T9_mT8_P12ihipStream_tbDpT10_ENKUlT_T0_E_clISt17integral_constantIbLb0EES19_IbLb1EEEEDaS15_S16_EUlS15_E_NS1_11comp_targetILNS1_3genE9ELNS1_11target_archE1100ELNS1_3gpuE3ELNS1_3repE0EEENS1_30default_config_static_selectorELNS0_4arch9wavefront6targetE1EEEvT1_
	.p2align	8
	.type	_ZN7rocprim17ROCPRIM_400000_NS6detail17trampoline_kernelINS0_14default_configENS1_25partition_config_selectorILNS1_17partition_subalgoE8EjNS0_10empty_typeEbEEZZNS1_14partition_implILS5_8ELb0ES3_jN6thrust23THRUST_200600_302600_NS6detail15normal_iteratorINSA_10device_ptrIjEEEEPS6_PKS6_NS0_5tupleIJSF_S6_EEENSJ_IJSG_SG_EEENS0_18inequality_wrapperINSA_8equal_toIjEEEEPmJS6_EEE10hipError_tPvRmT3_T4_T5_T6_T7_T9_mT8_P12ihipStream_tbDpT10_ENKUlT_T0_E_clISt17integral_constantIbLb0EES19_IbLb1EEEEDaS15_S16_EUlS15_E_NS1_11comp_targetILNS1_3genE9ELNS1_11target_archE1100ELNS1_3gpuE3ELNS1_3repE0EEENS1_30default_config_static_selectorELNS0_4arch9wavefront6targetE1EEEvT1_,@function
_ZN7rocprim17ROCPRIM_400000_NS6detail17trampoline_kernelINS0_14default_configENS1_25partition_config_selectorILNS1_17partition_subalgoE8EjNS0_10empty_typeEbEEZZNS1_14partition_implILS5_8ELb0ES3_jN6thrust23THRUST_200600_302600_NS6detail15normal_iteratorINSA_10device_ptrIjEEEEPS6_PKS6_NS0_5tupleIJSF_S6_EEENSJ_IJSG_SG_EEENS0_18inequality_wrapperINSA_8equal_toIjEEEEPmJS6_EEE10hipError_tPvRmT3_T4_T5_T6_T7_T9_mT8_P12ihipStream_tbDpT10_ENKUlT_T0_E_clISt17integral_constantIbLb0EES19_IbLb1EEEEDaS15_S16_EUlS15_E_NS1_11comp_targetILNS1_3genE9ELNS1_11target_archE1100ELNS1_3gpuE3ELNS1_3repE0EEENS1_30default_config_static_selectorELNS0_4arch9wavefront6targetE1EEEvT1_: ; @_ZN7rocprim17ROCPRIM_400000_NS6detail17trampoline_kernelINS0_14default_configENS1_25partition_config_selectorILNS1_17partition_subalgoE8EjNS0_10empty_typeEbEEZZNS1_14partition_implILS5_8ELb0ES3_jN6thrust23THRUST_200600_302600_NS6detail15normal_iteratorINSA_10device_ptrIjEEEEPS6_PKS6_NS0_5tupleIJSF_S6_EEENSJ_IJSG_SG_EEENS0_18inequality_wrapperINSA_8equal_toIjEEEEPmJS6_EEE10hipError_tPvRmT3_T4_T5_T6_T7_T9_mT8_P12ihipStream_tbDpT10_ENKUlT_T0_E_clISt17integral_constantIbLb0EES19_IbLb1EEEEDaS15_S16_EUlS15_E_NS1_11comp_targetILNS1_3genE9ELNS1_11target_archE1100ELNS1_3gpuE3ELNS1_3repE0EEENS1_30default_config_static_selectorELNS0_4arch9wavefront6targetE1EEEvT1_
; %bb.0:
	.section	.rodata,"a",@progbits
	.p2align	6, 0x0
	.amdhsa_kernel _ZN7rocprim17ROCPRIM_400000_NS6detail17trampoline_kernelINS0_14default_configENS1_25partition_config_selectorILNS1_17partition_subalgoE8EjNS0_10empty_typeEbEEZZNS1_14partition_implILS5_8ELb0ES3_jN6thrust23THRUST_200600_302600_NS6detail15normal_iteratorINSA_10device_ptrIjEEEEPS6_PKS6_NS0_5tupleIJSF_S6_EEENSJ_IJSG_SG_EEENS0_18inequality_wrapperINSA_8equal_toIjEEEEPmJS6_EEE10hipError_tPvRmT3_T4_T5_T6_T7_T9_mT8_P12ihipStream_tbDpT10_ENKUlT_T0_E_clISt17integral_constantIbLb0EES19_IbLb1EEEEDaS15_S16_EUlS15_E_NS1_11comp_targetILNS1_3genE9ELNS1_11target_archE1100ELNS1_3gpuE3ELNS1_3repE0EEENS1_30default_config_static_selectorELNS0_4arch9wavefront6targetE1EEEvT1_
		.amdhsa_group_segment_fixed_size 0
		.amdhsa_private_segment_fixed_size 0
		.amdhsa_kernarg_size 128
		.amdhsa_user_sgpr_count 6
		.amdhsa_user_sgpr_private_segment_buffer 1
		.amdhsa_user_sgpr_dispatch_ptr 0
		.amdhsa_user_sgpr_queue_ptr 0
		.amdhsa_user_sgpr_kernarg_segment_ptr 1
		.amdhsa_user_sgpr_dispatch_id 0
		.amdhsa_user_sgpr_flat_scratch_init 0
		.amdhsa_user_sgpr_private_segment_size 0
		.amdhsa_uses_dynamic_stack 0
		.amdhsa_system_sgpr_private_segment_wavefront_offset 0
		.amdhsa_system_sgpr_workgroup_id_x 1
		.amdhsa_system_sgpr_workgroup_id_y 0
		.amdhsa_system_sgpr_workgroup_id_z 0
		.amdhsa_system_sgpr_workgroup_info 0
		.amdhsa_system_vgpr_workitem_id 0
		.amdhsa_next_free_vgpr 1
		.amdhsa_next_free_sgpr 0
		.amdhsa_reserve_vcc 0
		.amdhsa_reserve_flat_scratch 0
		.amdhsa_float_round_mode_32 0
		.amdhsa_float_round_mode_16_64 0
		.amdhsa_float_denorm_mode_32 3
		.amdhsa_float_denorm_mode_16_64 3
		.amdhsa_dx10_clamp 1
		.amdhsa_ieee_mode 1
		.amdhsa_fp16_overflow 0
		.amdhsa_exception_fp_ieee_invalid_op 0
		.amdhsa_exception_fp_denorm_src 0
		.amdhsa_exception_fp_ieee_div_zero 0
		.amdhsa_exception_fp_ieee_overflow 0
		.amdhsa_exception_fp_ieee_underflow 0
		.amdhsa_exception_fp_ieee_inexact 0
		.amdhsa_exception_int_div_zero 0
	.end_amdhsa_kernel
	.section	.text._ZN7rocprim17ROCPRIM_400000_NS6detail17trampoline_kernelINS0_14default_configENS1_25partition_config_selectorILNS1_17partition_subalgoE8EjNS0_10empty_typeEbEEZZNS1_14partition_implILS5_8ELb0ES3_jN6thrust23THRUST_200600_302600_NS6detail15normal_iteratorINSA_10device_ptrIjEEEEPS6_PKS6_NS0_5tupleIJSF_S6_EEENSJ_IJSG_SG_EEENS0_18inequality_wrapperINSA_8equal_toIjEEEEPmJS6_EEE10hipError_tPvRmT3_T4_T5_T6_T7_T9_mT8_P12ihipStream_tbDpT10_ENKUlT_T0_E_clISt17integral_constantIbLb0EES19_IbLb1EEEEDaS15_S16_EUlS15_E_NS1_11comp_targetILNS1_3genE9ELNS1_11target_archE1100ELNS1_3gpuE3ELNS1_3repE0EEENS1_30default_config_static_selectorELNS0_4arch9wavefront6targetE1EEEvT1_,"axG",@progbits,_ZN7rocprim17ROCPRIM_400000_NS6detail17trampoline_kernelINS0_14default_configENS1_25partition_config_selectorILNS1_17partition_subalgoE8EjNS0_10empty_typeEbEEZZNS1_14partition_implILS5_8ELb0ES3_jN6thrust23THRUST_200600_302600_NS6detail15normal_iteratorINSA_10device_ptrIjEEEEPS6_PKS6_NS0_5tupleIJSF_S6_EEENSJ_IJSG_SG_EEENS0_18inequality_wrapperINSA_8equal_toIjEEEEPmJS6_EEE10hipError_tPvRmT3_T4_T5_T6_T7_T9_mT8_P12ihipStream_tbDpT10_ENKUlT_T0_E_clISt17integral_constantIbLb0EES19_IbLb1EEEEDaS15_S16_EUlS15_E_NS1_11comp_targetILNS1_3genE9ELNS1_11target_archE1100ELNS1_3gpuE3ELNS1_3repE0EEENS1_30default_config_static_selectorELNS0_4arch9wavefront6targetE1EEEvT1_,comdat
.Lfunc_end240:
	.size	_ZN7rocprim17ROCPRIM_400000_NS6detail17trampoline_kernelINS0_14default_configENS1_25partition_config_selectorILNS1_17partition_subalgoE8EjNS0_10empty_typeEbEEZZNS1_14partition_implILS5_8ELb0ES3_jN6thrust23THRUST_200600_302600_NS6detail15normal_iteratorINSA_10device_ptrIjEEEEPS6_PKS6_NS0_5tupleIJSF_S6_EEENSJ_IJSG_SG_EEENS0_18inequality_wrapperINSA_8equal_toIjEEEEPmJS6_EEE10hipError_tPvRmT3_T4_T5_T6_T7_T9_mT8_P12ihipStream_tbDpT10_ENKUlT_T0_E_clISt17integral_constantIbLb0EES19_IbLb1EEEEDaS15_S16_EUlS15_E_NS1_11comp_targetILNS1_3genE9ELNS1_11target_archE1100ELNS1_3gpuE3ELNS1_3repE0EEENS1_30default_config_static_selectorELNS0_4arch9wavefront6targetE1EEEvT1_, .Lfunc_end240-_ZN7rocprim17ROCPRIM_400000_NS6detail17trampoline_kernelINS0_14default_configENS1_25partition_config_selectorILNS1_17partition_subalgoE8EjNS0_10empty_typeEbEEZZNS1_14partition_implILS5_8ELb0ES3_jN6thrust23THRUST_200600_302600_NS6detail15normal_iteratorINSA_10device_ptrIjEEEEPS6_PKS6_NS0_5tupleIJSF_S6_EEENSJ_IJSG_SG_EEENS0_18inequality_wrapperINSA_8equal_toIjEEEEPmJS6_EEE10hipError_tPvRmT3_T4_T5_T6_T7_T9_mT8_P12ihipStream_tbDpT10_ENKUlT_T0_E_clISt17integral_constantIbLb0EES19_IbLb1EEEEDaS15_S16_EUlS15_E_NS1_11comp_targetILNS1_3genE9ELNS1_11target_archE1100ELNS1_3gpuE3ELNS1_3repE0EEENS1_30default_config_static_selectorELNS0_4arch9wavefront6targetE1EEEvT1_
                                        ; -- End function
	.set _ZN7rocprim17ROCPRIM_400000_NS6detail17trampoline_kernelINS0_14default_configENS1_25partition_config_selectorILNS1_17partition_subalgoE8EjNS0_10empty_typeEbEEZZNS1_14partition_implILS5_8ELb0ES3_jN6thrust23THRUST_200600_302600_NS6detail15normal_iteratorINSA_10device_ptrIjEEEEPS6_PKS6_NS0_5tupleIJSF_S6_EEENSJ_IJSG_SG_EEENS0_18inequality_wrapperINSA_8equal_toIjEEEEPmJS6_EEE10hipError_tPvRmT3_T4_T5_T6_T7_T9_mT8_P12ihipStream_tbDpT10_ENKUlT_T0_E_clISt17integral_constantIbLb0EES19_IbLb1EEEEDaS15_S16_EUlS15_E_NS1_11comp_targetILNS1_3genE9ELNS1_11target_archE1100ELNS1_3gpuE3ELNS1_3repE0EEENS1_30default_config_static_selectorELNS0_4arch9wavefront6targetE1EEEvT1_.num_vgpr, 0
	.set _ZN7rocprim17ROCPRIM_400000_NS6detail17trampoline_kernelINS0_14default_configENS1_25partition_config_selectorILNS1_17partition_subalgoE8EjNS0_10empty_typeEbEEZZNS1_14partition_implILS5_8ELb0ES3_jN6thrust23THRUST_200600_302600_NS6detail15normal_iteratorINSA_10device_ptrIjEEEEPS6_PKS6_NS0_5tupleIJSF_S6_EEENSJ_IJSG_SG_EEENS0_18inequality_wrapperINSA_8equal_toIjEEEEPmJS6_EEE10hipError_tPvRmT3_T4_T5_T6_T7_T9_mT8_P12ihipStream_tbDpT10_ENKUlT_T0_E_clISt17integral_constantIbLb0EES19_IbLb1EEEEDaS15_S16_EUlS15_E_NS1_11comp_targetILNS1_3genE9ELNS1_11target_archE1100ELNS1_3gpuE3ELNS1_3repE0EEENS1_30default_config_static_selectorELNS0_4arch9wavefront6targetE1EEEvT1_.num_agpr, 0
	.set _ZN7rocprim17ROCPRIM_400000_NS6detail17trampoline_kernelINS0_14default_configENS1_25partition_config_selectorILNS1_17partition_subalgoE8EjNS0_10empty_typeEbEEZZNS1_14partition_implILS5_8ELb0ES3_jN6thrust23THRUST_200600_302600_NS6detail15normal_iteratorINSA_10device_ptrIjEEEEPS6_PKS6_NS0_5tupleIJSF_S6_EEENSJ_IJSG_SG_EEENS0_18inequality_wrapperINSA_8equal_toIjEEEEPmJS6_EEE10hipError_tPvRmT3_T4_T5_T6_T7_T9_mT8_P12ihipStream_tbDpT10_ENKUlT_T0_E_clISt17integral_constantIbLb0EES19_IbLb1EEEEDaS15_S16_EUlS15_E_NS1_11comp_targetILNS1_3genE9ELNS1_11target_archE1100ELNS1_3gpuE3ELNS1_3repE0EEENS1_30default_config_static_selectorELNS0_4arch9wavefront6targetE1EEEvT1_.numbered_sgpr, 0
	.set _ZN7rocprim17ROCPRIM_400000_NS6detail17trampoline_kernelINS0_14default_configENS1_25partition_config_selectorILNS1_17partition_subalgoE8EjNS0_10empty_typeEbEEZZNS1_14partition_implILS5_8ELb0ES3_jN6thrust23THRUST_200600_302600_NS6detail15normal_iteratorINSA_10device_ptrIjEEEEPS6_PKS6_NS0_5tupleIJSF_S6_EEENSJ_IJSG_SG_EEENS0_18inequality_wrapperINSA_8equal_toIjEEEEPmJS6_EEE10hipError_tPvRmT3_T4_T5_T6_T7_T9_mT8_P12ihipStream_tbDpT10_ENKUlT_T0_E_clISt17integral_constantIbLb0EES19_IbLb1EEEEDaS15_S16_EUlS15_E_NS1_11comp_targetILNS1_3genE9ELNS1_11target_archE1100ELNS1_3gpuE3ELNS1_3repE0EEENS1_30default_config_static_selectorELNS0_4arch9wavefront6targetE1EEEvT1_.num_named_barrier, 0
	.set _ZN7rocprim17ROCPRIM_400000_NS6detail17trampoline_kernelINS0_14default_configENS1_25partition_config_selectorILNS1_17partition_subalgoE8EjNS0_10empty_typeEbEEZZNS1_14partition_implILS5_8ELb0ES3_jN6thrust23THRUST_200600_302600_NS6detail15normal_iteratorINSA_10device_ptrIjEEEEPS6_PKS6_NS0_5tupleIJSF_S6_EEENSJ_IJSG_SG_EEENS0_18inequality_wrapperINSA_8equal_toIjEEEEPmJS6_EEE10hipError_tPvRmT3_T4_T5_T6_T7_T9_mT8_P12ihipStream_tbDpT10_ENKUlT_T0_E_clISt17integral_constantIbLb0EES19_IbLb1EEEEDaS15_S16_EUlS15_E_NS1_11comp_targetILNS1_3genE9ELNS1_11target_archE1100ELNS1_3gpuE3ELNS1_3repE0EEENS1_30default_config_static_selectorELNS0_4arch9wavefront6targetE1EEEvT1_.private_seg_size, 0
	.set _ZN7rocprim17ROCPRIM_400000_NS6detail17trampoline_kernelINS0_14default_configENS1_25partition_config_selectorILNS1_17partition_subalgoE8EjNS0_10empty_typeEbEEZZNS1_14partition_implILS5_8ELb0ES3_jN6thrust23THRUST_200600_302600_NS6detail15normal_iteratorINSA_10device_ptrIjEEEEPS6_PKS6_NS0_5tupleIJSF_S6_EEENSJ_IJSG_SG_EEENS0_18inequality_wrapperINSA_8equal_toIjEEEEPmJS6_EEE10hipError_tPvRmT3_T4_T5_T6_T7_T9_mT8_P12ihipStream_tbDpT10_ENKUlT_T0_E_clISt17integral_constantIbLb0EES19_IbLb1EEEEDaS15_S16_EUlS15_E_NS1_11comp_targetILNS1_3genE9ELNS1_11target_archE1100ELNS1_3gpuE3ELNS1_3repE0EEENS1_30default_config_static_selectorELNS0_4arch9wavefront6targetE1EEEvT1_.uses_vcc, 0
	.set _ZN7rocprim17ROCPRIM_400000_NS6detail17trampoline_kernelINS0_14default_configENS1_25partition_config_selectorILNS1_17partition_subalgoE8EjNS0_10empty_typeEbEEZZNS1_14partition_implILS5_8ELb0ES3_jN6thrust23THRUST_200600_302600_NS6detail15normal_iteratorINSA_10device_ptrIjEEEEPS6_PKS6_NS0_5tupleIJSF_S6_EEENSJ_IJSG_SG_EEENS0_18inequality_wrapperINSA_8equal_toIjEEEEPmJS6_EEE10hipError_tPvRmT3_T4_T5_T6_T7_T9_mT8_P12ihipStream_tbDpT10_ENKUlT_T0_E_clISt17integral_constantIbLb0EES19_IbLb1EEEEDaS15_S16_EUlS15_E_NS1_11comp_targetILNS1_3genE9ELNS1_11target_archE1100ELNS1_3gpuE3ELNS1_3repE0EEENS1_30default_config_static_selectorELNS0_4arch9wavefront6targetE1EEEvT1_.uses_flat_scratch, 0
	.set _ZN7rocprim17ROCPRIM_400000_NS6detail17trampoline_kernelINS0_14default_configENS1_25partition_config_selectorILNS1_17partition_subalgoE8EjNS0_10empty_typeEbEEZZNS1_14partition_implILS5_8ELb0ES3_jN6thrust23THRUST_200600_302600_NS6detail15normal_iteratorINSA_10device_ptrIjEEEEPS6_PKS6_NS0_5tupleIJSF_S6_EEENSJ_IJSG_SG_EEENS0_18inequality_wrapperINSA_8equal_toIjEEEEPmJS6_EEE10hipError_tPvRmT3_T4_T5_T6_T7_T9_mT8_P12ihipStream_tbDpT10_ENKUlT_T0_E_clISt17integral_constantIbLb0EES19_IbLb1EEEEDaS15_S16_EUlS15_E_NS1_11comp_targetILNS1_3genE9ELNS1_11target_archE1100ELNS1_3gpuE3ELNS1_3repE0EEENS1_30default_config_static_selectorELNS0_4arch9wavefront6targetE1EEEvT1_.has_dyn_sized_stack, 0
	.set _ZN7rocprim17ROCPRIM_400000_NS6detail17trampoline_kernelINS0_14default_configENS1_25partition_config_selectorILNS1_17partition_subalgoE8EjNS0_10empty_typeEbEEZZNS1_14partition_implILS5_8ELb0ES3_jN6thrust23THRUST_200600_302600_NS6detail15normal_iteratorINSA_10device_ptrIjEEEEPS6_PKS6_NS0_5tupleIJSF_S6_EEENSJ_IJSG_SG_EEENS0_18inequality_wrapperINSA_8equal_toIjEEEEPmJS6_EEE10hipError_tPvRmT3_T4_T5_T6_T7_T9_mT8_P12ihipStream_tbDpT10_ENKUlT_T0_E_clISt17integral_constantIbLb0EES19_IbLb1EEEEDaS15_S16_EUlS15_E_NS1_11comp_targetILNS1_3genE9ELNS1_11target_archE1100ELNS1_3gpuE3ELNS1_3repE0EEENS1_30default_config_static_selectorELNS0_4arch9wavefront6targetE1EEEvT1_.has_recursion, 0
	.set _ZN7rocprim17ROCPRIM_400000_NS6detail17trampoline_kernelINS0_14default_configENS1_25partition_config_selectorILNS1_17partition_subalgoE8EjNS0_10empty_typeEbEEZZNS1_14partition_implILS5_8ELb0ES3_jN6thrust23THRUST_200600_302600_NS6detail15normal_iteratorINSA_10device_ptrIjEEEEPS6_PKS6_NS0_5tupleIJSF_S6_EEENSJ_IJSG_SG_EEENS0_18inequality_wrapperINSA_8equal_toIjEEEEPmJS6_EEE10hipError_tPvRmT3_T4_T5_T6_T7_T9_mT8_P12ihipStream_tbDpT10_ENKUlT_T0_E_clISt17integral_constantIbLb0EES19_IbLb1EEEEDaS15_S16_EUlS15_E_NS1_11comp_targetILNS1_3genE9ELNS1_11target_archE1100ELNS1_3gpuE3ELNS1_3repE0EEENS1_30default_config_static_selectorELNS0_4arch9wavefront6targetE1EEEvT1_.has_indirect_call, 0
	.section	.AMDGPU.csdata,"",@progbits
; Kernel info:
; codeLenInByte = 0
; TotalNumSgprs: 4
; NumVgprs: 0
; ScratchSize: 0
; MemoryBound: 0
; FloatMode: 240
; IeeeMode: 1
; LDSByteSize: 0 bytes/workgroup (compile time only)
; SGPRBlocks: 0
; VGPRBlocks: 0
; NumSGPRsForWavesPerEU: 4
; NumVGPRsForWavesPerEU: 1
; Occupancy: 10
; WaveLimiterHint : 0
; COMPUTE_PGM_RSRC2:SCRATCH_EN: 0
; COMPUTE_PGM_RSRC2:USER_SGPR: 6
; COMPUTE_PGM_RSRC2:TRAP_HANDLER: 0
; COMPUTE_PGM_RSRC2:TGID_X_EN: 1
; COMPUTE_PGM_RSRC2:TGID_Y_EN: 0
; COMPUTE_PGM_RSRC2:TGID_Z_EN: 0
; COMPUTE_PGM_RSRC2:TIDIG_COMP_CNT: 0
	.section	.text._ZN7rocprim17ROCPRIM_400000_NS6detail17trampoline_kernelINS0_14default_configENS1_25partition_config_selectorILNS1_17partition_subalgoE8EjNS0_10empty_typeEbEEZZNS1_14partition_implILS5_8ELb0ES3_jN6thrust23THRUST_200600_302600_NS6detail15normal_iteratorINSA_10device_ptrIjEEEEPS6_PKS6_NS0_5tupleIJSF_S6_EEENSJ_IJSG_SG_EEENS0_18inequality_wrapperINSA_8equal_toIjEEEEPmJS6_EEE10hipError_tPvRmT3_T4_T5_T6_T7_T9_mT8_P12ihipStream_tbDpT10_ENKUlT_T0_E_clISt17integral_constantIbLb0EES19_IbLb1EEEEDaS15_S16_EUlS15_E_NS1_11comp_targetILNS1_3genE8ELNS1_11target_archE1030ELNS1_3gpuE2ELNS1_3repE0EEENS1_30default_config_static_selectorELNS0_4arch9wavefront6targetE1EEEvT1_,"axG",@progbits,_ZN7rocprim17ROCPRIM_400000_NS6detail17trampoline_kernelINS0_14default_configENS1_25partition_config_selectorILNS1_17partition_subalgoE8EjNS0_10empty_typeEbEEZZNS1_14partition_implILS5_8ELb0ES3_jN6thrust23THRUST_200600_302600_NS6detail15normal_iteratorINSA_10device_ptrIjEEEEPS6_PKS6_NS0_5tupleIJSF_S6_EEENSJ_IJSG_SG_EEENS0_18inequality_wrapperINSA_8equal_toIjEEEEPmJS6_EEE10hipError_tPvRmT3_T4_T5_T6_T7_T9_mT8_P12ihipStream_tbDpT10_ENKUlT_T0_E_clISt17integral_constantIbLb0EES19_IbLb1EEEEDaS15_S16_EUlS15_E_NS1_11comp_targetILNS1_3genE8ELNS1_11target_archE1030ELNS1_3gpuE2ELNS1_3repE0EEENS1_30default_config_static_selectorELNS0_4arch9wavefront6targetE1EEEvT1_,comdat
	.protected	_ZN7rocprim17ROCPRIM_400000_NS6detail17trampoline_kernelINS0_14default_configENS1_25partition_config_selectorILNS1_17partition_subalgoE8EjNS0_10empty_typeEbEEZZNS1_14partition_implILS5_8ELb0ES3_jN6thrust23THRUST_200600_302600_NS6detail15normal_iteratorINSA_10device_ptrIjEEEEPS6_PKS6_NS0_5tupleIJSF_S6_EEENSJ_IJSG_SG_EEENS0_18inequality_wrapperINSA_8equal_toIjEEEEPmJS6_EEE10hipError_tPvRmT3_T4_T5_T6_T7_T9_mT8_P12ihipStream_tbDpT10_ENKUlT_T0_E_clISt17integral_constantIbLb0EES19_IbLb1EEEEDaS15_S16_EUlS15_E_NS1_11comp_targetILNS1_3genE8ELNS1_11target_archE1030ELNS1_3gpuE2ELNS1_3repE0EEENS1_30default_config_static_selectorELNS0_4arch9wavefront6targetE1EEEvT1_ ; -- Begin function _ZN7rocprim17ROCPRIM_400000_NS6detail17trampoline_kernelINS0_14default_configENS1_25partition_config_selectorILNS1_17partition_subalgoE8EjNS0_10empty_typeEbEEZZNS1_14partition_implILS5_8ELb0ES3_jN6thrust23THRUST_200600_302600_NS6detail15normal_iteratorINSA_10device_ptrIjEEEEPS6_PKS6_NS0_5tupleIJSF_S6_EEENSJ_IJSG_SG_EEENS0_18inequality_wrapperINSA_8equal_toIjEEEEPmJS6_EEE10hipError_tPvRmT3_T4_T5_T6_T7_T9_mT8_P12ihipStream_tbDpT10_ENKUlT_T0_E_clISt17integral_constantIbLb0EES19_IbLb1EEEEDaS15_S16_EUlS15_E_NS1_11comp_targetILNS1_3genE8ELNS1_11target_archE1030ELNS1_3gpuE2ELNS1_3repE0EEENS1_30default_config_static_selectorELNS0_4arch9wavefront6targetE1EEEvT1_
	.globl	_ZN7rocprim17ROCPRIM_400000_NS6detail17trampoline_kernelINS0_14default_configENS1_25partition_config_selectorILNS1_17partition_subalgoE8EjNS0_10empty_typeEbEEZZNS1_14partition_implILS5_8ELb0ES3_jN6thrust23THRUST_200600_302600_NS6detail15normal_iteratorINSA_10device_ptrIjEEEEPS6_PKS6_NS0_5tupleIJSF_S6_EEENSJ_IJSG_SG_EEENS0_18inequality_wrapperINSA_8equal_toIjEEEEPmJS6_EEE10hipError_tPvRmT3_T4_T5_T6_T7_T9_mT8_P12ihipStream_tbDpT10_ENKUlT_T0_E_clISt17integral_constantIbLb0EES19_IbLb1EEEEDaS15_S16_EUlS15_E_NS1_11comp_targetILNS1_3genE8ELNS1_11target_archE1030ELNS1_3gpuE2ELNS1_3repE0EEENS1_30default_config_static_selectorELNS0_4arch9wavefront6targetE1EEEvT1_
	.p2align	8
	.type	_ZN7rocprim17ROCPRIM_400000_NS6detail17trampoline_kernelINS0_14default_configENS1_25partition_config_selectorILNS1_17partition_subalgoE8EjNS0_10empty_typeEbEEZZNS1_14partition_implILS5_8ELb0ES3_jN6thrust23THRUST_200600_302600_NS6detail15normal_iteratorINSA_10device_ptrIjEEEEPS6_PKS6_NS0_5tupleIJSF_S6_EEENSJ_IJSG_SG_EEENS0_18inequality_wrapperINSA_8equal_toIjEEEEPmJS6_EEE10hipError_tPvRmT3_T4_T5_T6_T7_T9_mT8_P12ihipStream_tbDpT10_ENKUlT_T0_E_clISt17integral_constantIbLb0EES19_IbLb1EEEEDaS15_S16_EUlS15_E_NS1_11comp_targetILNS1_3genE8ELNS1_11target_archE1030ELNS1_3gpuE2ELNS1_3repE0EEENS1_30default_config_static_selectorELNS0_4arch9wavefront6targetE1EEEvT1_,@function
_ZN7rocprim17ROCPRIM_400000_NS6detail17trampoline_kernelINS0_14default_configENS1_25partition_config_selectorILNS1_17partition_subalgoE8EjNS0_10empty_typeEbEEZZNS1_14partition_implILS5_8ELb0ES3_jN6thrust23THRUST_200600_302600_NS6detail15normal_iteratorINSA_10device_ptrIjEEEEPS6_PKS6_NS0_5tupleIJSF_S6_EEENSJ_IJSG_SG_EEENS0_18inequality_wrapperINSA_8equal_toIjEEEEPmJS6_EEE10hipError_tPvRmT3_T4_T5_T6_T7_T9_mT8_P12ihipStream_tbDpT10_ENKUlT_T0_E_clISt17integral_constantIbLb0EES19_IbLb1EEEEDaS15_S16_EUlS15_E_NS1_11comp_targetILNS1_3genE8ELNS1_11target_archE1030ELNS1_3gpuE2ELNS1_3repE0EEENS1_30default_config_static_selectorELNS0_4arch9wavefront6targetE1EEEvT1_: ; @_ZN7rocprim17ROCPRIM_400000_NS6detail17trampoline_kernelINS0_14default_configENS1_25partition_config_selectorILNS1_17partition_subalgoE8EjNS0_10empty_typeEbEEZZNS1_14partition_implILS5_8ELb0ES3_jN6thrust23THRUST_200600_302600_NS6detail15normal_iteratorINSA_10device_ptrIjEEEEPS6_PKS6_NS0_5tupleIJSF_S6_EEENSJ_IJSG_SG_EEENS0_18inequality_wrapperINSA_8equal_toIjEEEEPmJS6_EEE10hipError_tPvRmT3_T4_T5_T6_T7_T9_mT8_P12ihipStream_tbDpT10_ENKUlT_T0_E_clISt17integral_constantIbLb0EES19_IbLb1EEEEDaS15_S16_EUlS15_E_NS1_11comp_targetILNS1_3genE8ELNS1_11target_archE1030ELNS1_3gpuE2ELNS1_3repE0EEENS1_30default_config_static_selectorELNS0_4arch9wavefront6targetE1EEEvT1_
; %bb.0:
	.section	.rodata,"a",@progbits
	.p2align	6, 0x0
	.amdhsa_kernel _ZN7rocprim17ROCPRIM_400000_NS6detail17trampoline_kernelINS0_14default_configENS1_25partition_config_selectorILNS1_17partition_subalgoE8EjNS0_10empty_typeEbEEZZNS1_14partition_implILS5_8ELb0ES3_jN6thrust23THRUST_200600_302600_NS6detail15normal_iteratorINSA_10device_ptrIjEEEEPS6_PKS6_NS0_5tupleIJSF_S6_EEENSJ_IJSG_SG_EEENS0_18inequality_wrapperINSA_8equal_toIjEEEEPmJS6_EEE10hipError_tPvRmT3_T4_T5_T6_T7_T9_mT8_P12ihipStream_tbDpT10_ENKUlT_T0_E_clISt17integral_constantIbLb0EES19_IbLb1EEEEDaS15_S16_EUlS15_E_NS1_11comp_targetILNS1_3genE8ELNS1_11target_archE1030ELNS1_3gpuE2ELNS1_3repE0EEENS1_30default_config_static_selectorELNS0_4arch9wavefront6targetE1EEEvT1_
		.amdhsa_group_segment_fixed_size 0
		.amdhsa_private_segment_fixed_size 0
		.amdhsa_kernarg_size 128
		.amdhsa_user_sgpr_count 6
		.amdhsa_user_sgpr_private_segment_buffer 1
		.amdhsa_user_sgpr_dispatch_ptr 0
		.amdhsa_user_sgpr_queue_ptr 0
		.amdhsa_user_sgpr_kernarg_segment_ptr 1
		.amdhsa_user_sgpr_dispatch_id 0
		.amdhsa_user_sgpr_flat_scratch_init 0
		.amdhsa_user_sgpr_private_segment_size 0
		.amdhsa_uses_dynamic_stack 0
		.amdhsa_system_sgpr_private_segment_wavefront_offset 0
		.amdhsa_system_sgpr_workgroup_id_x 1
		.amdhsa_system_sgpr_workgroup_id_y 0
		.amdhsa_system_sgpr_workgroup_id_z 0
		.amdhsa_system_sgpr_workgroup_info 0
		.amdhsa_system_vgpr_workitem_id 0
		.amdhsa_next_free_vgpr 1
		.amdhsa_next_free_sgpr 0
		.amdhsa_reserve_vcc 0
		.amdhsa_reserve_flat_scratch 0
		.amdhsa_float_round_mode_32 0
		.amdhsa_float_round_mode_16_64 0
		.amdhsa_float_denorm_mode_32 3
		.amdhsa_float_denorm_mode_16_64 3
		.amdhsa_dx10_clamp 1
		.amdhsa_ieee_mode 1
		.amdhsa_fp16_overflow 0
		.amdhsa_exception_fp_ieee_invalid_op 0
		.amdhsa_exception_fp_denorm_src 0
		.amdhsa_exception_fp_ieee_div_zero 0
		.amdhsa_exception_fp_ieee_overflow 0
		.amdhsa_exception_fp_ieee_underflow 0
		.amdhsa_exception_fp_ieee_inexact 0
		.amdhsa_exception_int_div_zero 0
	.end_amdhsa_kernel
	.section	.text._ZN7rocprim17ROCPRIM_400000_NS6detail17trampoline_kernelINS0_14default_configENS1_25partition_config_selectorILNS1_17partition_subalgoE8EjNS0_10empty_typeEbEEZZNS1_14partition_implILS5_8ELb0ES3_jN6thrust23THRUST_200600_302600_NS6detail15normal_iteratorINSA_10device_ptrIjEEEEPS6_PKS6_NS0_5tupleIJSF_S6_EEENSJ_IJSG_SG_EEENS0_18inequality_wrapperINSA_8equal_toIjEEEEPmJS6_EEE10hipError_tPvRmT3_T4_T5_T6_T7_T9_mT8_P12ihipStream_tbDpT10_ENKUlT_T0_E_clISt17integral_constantIbLb0EES19_IbLb1EEEEDaS15_S16_EUlS15_E_NS1_11comp_targetILNS1_3genE8ELNS1_11target_archE1030ELNS1_3gpuE2ELNS1_3repE0EEENS1_30default_config_static_selectorELNS0_4arch9wavefront6targetE1EEEvT1_,"axG",@progbits,_ZN7rocprim17ROCPRIM_400000_NS6detail17trampoline_kernelINS0_14default_configENS1_25partition_config_selectorILNS1_17partition_subalgoE8EjNS0_10empty_typeEbEEZZNS1_14partition_implILS5_8ELb0ES3_jN6thrust23THRUST_200600_302600_NS6detail15normal_iteratorINSA_10device_ptrIjEEEEPS6_PKS6_NS0_5tupleIJSF_S6_EEENSJ_IJSG_SG_EEENS0_18inequality_wrapperINSA_8equal_toIjEEEEPmJS6_EEE10hipError_tPvRmT3_T4_T5_T6_T7_T9_mT8_P12ihipStream_tbDpT10_ENKUlT_T0_E_clISt17integral_constantIbLb0EES19_IbLb1EEEEDaS15_S16_EUlS15_E_NS1_11comp_targetILNS1_3genE8ELNS1_11target_archE1030ELNS1_3gpuE2ELNS1_3repE0EEENS1_30default_config_static_selectorELNS0_4arch9wavefront6targetE1EEEvT1_,comdat
.Lfunc_end241:
	.size	_ZN7rocprim17ROCPRIM_400000_NS6detail17trampoline_kernelINS0_14default_configENS1_25partition_config_selectorILNS1_17partition_subalgoE8EjNS0_10empty_typeEbEEZZNS1_14partition_implILS5_8ELb0ES3_jN6thrust23THRUST_200600_302600_NS6detail15normal_iteratorINSA_10device_ptrIjEEEEPS6_PKS6_NS0_5tupleIJSF_S6_EEENSJ_IJSG_SG_EEENS0_18inequality_wrapperINSA_8equal_toIjEEEEPmJS6_EEE10hipError_tPvRmT3_T4_T5_T6_T7_T9_mT8_P12ihipStream_tbDpT10_ENKUlT_T0_E_clISt17integral_constantIbLb0EES19_IbLb1EEEEDaS15_S16_EUlS15_E_NS1_11comp_targetILNS1_3genE8ELNS1_11target_archE1030ELNS1_3gpuE2ELNS1_3repE0EEENS1_30default_config_static_selectorELNS0_4arch9wavefront6targetE1EEEvT1_, .Lfunc_end241-_ZN7rocprim17ROCPRIM_400000_NS6detail17trampoline_kernelINS0_14default_configENS1_25partition_config_selectorILNS1_17partition_subalgoE8EjNS0_10empty_typeEbEEZZNS1_14partition_implILS5_8ELb0ES3_jN6thrust23THRUST_200600_302600_NS6detail15normal_iteratorINSA_10device_ptrIjEEEEPS6_PKS6_NS0_5tupleIJSF_S6_EEENSJ_IJSG_SG_EEENS0_18inequality_wrapperINSA_8equal_toIjEEEEPmJS6_EEE10hipError_tPvRmT3_T4_T5_T6_T7_T9_mT8_P12ihipStream_tbDpT10_ENKUlT_T0_E_clISt17integral_constantIbLb0EES19_IbLb1EEEEDaS15_S16_EUlS15_E_NS1_11comp_targetILNS1_3genE8ELNS1_11target_archE1030ELNS1_3gpuE2ELNS1_3repE0EEENS1_30default_config_static_selectorELNS0_4arch9wavefront6targetE1EEEvT1_
                                        ; -- End function
	.set _ZN7rocprim17ROCPRIM_400000_NS6detail17trampoline_kernelINS0_14default_configENS1_25partition_config_selectorILNS1_17partition_subalgoE8EjNS0_10empty_typeEbEEZZNS1_14partition_implILS5_8ELb0ES3_jN6thrust23THRUST_200600_302600_NS6detail15normal_iteratorINSA_10device_ptrIjEEEEPS6_PKS6_NS0_5tupleIJSF_S6_EEENSJ_IJSG_SG_EEENS0_18inequality_wrapperINSA_8equal_toIjEEEEPmJS6_EEE10hipError_tPvRmT3_T4_T5_T6_T7_T9_mT8_P12ihipStream_tbDpT10_ENKUlT_T0_E_clISt17integral_constantIbLb0EES19_IbLb1EEEEDaS15_S16_EUlS15_E_NS1_11comp_targetILNS1_3genE8ELNS1_11target_archE1030ELNS1_3gpuE2ELNS1_3repE0EEENS1_30default_config_static_selectorELNS0_4arch9wavefront6targetE1EEEvT1_.num_vgpr, 0
	.set _ZN7rocprim17ROCPRIM_400000_NS6detail17trampoline_kernelINS0_14default_configENS1_25partition_config_selectorILNS1_17partition_subalgoE8EjNS0_10empty_typeEbEEZZNS1_14partition_implILS5_8ELb0ES3_jN6thrust23THRUST_200600_302600_NS6detail15normal_iteratorINSA_10device_ptrIjEEEEPS6_PKS6_NS0_5tupleIJSF_S6_EEENSJ_IJSG_SG_EEENS0_18inequality_wrapperINSA_8equal_toIjEEEEPmJS6_EEE10hipError_tPvRmT3_T4_T5_T6_T7_T9_mT8_P12ihipStream_tbDpT10_ENKUlT_T0_E_clISt17integral_constantIbLb0EES19_IbLb1EEEEDaS15_S16_EUlS15_E_NS1_11comp_targetILNS1_3genE8ELNS1_11target_archE1030ELNS1_3gpuE2ELNS1_3repE0EEENS1_30default_config_static_selectorELNS0_4arch9wavefront6targetE1EEEvT1_.num_agpr, 0
	.set _ZN7rocprim17ROCPRIM_400000_NS6detail17trampoline_kernelINS0_14default_configENS1_25partition_config_selectorILNS1_17partition_subalgoE8EjNS0_10empty_typeEbEEZZNS1_14partition_implILS5_8ELb0ES3_jN6thrust23THRUST_200600_302600_NS6detail15normal_iteratorINSA_10device_ptrIjEEEEPS6_PKS6_NS0_5tupleIJSF_S6_EEENSJ_IJSG_SG_EEENS0_18inequality_wrapperINSA_8equal_toIjEEEEPmJS6_EEE10hipError_tPvRmT3_T4_T5_T6_T7_T9_mT8_P12ihipStream_tbDpT10_ENKUlT_T0_E_clISt17integral_constantIbLb0EES19_IbLb1EEEEDaS15_S16_EUlS15_E_NS1_11comp_targetILNS1_3genE8ELNS1_11target_archE1030ELNS1_3gpuE2ELNS1_3repE0EEENS1_30default_config_static_selectorELNS0_4arch9wavefront6targetE1EEEvT1_.numbered_sgpr, 0
	.set _ZN7rocprim17ROCPRIM_400000_NS6detail17trampoline_kernelINS0_14default_configENS1_25partition_config_selectorILNS1_17partition_subalgoE8EjNS0_10empty_typeEbEEZZNS1_14partition_implILS5_8ELb0ES3_jN6thrust23THRUST_200600_302600_NS6detail15normal_iteratorINSA_10device_ptrIjEEEEPS6_PKS6_NS0_5tupleIJSF_S6_EEENSJ_IJSG_SG_EEENS0_18inequality_wrapperINSA_8equal_toIjEEEEPmJS6_EEE10hipError_tPvRmT3_T4_T5_T6_T7_T9_mT8_P12ihipStream_tbDpT10_ENKUlT_T0_E_clISt17integral_constantIbLb0EES19_IbLb1EEEEDaS15_S16_EUlS15_E_NS1_11comp_targetILNS1_3genE8ELNS1_11target_archE1030ELNS1_3gpuE2ELNS1_3repE0EEENS1_30default_config_static_selectorELNS0_4arch9wavefront6targetE1EEEvT1_.num_named_barrier, 0
	.set _ZN7rocprim17ROCPRIM_400000_NS6detail17trampoline_kernelINS0_14default_configENS1_25partition_config_selectorILNS1_17partition_subalgoE8EjNS0_10empty_typeEbEEZZNS1_14partition_implILS5_8ELb0ES3_jN6thrust23THRUST_200600_302600_NS6detail15normal_iteratorINSA_10device_ptrIjEEEEPS6_PKS6_NS0_5tupleIJSF_S6_EEENSJ_IJSG_SG_EEENS0_18inequality_wrapperINSA_8equal_toIjEEEEPmJS6_EEE10hipError_tPvRmT3_T4_T5_T6_T7_T9_mT8_P12ihipStream_tbDpT10_ENKUlT_T0_E_clISt17integral_constantIbLb0EES19_IbLb1EEEEDaS15_S16_EUlS15_E_NS1_11comp_targetILNS1_3genE8ELNS1_11target_archE1030ELNS1_3gpuE2ELNS1_3repE0EEENS1_30default_config_static_selectorELNS0_4arch9wavefront6targetE1EEEvT1_.private_seg_size, 0
	.set _ZN7rocprim17ROCPRIM_400000_NS6detail17trampoline_kernelINS0_14default_configENS1_25partition_config_selectorILNS1_17partition_subalgoE8EjNS0_10empty_typeEbEEZZNS1_14partition_implILS5_8ELb0ES3_jN6thrust23THRUST_200600_302600_NS6detail15normal_iteratorINSA_10device_ptrIjEEEEPS6_PKS6_NS0_5tupleIJSF_S6_EEENSJ_IJSG_SG_EEENS0_18inequality_wrapperINSA_8equal_toIjEEEEPmJS6_EEE10hipError_tPvRmT3_T4_T5_T6_T7_T9_mT8_P12ihipStream_tbDpT10_ENKUlT_T0_E_clISt17integral_constantIbLb0EES19_IbLb1EEEEDaS15_S16_EUlS15_E_NS1_11comp_targetILNS1_3genE8ELNS1_11target_archE1030ELNS1_3gpuE2ELNS1_3repE0EEENS1_30default_config_static_selectorELNS0_4arch9wavefront6targetE1EEEvT1_.uses_vcc, 0
	.set _ZN7rocprim17ROCPRIM_400000_NS6detail17trampoline_kernelINS0_14default_configENS1_25partition_config_selectorILNS1_17partition_subalgoE8EjNS0_10empty_typeEbEEZZNS1_14partition_implILS5_8ELb0ES3_jN6thrust23THRUST_200600_302600_NS6detail15normal_iteratorINSA_10device_ptrIjEEEEPS6_PKS6_NS0_5tupleIJSF_S6_EEENSJ_IJSG_SG_EEENS0_18inequality_wrapperINSA_8equal_toIjEEEEPmJS6_EEE10hipError_tPvRmT3_T4_T5_T6_T7_T9_mT8_P12ihipStream_tbDpT10_ENKUlT_T0_E_clISt17integral_constantIbLb0EES19_IbLb1EEEEDaS15_S16_EUlS15_E_NS1_11comp_targetILNS1_3genE8ELNS1_11target_archE1030ELNS1_3gpuE2ELNS1_3repE0EEENS1_30default_config_static_selectorELNS0_4arch9wavefront6targetE1EEEvT1_.uses_flat_scratch, 0
	.set _ZN7rocprim17ROCPRIM_400000_NS6detail17trampoline_kernelINS0_14default_configENS1_25partition_config_selectorILNS1_17partition_subalgoE8EjNS0_10empty_typeEbEEZZNS1_14partition_implILS5_8ELb0ES3_jN6thrust23THRUST_200600_302600_NS6detail15normal_iteratorINSA_10device_ptrIjEEEEPS6_PKS6_NS0_5tupleIJSF_S6_EEENSJ_IJSG_SG_EEENS0_18inequality_wrapperINSA_8equal_toIjEEEEPmJS6_EEE10hipError_tPvRmT3_T4_T5_T6_T7_T9_mT8_P12ihipStream_tbDpT10_ENKUlT_T0_E_clISt17integral_constantIbLb0EES19_IbLb1EEEEDaS15_S16_EUlS15_E_NS1_11comp_targetILNS1_3genE8ELNS1_11target_archE1030ELNS1_3gpuE2ELNS1_3repE0EEENS1_30default_config_static_selectorELNS0_4arch9wavefront6targetE1EEEvT1_.has_dyn_sized_stack, 0
	.set _ZN7rocprim17ROCPRIM_400000_NS6detail17trampoline_kernelINS0_14default_configENS1_25partition_config_selectorILNS1_17partition_subalgoE8EjNS0_10empty_typeEbEEZZNS1_14partition_implILS5_8ELb0ES3_jN6thrust23THRUST_200600_302600_NS6detail15normal_iteratorINSA_10device_ptrIjEEEEPS6_PKS6_NS0_5tupleIJSF_S6_EEENSJ_IJSG_SG_EEENS0_18inequality_wrapperINSA_8equal_toIjEEEEPmJS6_EEE10hipError_tPvRmT3_T4_T5_T6_T7_T9_mT8_P12ihipStream_tbDpT10_ENKUlT_T0_E_clISt17integral_constantIbLb0EES19_IbLb1EEEEDaS15_S16_EUlS15_E_NS1_11comp_targetILNS1_3genE8ELNS1_11target_archE1030ELNS1_3gpuE2ELNS1_3repE0EEENS1_30default_config_static_selectorELNS0_4arch9wavefront6targetE1EEEvT1_.has_recursion, 0
	.set _ZN7rocprim17ROCPRIM_400000_NS6detail17trampoline_kernelINS0_14default_configENS1_25partition_config_selectorILNS1_17partition_subalgoE8EjNS0_10empty_typeEbEEZZNS1_14partition_implILS5_8ELb0ES3_jN6thrust23THRUST_200600_302600_NS6detail15normal_iteratorINSA_10device_ptrIjEEEEPS6_PKS6_NS0_5tupleIJSF_S6_EEENSJ_IJSG_SG_EEENS0_18inequality_wrapperINSA_8equal_toIjEEEEPmJS6_EEE10hipError_tPvRmT3_T4_T5_T6_T7_T9_mT8_P12ihipStream_tbDpT10_ENKUlT_T0_E_clISt17integral_constantIbLb0EES19_IbLb1EEEEDaS15_S16_EUlS15_E_NS1_11comp_targetILNS1_3genE8ELNS1_11target_archE1030ELNS1_3gpuE2ELNS1_3repE0EEENS1_30default_config_static_selectorELNS0_4arch9wavefront6targetE1EEEvT1_.has_indirect_call, 0
	.section	.AMDGPU.csdata,"",@progbits
; Kernel info:
; codeLenInByte = 0
; TotalNumSgprs: 4
; NumVgprs: 0
; ScratchSize: 0
; MemoryBound: 0
; FloatMode: 240
; IeeeMode: 1
; LDSByteSize: 0 bytes/workgroup (compile time only)
; SGPRBlocks: 0
; VGPRBlocks: 0
; NumSGPRsForWavesPerEU: 4
; NumVGPRsForWavesPerEU: 1
; Occupancy: 10
; WaveLimiterHint : 0
; COMPUTE_PGM_RSRC2:SCRATCH_EN: 0
; COMPUTE_PGM_RSRC2:USER_SGPR: 6
; COMPUTE_PGM_RSRC2:TRAP_HANDLER: 0
; COMPUTE_PGM_RSRC2:TGID_X_EN: 1
; COMPUTE_PGM_RSRC2:TGID_Y_EN: 0
; COMPUTE_PGM_RSRC2:TGID_Z_EN: 0
; COMPUTE_PGM_RSRC2:TIDIG_COMP_CNT: 0
	.section	.text._ZN7rocprim17ROCPRIM_400000_NS6detail17trampoline_kernelINS0_14default_configENS1_25partition_config_selectorILNS1_17partition_subalgoE8EjNS0_10empty_typeEbEEZZNS1_14partition_implILS5_8ELb0ES3_jN6thrust23THRUST_200600_302600_NS6detail15normal_iteratorINSA_10device_ptrIjEEEEPS6_PKS6_NS0_5tupleIJSF_S6_EEENSJ_IJSG_SG_EEENS0_18inequality_wrapperI22is_equal_div_10_uniqueIjEEEPmJS6_EEE10hipError_tPvRmT3_T4_T5_T6_T7_T9_mT8_P12ihipStream_tbDpT10_ENKUlT_T0_E_clISt17integral_constantIbLb0EES1A_EEDaS15_S16_EUlS15_E_NS1_11comp_targetILNS1_3genE0ELNS1_11target_archE4294967295ELNS1_3gpuE0ELNS1_3repE0EEENS1_30default_config_static_selectorELNS0_4arch9wavefront6targetE1EEEvT1_,"axG",@progbits,_ZN7rocprim17ROCPRIM_400000_NS6detail17trampoline_kernelINS0_14default_configENS1_25partition_config_selectorILNS1_17partition_subalgoE8EjNS0_10empty_typeEbEEZZNS1_14partition_implILS5_8ELb0ES3_jN6thrust23THRUST_200600_302600_NS6detail15normal_iteratorINSA_10device_ptrIjEEEEPS6_PKS6_NS0_5tupleIJSF_S6_EEENSJ_IJSG_SG_EEENS0_18inequality_wrapperI22is_equal_div_10_uniqueIjEEEPmJS6_EEE10hipError_tPvRmT3_T4_T5_T6_T7_T9_mT8_P12ihipStream_tbDpT10_ENKUlT_T0_E_clISt17integral_constantIbLb0EES1A_EEDaS15_S16_EUlS15_E_NS1_11comp_targetILNS1_3genE0ELNS1_11target_archE4294967295ELNS1_3gpuE0ELNS1_3repE0EEENS1_30default_config_static_selectorELNS0_4arch9wavefront6targetE1EEEvT1_,comdat
	.protected	_ZN7rocprim17ROCPRIM_400000_NS6detail17trampoline_kernelINS0_14default_configENS1_25partition_config_selectorILNS1_17partition_subalgoE8EjNS0_10empty_typeEbEEZZNS1_14partition_implILS5_8ELb0ES3_jN6thrust23THRUST_200600_302600_NS6detail15normal_iteratorINSA_10device_ptrIjEEEEPS6_PKS6_NS0_5tupleIJSF_S6_EEENSJ_IJSG_SG_EEENS0_18inequality_wrapperI22is_equal_div_10_uniqueIjEEEPmJS6_EEE10hipError_tPvRmT3_T4_T5_T6_T7_T9_mT8_P12ihipStream_tbDpT10_ENKUlT_T0_E_clISt17integral_constantIbLb0EES1A_EEDaS15_S16_EUlS15_E_NS1_11comp_targetILNS1_3genE0ELNS1_11target_archE4294967295ELNS1_3gpuE0ELNS1_3repE0EEENS1_30default_config_static_selectorELNS0_4arch9wavefront6targetE1EEEvT1_ ; -- Begin function _ZN7rocprim17ROCPRIM_400000_NS6detail17trampoline_kernelINS0_14default_configENS1_25partition_config_selectorILNS1_17partition_subalgoE8EjNS0_10empty_typeEbEEZZNS1_14partition_implILS5_8ELb0ES3_jN6thrust23THRUST_200600_302600_NS6detail15normal_iteratorINSA_10device_ptrIjEEEEPS6_PKS6_NS0_5tupleIJSF_S6_EEENSJ_IJSG_SG_EEENS0_18inequality_wrapperI22is_equal_div_10_uniqueIjEEEPmJS6_EEE10hipError_tPvRmT3_T4_T5_T6_T7_T9_mT8_P12ihipStream_tbDpT10_ENKUlT_T0_E_clISt17integral_constantIbLb0EES1A_EEDaS15_S16_EUlS15_E_NS1_11comp_targetILNS1_3genE0ELNS1_11target_archE4294967295ELNS1_3gpuE0ELNS1_3repE0EEENS1_30default_config_static_selectorELNS0_4arch9wavefront6targetE1EEEvT1_
	.globl	_ZN7rocprim17ROCPRIM_400000_NS6detail17trampoline_kernelINS0_14default_configENS1_25partition_config_selectorILNS1_17partition_subalgoE8EjNS0_10empty_typeEbEEZZNS1_14partition_implILS5_8ELb0ES3_jN6thrust23THRUST_200600_302600_NS6detail15normal_iteratorINSA_10device_ptrIjEEEEPS6_PKS6_NS0_5tupleIJSF_S6_EEENSJ_IJSG_SG_EEENS0_18inequality_wrapperI22is_equal_div_10_uniqueIjEEEPmJS6_EEE10hipError_tPvRmT3_T4_T5_T6_T7_T9_mT8_P12ihipStream_tbDpT10_ENKUlT_T0_E_clISt17integral_constantIbLb0EES1A_EEDaS15_S16_EUlS15_E_NS1_11comp_targetILNS1_3genE0ELNS1_11target_archE4294967295ELNS1_3gpuE0ELNS1_3repE0EEENS1_30default_config_static_selectorELNS0_4arch9wavefront6targetE1EEEvT1_
	.p2align	8
	.type	_ZN7rocprim17ROCPRIM_400000_NS6detail17trampoline_kernelINS0_14default_configENS1_25partition_config_selectorILNS1_17partition_subalgoE8EjNS0_10empty_typeEbEEZZNS1_14partition_implILS5_8ELb0ES3_jN6thrust23THRUST_200600_302600_NS6detail15normal_iteratorINSA_10device_ptrIjEEEEPS6_PKS6_NS0_5tupleIJSF_S6_EEENSJ_IJSG_SG_EEENS0_18inequality_wrapperI22is_equal_div_10_uniqueIjEEEPmJS6_EEE10hipError_tPvRmT3_T4_T5_T6_T7_T9_mT8_P12ihipStream_tbDpT10_ENKUlT_T0_E_clISt17integral_constantIbLb0EES1A_EEDaS15_S16_EUlS15_E_NS1_11comp_targetILNS1_3genE0ELNS1_11target_archE4294967295ELNS1_3gpuE0ELNS1_3repE0EEENS1_30default_config_static_selectorELNS0_4arch9wavefront6targetE1EEEvT1_,@function
_ZN7rocprim17ROCPRIM_400000_NS6detail17trampoline_kernelINS0_14default_configENS1_25partition_config_selectorILNS1_17partition_subalgoE8EjNS0_10empty_typeEbEEZZNS1_14partition_implILS5_8ELb0ES3_jN6thrust23THRUST_200600_302600_NS6detail15normal_iteratorINSA_10device_ptrIjEEEEPS6_PKS6_NS0_5tupleIJSF_S6_EEENSJ_IJSG_SG_EEENS0_18inequality_wrapperI22is_equal_div_10_uniqueIjEEEPmJS6_EEE10hipError_tPvRmT3_T4_T5_T6_T7_T9_mT8_P12ihipStream_tbDpT10_ENKUlT_T0_E_clISt17integral_constantIbLb0EES1A_EEDaS15_S16_EUlS15_E_NS1_11comp_targetILNS1_3genE0ELNS1_11target_archE4294967295ELNS1_3gpuE0ELNS1_3repE0EEENS1_30default_config_static_selectorELNS0_4arch9wavefront6targetE1EEEvT1_: ; @_ZN7rocprim17ROCPRIM_400000_NS6detail17trampoline_kernelINS0_14default_configENS1_25partition_config_selectorILNS1_17partition_subalgoE8EjNS0_10empty_typeEbEEZZNS1_14partition_implILS5_8ELb0ES3_jN6thrust23THRUST_200600_302600_NS6detail15normal_iteratorINSA_10device_ptrIjEEEEPS6_PKS6_NS0_5tupleIJSF_S6_EEENSJ_IJSG_SG_EEENS0_18inequality_wrapperI22is_equal_div_10_uniqueIjEEEPmJS6_EEE10hipError_tPvRmT3_T4_T5_T6_T7_T9_mT8_P12ihipStream_tbDpT10_ENKUlT_T0_E_clISt17integral_constantIbLb0EES1A_EEDaS15_S16_EUlS15_E_NS1_11comp_targetILNS1_3genE0ELNS1_11target_archE4294967295ELNS1_3gpuE0ELNS1_3repE0EEENS1_30default_config_static_selectorELNS0_4arch9wavefront6targetE1EEEvT1_
; %bb.0:
	.section	.rodata,"a",@progbits
	.p2align	6, 0x0
	.amdhsa_kernel _ZN7rocprim17ROCPRIM_400000_NS6detail17trampoline_kernelINS0_14default_configENS1_25partition_config_selectorILNS1_17partition_subalgoE8EjNS0_10empty_typeEbEEZZNS1_14partition_implILS5_8ELb0ES3_jN6thrust23THRUST_200600_302600_NS6detail15normal_iteratorINSA_10device_ptrIjEEEEPS6_PKS6_NS0_5tupleIJSF_S6_EEENSJ_IJSG_SG_EEENS0_18inequality_wrapperI22is_equal_div_10_uniqueIjEEEPmJS6_EEE10hipError_tPvRmT3_T4_T5_T6_T7_T9_mT8_P12ihipStream_tbDpT10_ENKUlT_T0_E_clISt17integral_constantIbLb0EES1A_EEDaS15_S16_EUlS15_E_NS1_11comp_targetILNS1_3genE0ELNS1_11target_archE4294967295ELNS1_3gpuE0ELNS1_3repE0EEENS1_30default_config_static_selectorELNS0_4arch9wavefront6targetE1EEEvT1_
		.amdhsa_group_segment_fixed_size 0
		.amdhsa_private_segment_fixed_size 0
		.amdhsa_kernarg_size 112
		.amdhsa_user_sgpr_count 6
		.amdhsa_user_sgpr_private_segment_buffer 1
		.amdhsa_user_sgpr_dispatch_ptr 0
		.amdhsa_user_sgpr_queue_ptr 0
		.amdhsa_user_sgpr_kernarg_segment_ptr 1
		.amdhsa_user_sgpr_dispatch_id 0
		.amdhsa_user_sgpr_flat_scratch_init 0
		.amdhsa_user_sgpr_private_segment_size 0
		.amdhsa_uses_dynamic_stack 0
		.amdhsa_system_sgpr_private_segment_wavefront_offset 0
		.amdhsa_system_sgpr_workgroup_id_x 1
		.amdhsa_system_sgpr_workgroup_id_y 0
		.amdhsa_system_sgpr_workgroup_id_z 0
		.amdhsa_system_sgpr_workgroup_info 0
		.amdhsa_system_vgpr_workitem_id 0
		.amdhsa_next_free_vgpr 1
		.amdhsa_next_free_sgpr 0
		.amdhsa_reserve_vcc 0
		.amdhsa_reserve_flat_scratch 0
		.amdhsa_float_round_mode_32 0
		.amdhsa_float_round_mode_16_64 0
		.amdhsa_float_denorm_mode_32 3
		.amdhsa_float_denorm_mode_16_64 3
		.amdhsa_dx10_clamp 1
		.amdhsa_ieee_mode 1
		.amdhsa_fp16_overflow 0
		.amdhsa_exception_fp_ieee_invalid_op 0
		.amdhsa_exception_fp_denorm_src 0
		.amdhsa_exception_fp_ieee_div_zero 0
		.amdhsa_exception_fp_ieee_overflow 0
		.amdhsa_exception_fp_ieee_underflow 0
		.amdhsa_exception_fp_ieee_inexact 0
		.amdhsa_exception_int_div_zero 0
	.end_amdhsa_kernel
	.section	.text._ZN7rocprim17ROCPRIM_400000_NS6detail17trampoline_kernelINS0_14default_configENS1_25partition_config_selectorILNS1_17partition_subalgoE8EjNS0_10empty_typeEbEEZZNS1_14partition_implILS5_8ELb0ES3_jN6thrust23THRUST_200600_302600_NS6detail15normal_iteratorINSA_10device_ptrIjEEEEPS6_PKS6_NS0_5tupleIJSF_S6_EEENSJ_IJSG_SG_EEENS0_18inequality_wrapperI22is_equal_div_10_uniqueIjEEEPmJS6_EEE10hipError_tPvRmT3_T4_T5_T6_T7_T9_mT8_P12ihipStream_tbDpT10_ENKUlT_T0_E_clISt17integral_constantIbLb0EES1A_EEDaS15_S16_EUlS15_E_NS1_11comp_targetILNS1_3genE0ELNS1_11target_archE4294967295ELNS1_3gpuE0ELNS1_3repE0EEENS1_30default_config_static_selectorELNS0_4arch9wavefront6targetE1EEEvT1_,"axG",@progbits,_ZN7rocprim17ROCPRIM_400000_NS6detail17trampoline_kernelINS0_14default_configENS1_25partition_config_selectorILNS1_17partition_subalgoE8EjNS0_10empty_typeEbEEZZNS1_14partition_implILS5_8ELb0ES3_jN6thrust23THRUST_200600_302600_NS6detail15normal_iteratorINSA_10device_ptrIjEEEEPS6_PKS6_NS0_5tupleIJSF_S6_EEENSJ_IJSG_SG_EEENS0_18inequality_wrapperI22is_equal_div_10_uniqueIjEEEPmJS6_EEE10hipError_tPvRmT3_T4_T5_T6_T7_T9_mT8_P12ihipStream_tbDpT10_ENKUlT_T0_E_clISt17integral_constantIbLb0EES1A_EEDaS15_S16_EUlS15_E_NS1_11comp_targetILNS1_3genE0ELNS1_11target_archE4294967295ELNS1_3gpuE0ELNS1_3repE0EEENS1_30default_config_static_selectorELNS0_4arch9wavefront6targetE1EEEvT1_,comdat
.Lfunc_end242:
	.size	_ZN7rocprim17ROCPRIM_400000_NS6detail17trampoline_kernelINS0_14default_configENS1_25partition_config_selectorILNS1_17partition_subalgoE8EjNS0_10empty_typeEbEEZZNS1_14partition_implILS5_8ELb0ES3_jN6thrust23THRUST_200600_302600_NS6detail15normal_iteratorINSA_10device_ptrIjEEEEPS6_PKS6_NS0_5tupleIJSF_S6_EEENSJ_IJSG_SG_EEENS0_18inequality_wrapperI22is_equal_div_10_uniqueIjEEEPmJS6_EEE10hipError_tPvRmT3_T4_T5_T6_T7_T9_mT8_P12ihipStream_tbDpT10_ENKUlT_T0_E_clISt17integral_constantIbLb0EES1A_EEDaS15_S16_EUlS15_E_NS1_11comp_targetILNS1_3genE0ELNS1_11target_archE4294967295ELNS1_3gpuE0ELNS1_3repE0EEENS1_30default_config_static_selectorELNS0_4arch9wavefront6targetE1EEEvT1_, .Lfunc_end242-_ZN7rocprim17ROCPRIM_400000_NS6detail17trampoline_kernelINS0_14default_configENS1_25partition_config_selectorILNS1_17partition_subalgoE8EjNS0_10empty_typeEbEEZZNS1_14partition_implILS5_8ELb0ES3_jN6thrust23THRUST_200600_302600_NS6detail15normal_iteratorINSA_10device_ptrIjEEEEPS6_PKS6_NS0_5tupleIJSF_S6_EEENSJ_IJSG_SG_EEENS0_18inequality_wrapperI22is_equal_div_10_uniqueIjEEEPmJS6_EEE10hipError_tPvRmT3_T4_T5_T6_T7_T9_mT8_P12ihipStream_tbDpT10_ENKUlT_T0_E_clISt17integral_constantIbLb0EES1A_EEDaS15_S16_EUlS15_E_NS1_11comp_targetILNS1_3genE0ELNS1_11target_archE4294967295ELNS1_3gpuE0ELNS1_3repE0EEENS1_30default_config_static_selectorELNS0_4arch9wavefront6targetE1EEEvT1_
                                        ; -- End function
	.set _ZN7rocprim17ROCPRIM_400000_NS6detail17trampoline_kernelINS0_14default_configENS1_25partition_config_selectorILNS1_17partition_subalgoE8EjNS0_10empty_typeEbEEZZNS1_14partition_implILS5_8ELb0ES3_jN6thrust23THRUST_200600_302600_NS6detail15normal_iteratorINSA_10device_ptrIjEEEEPS6_PKS6_NS0_5tupleIJSF_S6_EEENSJ_IJSG_SG_EEENS0_18inequality_wrapperI22is_equal_div_10_uniqueIjEEEPmJS6_EEE10hipError_tPvRmT3_T4_T5_T6_T7_T9_mT8_P12ihipStream_tbDpT10_ENKUlT_T0_E_clISt17integral_constantIbLb0EES1A_EEDaS15_S16_EUlS15_E_NS1_11comp_targetILNS1_3genE0ELNS1_11target_archE4294967295ELNS1_3gpuE0ELNS1_3repE0EEENS1_30default_config_static_selectorELNS0_4arch9wavefront6targetE1EEEvT1_.num_vgpr, 0
	.set _ZN7rocprim17ROCPRIM_400000_NS6detail17trampoline_kernelINS0_14default_configENS1_25partition_config_selectorILNS1_17partition_subalgoE8EjNS0_10empty_typeEbEEZZNS1_14partition_implILS5_8ELb0ES3_jN6thrust23THRUST_200600_302600_NS6detail15normal_iteratorINSA_10device_ptrIjEEEEPS6_PKS6_NS0_5tupleIJSF_S6_EEENSJ_IJSG_SG_EEENS0_18inequality_wrapperI22is_equal_div_10_uniqueIjEEEPmJS6_EEE10hipError_tPvRmT3_T4_T5_T6_T7_T9_mT8_P12ihipStream_tbDpT10_ENKUlT_T0_E_clISt17integral_constantIbLb0EES1A_EEDaS15_S16_EUlS15_E_NS1_11comp_targetILNS1_3genE0ELNS1_11target_archE4294967295ELNS1_3gpuE0ELNS1_3repE0EEENS1_30default_config_static_selectorELNS0_4arch9wavefront6targetE1EEEvT1_.num_agpr, 0
	.set _ZN7rocprim17ROCPRIM_400000_NS6detail17trampoline_kernelINS0_14default_configENS1_25partition_config_selectorILNS1_17partition_subalgoE8EjNS0_10empty_typeEbEEZZNS1_14partition_implILS5_8ELb0ES3_jN6thrust23THRUST_200600_302600_NS6detail15normal_iteratorINSA_10device_ptrIjEEEEPS6_PKS6_NS0_5tupleIJSF_S6_EEENSJ_IJSG_SG_EEENS0_18inequality_wrapperI22is_equal_div_10_uniqueIjEEEPmJS6_EEE10hipError_tPvRmT3_T4_T5_T6_T7_T9_mT8_P12ihipStream_tbDpT10_ENKUlT_T0_E_clISt17integral_constantIbLb0EES1A_EEDaS15_S16_EUlS15_E_NS1_11comp_targetILNS1_3genE0ELNS1_11target_archE4294967295ELNS1_3gpuE0ELNS1_3repE0EEENS1_30default_config_static_selectorELNS0_4arch9wavefront6targetE1EEEvT1_.numbered_sgpr, 0
	.set _ZN7rocprim17ROCPRIM_400000_NS6detail17trampoline_kernelINS0_14default_configENS1_25partition_config_selectorILNS1_17partition_subalgoE8EjNS0_10empty_typeEbEEZZNS1_14partition_implILS5_8ELb0ES3_jN6thrust23THRUST_200600_302600_NS6detail15normal_iteratorINSA_10device_ptrIjEEEEPS6_PKS6_NS0_5tupleIJSF_S6_EEENSJ_IJSG_SG_EEENS0_18inequality_wrapperI22is_equal_div_10_uniqueIjEEEPmJS6_EEE10hipError_tPvRmT3_T4_T5_T6_T7_T9_mT8_P12ihipStream_tbDpT10_ENKUlT_T0_E_clISt17integral_constantIbLb0EES1A_EEDaS15_S16_EUlS15_E_NS1_11comp_targetILNS1_3genE0ELNS1_11target_archE4294967295ELNS1_3gpuE0ELNS1_3repE0EEENS1_30default_config_static_selectorELNS0_4arch9wavefront6targetE1EEEvT1_.num_named_barrier, 0
	.set _ZN7rocprim17ROCPRIM_400000_NS6detail17trampoline_kernelINS0_14default_configENS1_25partition_config_selectorILNS1_17partition_subalgoE8EjNS0_10empty_typeEbEEZZNS1_14partition_implILS5_8ELb0ES3_jN6thrust23THRUST_200600_302600_NS6detail15normal_iteratorINSA_10device_ptrIjEEEEPS6_PKS6_NS0_5tupleIJSF_S6_EEENSJ_IJSG_SG_EEENS0_18inequality_wrapperI22is_equal_div_10_uniqueIjEEEPmJS6_EEE10hipError_tPvRmT3_T4_T5_T6_T7_T9_mT8_P12ihipStream_tbDpT10_ENKUlT_T0_E_clISt17integral_constantIbLb0EES1A_EEDaS15_S16_EUlS15_E_NS1_11comp_targetILNS1_3genE0ELNS1_11target_archE4294967295ELNS1_3gpuE0ELNS1_3repE0EEENS1_30default_config_static_selectorELNS0_4arch9wavefront6targetE1EEEvT1_.private_seg_size, 0
	.set _ZN7rocprim17ROCPRIM_400000_NS6detail17trampoline_kernelINS0_14default_configENS1_25partition_config_selectorILNS1_17partition_subalgoE8EjNS0_10empty_typeEbEEZZNS1_14partition_implILS5_8ELb0ES3_jN6thrust23THRUST_200600_302600_NS6detail15normal_iteratorINSA_10device_ptrIjEEEEPS6_PKS6_NS0_5tupleIJSF_S6_EEENSJ_IJSG_SG_EEENS0_18inequality_wrapperI22is_equal_div_10_uniqueIjEEEPmJS6_EEE10hipError_tPvRmT3_T4_T5_T6_T7_T9_mT8_P12ihipStream_tbDpT10_ENKUlT_T0_E_clISt17integral_constantIbLb0EES1A_EEDaS15_S16_EUlS15_E_NS1_11comp_targetILNS1_3genE0ELNS1_11target_archE4294967295ELNS1_3gpuE0ELNS1_3repE0EEENS1_30default_config_static_selectorELNS0_4arch9wavefront6targetE1EEEvT1_.uses_vcc, 0
	.set _ZN7rocprim17ROCPRIM_400000_NS6detail17trampoline_kernelINS0_14default_configENS1_25partition_config_selectorILNS1_17partition_subalgoE8EjNS0_10empty_typeEbEEZZNS1_14partition_implILS5_8ELb0ES3_jN6thrust23THRUST_200600_302600_NS6detail15normal_iteratorINSA_10device_ptrIjEEEEPS6_PKS6_NS0_5tupleIJSF_S6_EEENSJ_IJSG_SG_EEENS0_18inequality_wrapperI22is_equal_div_10_uniqueIjEEEPmJS6_EEE10hipError_tPvRmT3_T4_T5_T6_T7_T9_mT8_P12ihipStream_tbDpT10_ENKUlT_T0_E_clISt17integral_constantIbLb0EES1A_EEDaS15_S16_EUlS15_E_NS1_11comp_targetILNS1_3genE0ELNS1_11target_archE4294967295ELNS1_3gpuE0ELNS1_3repE0EEENS1_30default_config_static_selectorELNS0_4arch9wavefront6targetE1EEEvT1_.uses_flat_scratch, 0
	.set _ZN7rocprim17ROCPRIM_400000_NS6detail17trampoline_kernelINS0_14default_configENS1_25partition_config_selectorILNS1_17partition_subalgoE8EjNS0_10empty_typeEbEEZZNS1_14partition_implILS5_8ELb0ES3_jN6thrust23THRUST_200600_302600_NS6detail15normal_iteratorINSA_10device_ptrIjEEEEPS6_PKS6_NS0_5tupleIJSF_S6_EEENSJ_IJSG_SG_EEENS0_18inequality_wrapperI22is_equal_div_10_uniqueIjEEEPmJS6_EEE10hipError_tPvRmT3_T4_T5_T6_T7_T9_mT8_P12ihipStream_tbDpT10_ENKUlT_T0_E_clISt17integral_constantIbLb0EES1A_EEDaS15_S16_EUlS15_E_NS1_11comp_targetILNS1_3genE0ELNS1_11target_archE4294967295ELNS1_3gpuE0ELNS1_3repE0EEENS1_30default_config_static_selectorELNS0_4arch9wavefront6targetE1EEEvT1_.has_dyn_sized_stack, 0
	.set _ZN7rocprim17ROCPRIM_400000_NS6detail17trampoline_kernelINS0_14default_configENS1_25partition_config_selectorILNS1_17partition_subalgoE8EjNS0_10empty_typeEbEEZZNS1_14partition_implILS5_8ELb0ES3_jN6thrust23THRUST_200600_302600_NS6detail15normal_iteratorINSA_10device_ptrIjEEEEPS6_PKS6_NS0_5tupleIJSF_S6_EEENSJ_IJSG_SG_EEENS0_18inequality_wrapperI22is_equal_div_10_uniqueIjEEEPmJS6_EEE10hipError_tPvRmT3_T4_T5_T6_T7_T9_mT8_P12ihipStream_tbDpT10_ENKUlT_T0_E_clISt17integral_constantIbLb0EES1A_EEDaS15_S16_EUlS15_E_NS1_11comp_targetILNS1_3genE0ELNS1_11target_archE4294967295ELNS1_3gpuE0ELNS1_3repE0EEENS1_30default_config_static_selectorELNS0_4arch9wavefront6targetE1EEEvT1_.has_recursion, 0
	.set _ZN7rocprim17ROCPRIM_400000_NS6detail17trampoline_kernelINS0_14default_configENS1_25partition_config_selectorILNS1_17partition_subalgoE8EjNS0_10empty_typeEbEEZZNS1_14partition_implILS5_8ELb0ES3_jN6thrust23THRUST_200600_302600_NS6detail15normal_iteratorINSA_10device_ptrIjEEEEPS6_PKS6_NS0_5tupleIJSF_S6_EEENSJ_IJSG_SG_EEENS0_18inequality_wrapperI22is_equal_div_10_uniqueIjEEEPmJS6_EEE10hipError_tPvRmT3_T4_T5_T6_T7_T9_mT8_P12ihipStream_tbDpT10_ENKUlT_T0_E_clISt17integral_constantIbLb0EES1A_EEDaS15_S16_EUlS15_E_NS1_11comp_targetILNS1_3genE0ELNS1_11target_archE4294967295ELNS1_3gpuE0ELNS1_3repE0EEENS1_30default_config_static_selectorELNS0_4arch9wavefront6targetE1EEEvT1_.has_indirect_call, 0
	.section	.AMDGPU.csdata,"",@progbits
; Kernel info:
; codeLenInByte = 0
; TotalNumSgprs: 4
; NumVgprs: 0
; ScratchSize: 0
; MemoryBound: 0
; FloatMode: 240
; IeeeMode: 1
; LDSByteSize: 0 bytes/workgroup (compile time only)
; SGPRBlocks: 0
; VGPRBlocks: 0
; NumSGPRsForWavesPerEU: 4
; NumVGPRsForWavesPerEU: 1
; Occupancy: 10
; WaveLimiterHint : 0
; COMPUTE_PGM_RSRC2:SCRATCH_EN: 0
; COMPUTE_PGM_RSRC2:USER_SGPR: 6
; COMPUTE_PGM_RSRC2:TRAP_HANDLER: 0
; COMPUTE_PGM_RSRC2:TGID_X_EN: 1
; COMPUTE_PGM_RSRC2:TGID_Y_EN: 0
; COMPUTE_PGM_RSRC2:TGID_Z_EN: 0
; COMPUTE_PGM_RSRC2:TIDIG_COMP_CNT: 0
	.section	.text._ZN7rocprim17ROCPRIM_400000_NS6detail17trampoline_kernelINS0_14default_configENS1_25partition_config_selectorILNS1_17partition_subalgoE8EjNS0_10empty_typeEbEEZZNS1_14partition_implILS5_8ELb0ES3_jN6thrust23THRUST_200600_302600_NS6detail15normal_iteratorINSA_10device_ptrIjEEEEPS6_PKS6_NS0_5tupleIJSF_S6_EEENSJ_IJSG_SG_EEENS0_18inequality_wrapperI22is_equal_div_10_uniqueIjEEEPmJS6_EEE10hipError_tPvRmT3_T4_T5_T6_T7_T9_mT8_P12ihipStream_tbDpT10_ENKUlT_T0_E_clISt17integral_constantIbLb0EES1A_EEDaS15_S16_EUlS15_E_NS1_11comp_targetILNS1_3genE5ELNS1_11target_archE942ELNS1_3gpuE9ELNS1_3repE0EEENS1_30default_config_static_selectorELNS0_4arch9wavefront6targetE1EEEvT1_,"axG",@progbits,_ZN7rocprim17ROCPRIM_400000_NS6detail17trampoline_kernelINS0_14default_configENS1_25partition_config_selectorILNS1_17partition_subalgoE8EjNS0_10empty_typeEbEEZZNS1_14partition_implILS5_8ELb0ES3_jN6thrust23THRUST_200600_302600_NS6detail15normal_iteratorINSA_10device_ptrIjEEEEPS6_PKS6_NS0_5tupleIJSF_S6_EEENSJ_IJSG_SG_EEENS0_18inequality_wrapperI22is_equal_div_10_uniqueIjEEEPmJS6_EEE10hipError_tPvRmT3_T4_T5_T6_T7_T9_mT8_P12ihipStream_tbDpT10_ENKUlT_T0_E_clISt17integral_constantIbLb0EES1A_EEDaS15_S16_EUlS15_E_NS1_11comp_targetILNS1_3genE5ELNS1_11target_archE942ELNS1_3gpuE9ELNS1_3repE0EEENS1_30default_config_static_selectorELNS0_4arch9wavefront6targetE1EEEvT1_,comdat
	.protected	_ZN7rocprim17ROCPRIM_400000_NS6detail17trampoline_kernelINS0_14default_configENS1_25partition_config_selectorILNS1_17partition_subalgoE8EjNS0_10empty_typeEbEEZZNS1_14partition_implILS5_8ELb0ES3_jN6thrust23THRUST_200600_302600_NS6detail15normal_iteratorINSA_10device_ptrIjEEEEPS6_PKS6_NS0_5tupleIJSF_S6_EEENSJ_IJSG_SG_EEENS0_18inequality_wrapperI22is_equal_div_10_uniqueIjEEEPmJS6_EEE10hipError_tPvRmT3_T4_T5_T6_T7_T9_mT8_P12ihipStream_tbDpT10_ENKUlT_T0_E_clISt17integral_constantIbLb0EES1A_EEDaS15_S16_EUlS15_E_NS1_11comp_targetILNS1_3genE5ELNS1_11target_archE942ELNS1_3gpuE9ELNS1_3repE0EEENS1_30default_config_static_selectorELNS0_4arch9wavefront6targetE1EEEvT1_ ; -- Begin function _ZN7rocprim17ROCPRIM_400000_NS6detail17trampoline_kernelINS0_14default_configENS1_25partition_config_selectorILNS1_17partition_subalgoE8EjNS0_10empty_typeEbEEZZNS1_14partition_implILS5_8ELb0ES3_jN6thrust23THRUST_200600_302600_NS6detail15normal_iteratorINSA_10device_ptrIjEEEEPS6_PKS6_NS0_5tupleIJSF_S6_EEENSJ_IJSG_SG_EEENS0_18inequality_wrapperI22is_equal_div_10_uniqueIjEEEPmJS6_EEE10hipError_tPvRmT3_T4_T5_T6_T7_T9_mT8_P12ihipStream_tbDpT10_ENKUlT_T0_E_clISt17integral_constantIbLb0EES1A_EEDaS15_S16_EUlS15_E_NS1_11comp_targetILNS1_3genE5ELNS1_11target_archE942ELNS1_3gpuE9ELNS1_3repE0EEENS1_30default_config_static_selectorELNS0_4arch9wavefront6targetE1EEEvT1_
	.globl	_ZN7rocprim17ROCPRIM_400000_NS6detail17trampoline_kernelINS0_14default_configENS1_25partition_config_selectorILNS1_17partition_subalgoE8EjNS0_10empty_typeEbEEZZNS1_14partition_implILS5_8ELb0ES3_jN6thrust23THRUST_200600_302600_NS6detail15normal_iteratorINSA_10device_ptrIjEEEEPS6_PKS6_NS0_5tupleIJSF_S6_EEENSJ_IJSG_SG_EEENS0_18inequality_wrapperI22is_equal_div_10_uniqueIjEEEPmJS6_EEE10hipError_tPvRmT3_T4_T5_T6_T7_T9_mT8_P12ihipStream_tbDpT10_ENKUlT_T0_E_clISt17integral_constantIbLb0EES1A_EEDaS15_S16_EUlS15_E_NS1_11comp_targetILNS1_3genE5ELNS1_11target_archE942ELNS1_3gpuE9ELNS1_3repE0EEENS1_30default_config_static_selectorELNS0_4arch9wavefront6targetE1EEEvT1_
	.p2align	8
	.type	_ZN7rocprim17ROCPRIM_400000_NS6detail17trampoline_kernelINS0_14default_configENS1_25partition_config_selectorILNS1_17partition_subalgoE8EjNS0_10empty_typeEbEEZZNS1_14partition_implILS5_8ELb0ES3_jN6thrust23THRUST_200600_302600_NS6detail15normal_iteratorINSA_10device_ptrIjEEEEPS6_PKS6_NS0_5tupleIJSF_S6_EEENSJ_IJSG_SG_EEENS0_18inequality_wrapperI22is_equal_div_10_uniqueIjEEEPmJS6_EEE10hipError_tPvRmT3_T4_T5_T6_T7_T9_mT8_P12ihipStream_tbDpT10_ENKUlT_T0_E_clISt17integral_constantIbLb0EES1A_EEDaS15_S16_EUlS15_E_NS1_11comp_targetILNS1_3genE5ELNS1_11target_archE942ELNS1_3gpuE9ELNS1_3repE0EEENS1_30default_config_static_selectorELNS0_4arch9wavefront6targetE1EEEvT1_,@function
_ZN7rocprim17ROCPRIM_400000_NS6detail17trampoline_kernelINS0_14default_configENS1_25partition_config_selectorILNS1_17partition_subalgoE8EjNS0_10empty_typeEbEEZZNS1_14partition_implILS5_8ELb0ES3_jN6thrust23THRUST_200600_302600_NS6detail15normal_iteratorINSA_10device_ptrIjEEEEPS6_PKS6_NS0_5tupleIJSF_S6_EEENSJ_IJSG_SG_EEENS0_18inequality_wrapperI22is_equal_div_10_uniqueIjEEEPmJS6_EEE10hipError_tPvRmT3_T4_T5_T6_T7_T9_mT8_P12ihipStream_tbDpT10_ENKUlT_T0_E_clISt17integral_constantIbLb0EES1A_EEDaS15_S16_EUlS15_E_NS1_11comp_targetILNS1_3genE5ELNS1_11target_archE942ELNS1_3gpuE9ELNS1_3repE0EEENS1_30default_config_static_selectorELNS0_4arch9wavefront6targetE1EEEvT1_: ; @_ZN7rocprim17ROCPRIM_400000_NS6detail17trampoline_kernelINS0_14default_configENS1_25partition_config_selectorILNS1_17partition_subalgoE8EjNS0_10empty_typeEbEEZZNS1_14partition_implILS5_8ELb0ES3_jN6thrust23THRUST_200600_302600_NS6detail15normal_iteratorINSA_10device_ptrIjEEEEPS6_PKS6_NS0_5tupleIJSF_S6_EEENSJ_IJSG_SG_EEENS0_18inequality_wrapperI22is_equal_div_10_uniqueIjEEEPmJS6_EEE10hipError_tPvRmT3_T4_T5_T6_T7_T9_mT8_P12ihipStream_tbDpT10_ENKUlT_T0_E_clISt17integral_constantIbLb0EES1A_EEDaS15_S16_EUlS15_E_NS1_11comp_targetILNS1_3genE5ELNS1_11target_archE942ELNS1_3gpuE9ELNS1_3repE0EEENS1_30default_config_static_selectorELNS0_4arch9wavefront6targetE1EEEvT1_
; %bb.0:
	.section	.rodata,"a",@progbits
	.p2align	6, 0x0
	.amdhsa_kernel _ZN7rocprim17ROCPRIM_400000_NS6detail17trampoline_kernelINS0_14default_configENS1_25partition_config_selectorILNS1_17partition_subalgoE8EjNS0_10empty_typeEbEEZZNS1_14partition_implILS5_8ELb0ES3_jN6thrust23THRUST_200600_302600_NS6detail15normal_iteratorINSA_10device_ptrIjEEEEPS6_PKS6_NS0_5tupleIJSF_S6_EEENSJ_IJSG_SG_EEENS0_18inequality_wrapperI22is_equal_div_10_uniqueIjEEEPmJS6_EEE10hipError_tPvRmT3_T4_T5_T6_T7_T9_mT8_P12ihipStream_tbDpT10_ENKUlT_T0_E_clISt17integral_constantIbLb0EES1A_EEDaS15_S16_EUlS15_E_NS1_11comp_targetILNS1_3genE5ELNS1_11target_archE942ELNS1_3gpuE9ELNS1_3repE0EEENS1_30default_config_static_selectorELNS0_4arch9wavefront6targetE1EEEvT1_
		.amdhsa_group_segment_fixed_size 0
		.amdhsa_private_segment_fixed_size 0
		.amdhsa_kernarg_size 112
		.amdhsa_user_sgpr_count 6
		.amdhsa_user_sgpr_private_segment_buffer 1
		.amdhsa_user_sgpr_dispatch_ptr 0
		.amdhsa_user_sgpr_queue_ptr 0
		.amdhsa_user_sgpr_kernarg_segment_ptr 1
		.amdhsa_user_sgpr_dispatch_id 0
		.amdhsa_user_sgpr_flat_scratch_init 0
		.amdhsa_user_sgpr_private_segment_size 0
		.amdhsa_uses_dynamic_stack 0
		.amdhsa_system_sgpr_private_segment_wavefront_offset 0
		.amdhsa_system_sgpr_workgroup_id_x 1
		.amdhsa_system_sgpr_workgroup_id_y 0
		.amdhsa_system_sgpr_workgroup_id_z 0
		.amdhsa_system_sgpr_workgroup_info 0
		.amdhsa_system_vgpr_workitem_id 0
		.amdhsa_next_free_vgpr 1
		.amdhsa_next_free_sgpr 0
		.amdhsa_reserve_vcc 0
		.amdhsa_reserve_flat_scratch 0
		.amdhsa_float_round_mode_32 0
		.amdhsa_float_round_mode_16_64 0
		.amdhsa_float_denorm_mode_32 3
		.amdhsa_float_denorm_mode_16_64 3
		.amdhsa_dx10_clamp 1
		.amdhsa_ieee_mode 1
		.amdhsa_fp16_overflow 0
		.amdhsa_exception_fp_ieee_invalid_op 0
		.amdhsa_exception_fp_denorm_src 0
		.amdhsa_exception_fp_ieee_div_zero 0
		.amdhsa_exception_fp_ieee_overflow 0
		.amdhsa_exception_fp_ieee_underflow 0
		.amdhsa_exception_fp_ieee_inexact 0
		.amdhsa_exception_int_div_zero 0
	.end_amdhsa_kernel
	.section	.text._ZN7rocprim17ROCPRIM_400000_NS6detail17trampoline_kernelINS0_14default_configENS1_25partition_config_selectorILNS1_17partition_subalgoE8EjNS0_10empty_typeEbEEZZNS1_14partition_implILS5_8ELb0ES3_jN6thrust23THRUST_200600_302600_NS6detail15normal_iteratorINSA_10device_ptrIjEEEEPS6_PKS6_NS0_5tupleIJSF_S6_EEENSJ_IJSG_SG_EEENS0_18inequality_wrapperI22is_equal_div_10_uniqueIjEEEPmJS6_EEE10hipError_tPvRmT3_T4_T5_T6_T7_T9_mT8_P12ihipStream_tbDpT10_ENKUlT_T0_E_clISt17integral_constantIbLb0EES1A_EEDaS15_S16_EUlS15_E_NS1_11comp_targetILNS1_3genE5ELNS1_11target_archE942ELNS1_3gpuE9ELNS1_3repE0EEENS1_30default_config_static_selectorELNS0_4arch9wavefront6targetE1EEEvT1_,"axG",@progbits,_ZN7rocprim17ROCPRIM_400000_NS6detail17trampoline_kernelINS0_14default_configENS1_25partition_config_selectorILNS1_17partition_subalgoE8EjNS0_10empty_typeEbEEZZNS1_14partition_implILS5_8ELb0ES3_jN6thrust23THRUST_200600_302600_NS6detail15normal_iteratorINSA_10device_ptrIjEEEEPS6_PKS6_NS0_5tupleIJSF_S6_EEENSJ_IJSG_SG_EEENS0_18inequality_wrapperI22is_equal_div_10_uniqueIjEEEPmJS6_EEE10hipError_tPvRmT3_T4_T5_T6_T7_T9_mT8_P12ihipStream_tbDpT10_ENKUlT_T0_E_clISt17integral_constantIbLb0EES1A_EEDaS15_S16_EUlS15_E_NS1_11comp_targetILNS1_3genE5ELNS1_11target_archE942ELNS1_3gpuE9ELNS1_3repE0EEENS1_30default_config_static_selectorELNS0_4arch9wavefront6targetE1EEEvT1_,comdat
.Lfunc_end243:
	.size	_ZN7rocprim17ROCPRIM_400000_NS6detail17trampoline_kernelINS0_14default_configENS1_25partition_config_selectorILNS1_17partition_subalgoE8EjNS0_10empty_typeEbEEZZNS1_14partition_implILS5_8ELb0ES3_jN6thrust23THRUST_200600_302600_NS6detail15normal_iteratorINSA_10device_ptrIjEEEEPS6_PKS6_NS0_5tupleIJSF_S6_EEENSJ_IJSG_SG_EEENS0_18inequality_wrapperI22is_equal_div_10_uniqueIjEEEPmJS6_EEE10hipError_tPvRmT3_T4_T5_T6_T7_T9_mT8_P12ihipStream_tbDpT10_ENKUlT_T0_E_clISt17integral_constantIbLb0EES1A_EEDaS15_S16_EUlS15_E_NS1_11comp_targetILNS1_3genE5ELNS1_11target_archE942ELNS1_3gpuE9ELNS1_3repE0EEENS1_30default_config_static_selectorELNS0_4arch9wavefront6targetE1EEEvT1_, .Lfunc_end243-_ZN7rocprim17ROCPRIM_400000_NS6detail17trampoline_kernelINS0_14default_configENS1_25partition_config_selectorILNS1_17partition_subalgoE8EjNS0_10empty_typeEbEEZZNS1_14partition_implILS5_8ELb0ES3_jN6thrust23THRUST_200600_302600_NS6detail15normal_iteratorINSA_10device_ptrIjEEEEPS6_PKS6_NS0_5tupleIJSF_S6_EEENSJ_IJSG_SG_EEENS0_18inequality_wrapperI22is_equal_div_10_uniqueIjEEEPmJS6_EEE10hipError_tPvRmT3_T4_T5_T6_T7_T9_mT8_P12ihipStream_tbDpT10_ENKUlT_T0_E_clISt17integral_constantIbLb0EES1A_EEDaS15_S16_EUlS15_E_NS1_11comp_targetILNS1_3genE5ELNS1_11target_archE942ELNS1_3gpuE9ELNS1_3repE0EEENS1_30default_config_static_selectorELNS0_4arch9wavefront6targetE1EEEvT1_
                                        ; -- End function
	.set _ZN7rocprim17ROCPRIM_400000_NS6detail17trampoline_kernelINS0_14default_configENS1_25partition_config_selectorILNS1_17partition_subalgoE8EjNS0_10empty_typeEbEEZZNS1_14partition_implILS5_8ELb0ES3_jN6thrust23THRUST_200600_302600_NS6detail15normal_iteratorINSA_10device_ptrIjEEEEPS6_PKS6_NS0_5tupleIJSF_S6_EEENSJ_IJSG_SG_EEENS0_18inequality_wrapperI22is_equal_div_10_uniqueIjEEEPmJS6_EEE10hipError_tPvRmT3_T4_T5_T6_T7_T9_mT8_P12ihipStream_tbDpT10_ENKUlT_T0_E_clISt17integral_constantIbLb0EES1A_EEDaS15_S16_EUlS15_E_NS1_11comp_targetILNS1_3genE5ELNS1_11target_archE942ELNS1_3gpuE9ELNS1_3repE0EEENS1_30default_config_static_selectorELNS0_4arch9wavefront6targetE1EEEvT1_.num_vgpr, 0
	.set _ZN7rocprim17ROCPRIM_400000_NS6detail17trampoline_kernelINS0_14default_configENS1_25partition_config_selectorILNS1_17partition_subalgoE8EjNS0_10empty_typeEbEEZZNS1_14partition_implILS5_8ELb0ES3_jN6thrust23THRUST_200600_302600_NS6detail15normal_iteratorINSA_10device_ptrIjEEEEPS6_PKS6_NS0_5tupleIJSF_S6_EEENSJ_IJSG_SG_EEENS0_18inequality_wrapperI22is_equal_div_10_uniqueIjEEEPmJS6_EEE10hipError_tPvRmT3_T4_T5_T6_T7_T9_mT8_P12ihipStream_tbDpT10_ENKUlT_T0_E_clISt17integral_constantIbLb0EES1A_EEDaS15_S16_EUlS15_E_NS1_11comp_targetILNS1_3genE5ELNS1_11target_archE942ELNS1_3gpuE9ELNS1_3repE0EEENS1_30default_config_static_selectorELNS0_4arch9wavefront6targetE1EEEvT1_.num_agpr, 0
	.set _ZN7rocprim17ROCPRIM_400000_NS6detail17trampoline_kernelINS0_14default_configENS1_25partition_config_selectorILNS1_17partition_subalgoE8EjNS0_10empty_typeEbEEZZNS1_14partition_implILS5_8ELb0ES3_jN6thrust23THRUST_200600_302600_NS6detail15normal_iteratorINSA_10device_ptrIjEEEEPS6_PKS6_NS0_5tupleIJSF_S6_EEENSJ_IJSG_SG_EEENS0_18inequality_wrapperI22is_equal_div_10_uniqueIjEEEPmJS6_EEE10hipError_tPvRmT3_T4_T5_T6_T7_T9_mT8_P12ihipStream_tbDpT10_ENKUlT_T0_E_clISt17integral_constantIbLb0EES1A_EEDaS15_S16_EUlS15_E_NS1_11comp_targetILNS1_3genE5ELNS1_11target_archE942ELNS1_3gpuE9ELNS1_3repE0EEENS1_30default_config_static_selectorELNS0_4arch9wavefront6targetE1EEEvT1_.numbered_sgpr, 0
	.set _ZN7rocprim17ROCPRIM_400000_NS6detail17trampoline_kernelINS0_14default_configENS1_25partition_config_selectorILNS1_17partition_subalgoE8EjNS0_10empty_typeEbEEZZNS1_14partition_implILS5_8ELb0ES3_jN6thrust23THRUST_200600_302600_NS6detail15normal_iteratorINSA_10device_ptrIjEEEEPS6_PKS6_NS0_5tupleIJSF_S6_EEENSJ_IJSG_SG_EEENS0_18inequality_wrapperI22is_equal_div_10_uniqueIjEEEPmJS6_EEE10hipError_tPvRmT3_T4_T5_T6_T7_T9_mT8_P12ihipStream_tbDpT10_ENKUlT_T0_E_clISt17integral_constantIbLb0EES1A_EEDaS15_S16_EUlS15_E_NS1_11comp_targetILNS1_3genE5ELNS1_11target_archE942ELNS1_3gpuE9ELNS1_3repE0EEENS1_30default_config_static_selectorELNS0_4arch9wavefront6targetE1EEEvT1_.num_named_barrier, 0
	.set _ZN7rocprim17ROCPRIM_400000_NS6detail17trampoline_kernelINS0_14default_configENS1_25partition_config_selectorILNS1_17partition_subalgoE8EjNS0_10empty_typeEbEEZZNS1_14partition_implILS5_8ELb0ES3_jN6thrust23THRUST_200600_302600_NS6detail15normal_iteratorINSA_10device_ptrIjEEEEPS6_PKS6_NS0_5tupleIJSF_S6_EEENSJ_IJSG_SG_EEENS0_18inequality_wrapperI22is_equal_div_10_uniqueIjEEEPmJS6_EEE10hipError_tPvRmT3_T4_T5_T6_T7_T9_mT8_P12ihipStream_tbDpT10_ENKUlT_T0_E_clISt17integral_constantIbLb0EES1A_EEDaS15_S16_EUlS15_E_NS1_11comp_targetILNS1_3genE5ELNS1_11target_archE942ELNS1_3gpuE9ELNS1_3repE0EEENS1_30default_config_static_selectorELNS0_4arch9wavefront6targetE1EEEvT1_.private_seg_size, 0
	.set _ZN7rocprim17ROCPRIM_400000_NS6detail17trampoline_kernelINS0_14default_configENS1_25partition_config_selectorILNS1_17partition_subalgoE8EjNS0_10empty_typeEbEEZZNS1_14partition_implILS5_8ELb0ES3_jN6thrust23THRUST_200600_302600_NS6detail15normal_iteratorINSA_10device_ptrIjEEEEPS6_PKS6_NS0_5tupleIJSF_S6_EEENSJ_IJSG_SG_EEENS0_18inequality_wrapperI22is_equal_div_10_uniqueIjEEEPmJS6_EEE10hipError_tPvRmT3_T4_T5_T6_T7_T9_mT8_P12ihipStream_tbDpT10_ENKUlT_T0_E_clISt17integral_constantIbLb0EES1A_EEDaS15_S16_EUlS15_E_NS1_11comp_targetILNS1_3genE5ELNS1_11target_archE942ELNS1_3gpuE9ELNS1_3repE0EEENS1_30default_config_static_selectorELNS0_4arch9wavefront6targetE1EEEvT1_.uses_vcc, 0
	.set _ZN7rocprim17ROCPRIM_400000_NS6detail17trampoline_kernelINS0_14default_configENS1_25partition_config_selectorILNS1_17partition_subalgoE8EjNS0_10empty_typeEbEEZZNS1_14partition_implILS5_8ELb0ES3_jN6thrust23THRUST_200600_302600_NS6detail15normal_iteratorINSA_10device_ptrIjEEEEPS6_PKS6_NS0_5tupleIJSF_S6_EEENSJ_IJSG_SG_EEENS0_18inequality_wrapperI22is_equal_div_10_uniqueIjEEEPmJS6_EEE10hipError_tPvRmT3_T4_T5_T6_T7_T9_mT8_P12ihipStream_tbDpT10_ENKUlT_T0_E_clISt17integral_constantIbLb0EES1A_EEDaS15_S16_EUlS15_E_NS1_11comp_targetILNS1_3genE5ELNS1_11target_archE942ELNS1_3gpuE9ELNS1_3repE0EEENS1_30default_config_static_selectorELNS0_4arch9wavefront6targetE1EEEvT1_.uses_flat_scratch, 0
	.set _ZN7rocprim17ROCPRIM_400000_NS6detail17trampoline_kernelINS0_14default_configENS1_25partition_config_selectorILNS1_17partition_subalgoE8EjNS0_10empty_typeEbEEZZNS1_14partition_implILS5_8ELb0ES3_jN6thrust23THRUST_200600_302600_NS6detail15normal_iteratorINSA_10device_ptrIjEEEEPS6_PKS6_NS0_5tupleIJSF_S6_EEENSJ_IJSG_SG_EEENS0_18inequality_wrapperI22is_equal_div_10_uniqueIjEEEPmJS6_EEE10hipError_tPvRmT3_T4_T5_T6_T7_T9_mT8_P12ihipStream_tbDpT10_ENKUlT_T0_E_clISt17integral_constantIbLb0EES1A_EEDaS15_S16_EUlS15_E_NS1_11comp_targetILNS1_3genE5ELNS1_11target_archE942ELNS1_3gpuE9ELNS1_3repE0EEENS1_30default_config_static_selectorELNS0_4arch9wavefront6targetE1EEEvT1_.has_dyn_sized_stack, 0
	.set _ZN7rocprim17ROCPRIM_400000_NS6detail17trampoline_kernelINS0_14default_configENS1_25partition_config_selectorILNS1_17partition_subalgoE8EjNS0_10empty_typeEbEEZZNS1_14partition_implILS5_8ELb0ES3_jN6thrust23THRUST_200600_302600_NS6detail15normal_iteratorINSA_10device_ptrIjEEEEPS6_PKS6_NS0_5tupleIJSF_S6_EEENSJ_IJSG_SG_EEENS0_18inequality_wrapperI22is_equal_div_10_uniqueIjEEEPmJS6_EEE10hipError_tPvRmT3_T4_T5_T6_T7_T9_mT8_P12ihipStream_tbDpT10_ENKUlT_T0_E_clISt17integral_constantIbLb0EES1A_EEDaS15_S16_EUlS15_E_NS1_11comp_targetILNS1_3genE5ELNS1_11target_archE942ELNS1_3gpuE9ELNS1_3repE0EEENS1_30default_config_static_selectorELNS0_4arch9wavefront6targetE1EEEvT1_.has_recursion, 0
	.set _ZN7rocprim17ROCPRIM_400000_NS6detail17trampoline_kernelINS0_14default_configENS1_25partition_config_selectorILNS1_17partition_subalgoE8EjNS0_10empty_typeEbEEZZNS1_14partition_implILS5_8ELb0ES3_jN6thrust23THRUST_200600_302600_NS6detail15normal_iteratorINSA_10device_ptrIjEEEEPS6_PKS6_NS0_5tupleIJSF_S6_EEENSJ_IJSG_SG_EEENS0_18inequality_wrapperI22is_equal_div_10_uniqueIjEEEPmJS6_EEE10hipError_tPvRmT3_T4_T5_T6_T7_T9_mT8_P12ihipStream_tbDpT10_ENKUlT_T0_E_clISt17integral_constantIbLb0EES1A_EEDaS15_S16_EUlS15_E_NS1_11comp_targetILNS1_3genE5ELNS1_11target_archE942ELNS1_3gpuE9ELNS1_3repE0EEENS1_30default_config_static_selectorELNS0_4arch9wavefront6targetE1EEEvT1_.has_indirect_call, 0
	.section	.AMDGPU.csdata,"",@progbits
; Kernel info:
; codeLenInByte = 0
; TotalNumSgprs: 4
; NumVgprs: 0
; ScratchSize: 0
; MemoryBound: 0
; FloatMode: 240
; IeeeMode: 1
; LDSByteSize: 0 bytes/workgroup (compile time only)
; SGPRBlocks: 0
; VGPRBlocks: 0
; NumSGPRsForWavesPerEU: 4
; NumVGPRsForWavesPerEU: 1
; Occupancy: 10
; WaveLimiterHint : 0
; COMPUTE_PGM_RSRC2:SCRATCH_EN: 0
; COMPUTE_PGM_RSRC2:USER_SGPR: 6
; COMPUTE_PGM_RSRC2:TRAP_HANDLER: 0
; COMPUTE_PGM_RSRC2:TGID_X_EN: 1
; COMPUTE_PGM_RSRC2:TGID_Y_EN: 0
; COMPUTE_PGM_RSRC2:TGID_Z_EN: 0
; COMPUTE_PGM_RSRC2:TIDIG_COMP_CNT: 0
	.section	.text._ZN7rocprim17ROCPRIM_400000_NS6detail17trampoline_kernelINS0_14default_configENS1_25partition_config_selectorILNS1_17partition_subalgoE8EjNS0_10empty_typeEbEEZZNS1_14partition_implILS5_8ELb0ES3_jN6thrust23THRUST_200600_302600_NS6detail15normal_iteratorINSA_10device_ptrIjEEEEPS6_PKS6_NS0_5tupleIJSF_S6_EEENSJ_IJSG_SG_EEENS0_18inequality_wrapperI22is_equal_div_10_uniqueIjEEEPmJS6_EEE10hipError_tPvRmT3_T4_T5_T6_T7_T9_mT8_P12ihipStream_tbDpT10_ENKUlT_T0_E_clISt17integral_constantIbLb0EES1A_EEDaS15_S16_EUlS15_E_NS1_11comp_targetILNS1_3genE4ELNS1_11target_archE910ELNS1_3gpuE8ELNS1_3repE0EEENS1_30default_config_static_selectorELNS0_4arch9wavefront6targetE1EEEvT1_,"axG",@progbits,_ZN7rocprim17ROCPRIM_400000_NS6detail17trampoline_kernelINS0_14default_configENS1_25partition_config_selectorILNS1_17partition_subalgoE8EjNS0_10empty_typeEbEEZZNS1_14partition_implILS5_8ELb0ES3_jN6thrust23THRUST_200600_302600_NS6detail15normal_iteratorINSA_10device_ptrIjEEEEPS6_PKS6_NS0_5tupleIJSF_S6_EEENSJ_IJSG_SG_EEENS0_18inequality_wrapperI22is_equal_div_10_uniqueIjEEEPmJS6_EEE10hipError_tPvRmT3_T4_T5_T6_T7_T9_mT8_P12ihipStream_tbDpT10_ENKUlT_T0_E_clISt17integral_constantIbLb0EES1A_EEDaS15_S16_EUlS15_E_NS1_11comp_targetILNS1_3genE4ELNS1_11target_archE910ELNS1_3gpuE8ELNS1_3repE0EEENS1_30default_config_static_selectorELNS0_4arch9wavefront6targetE1EEEvT1_,comdat
	.protected	_ZN7rocprim17ROCPRIM_400000_NS6detail17trampoline_kernelINS0_14default_configENS1_25partition_config_selectorILNS1_17partition_subalgoE8EjNS0_10empty_typeEbEEZZNS1_14partition_implILS5_8ELb0ES3_jN6thrust23THRUST_200600_302600_NS6detail15normal_iteratorINSA_10device_ptrIjEEEEPS6_PKS6_NS0_5tupleIJSF_S6_EEENSJ_IJSG_SG_EEENS0_18inequality_wrapperI22is_equal_div_10_uniqueIjEEEPmJS6_EEE10hipError_tPvRmT3_T4_T5_T6_T7_T9_mT8_P12ihipStream_tbDpT10_ENKUlT_T0_E_clISt17integral_constantIbLb0EES1A_EEDaS15_S16_EUlS15_E_NS1_11comp_targetILNS1_3genE4ELNS1_11target_archE910ELNS1_3gpuE8ELNS1_3repE0EEENS1_30default_config_static_selectorELNS0_4arch9wavefront6targetE1EEEvT1_ ; -- Begin function _ZN7rocprim17ROCPRIM_400000_NS6detail17trampoline_kernelINS0_14default_configENS1_25partition_config_selectorILNS1_17partition_subalgoE8EjNS0_10empty_typeEbEEZZNS1_14partition_implILS5_8ELb0ES3_jN6thrust23THRUST_200600_302600_NS6detail15normal_iteratorINSA_10device_ptrIjEEEEPS6_PKS6_NS0_5tupleIJSF_S6_EEENSJ_IJSG_SG_EEENS0_18inequality_wrapperI22is_equal_div_10_uniqueIjEEEPmJS6_EEE10hipError_tPvRmT3_T4_T5_T6_T7_T9_mT8_P12ihipStream_tbDpT10_ENKUlT_T0_E_clISt17integral_constantIbLb0EES1A_EEDaS15_S16_EUlS15_E_NS1_11comp_targetILNS1_3genE4ELNS1_11target_archE910ELNS1_3gpuE8ELNS1_3repE0EEENS1_30default_config_static_selectorELNS0_4arch9wavefront6targetE1EEEvT1_
	.globl	_ZN7rocprim17ROCPRIM_400000_NS6detail17trampoline_kernelINS0_14default_configENS1_25partition_config_selectorILNS1_17partition_subalgoE8EjNS0_10empty_typeEbEEZZNS1_14partition_implILS5_8ELb0ES3_jN6thrust23THRUST_200600_302600_NS6detail15normal_iteratorINSA_10device_ptrIjEEEEPS6_PKS6_NS0_5tupleIJSF_S6_EEENSJ_IJSG_SG_EEENS0_18inequality_wrapperI22is_equal_div_10_uniqueIjEEEPmJS6_EEE10hipError_tPvRmT3_T4_T5_T6_T7_T9_mT8_P12ihipStream_tbDpT10_ENKUlT_T0_E_clISt17integral_constantIbLb0EES1A_EEDaS15_S16_EUlS15_E_NS1_11comp_targetILNS1_3genE4ELNS1_11target_archE910ELNS1_3gpuE8ELNS1_3repE0EEENS1_30default_config_static_selectorELNS0_4arch9wavefront6targetE1EEEvT1_
	.p2align	8
	.type	_ZN7rocprim17ROCPRIM_400000_NS6detail17trampoline_kernelINS0_14default_configENS1_25partition_config_selectorILNS1_17partition_subalgoE8EjNS0_10empty_typeEbEEZZNS1_14partition_implILS5_8ELb0ES3_jN6thrust23THRUST_200600_302600_NS6detail15normal_iteratorINSA_10device_ptrIjEEEEPS6_PKS6_NS0_5tupleIJSF_S6_EEENSJ_IJSG_SG_EEENS0_18inequality_wrapperI22is_equal_div_10_uniqueIjEEEPmJS6_EEE10hipError_tPvRmT3_T4_T5_T6_T7_T9_mT8_P12ihipStream_tbDpT10_ENKUlT_T0_E_clISt17integral_constantIbLb0EES1A_EEDaS15_S16_EUlS15_E_NS1_11comp_targetILNS1_3genE4ELNS1_11target_archE910ELNS1_3gpuE8ELNS1_3repE0EEENS1_30default_config_static_selectorELNS0_4arch9wavefront6targetE1EEEvT1_,@function
_ZN7rocprim17ROCPRIM_400000_NS6detail17trampoline_kernelINS0_14default_configENS1_25partition_config_selectorILNS1_17partition_subalgoE8EjNS0_10empty_typeEbEEZZNS1_14partition_implILS5_8ELb0ES3_jN6thrust23THRUST_200600_302600_NS6detail15normal_iteratorINSA_10device_ptrIjEEEEPS6_PKS6_NS0_5tupleIJSF_S6_EEENSJ_IJSG_SG_EEENS0_18inequality_wrapperI22is_equal_div_10_uniqueIjEEEPmJS6_EEE10hipError_tPvRmT3_T4_T5_T6_T7_T9_mT8_P12ihipStream_tbDpT10_ENKUlT_T0_E_clISt17integral_constantIbLb0EES1A_EEDaS15_S16_EUlS15_E_NS1_11comp_targetILNS1_3genE4ELNS1_11target_archE910ELNS1_3gpuE8ELNS1_3repE0EEENS1_30default_config_static_selectorELNS0_4arch9wavefront6targetE1EEEvT1_: ; @_ZN7rocprim17ROCPRIM_400000_NS6detail17trampoline_kernelINS0_14default_configENS1_25partition_config_selectorILNS1_17partition_subalgoE8EjNS0_10empty_typeEbEEZZNS1_14partition_implILS5_8ELb0ES3_jN6thrust23THRUST_200600_302600_NS6detail15normal_iteratorINSA_10device_ptrIjEEEEPS6_PKS6_NS0_5tupleIJSF_S6_EEENSJ_IJSG_SG_EEENS0_18inequality_wrapperI22is_equal_div_10_uniqueIjEEEPmJS6_EEE10hipError_tPvRmT3_T4_T5_T6_T7_T9_mT8_P12ihipStream_tbDpT10_ENKUlT_T0_E_clISt17integral_constantIbLb0EES1A_EEDaS15_S16_EUlS15_E_NS1_11comp_targetILNS1_3genE4ELNS1_11target_archE910ELNS1_3gpuE8ELNS1_3repE0EEENS1_30default_config_static_selectorELNS0_4arch9wavefront6targetE1EEEvT1_
; %bb.0:
	.section	.rodata,"a",@progbits
	.p2align	6, 0x0
	.amdhsa_kernel _ZN7rocprim17ROCPRIM_400000_NS6detail17trampoline_kernelINS0_14default_configENS1_25partition_config_selectorILNS1_17partition_subalgoE8EjNS0_10empty_typeEbEEZZNS1_14partition_implILS5_8ELb0ES3_jN6thrust23THRUST_200600_302600_NS6detail15normal_iteratorINSA_10device_ptrIjEEEEPS6_PKS6_NS0_5tupleIJSF_S6_EEENSJ_IJSG_SG_EEENS0_18inequality_wrapperI22is_equal_div_10_uniqueIjEEEPmJS6_EEE10hipError_tPvRmT3_T4_T5_T6_T7_T9_mT8_P12ihipStream_tbDpT10_ENKUlT_T0_E_clISt17integral_constantIbLb0EES1A_EEDaS15_S16_EUlS15_E_NS1_11comp_targetILNS1_3genE4ELNS1_11target_archE910ELNS1_3gpuE8ELNS1_3repE0EEENS1_30default_config_static_selectorELNS0_4arch9wavefront6targetE1EEEvT1_
		.amdhsa_group_segment_fixed_size 0
		.amdhsa_private_segment_fixed_size 0
		.amdhsa_kernarg_size 112
		.amdhsa_user_sgpr_count 6
		.amdhsa_user_sgpr_private_segment_buffer 1
		.amdhsa_user_sgpr_dispatch_ptr 0
		.amdhsa_user_sgpr_queue_ptr 0
		.amdhsa_user_sgpr_kernarg_segment_ptr 1
		.amdhsa_user_sgpr_dispatch_id 0
		.amdhsa_user_sgpr_flat_scratch_init 0
		.amdhsa_user_sgpr_private_segment_size 0
		.amdhsa_uses_dynamic_stack 0
		.amdhsa_system_sgpr_private_segment_wavefront_offset 0
		.amdhsa_system_sgpr_workgroup_id_x 1
		.amdhsa_system_sgpr_workgroup_id_y 0
		.amdhsa_system_sgpr_workgroup_id_z 0
		.amdhsa_system_sgpr_workgroup_info 0
		.amdhsa_system_vgpr_workitem_id 0
		.amdhsa_next_free_vgpr 1
		.amdhsa_next_free_sgpr 0
		.amdhsa_reserve_vcc 0
		.amdhsa_reserve_flat_scratch 0
		.amdhsa_float_round_mode_32 0
		.amdhsa_float_round_mode_16_64 0
		.amdhsa_float_denorm_mode_32 3
		.amdhsa_float_denorm_mode_16_64 3
		.amdhsa_dx10_clamp 1
		.amdhsa_ieee_mode 1
		.amdhsa_fp16_overflow 0
		.amdhsa_exception_fp_ieee_invalid_op 0
		.amdhsa_exception_fp_denorm_src 0
		.amdhsa_exception_fp_ieee_div_zero 0
		.amdhsa_exception_fp_ieee_overflow 0
		.amdhsa_exception_fp_ieee_underflow 0
		.amdhsa_exception_fp_ieee_inexact 0
		.amdhsa_exception_int_div_zero 0
	.end_amdhsa_kernel
	.section	.text._ZN7rocprim17ROCPRIM_400000_NS6detail17trampoline_kernelINS0_14default_configENS1_25partition_config_selectorILNS1_17partition_subalgoE8EjNS0_10empty_typeEbEEZZNS1_14partition_implILS5_8ELb0ES3_jN6thrust23THRUST_200600_302600_NS6detail15normal_iteratorINSA_10device_ptrIjEEEEPS6_PKS6_NS0_5tupleIJSF_S6_EEENSJ_IJSG_SG_EEENS0_18inequality_wrapperI22is_equal_div_10_uniqueIjEEEPmJS6_EEE10hipError_tPvRmT3_T4_T5_T6_T7_T9_mT8_P12ihipStream_tbDpT10_ENKUlT_T0_E_clISt17integral_constantIbLb0EES1A_EEDaS15_S16_EUlS15_E_NS1_11comp_targetILNS1_3genE4ELNS1_11target_archE910ELNS1_3gpuE8ELNS1_3repE0EEENS1_30default_config_static_selectorELNS0_4arch9wavefront6targetE1EEEvT1_,"axG",@progbits,_ZN7rocprim17ROCPRIM_400000_NS6detail17trampoline_kernelINS0_14default_configENS1_25partition_config_selectorILNS1_17partition_subalgoE8EjNS0_10empty_typeEbEEZZNS1_14partition_implILS5_8ELb0ES3_jN6thrust23THRUST_200600_302600_NS6detail15normal_iteratorINSA_10device_ptrIjEEEEPS6_PKS6_NS0_5tupleIJSF_S6_EEENSJ_IJSG_SG_EEENS0_18inequality_wrapperI22is_equal_div_10_uniqueIjEEEPmJS6_EEE10hipError_tPvRmT3_T4_T5_T6_T7_T9_mT8_P12ihipStream_tbDpT10_ENKUlT_T0_E_clISt17integral_constantIbLb0EES1A_EEDaS15_S16_EUlS15_E_NS1_11comp_targetILNS1_3genE4ELNS1_11target_archE910ELNS1_3gpuE8ELNS1_3repE0EEENS1_30default_config_static_selectorELNS0_4arch9wavefront6targetE1EEEvT1_,comdat
.Lfunc_end244:
	.size	_ZN7rocprim17ROCPRIM_400000_NS6detail17trampoline_kernelINS0_14default_configENS1_25partition_config_selectorILNS1_17partition_subalgoE8EjNS0_10empty_typeEbEEZZNS1_14partition_implILS5_8ELb0ES3_jN6thrust23THRUST_200600_302600_NS6detail15normal_iteratorINSA_10device_ptrIjEEEEPS6_PKS6_NS0_5tupleIJSF_S6_EEENSJ_IJSG_SG_EEENS0_18inequality_wrapperI22is_equal_div_10_uniqueIjEEEPmJS6_EEE10hipError_tPvRmT3_T4_T5_T6_T7_T9_mT8_P12ihipStream_tbDpT10_ENKUlT_T0_E_clISt17integral_constantIbLb0EES1A_EEDaS15_S16_EUlS15_E_NS1_11comp_targetILNS1_3genE4ELNS1_11target_archE910ELNS1_3gpuE8ELNS1_3repE0EEENS1_30default_config_static_selectorELNS0_4arch9wavefront6targetE1EEEvT1_, .Lfunc_end244-_ZN7rocprim17ROCPRIM_400000_NS6detail17trampoline_kernelINS0_14default_configENS1_25partition_config_selectorILNS1_17partition_subalgoE8EjNS0_10empty_typeEbEEZZNS1_14partition_implILS5_8ELb0ES3_jN6thrust23THRUST_200600_302600_NS6detail15normal_iteratorINSA_10device_ptrIjEEEEPS6_PKS6_NS0_5tupleIJSF_S6_EEENSJ_IJSG_SG_EEENS0_18inequality_wrapperI22is_equal_div_10_uniqueIjEEEPmJS6_EEE10hipError_tPvRmT3_T4_T5_T6_T7_T9_mT8_P12ihipStream_tbDpT10_ENKUlT_T0_E_clISt17integral_constantIbLb0EES1A_EEDaS15_S16_EUlS15_E_NS1_11comp_targetILNS1_3genE4ELNS1_11target_archE910ELNS1_3gpuE8ELNS1_3repE0EEENS1_30default_config_static_selectorELNS0_4arch9wavefront6targetE1EEEvT1_
                                        ; -- End function
	.set _ZN7rocprim17ROCPRIM_400000_NS6detail17trampoline_kernelINS0_14default_configENS1_25partition_config_selectorILNS1_17partition_subalgoE8EjNS0_10empty_typeEbEEZZNS1_14partition_implILS5_8ELb0ES3_jN6thrust23THRUST_200600_302600_NS6detail15normal_iteratorINSA_10device_ptrIjEEEEPS6_PKS6_NS0_5tupleIJSF_S6_EEENSJ_IJSG_SG_EEENS0_18inequality_wrapperI22is_equal_div_10_uniqueIjEEEPmJS6_EEE10hipError_tPvRmT3_T4_T5_T6_T7_T9_mT8_P12ihipStream_tbDpT10_ENKUlT_T0_E_clISt17integral_constantIbLb0EES1A_EEDaS15_S16_EUlS15_E_NS1_11comp_targetILNS1_3genE4ELNS1_11target_archE910ELNS1_3gpuE8ELNS1_3repE0EEENS1_30default_config_static_selectorELNS0_4arch9wavefront6targetE1EEEvT1_.num_vgpr, 0
	.set _ZN7rocprim17ROCPRIM_400000_NS6detail17trampoline_kernelINS0_14default_configENS1_25partition_config_selectorILNS1_17partition_subalgoE8EjNS0_10empty_typeEbEEZZNS1_14partition_implILS5_8ELb0ES3_jN6thrust23THRUST_200600_302600_NS6detail15normal_iteratorINSA_10device_ptrIjEEEEPS6_PKS6_NS0_5tupleIJSF_S6_EEENSJ_IJSG_SG_EEENS0_18inequality_wrapperI22is_equal_div_10_uniqueIjEEEPmJS6_EEE10hipError_tPvRmT3_T4_T5_T6_T7_T9_mT8_P12ihipStream_tbDpT10_ENKUlT_T0_E_clISt17integral_constantIbLb0EES1A_EEDaS15_S16_EUlS15_E_NS1_11comp_targetILNS1_3genE4ELNS1_11target_archE910ELNS1_3gpuE8ELNS1_3repE0EEENS1_30default_config_static_selectorELNS0_4arch9wavefront6targetE1EEEvT1_.num_agpr, 0
	.set _ZN7rocprim17ROCPRIM_400000_NS6detail17trampoline_kernelINS0_14default_configENS1_25partition_config_selectorILNS1_17partition_subalgoE8EjNS0_10empty_typeEbEEZZNS1_14partition_implILS5_8ELb0ES3_jN6thrust23THRUST_200600_302600_NS6detail15normal_iteratorINSA_10device_ptrIjEEEEPS6_PKS6_NS0_5tupleIJSF_S6_EEENSJ_IJSG_SG_EEENS0_18inequality_wrapperI22is_equal_div_10_uniqueIjEEEPmJS6_EEE10hipError_tPvRmT3_T4_T5_T6_T7_T9_mT8_P12ihipStream_tbDpT10_ENKUlT_T0_E_clISt17integral_constantIbLb0EES1A_EEDaS15_S16_EUlS15_E_NS1_11comp_targetILNS1_3genE4ELNS1_11target_archE910ELNS1_3gpuE8ELNS1_3repE0EEENS1_30default_config_static_selectorELNS0_4arch9wavefront6targetE1EEEvT1_.numbered_sgpr, 0
	.set _ZN7rocprim17ROCPRIM_400000_NS6detail17trampoline_kernelINS0_14default_configENS1_25partition_config_selectorILNS1_17partition_subalgoE8EjNS0_10empty_typeEbEEZZNS1_14partition_implILS5_8ELb0ES3_jN6thrust23THRUST_200600_302600_NS6detail15normal_iteratorINSA_10device_ptrIjEEEEPS6_PKS6_NS0_5tupleIJSF_S6_EEENSJ_IJSG_SG_EEENS0_18inequality_wrapperI22is_equal_div_10_uniqueIjEEEPmJS6_EEE10hipError_tPvRmT3_T4_T5_T6_T7_T9_mT8_P12ihipStream_tbDpT10_ENKUlT_T0_E_clISt17integral_constantIbLb0EES1A_EEDaS15_S16_EUlS15_E_NS1_11comp_targetILNS1_3genE4ELNS1_11target_archE910ELNS1_3gpuE8ELNS1_3repE0EEENS1_30default_config_static_selectorELNS0_4arch9wavefront6targetE1EEEvT1_.num_named_barrier, 0
	.set _ZN7rocprim17ROCPRIM_400000_NS6detail17trampoline_kernelINS0_14default_configENS1_25partition_config_selectorILNS1_17partition_subalgoE8EjNS0_10empty_typeEbEEZZNS1_14partition_implILS5_8ELb0ES3_jN6thrust23THRUST_200600_302600_NS6detail15normal_iteratorINSA_10device_ptrIjEEEEPS6_PKS6_NS0_5tupleIJSF_S6_EEENSJ_IJSG_SG_EEENS0_18inequality_wrapperI22is_equal_div_10_uniqueIjEEEPmJS6_EEE10hipError_tPvRmT3_T4_T5_T6_T7_T9_mT8_P12ihipStream_tbDpT10_ENKUlT_T0_E_clISt17integral_constantIbLb0EES1A_EEDaS15_S16_EUlS15_E_NS1_11comp_targetILNS1_3genE4ELNS1_11target_archE910ELNS1_3gpuE8ELNS1_3repE0EEENS1_30default_config_static_selectorELNS0_4arch9wavefront6targetE1EEEvT1_.private_seg_size, 0
	.set _ZN7rocprim17ROCPRIM_400000_NS6detail17trampoline_kernelINS0_14default_configENS1_25partition_config_selectorILNS1_17partition_subalgoE8EjNS0_10empty_typeEbEEZZNS1_14partition_implILS5_8ELb0ES3_jN6thrust23THRUST_200600_302600_NS6detail15normal_iteratorINSA_10device_ptrIjEEEEPS6_PKS6_NS0_5tupleIJSF_S6_EEENSJ_IJSG_SG_EEENS0_18inequality_wrapperI22is_equal_div_10_uniqueIjEEEPmJS6_EEE10hipError_tPvRmT3_T4_T5_T6_T7_T9_mT8_P12ihipStream_tbDpT10_ENKUlT_T0_E_clISt17integral_constantIbLb0EES1A_EEDaS15_S16_EUlS15_E_NS1_11comp_targetILNS1_3genE4ELNS1_11target_archE910ELNS1_3gpuE8ELNS1_3repE0EEENS1_30default_config_static_selectorELNS0_4arch9wavefront6targetE1EEEvT1_.uses_vcc, 0
	.set _ZN7rocprim17ROCPRIM_400000_NS6detail17trampoline_kernelINS0_14default_configENS1_25partition_config_selectorILNS1_17partition_subalgoE8EjNS0_10empty_typeEbEEZZNS1_14partition_implILS5_8ELb0ES3_jN6thrust23THRUST_200600_302600_NS6detail15normal_iteratorINSA_10device_ptrIjEEEEPS6_PKS6_NS0_5tupleIJSF_S6_EEENSJ_IJSG_SG_EEENS0_18inequality_wrapperI22is_equal_div_10_uniqueIjEEEPmJS6_EEE10hipError_tPvRmT3_T4_T5_T6_T7_T9_mT8_P12ihipStream_tbDpT10_ENKUlT_T0_E_clISt17integral_constantIbLb0EES1A_EEDaS15_S16_EUlS15_E_NS1_11comp_targetILNS1_3genE4ELNS1_11target_archE910ELNS1_3gpuE8ELNS1_3repE0EEENS1_30default_config_static_selectorELNS0_4arch9wavefront6targetE1EEEvT1_.uses_flat_scratch, 0
	.set _ZN7rocprim17ROCPRIM_400000_NS6detail17trampoline_kernelINS0_14default_configENS1_25partition_config_selectorILNS1_17partition_subalgoE8EjNS0_10empty_typeEbEEZZNS1_14partition_implILS5_8ELb0ES3_jN6thrust23THRUST_200600_302600_NS6detail15normal_iteratorINSA_10device_ptrIjEEEEPS6_PKS6_NS0_5tupleIJSF_S6_EEENSJ_IJSG_SG_EEENS0_18inequality_wrapperI22is_equal_div_10_uniqueIjEEEPmJS6_EEE10hipError_tPvRmT3_T4_T5_T6_T7_T9_mT8_P12ihipStream_tbDpT10_ENKUlT_T0_E_clISt17integral_constantIbLb0EES1A_EEDaS15_S16_EUlS15_E_NS1_11comp_targetILNS1_3genE4ELNS1_11target_archE910ELNS1_3gpuE8ELNS1_3repE0EEENS1_30default_config_static_selectorELNS0_4arch9wavefront6targetE1EEEvT1_.has_dyn_sized_stack, 0
	.set _ZN7rocprim17ROCPRIM_400000_NS6detail17trampoline_kernelINS0_14default_configENS1_25partition_config_selectorILNS1_17partition_subalgoE8EjNS0_10empty_typeEbEEZZNS1_14partition_implILS5_8ELb0ES3_jN6thrust23THRUST_200600_302600_NS6detail15normal_iteratorINSA_10device_ptrIjEEEEPS6_PKS6_NS0_5tupleIJSF_S6_EEENSJ_IJSG_SG_EEENS0_18inequality_wrapperI22is_equal_div_10_uniqueIjEEEPmJS6_EEE10hipError_tPvRmT3_T4_T5_T6_T7_T9_mT8_P12ihipStream_tbDpT10_ENKUlT_T0_E_clISt17integral_constantIbLb0EES1A_EEDaS15_S16_EUlS15_E_NS1_11comp_targetILNS1_3genE4ELNS1_11target_archE910ELNS1_3gpuE8ELNS1_3repE0EEENS1_30default_config_static_selectorELNS0_4arch9wavefront6targetE1EEEvT1_.has_recursion, 0
	.set _ZN7rocprim17ROCPRIM_400000_NS6detail17trampoline_kernelINS0_14default_configENS1_25partition_config_selectorILNS1_17partition_subalgoE8EjNS0_10empty_typeEbEEZZNS1_14partition_implILS5_8ELb0ES3_jN6thrust23THRUST_200600_302600_NS6detail15normal_iteratorINSA_10device_ptrIjEEEEPS6_PKS6_NS0_5tupleIJSF_S6_EEENSJ_IJSG_SG_EEENS0_18inequality_wrapperI22is_equal_div_10_uniqueIjEEEPmJS6_EEE10hipError_tPvRmT3_T4_T5_T6_T7_T9_mT8_P12ihipStream_tbDpT10_ENKUlT_T0_E_clISt17integral_constantIbLb0EES1A_EEDaS15_S16_EUlS15_E_NS1_11comp_targetILNS1_3genE4ELNS1_11target_archE910ELNS1_3gpuE8ELNS1_3repE0EEENS1_30default_config_static_selectorELNS0_4arch9wavefront6targetE1EEEvT1_.has_indirect_call, 0
	.section	.AMDGPU.csdata,"",@progbits
; Kernel info:
; codeLenInByte = 0
; TotalNumSgprs: 4
; NumVgprs: 0
; ScratchSize: 0
; MemoryBound: 0
; FloatMode: 240
; IeeeMode: 1
; LDSByteSize: 0 bytes/workgroup (compile time only)
; SGPRBlocks: 0
; VGPRBlocks: 0
; NumSGPRsForWavesPerEU: 4
; NumVGPRsForWavesPerEU: 1
; Occupancy: 10
; WaveLimiterHint : 0
; COMPUTE_PGM_RSRC2:SCRATCH_EN: 0
; COMPUTE_PGM_RSRC2:USER_SGPR: 6
; COMPUTE_PGM_RSRC2:TRAP_HANDLER: 0
; COMPUTE_PGM_RSRC2:TGID_X_EN: 1
; COMPUTE_PGM_RSRC2:TGID_Y_EN: 0
; COMPUTE_PGM_RSRC2:TGID_Z_EN: 0
; COMPUTE_PGM_RSRC2:TIDIG_COMP_CNT: 0
	.section	.text._ZN7rocprim17ROCPRIM_400000_NS6detail17trampoline_kernelINS0_14default_configENS1_25partition_config_selectorILNS1_17partition_subalgoE8EjNS0_10empty_typeEbEEZZNS1_14partition_implILS5_8ELb0ES3_jN6thrust23THRUST_200600_302600_NS6detail15normal_iteratorINSA_10device_ptrIjEEEEPS6_PKS6_NS0_5tupleIJSF_S6_EEENSJ_IJSG_SG_EEENS0_18inequality_wrapperI22is_equal_div_10_uniqueIjEEEPmJS6_EEE10hipError_tPvRmT3_T4_T5_T6_T7_T9_mT8_P12ihipStream_tbDpT10_ENKUlT_T0_E_clISt17integral_constantIbLb0EES1A_EEDaS15_S16_EUlS15_E_NS1_11comp_targetILNS1_3genE3ELNS1_11target_archE908ELNS1_3gpuE7ELNS1_3repE0EEENS1_30default_config_static_selectorELNS0_4arch9wavefront6targetE1EEEvT1_,"axG",@progbits,_ZN7rocprim17ROCPRIM_400000_NS6detail17trampoline_kernelINS0_14default_configENS1_25partition_config_selectorILNS1_17partition_subalgoE8EjNS0_10empty_typeEbEEZZNS1_14partition_implILS5_8ELb0ES3_jN6thrust23THRUST_200600_302600_NS6detail15normal_iteratorINSA_10device_ptrIjEEEEPS6_PKS6_NS0_5tupleIJSF_S6_EEENSJ_IJSG_SG_EEENS0_18inequality_wrapperI22is_equal_div_10_uniqueIjEEEPmJS6_EEE10hipError_tPvRmT3_T4_T5_T6_T7_T9_mT8_P12ihipStream_tbDpT10_ENKUlT_T0_E_clISt17integral_constantIbLb0EES1A_EEDaS15_S16_EUlS15_E_NS1_11comp_targetILNS1_3genE3ELNS1_11target_archE908ELNS1_3gpuE7ELNS1_3repE0EEENS1_30default_config_static_selectorELNS0_4arch9wavefront6targetE1EEEvT1_,comdat
	.protected	_ZN7rocprim17ROCPRIM_400000_NS6detail17trampoline_kernelINS0_14default_configENS1_25partition_config_selectorILNS1_17partition_subalgoE8EjNS0_10empty_typeEbEEZZNS1_14partition_implILS5_8ELb0ES3_jN6thrust23THRUST_200600_302600_NS6detail15normal_iteratorINSA_10device_ptrIjEEEEPS6_PKS6_NS0_5tupleIJSF_S6_EEENSJ_IJSG_SG_EEENS0_18inequality_wrapperI22is_equal_div_10_uniqueIjEEEPmJS6_EEE10hipError_tPvRmT3_T4_T5_T6_T7_T9_mT8_P12ihipStream_tbDpT10_ENKUlT_T0_E_clISt17integral_constantIbLb0EES1A_EEDaS15_S16_EUlS15_E_NS1_11comp_targetILNS1_3genE3ELNS1_11target_archE908ELNS1_3gpuE7ELNS1_3repE0EEENS1_30default_config_static_selectorELNS0_4arch9wavefront6targetE1EEEvT1_ ; -- Begin function _ZN7rocprim17ROCPRIM_400000_NS6detail17trampoline_kernelINS0_14default_configENS1_25partition_config_selectorILNS1_17partition_subalgoE8EjNS0_10empty_typeEbEEZZNS1_14partition_implILS5_8ELb0ES3_jN6thrust23THRUST_200600_302600_NS6detail15normal_iteratorINSA_10device_ptrIjEEEEPS6_PKS6_NS0_5tupleIJSF_S6_EEENSJ_IJSG_SG_EEENS0_18inequality_wrapperI22is_equal_div_10_uniqueIjEEEPmJS6_EEE10hipError_tPvRmT3_T4_T5_T6_T7_T9_mT8_P12ihipStream_tbDpT10_ENKUlT_T0_E_clISt17integral_constantIbLb0EES1A_EEDaS15_S16_EUlS15_E_NS1_11comp_targetILNS1_3genE3ELNS1_11target_archE908ELNS1_3gpuE7ELNS1_3repE0EEENS1_30default_config_static_selectorELNS0_4arch9wavefront6targetE1EEEvT1_
	.globl	_ZN7rocprim17ROCPRIM_400000_NS6detail17trampoline_kernelINS0_14default_configENS1_25partition_config_selectorILNS1_17partition_subalgoE8EjNS0_10empty_typeEbEEZZNS1_14partition_implILS5_8ELb0ES3_jN6thrust23THRUST_200600_302600_NS6detail15normal_iteratorINSA_10device_ptrIjEEEEPS6_PKS6_NS0_5tupleIJSF_S6_EEENSJ_IJSG_SG_EEENS0_18inequality_wrapperI22is_equal_div_10_uniqueIjEEEPmJS6_EEE10hipError_tPvRmT3_T4_T5_T6_T7_T9_mT8_P12ihipStream_tbDpT10_ENKUlT_T0_E_clISt17integral_constantIbLb0EES1A_EEDaS15_S16_EUlS15_E_NS1_11comp_targetILNS1_3genE3ELNS1_11target_archE908ELNS1_3gpuE7ELNS1_3repE0EEENS1_30default_config_static_selectorELNS0_4arch9wavefront6targetE1EEEvT1_
	.p2align	8
	.type	_ZN7rocprim17ROCPRIM_400000_NS6detail17trampoline_kernelINS0_14default_configENS1_25partition_config_selectorILNS1_17partition_subalgoE8EjNS0_10empty_typeEbEEZZNS1_14partition_implILS5_8ELb0ES3_jN6thrust23THRUST_200600_302600_NS6detail15normal_iteratorINSA_10device_ptrIjEEEEPS6_PKS6_NS0_5tupleIJSF_S6_EEENSJ_IJSG_SG_EEENS0_18inequality_wrapperI22is_equal_div_10_uniqueIjEEEPmJS6_EEE10hipError_tPvRmT3_T4_T5_T6_T7_T9_mT8_P12ihipStream_tbDpT10_ENKUlT_T0_E_clISt17integral_constantIbLb0EES1A_EEDaS15_S16_EUlS15_E_NS1_11comp_targetILNS1_3genE3ELNS1_11target_archE908ELNS1_3gpuE7ELNS1_3repE0EEENS1_30default_config_static_selectorELNS0_4arch9wavefront6targetE1EEEvT1_,@function
_ZN7rocprim17ROCPRIM_400000_NS6detail17trampoline_kernelINS0_14default_configENS1_25partition_config_selectorILNS1_17partition_subalgoE8EjNS0_10empty_typeEbEEZZNS1_14partition_implILS5_8ELb0ES3_jN6thrust23THRUST_200600_302600_NS6detail15normal_iteratorINSA_10device_ptrIjEEEEPS6_PKS6_NS0_5tupleIJSF_S6_EEENSJ_IJSG_SG_EEENS0_18inequality_wrapperI22is_equal_div_10_uniqueIjEEEPmJS6_EEE10hipError_tPvRmT3_T4_T5_T6_T7_T9_mT8_P12ihipStream_tbDpT10_ENKUlT_T0_E_clISt17integral_constantIbLb0EES1A_EEDaS15_S16_EUlS15_E_NS1_11comp_targetILNS1_3genE3ELNS1_11target_archE908ELNS1_3gpuE7ELNS1_3repE0EEENS1_30default_config_static_selectorELNS0_4arch9wavefront6targetE1EEEvT1_: ; @_ZN7rocprim17ROCPRIM_400000_NS6detail17trampoline_kernelINS0_14default_configENS1_25partition_config_selectorILNS1_17partition_subalgoE8EjNS0_10empty_typeEbEEZZNS1_14partition_implILS5_8ELb0ES3_jN6thrust23THRUST_200600_302600_NS6detail15normal_iteratorINSA_10device_ptrIjEEEEPS6_PKS6_NS0_5tupleIJSF_S6_EEENSJ_IJSG_SG_EEENS0_18inequality_wrapperI22is_equal_div_10_uniqueIjEEEPmJS6_EEE10hipError_tPvRmT3_T4_T5_T6_T7_T9_mT8_P12ihipStream_tbDpT10_ENKUlT_T0_E_clISt17integral_constantIbLb0EES1A_EEDaS15_S16_EUlS15_E_NS1_11comp_targetILNS1_3genE3ELNS1_11target_archE908ELNS1_3gpuE7ELNS1_3repE0EEENS1_30default_config_static_selectorELNS0_4arch9wavefront6targetE1EEEvT1_
; %bb.0:
	.section	.rodata,"a",@progbits
	.p2align	6, 0x0
	.amdhsa_kernel _ZN7rocprim17ROCPRIM_400000_NS6detail17trampoline_kernelINS0_14default_configENS1_25partition_config_selectorILNS1_17partition_subalgoE8EjNS0_10empty_typeEbEEZZNS1_14partition_implILS5_8ELb0ES3_jN6thrust23THRUST_200600_302600_NS6detail15normal_iteratorINSA_10device_ptrIjEEEEPS6_PKS6_NS0_5tupleIJSF_S6_EEENSJ_IJSG_SG_EEENS0_18inequality_wrapperI22is_equal_div_10_uniqueIjEEEPmJS6_EEE10hipError_tPvRmT3_T4_T5_T6_T7_T9_mT8_P12ihipStream_tbDpT10_ENKUlT_T0_E_clISt17integral_constantIbLb0EES1A_EEDaS15_S16_EUlS15_E_NS1_11comp_targetILNS1_3genE3ELNS1_11target_archE908ELNS1_3gpuE7ELNS1_3repE0EEENS1_30default_config_static_selectorELNS0_4arch9wavefront6targetE1EEEvT1_
		.amdhsa_group_segment_fixed_size 0
		.amdhsa_private_segment_fixed_size 0
		.amdhsa_kernarg_size 112
		.amdhsa_user_sgpr_count 6
		.amdhsa_user_sgpr_private_segment_buffer 1
		.amdhsa_user_sgpr_dispatch_ptr 0
		.amdhsa_user_sgpr_queue_ptr 0
		.amdhsa_user_sgpr_kernarg_segment_ptr 1
		.amdhsa_user_sgpr_dispatch_id 0
		.amdhsa_user_sgpr_flat_scratch_init 0
		.amdhsa_user_sgpr_private_segment_size 0
		.amdhsa_uses_dynamic_stack 0
		.amdhsa_system_sgpr_private_segment_wavefront_offset 0
		.amdhsa_system_sgpr_workgroup_id_x 1
		.amdhsa_system_sgpr_workgroup_id_y 0
		.amdhsa_system_sgpr_workgroup_id_z 0
		.amdhsa_system_sgpr_workgroup_info 0
		.amdhsa_system_vgpr_workitem_id 0
		.amdhsa_next_free_vgpr 1
		.amdhsa_next_free_sgpr 0
		.amdhsa_reserve_vcc 0
		.amdhsa_reserve_flat_scratch 0
		.amdhsa_float_round_mode_32 0
		.amdhsa_float_round_mode_16_64 0
		.amdhsa_float_denorm_mode_32 3
		.amdhsa_float_denorm_mode_16_64 3
		.amdhsa_dx10_clamp 1
		.amdhsa_ieee_mode 1
		.amdhsa_fp16_overflow 0
		.amdhsa_exception_fp_ieee_invalid_op 0
		.amdhsa_exception_fp_denorm_src 0
		.amdhsa_exception_fp_ieee_div_zero 0
		.amdhsa_exception_fp_ieee_overflow 0
		.amdhsa_exception_fp_ieee_underflow 0
		.amdhsa_exception_fp_ieee_inexact 0
		.amdhsa_exception_int_div_zero 0
	.end_amdhsa_kernel
	.section	.text._ZN7rocprim17ROCPRIM_400000_NS6detail17trampoline_kernelINS0_14default_configENS1_25partition_config_selectorILNS1_17partition_subalgoE8EjNS0_10empty_typeEbEEZZNS1_14partition_implILS5_8ELb0ES3_jN6thrust23THRUST_200600_302600_NS6detail15normal_iteratorINSA_10device_ptrIjEEEEPS6_PKS6_NS0_5tupleIJSF_S6_EEENSJ_IJSG_SG_EEENS0_18inequality_wrapperI22is_equal_div_10_uniqueIjEEEPmJS6_EEE10hipError_tPvRmT3_T4_T5_T6_T7_T9_mT8_P12ihipStream_tbDpT10_ENKUlT_T0_E_clISt17integral_constantIbLb0EES1A_EEDaS15_S16_EUlS15_E_NS1_11comp_targetILNS1_3genE3ELNS1_11target_archE908ELNS1_3gpuE7ELNS1_3repE0EEENS1_30default_config_static_selectorELNS0_4arch9wavefront6targetE1EEEvT1_,"axG",@progbits,_ZN7rocprim17ROCPRIM_400000_NS6detail17trampoline_kernelINS0_14default_configENS1_25partition_config_selectorILNS1_17partition_subalgoE8EjNS0_10empty_typeEbEEZZNS1_14partition_implILS5_8ELb0ES3_jN6thrust23THRUST_200600_302600_NS6detail15normal_iteratorINSA_10device_ptrIjEEEEPS6_PKS6_NS0_5tupleIJSF_S6_EEENSJ_IJSG_SG_EEENS0_18inequality_wrapperI22is_equal_div_10_uniqueIjEEEPmJS6_EEE10hipError_tPvRmT3_T4_T5_T6_T7_T9_mT8_P12ihipStream_tbDpT10_ENKUlT_T0_E_clISt17integral_constantIbLb0EES1A_EEDaS15_S16_EUlS15_E_NS1_11comp_targetILNS1_3genE3ELNS1_11target_archE908ELNS1_3gpuE7ELNS1_3repE0EEENS1_30default_config_static_selectorELNS0_4arch9wavefront6targetE1EEEvT1_,comdat
.Lfunc_end245:
	.size	_ZN7rocprim17ROCPRIM_400000_NS6detail17trampoline_kernelINS0_14default_configENS1_25partition_config_selectorILNS1_17partition_subalgoE8EjNS0_10empty_typeEbEEZZNS1_14partition_implILS5_8ELb0ES3_jN6thrust23THRUST_200600_302600_NS6detail15normal_iteratorINSA_10device_ptrIjEEEEPS6_PKS6_NS0_5tupleIJSF_S6_EEENSJ_IJSG_SG_EEENS0_18inequality_wrapperI22is_equal_div_10_uniqueIjEEEPmJS6_EEE10hipError_tPvRmT3_T4_T5_T6_T7_T9_mT8_P12ihipStream_tbDpT10_ENKUlT_T0_E_clISt17integral_constantIbLb0EES1A_EEDaS15_S16_EUlS15_E_NS1_11comp_targetILNS1_3genE3ELNS1_11target_archE908ELNS1_3gpuE7ELNS1_3repE0EEENS1_30default_config_static_selectorELNS0_4arch9wavefront6targetE1EEEvT1_, .Lfunc_end245-_ZN7rocprim17ROCPRIM_400000_NS6detail17trampoline_kernelINS0_14default_configENS1_25partition_config_selectorILNS1_17partition_subalgoE8EjNS0_10empty_typeEbEEZZNS1_14partition_implILS5_8ELb0ES3_jN6thrust23THRUST_200600_302600_NS6detail15normal_iteratorINSA_10device_ptrIjEEEEPS6_PKS6_NS0_5tupleIJSF_S6_EEENSJ_IJSG_SG_EEENS0_18inequality_wrapperI22is_equal_div_10_uniqueIjEEEPmJS6_EEE10hipError_tPvRmT3_T4_T5_T6_T7_T9_mT8_P12ihipStream_tbDpT10_ENKUlT_T0_E_clISt17integral_constantIbLb0EES1A_EEDaS15_S16_EUlS15_E_NS1_11comp_targetILNS1_3genE3ELNS1_11target_archE908ELNS1_3gpuE7ELNS1_3repE0EEENS1_30default_config_static_selectorELNS0_4arch9wavefront6targetE1EEEvT1_
                                        ; -- End function
	.set _ZN7rocprim17ROCPRIM_400000_NS6detail17trampoline_kernelINS0_14default_configENS1_25partition_config_selectorILNS1_17partition_subalgoE8EjNS0_10empty_typeEbEEZZNS1_14partition_implILS5_8ELb0ES3_jN6thrust23THRUST_200600_302600_NS6detail15normal_iteratorINSA_10device_ptrIjEEEEPS6_PKS6_NS0_5tupleIJSF_S6_EEENSJ_IJSG_SG_EEENS0_18inequality_wrapperI22is_equal_div_10_uniqueIjEEEPmJS6_EEE10hipError_tPvRmT3_T4_T5_T6_T7_T9_mT8_P12ihipStream_tbDpT10_ENKUlT_T0_E_clISt17integral_constantIbLb0EES1A_EEDaS15_S16_EUlS15_E_NS1_11comp_targetILNS1_3genE3ELNS1_11target_archE908ELNS1_3gpuE7ELNS1_3repE0EEENS1_30default_config_static_selectorELNS0_4arch9wavefront6targetE1EEEvT1_.num_vgpr, 0
	.set _ZN7rocprim17ROCPRIM_400000_NS6detail17trampoline_kernelINS0_14default_configENS1_25partition_config_selectorILNS1_17partition_subalgoE8EjNS0_10empty_typeEbEEZZNS1_14partition_implILS5_8ELb0ES3_jN6thrust23THRUST_200600_302600_NS6detail15normal_iteratorINSA_10device_ptrIjEEEEPS6_PKS6_NS0_5tupleIJSF_S6_EEENSJ_IJSG_SG_EEENS0_18inequality_wrapperI22is_equal_div_10_uniqueIjEEEPmJS6_EEE10hipError_tPvRmT3_T4_T5_T6_T7_T9_mT8_P12ihipStream_tbDpT10_ENKUlT_T0_E_clISt17integral_constantIbLb0EES1A_EEDaS15_S16_EUlS15_E_NS1_11comp_targetILNS1_3genE3ELNS1_11target_archE908ELNS1_3gpuE7ELNS1_3repE0EEENS1_30default_config_static_selectorELNS0_4arch9wavefront6targetE1EEEvT1_.num_agpr, 0
	.set _ZN7rocprim17ROCPRIM_400000_NS6detail17trampoline_kernelINS0_14default_configENS1_25partition_config_selectorILNS1_17partition_subalgoE8EjNS0_10empty_typeEbEEZZNS1_14partition_implILS5_8ELb0ES3_jN6thrust23THRUST_200600_302600_NS6detail15normal_iteratorINSA_10device_ptrIjEEEEPS6_PKS6_NS0_5tupleIJSF_S6_EEENSJ_IJSG_SG_EEENS0_18inequality_wrapperI22is_equal_div_10_uniqueIjEEEPmJS6_EEE10hipError_tPvRmT3_T4_T5_T6_T7_T9_mT8_P12ihipStream_tbDpT10_ENKUlT_T0_E_clISt17integral_constantIbLb0EES1A_EEDaS15_S16_EUlS15_E_NS1_11comp_targetILNS1_3genE3ELNS1_11target_archE908ELNS1_3gpuE7ELNS1_3repE0EEENS1_30default_config_static_selectorELNS0_4arch9wavefront6targetE1EEEvT1_.numbered_sgpr, 0
	.set _ZN7rocprim17ROCPRIM_400000_NS6detail17trampoline_kernelINS0_14default_configENS1_25partition_config_selectorILNS1_17partition_subalgoE8EjNS0_10empty_typeEbEEZZNS1_14partition_implILS5_8ELb0ES3_jN6thrust23THRUST_200600_302600_NS6detail15normal_iteratorINSA_10device_ptrIjEEEEPS6_PKS6_NS0_5tupleIJSF_S6_EEENSJ_IJSG_SG_EEENS0_18inequality_wrapperI22is_equal_div_10_uniqueIjEEEPmJS6_EEE10hipError_tPvRmT3_T4_T5_T6_T7_T9_mT8_P12ihipStream_tbDpT10_ENKUlT_T0_E_clISt17integral_constantIbLb0EES1A_EEDaS15_S16_EUlS15_E_NS1_11comp_targetILNS1_3genE3ELNS1_11target_archE908ELNS1_3gpuE7ELNS1_3repE0EEENS1_30default_config_static_selectorELNS0_4arch9wavefront6targetE1EEEvT1_.num_named_barrier, 0
	.set _ZN7rocprim17ROCPRIM_400000_NS6detail17trampoline_kernelINS0_14default_configENS1_25partition_config_selectorILNS1_17partition_subalgoE8EjNS0_10empty_typeEbEEZZNS1_14partition_implILS5_8ELb0ES3_jN6thrust23THRUST_200600_302600_NS6detail15normal_iteratorINSA_10device_ptrIjEEEEPS6_PKS6_NS0_5tupleIJSF_S6_EEENSJ_IJSG_SG_EEENS0_18inequality_wrapperI22is_equal_div_10_uniqueIjEEEPmJS6_EEE10hipError_tPvRmT3_T4_T5_T6_T7_T9_mT8_P12ihipStream_tbDpT10_ENKUlT_T0_E_clISt17integral_constantIbLb0EES1A_EEDaS15_S16_EUlS15_E_NS1_11comp_targetILNS1_3genE3ELNS1_11target_archE908ELNS1_3gpuE7ELNS1_3repE0EEENS1_30default_config_static_selectorELNS0_4arch9wavefront6targetE1EEEvT1_.private_seg_size, 0
	.set _ZN7rocprim17ROCPRIM_400000_NS6detail17trampoline_kernelINS0_14default_configENS1_25partition_config_selectorILNS1_17partition_subalgoE8EjNS0_10empty_typeEbEEZZNS1_14partition_implILS5_8ELb0ES3_jN6thrust23THRUST_200600_302600_NS6detail15normal_iteratorINSA_10device_ptrIjEEEEPS6_PKS6_NS0_5tupleIJSF_S6_EEENSJ_IJSG_SG_EEENS0_18inequality_wrapperI22is_equal_div_10_uniqueIjEEEPmJS6_EEE10hipError_tPvRmT3_T4_T5_T6_T7_T9_mT8_P12ihipStream_tbDpT10_ENKUlT_T0_E_clISt17integral_constantIbLb0EES1A_EEDaS15_S16_EUlS15_E_NS1_11comp_targetILNS1_3genE3ELNS1_11target_archE908ELNS1_3gpuE7ELNS1_3repE0EEENS1_30default_config_static_selectorELNS0_4arch9wavefront6targetE1EEEvT1_.uses_vcc, 0
	.set _ZN7rocprim17ROCPRIM_400000_NS6detail17trampoline_kernelINS0_14default_configENS1_25partition_config_selectorILNS1_17partition_subalgoE8EjNS0_10empty_typeEbEEZZNS1_14partition_implILS5_8ELb0ES3_jN6thrust23THRUST_200600_302600_NS6detail15normal_iteratorINSA_10device_ptrIjEEEEPS6_PKS6_NS0_5tupleIJSF_S6_EEENSJ_IJSG_SG_EEENS0_18inequality_wrapperI22is_equal_div_10_uniqueIjEEEPmJS6_EEE10hipError_tPvRmT3_T4_T5_T6_T7_T9_mT8_P12ihipStream_tbDpT10_ENKUlT_T0_E_clISt17integral_constantIbLb0EES1A_EEDaS15_S16_EUlS15_E_NS1_11comp_targetILNS1_3genE3ELNS1_11target_archE908ELNS1_3gpuE7ELNS1_3repE0EEENS1_30default_config_static_selectorELNS0_4arch9wavefront6targetE1EEEvT1_.uses_flat_scratch, 0
	.set _ZN7rocprim17ROCPRIM_400000_NS6detail17trampoline_kernelINS0_14default_configENS1_25partition_config_selectorILNS1_17partition_subalgoE8EjNS0_10empty_typeEbEEZZNS1_14partition_implILS5_8ELb0ES3_jN6thrust23THRUST_200600_302600_NS6detail15normal_iteratorINSA_10device_ptrIjEEEEPS6_PKS6_NS0_5tupleIJSF_S6_EEENSJ_IJSG_SG_EEENS0_18inequality_wrapperI22is_equal_div_10_uniqueIjEEEPmJS6_EEE10hipError_tPvRmT3_T4_T5_T6_T7_T9_mT8_P12ihipStream_tbDpT10_ENKUlT_T0_E_clISt17integral_constantIbLb0EES1A_EEDaS15_S16_EUlS15_E_NS1_11comp_targetILNS1_3genE3ELNS1_11target_archE908ELNS1_3gpuE7ELNS1_3repE0EEENS1_30default_config_static_selectorELNS0_4arch9wavefront6targetE1EEEvT1_.has_dyn_sized_stack, 0
	.set _ZN7rocprim17ROCPRIM_400000_NS6detail17trampoline_kernelINS0_14default_configENS1_25partition_config_selectorILNS1_17partition_subalgoE8EjNS0_10empty_typeEbEEZZNS1_14partition_implILS5_8ELb0ES3_jN6thrust23THRUST_200600_302600_NS6detail15normal_iteratorINSA_10device_ptrIjEEEEPS6_PKS6_NS0_5tupleIJSF_S6_EEENSJ_IJSG_SG_EEENS0_18inequality_wrapperI22is_equal_div_10_uniqueIjEEEPmJS6_EEE10hipError_tPvRmT3_T4_T5_T6_T7_T9_mT8_P12ihipStream_tbDpT10_ENKUlT_T0_E_clISt17integral_constantIbLb0EES1A_EEDaS15_S16_EUlS15_E_NS1_11comp_targetILNS1_3genE3ELNS1_11target_archE908ELNS1_3gpuE7ELNS1_3repE0EEENS1_30default_config_static_selectorELNS0_4arch9wavefront6targetE1EEEvT1_.has_recursion, 0
	.set _ZN7rocprim17ROCPRIM_400000_NS6detail17trampoline_kernelINS0_14default_configENS1_25partition_config_selectorILNS1_17partition_subalgoE8EjNS0_10empty_typeEbEEZZNS1_14partition_implILS5_8ELb0ES3_jN6thrust23THRUST_200600_302600_NS6detail15normal_iteratorINSA_10device_ptrIjEEEEPS6_PKS6_NS0_5tupleIJSF_S6_EEENSJ_IJSG_SG_EEENS0_18inequality_wrapperI22is_equal_div_10_uniqueIjEEEPmJS6_EEE10hipError_tPvRmT3_T4_T5_T6_T7_T9_mT8_P12ihipStream_tbDpT10_ENKUlT_T0_E_clISt17integral_constantIbLb0EES1A_EEDaS15_S16_EUlS15_E_NS1_11comp_targetILNS1_3genE3ELNS1_11target_archE908ELNS1_3gpuE7ELNS1_3repE0EEENS1_30default_config_static_selectorELNS0_4arch9wavefront6targetE1EEEvT1_.has_indirect_call, 0
	.section	.AMDGPU.csdata,"",@progbits
; Kernel info:
; codeLenInByte = 0
; TotalNumSgprs: 4
; NumVgprs: 0
; ScratchSize: 0
; MemoryBound: 0
; FloatMode: 240
; IeeeMode: 1
; LDSByteSize: 0 bytes/workgroup (compile time only)
; SGPRBlocks: 0
; VGPRBlocks: 0
; NumSGPRsForWavesPerEU: 4
; NumVGPRsForWavesPerEU: 1
; Occupancy: 10
; WaveLimiterHint : 0
; COMPUTE_PGM_RSRC2:SCRATCH_EN: 0
; COMPUTE_PGM_RSRC2:USER_SGPR: 6
; COMPUTE_PGM_RSRC2:TRAP_HANDLER: 0
; COMPUTE_PGM_RSRC2:TGID_X_EN: 1
; COMPUTE_PGM_RSRC2:TGID_Y_EN: 0
; COMPUTE_PGM_RSRC2:TGID_Z_EN: 0
; COMPUTE_PGM_RSRC2:TIDIG_COMP_CNT: 0
	.section	.text._ZN7rocprim17ROCPRIM_400000_NS6detail17trampoline_kernelINS0_14default_configENS1_25partition_config_selectorILNS1_17partition_subalgoE8EjNS0_10empty_typeEbEEZZNS1_14partition_implILS5_8ELb0ES3_jN6thrust23THRUST_200600_302600_NS6detail15normal_iteratorINSA_10device_ptrIjEEEEPS6_PKS6_NS0_5tupleIJSF_S6_EEENSJ_IJSG_SG_EEENS0_18inequality_wrapperI22is_equal_div_10_uniqueIjEEEPmJS6_EEE10hipError_tPvRmT3_T4_T5_T6_T7_T9_mT8_P12ihipStream_tbDpT10_ENKUlT_T0_E_clISt17integral_constantIbLb0EES1A_EEDaS15_S16_EUlS15_E_NS1_11comp_targetILNS1_3genE2ELNS1_11target_archE906ELNS1_3gpuE6ELNS1_3repE0EEENS1_30default_config_static_selectorELNS0_4arch9wavefront6targetE1EEEvT1_,"axG",@progbits,_ZN7rocprim17ROCPRIM_400000_NS6detail17trampoline_kernelINS0_14default_configENS1_25partition_config_selectorILNS1_17partition_subalgoE8EjNS0_10empty_typeEbEEZZNS1_14partition_implILS5_8ELb0ES3_jN6thrust23THRUST_200600_302600_NS6detail15normal_iteratorINSA_10device_ptrIjEEEEPS6_PKS6_NS0_5tupleIJSF_S6_EEENSJ_IJSG_SG_EEENS0_18inequality_wrapperI22is_equal_div_10_uniqueIjEEEPmJS6_EEE10hipError_tPvRmT3_T4_T5_T6_T7_T9_mT8_P12ihipStream_tbDpT10_ENKUlT_T0_E_clISt17integral_constantIbLb0EES1A_EEDaS15_S16_EUlS15_E_NS1_11comp_targetILNS1_3genE2ELNS1_11target_archE906ELNS1_3gpuE6ELNS1_3repE0EEENS1_30default_config_static_selectorELNS0_4arch9wavefront6targetE1EEEvT1_,comdat
	.protected	_ZN7rocprim17ROCPRIM_400000_NS6detail17trampoline_kernelINS0_14default_configENS1_25partition_config_selectorILNS1_17partition_subalgoE8EjNS0_10empty_typeEbEEZZNS1_14partition_implILS5_8ELb0ES3_jN6thrust23THRUST_200600_302600_NS6detail15normal_iteratorINSA_10device_ptrIjEEEEPS6_PKS6_NS0_5tupleIJSF_S6_EEENSJ_IJSG_SG_EEENS0_18inequality_wrapperI22is_equal_div_10_uniqueIjEEEPmJS6_EEE10hipError_tPvRmT3_T4_T5_T6_T7_T9_mT8_P12ihipStream_tbDpT10_ENKUlT_T0_E_clISt17integral_constantIbLb0EES1A_EEDaS15_S16_EUlS15_E_NS1_11comp_targetILNS1_3genE2ELNS1_11target_archE906ELNS1_3gpuE6ELNS1_3repE0EEENS1_30default_config_static_selectorELNS0_4arch9wavefront6targetE1EEEvT1_ ; -- Begin function _ZN7rocprim17ROCPRIM_400000_NS6detail17trampoline_kernelINS0_14default_configENS1_25partition_config_selectorILNS1_17partition_subalgoE8EjNS0_10empty_typeEbEEZZNS1_14partition_implILS5_8ELb0ES3_jN6thrust23THRUST_200600_302600_NS6detail15normal_iteratorINSA_10device_ptrIjEEEEPS6_PKS6_NS0_5tupleIJSF_S6_EEENSJ_IJSG_SG_EEENS0_18inequality_wrapperI22is_equal_div_10_uniqueIjEEEPmJS6_EEE10hipError_tPvRmT3_T4_T5_T6_T7_T9_mT8_P12ihipStream_tbDpT10_ENKUlT_T0_E_clISt17integral_constantIbLb0EES1A_EEDaS15_S16_EUlS15_E_NS1_11comp_targetILNS1_3genE2ELNS1_11target_archE906ELNS1_3gpuE6ELNS1_3repE0EEENS1_30default_config_static_selectorELNS0_4arch9wavefront6targetE1EEEvT1_
	.globl	_ZN7rocprim17ROCPRIM_400000_NS6detail17trampoline_kernelINS0_14default_configENS1_25partition_config_selectorILNS1_17partition_subalgoE8EjNS0_10empty_typeEbEEZZNS1_14partition_implILS5_8ELb0ES3_jN6thrust23THRUST_200600_302600_NS6detail15normal_iteratorINSA_10device_ptrIjEEEEPS6_PKS6_NS0_5tupleIJSF_S6_EEENSJ_IJSG_SG_EEENS0_18inequality_wrapperI22is_equal_div_10_uniqueIjEEEPmJS6_EEE10hipError_tPvRmT3_T4_T5_T6_T7_T9_mT8_P12ihipStream_tbDpT10_ENKUlT_T0_E_clISt17integral_constantIbLb0EES1A_EEDaS15_S16_EUlS15_E_NS1_11comp_targetILNS1_3genE2ELNS1_11target_archE906ELNS1_3gpuE6ELNS1_3repE0EEENS1_30default_config_static_selectorELNS0_4arch9wavefront6targetE1EEEvT1_
	.p2align	8
	.type	_ZN7rocprim17ROCPRIM_400000_NS6detail17trampoline_kernelINS0_14default_configENS1_25partition_config_selectorILNS1_17partition_subalgoE8EjNS0_10empty_typeEbEEZZNS1_14partition_implILS5_8ELb0ES3_jN6thrust23THRUST_200600_302600_NS6detail15normal_iteratorINSA_10device_ptrIjEEEEPS6_PKS6_NS0_5tupleIJSF_S6_EEENSJ_IJSG_SG_EEENS0_18inequality_wrapperI22is_equal_div_10_uniqueIjEEEPmJS6_EEE10hipError_tPvRmT3_T4_T5_T6_T7_T9_mT8_P12ihipStream_tbDpT10_ENKUlT_T0_E_clISt17integral_constantIbLb0EES1A_EEDaS15_S16_EUlS15_E_NS1_11comp_targetILNS1_3genE2ELNS1_11target_archE906ELNS1_3gpuE6ELNS1_3repE0EEENS1_30default_config_static_selectorELNS0_4arch9wavefront6targetE1EEEvT1_,@function
_ZN7rocprim17ROCPRIM_400000_NS6detail17trampoline_kernelINS0_14default_configENS1_25partition_config_selectorILNS1_17partition_subalgoE8EjNS0_10empty_typeEbEEZZNS1_14partition_implILS5_8ELb0ES3_jN6thrust23THRUST_200600_302600_NS6detail15normal_iteratorINSA_10device_ptrIjEEEEPS6_PKS6_NS0_5tupleIJSF_S6_EEENSJ_IJSG_SG_EEENS0_18inequality_wrapperI22is_equal_div_10_uniqueIjEEEPmJS6_EEE10hipError_tPvRmT3_T4_T5_T6_T7_T9_mT8_P12ihipStream_tbDpT10_ENKUlT_T0_E_clISt17integral_constantIbLb0EES1A_EEDaS15_S16_EUlS15_E_NS1_11comp_targetILNS1_3genE2ELNS1_11target_archE906ELNS1_3gpuE6ELNS1_3repE0EEENS1_30default_config_static_selectorELNS0_4arch9wavefront6targetE1EEEvT1_: ; @_ZN7rocprim17ROCPRIM_400000_NS6detail17trampoline_kernelINS0_14default_configENS1_25partition_config_selectorILNS1_17partition_subalgoE8EjNS0_10empty_typeEbEEZZNS1_14partition_implILS5_8ELb0ES3_jN6thrust23THRUST_200600_302600_NS6detail15normal_iteratorINSA_10device_ptrIjEEEEPS6_PKS6_NS0_5tupleIJSF_S6_EEENSJ_IJSG_SG_EEENS0_18inequality_wrapperI22is_equal_div_10_uniqueIjEEEPmJS6_EEE10hipError_tPvRmT3_T4_T5_T6_T7_T9_mT8_P12ihipStream_tbDpT10_ENKUlT_T0_E_clISt17integral_constantIbLb0EES1A_EEDaS15_S16_EUlS15_E_NS1_11comp_targetILNS1_3genE2ELNS1_11target_archE906ELNS1_3gpuE6ELNS1_3repE0EEENS1_30default_config_static_selectorELNS0_4arch9wavefront6targetE1EEEvT1_
; %bb.0:
	s_load_dwordx4 s[0:3], s[4:5], 0x8
	s_load_dwordx4 s[36:39], s[4:5], 0x40
	s_load_dwordx2 s[8:9], s[4:5], 0x50
	s_load_dword s12, s[4:5], 0x68
	v_lshrrev_b32_e32 v18, 3, v0
	s_waitcnt lgkmcnt(0)
	s_lshl_b64 s[10:11], s[2:3], 2
	s_add_u32 s13, s0, s10
	s_addc_u32 s14, s1, s11
	s_add_i32 s15, s12, -1
	s_lshl_b32 s0, s15, 12
	s_lshl_b32 s10, s6, 12
	s_add_i32 s7, s2, s0
	s_lshl_b32 s0, s12, 12
	s_add_u32 s0, s2, s0
	s_addc_u32 s1, s3, 0
	v_mov_b32_e32 v2, s1
	v_mov_b32_e32 v1, s0
	v_cmp_le_u64_e32 vcc, s[8:9], v[1:2]
	s_cmp_eq_u32 s6, s15
	s_load_dwordx2 s[38:39], s[38:39], 0x0
	s_cselect_b64 s[40:41], -1, 0
	s_mov_b32 s11, 0
	s_and_b64 s[44:45], s[40:41], vcc
	s_xor_b64 s[42:43], s[44:45], -1
	s_lshl_b64 s[10:11], s[10:11], 2
	s_add_u32 s9, s13, s10
	s_mov_b64 s[0:1], -1
	s_addc_u32 s10, s14, s11
	s_and_b64 vcc, exec, s[42:43]
	s_cbranch_vccz .LBB246_2
; %bb.1:
	v_lshlrev_b32_e32 v5, 2, v0
	v_mov_b32_e32 v2, s10
	v_add_co_u32_e32 v1, vcc, s9, v5
	v_addc_co_u32_e32 v2, vcc, 0, v2, vcc
	v_add_co_u32_e32 v3, vcc, 0x1000, v1
	v_addc_co_u32_e32 v4, vcc, 0, v2, vcc
	flat_load_dword v6, v[1:2]
	flat_load_dword v7, v[1:2] offset:1024
	flat_load_dword v8, v[1:2] offset:2048
	flat_load_dword v9, v[1:2] offset:3072
	flat_load_dword v10, v[3:4]
	flat_load_dword v11, v[3:4] offset:1024
	flat_load_dword v12, v[3:4] offset:2048
	;; [unrolled: 1-line block ×3, first 2 shown]
	v_add_co_u32_e32 v3, vcc, 0x2000, v1
	v_addc_co_u32_e32 v4, vcc, 0, v2, vcc
	flat_load_dword v14, v[3:4]
	flat_load_dword v15, v[3:4] offset:1024
	flat_load_dword v16, v[3:4] offset:2048
	;; [unrolled: 1-line block ×3, first 2 shown]
	v_add_co_u32_e32 v1, vcc, 0x3000, v1
	v_addc_co_u32_e32 v2, vcc, 0, v2, vcc
	flat_load_dword v3, v[1:2]
	flat_load_dword v4, v[1:2] offset:1024
	flat_load_dword v19, v[1:2] offset:2048
	;; [unrolled: 1-line block ×3, first 2 shown]
	v_or_b32_e32 v2, 0x100, v0
	v_or_b32_e32 v21, 0x200, v0
	;; [unrolled: 1-line block ×9, first 2 shown]
	v_and_b32_e32 v1, 28, v18
	v_lshrrev_b32_e32 v2, 3, v2
	v_lshrrev_b32_e32 v21, 3, v21
	;; [unrolled: 1-line block ×9, first 2 shown]
	v_or_b32_e32 v29, 0xa00, v0
	v_add_u32_e32 v1, v1, v5
	v_and_b32_e32 v2, 60, v2
	v_and_b32_e32 v21, 0x5c, v21
	;; [unrolled: 1-line block ×9, first 2 shown]
	v_add_u32_e32 v2, v2, v5
	v_add_u32_e32 v21, v21, v5
	;; [unrolled: 1-line block ×9, first 2 shown]
	s_mov_b64 s[0:1], 0
	s_waitcnt vmcnt(0) lgkmcnt(0)
	ds_write_b32 v1, v6
	ds_write_b32 v2, v7 offset:1024
	ds_write_b32 v21, v8 offset:2048
	;; [unrolled: 1-line block ×9, first 2 shown]
	v_lshrrev_b32_e32 v1, 3, v29
	v_and_b32_e32 v1, 0x15c, v1
	v_add_u32_e32 v1, v1, v5
	ds_write_b32 v1, v16 offset:10240
	v_or_b32_e32 v1, 0xb00, v0
	v_lshrrev_b32_e32 v1, 3, v1
	v_and_b32_e32 v1, 0x17c, v1
	v_add_u32_e32 v1, v1, v5
	ds_write_b32 v1, v17 offset:11264
	v_or_b32_e32 v1, 0xc00, v0
	;; [unrolled: 5-line block ×5, first 2 shown]
	v_lshrrev_b32_e32 v1, 3, v1
	v_and_b32_e32 v1, 0x1fc, v1
	v_add_u32_e32 v1, v1, v5
	ds_write_b32 v1, v20 offset:15360
	s_waitcnt lgkmcnt(0)
	s_barrier
.LBB246_2:
	s_andn2_b64 vcc, exec, s[0:1]
	s_sub_i32 s7, s8, s7
	s_cbranch_vccnz .LBB246_36
; %bb.3:
	v_mov_b32_e32 v1, 0
	v_cmp_gt_u32_e32 vcc, s7, v0
	v_mov_b32_e32 v2, v1
	v_mov_b32_e32 v3, v1
	;; [unrolled: 1-line block ×15, first 2 shown]
	s_and_saveexec_b64 s[0:1], vcc
	s_cbranch_execz .LBB246_5
; %bb.4:
	v_lshlrev_b32_e32 v2, 2, v0
	v_mov_b32_e32 v3, s10
	v_add_co_u32_e32 v2, vcc, s9, v2
	v_addc_co_u32_e32 v3, vcc, 0, v3, vcc
	flat_load_dword v2, v[2:3]
	v_mov_b32_e32 v3, v1
	v_mov_b32_e32 v4, v1
	v_mov_b32_e32 v5, v1
	v_mov_b32_e32 v6, v1
	v_mov_b32_e32 v7, v1
	v_mov_b32_e32 v8, v1
	v_mov_b32_e32 v9, v1
	v_mov_b32_e32 v10, v1
	v_mov_b32_e32 v11, v1
	v_mov_b32_e32 v12, v1
	v_mov_b32_e32 v13, v1
	v_mov_b32_e32 v14, v1
	v_mov_b32_e32 v15, v1
	v_mov_b32_e32 v16, v1
	v_mov_b32_e32 v17, v1
	s_waitcnt vmcnt(0) lgkmcnt(0)
	v_mov_b32_e32 v1, v2
	v_mov_b32_e32 v2, v3
	;; [unrolled: 1-line block ×16, first 2 shown]
.LBB246_5:
	s_or_b64 exec, exec, s[0:1]
	v_or_b32_e32 v17, 0x100, v0
	v_cmp_gt_u32_e32 vcc, s7, v17
	s_and_saveexec_b64 s[0:1], vcc
	s_cbranch_execz .LBB246_7
; %bb.6:
	v_lshlrev_b32_e32 v2, 2, v0
	v_mov_b32_e32 v20, s10
	v_add_co_u32_e32 v19, vcc, s9, v2
	v_addc_co_u32_e32 v20, vcc, 0, v20, vcc
	flat_load_dword v2, v[19:20] offset:1024
.LBB246_7:
	s_or_b64 exec, exec, s[0:1]
	v_or_b32_e32 v19, 0x200, v0
	v_cmp_gt_u32_e32 vcc, s7, v19
	s_and_saveexec_b64 s[0:1], vcc
	s_cbranch_execz .LBB246_9
; %bb.8:
	v_lshlrev_b32_e32 v3, 2, v0
	v_mov_b32_e32 v21, s10
	v_add_co_u32_e32 v20, vcc, s9, v3
	v_addc_co_u32_e32 v21, vcc, 0, v21, vcc
	flat_load_dword v3, v[20:21] offset:2048
.LBB246_9:
	;; [unrolled: 12-line block ×3, first 2 shown]
	s_or_b64 exec, exec, s[0:1]
	v_or_b32_e32 v21, 0x400, v0
	v_cmp_gt_u32_e32 vcc, s7, v21
	s_and_saveexec_b64 s[0:1], vcc
	s_cbranch_execz .LBB246_13
; %bb.12:
	v_lshlrev_b32_e32 v5, 2, v21
	v_mov_b32_e32 v23, s10
	v_add_co_u32_e32 v22, vcc, s9, v5
	v_addc_co_u32_e32 v23, vcc, 0, v23, vcc
	flat_load_dword v5, v[22:23]
.LBB246_13:
	s_or_b64 exec, exec, s[0:1]
	v_or_b32_e32 v22, 0x500, v0
	v_cmp_gt_u32_e32 vcc, s7, v22
	s_and_saveexec_b64 s[0:1], vcc
	s_cbranch_execz .LBB246_15
; %bb.14:
	v_lshlrev_b32_e32 v6, 2, v22
	v_mov_b32_e32 v24, s10
	v_add_co_u32_e32 v23, vcc, s9, v6
	v_addc_co_u32_e32 v24, vcc, 0, v24, vcc
	flat_load_dword v6, v[23:24]
.LBB246_15:
	;; [unrolled: 12-line block ×12, first 2 shown]
	s_or_b64 exec, exec, s[0:1]
	v_and_b32_e32 v18, 28, v18
	v_lshlrev_b32_e32 v33, 2, v0
	v_add_u32_e32 v18, v18, v33
	ds_write_b32 v18, v1
	v_lshrrev_b32_e32 v1, 3, v17
	v_and_b32_e32 v1, 60, v1
	v_add_u32_e32 v1, v1, v33
	s_waitcnt vmcnt(0) lgkmcnt(0)
	ds_write_b32 v1, v2 offset:1024
	v_lshrrev_b32_e32 v1, 3, v19
	v_and_b32_e32 v1, 0x7c, v1
	v_add_u32_e32 v1, v1, v33
	ds_write_b32 v1, v3 offset:2048
	v_lshrrev_b32_e32 v1, 3, v20
	v_and_b32_e32 v1, 0x7c, v1
	v_add_u32_e32 v1, v1, v33
	;; [unrolled: 4-line block ×14, first 2 shown]
	ds_write_b32 v1, v16 offset:15360
	s_waitcnt lgkmcnt(0)
	s_barrier
.LBB246_36:
	v_lshlrev_b32_e32 v1, 1, v0
	v_and_b32_e32 v1, 0x1fc, v1
	v_lshl_add_u32 v1, v0, 6, v1
	s_waitcnt lgkmcnt(0)
	ds_read2_b32 v[15:16], v1 offset1:1
	ds_read2_b32 v[13:14], v1 offset0:2 offset1:3
	ds_read2_b32 v[11:12], v1 offset0:4 offset1:5
	;; [unrolled: 1-line block ×7, first 2 shown]
	s_cmp_lg_u32 s6, 0
	s_cselect_b64 s[46:47], -1, 0
	s_cmp_lg_u64 s[2:3], 0
	s_cselect_b64 s[0:1], -1, 0
	s_or_b64 s[0:1], s[46:47], s[0:1]
	v_lshlrev_b32_e32 v17, 4, v0
	s_mov_b64 s[48:49], 0
	s_and_b64 vcc, exec, s[0:1]
	s_waitcnt lgkmcnt(0)
	s_barrier
	s_cbranch_vccz .LBB246_41
; %bb.37:
	v_mov_b32_e32 v19, s10
	v_add_co_u32_e64 v18, vcc, -4, s9
	v_addc_co_u32_e32 v19, vcc, -1, v19, vcc
	flat_load_dword v18, v[18:19]
	v_lshlrev_b32_e32 v19, 2, v0
	s_and_b64 vcc, exec, s[42:43]
	ds_write_b32 v19, v2
	s_cbranch_vccz .LBB246_42
; %bb.38:
	v_cmp_ne_u32_e32 vcc, 0, v0
	s_waitcnt vmcnt(0) lgkmcnt(0)
	v_mov_b32_e32 v20, v18
	s_barrier
	s_and_saveexec_b64 s[0:1], vcc
; %bb.39:
	v_add_u32_e32 v20, -4, v19
	ds_read_b32 v20, v20
; %bb.40:
	s_or_b64 exec, exec, s[0:1]
	s_mov_b32 s0, 0x66666667
	v_mul_hi_i32 v21, v1, s0
	v_mul_hi_i32 v22, v2, s0
	s_waitcnt lgkmcnt(0)
	v_mul_hi_i32 v20, v20, s0
	v_lshrrev_b32_e32 v23, 31, v21
	v_ashrrev_i32_e32 v21, 2, v21
	v_add_u32_e32 v21, v21, v23
	v_mul_hi_i32 v23, v4, s0
	v_lshrrev_b32_e32 v24, 31, v22
	v_ashrrev_i32_e32 v22, 2, v22
	v_add_u32_e32 v22, v22, v24
	v_mul_hi_i32 v24, v3, s0
	v_cmp_ne_u32_e32 vcc, v21, v22
	v_lshrrev_b32_e32 v22, 31, v23
	v_ashrrev_i32_e32 v23, 2, v23
	v_add_u32_e32 v22, v23, v22
	v_cndmask_b32_e64 v51, 0, 1, vcc
	v_cmp_ne_u32_e32 vcc, v22, v21
	v_lshrrev_b32_e32 v21, 31, v24
	v_ashrrev_i32_e32 v23, 2, v24
	v_mul_hi_i32 v24, v6, s0
	v_add_u32_e32 v21, v23, v21
	v_cndmask_b32_e64 v52, 0, 1, vcc
	v_cmp_ne_u32_e32 vcc, v21, v22
	v_lshrrev_b32_e32 v22, 31, v24
	v_ashrrev_i32_e32 v23, 2, v24
	v_mul_hi_i32 v24, v5, s0
	;; [unrolled: 6-line block ×12, first 2 shown]
	v_add_u32_e32 v22, v23, v22
	v_cndmask_b32_e64 v63, 0, 1, vcc
	v_cmp_ne_u32_e32 vcc, v22, v21
	v_lshrrev_b32_e32 v21, 31, v24
	v_ashrrev_i32_e32 v23, 2, v24
	v_add_u32_e32 v21, v23, v21
	v_cndmask_b32_e64 v64, 0, 1, vcc
	v_cmp_ne_u32_e32 vcc, v21, v22
	v_lshrrev_b32_e32 v22, 31, v20
	v_ashrrev_i32_e32 v20, 2, v20
	v_add_u32_e32 v20, v20, v22
	v_cndmask_b32_e64 v65, 0, 1, vcc
	v_cmp_ne_u32_e64 s[50:51], v20, v21
	s_branch .LBB246_78
.LBB246_41:
                                        ; implicit-def: $sgpr50_sgpr51
                                        ; implicit-def: $vgpr51
                                        ; implicit-def: $vgpr52
                                        ; implicit-def: $vgpr53
                                        ; implicit-def: $vgpr54
                                        ; implicit-def: $vgpr55
                                        ; implicit-def: $vgpr56
                                        ; implicit-def: $vgpr57
                                        ; implicit-def: $vgpr58
                                        ; implicit-def: $vgpr59
                                        ; implicit-def: $vgpr65
                                        ; implicit-def: $vgpr64
                                        ; implicit-def: $vgpr63
                                        ; implicit-def: $vgpr62
                                        ; implicit-def: $vgpr61
                                        ; implicit-def: $vgpr60
	s_branch .LBB246_79
.LBB246_42:
                                        ; implicit-def: $sgpr50_sgpr51
                                        ; implicit-def: $vgpr51
                                        ; implicit-def: $vgpr52
                                        ; implicit-def: $vgpr53
                                        ; implicit-def: $vgpr54
                                        ; implicit-def: $vgpr55
                                        ; implicit-def: $vgpr56
                                        ; implicit-def: $vgpr57
                                        ; implicit-def: $vgpr58
                                        ; implicit-def: $vgpr59
                                        ; implicit-def: $vgpr65
                                        ; implicit-def: $vgpr64
                                        ; implicit-def: $vgpr63
                                        ; implicit-def: $vgpr62
                                        ; implicit-def: $vgpr61
                                        ; implicit-def: $vgpr60
	s_cbranch_execz .LBB246_78
; %bb.43:
	v_or_b32_e32 v20, 15, v17
	v_cmp_gt_u32_e32 vcc, s7, v20
	s_mov_b64 s[2:3], 0
	s_mov_b64 s[0:1], 0
	s_and_saveexec_b64 s[8:9], vcc
	s_cbranch_execz .LBB246_45
; %bb.44:
	s_mov_b32 s0, 0x66666667
	v_mul_hi_i32 v20, v1, s0
	v_mul_hi_i32 v21, v2, s0
	v_lshrrev_b32_e32 v22, 31, v20
	v_ashrrev_i32_e32 v20, 2, v20
	v_lshrrev_b32_e32 v23, 31, v21
	v_ashrrev_i32_e32 v21, 2, v21
	v_add_u32_e32 v20, v20, v22
	v_add_u32_e32 v21, v21, v23
	v_cmp_ne_u32_e32 vcc, v20, v21
	s_and_b64 s[0:1], vcc, exec
.LBB246_45:
	s_or_b64 exec, exec, s[8:9]
	v_or_b32_e32 v20, 14, v17
	v_cmp_gt_u32_e32 vcc, s7, v20
	s_and_saveexec_b64 s[8:9], vcc
	s_cbranch_execz .LBB246_47
; %bb.46:
	s_mov_b32 s2, 0x66666667
	v_mul_hi_i32 v20, v4, s2
	v_mul_hi_i32 v21, v1, s2
	v_lshrrev_b32_e32 v22, 31, v20
	v_ashrrev_i32_e32 v20, 2, v20
	v_lshrrev_b32_e32 v23, 31, v21
	v_ashrrev_i32_e32 v21, 2, v21
	v_add_u32_e32 v20, v20, v22
	v_add_u32_e32 v21, v21, v23
	v_cmp_ne_u32_e32 vcc, v20, v21
	s_and_b64 s[2:3], vcc, exec
.LBB246_47:
	s_or_b64 exec, exec, s[8:9]
	v_or_b32_e32 v20, 13, v17
	v_cmp_gt_u32_e32 vcc, s7, v20
	s_mov_b64 s[10:11], 0
	s_mov_b64 s[8:9], 0
	s_and_saveexec_b64 s[12:13], vcc
	s_cbranch_execz .LBB246_49
; %bb.48:
	s_mov_b32 s8, 0x66666667
	v_mul_hi_i32 v20, v3, s8
	v_mul_hi_i32 v21, v4, s8
	v_lshrrev_b32_e32 v22, 31, v20
	v_ashrrev_i32_e32 v20, 2, v20
	v_lshrrev_b32_e32 v23, 31, v21
	v_ashrrev_i32_e32 v21, 2, v21
	v_add_u32_e32 v20, v20, v22
	v_add_u32_e32 v21, v21, v23
	v_cmp_ne_u32_e32 vcc, v20, v21
	s_and_b64 s[8:9], vcc, exec
.LBB246_49:
	s_or_b64 exec, exec, s[12:13]
	v_or_b32_e32 v20, 12, v17
	v_cmp_gt_u32_e32 vcc, s7, v20
	s_and_saveexec_b64 s[12:13], vcc
	s_cbranch_execz .LBB246_51
; %bb.50:
	s_mov_b32 s10, 0x66666667
	v_mul_hi_i32 v20, v6, s10
	v_mul_hi_i32 v21, v3, s10
	v_lshrrev_b32_e32 v22, 31, v20
	v_ashrrev_i32_e32 v20, 2, v20
	v_lshrrev_b32_e32 v23, 31, v21
	v_ashrrev_i32_e32 v21, 2, v21
	v_add_u32_e32 v20, v20, v22
	v_add_u32_e32 v21, v21, v23
	v_cmp_ne_u32_e32 vcc, v20, v21
	s_and_b64 s[10:11], vcc, exec
.LBB246_51:
	s_or_b64 exec, exec, s[12:13]
	v_or_b32_e32 v20, 11, v17
	v_cmp_gt_u32_e32 vcc, s7, v20
	s_mov_b64 s[14:15], 0
	s_mov_b64 s[12:13], 0
	s_and_saveexec_b64 s[16:17], vcc
	s_cbranch_execz .LBB246_53
; %bb.52:
	s_mov_b32 s12, 0x66666667
	v_mul_hi_i32 v20, v5, s12
	v_mul_hi_i32 v21, v6, s12
	v_lshrrev_b32_e32 v22, 31, v20
	v_ashrrev_i32_e32 v20, 2, v20
	v_lshrrev_b32_e32 v23, 31, v21
	v_ashrrev_i32_e32 v21, 2, v21
	v_add_u32_e32 v20, v20, v22
	v_add_u32_e32 v21, v21, v23
	v_cmp_ne_u32_e32 vcc, v20, v21
	s_and_b64 s[12:13], vcc, exec
.LBB246_53:
	s_or_b64 exec, exec, s[16:17]
	v_or_b32_e32 v20, 10, v17
	v_cmp_gt_u32_e32 vcc, s7, v20
	s_and_saveexec_b64 s[16:17], vcc
	s_cbranch_execz .LBB246_55
; %bb.54:
	s_mov_b32 s14, 0x66666667
	v_mul_hi_i32 v20, v8, s14
	v_mul_hi_i32 v21, v5, s14
	v_lshrrev_b32_e32 v22, 31, v20
	v_ashrrev_i32_e32 v20, 2, v20
	v_lshrrev_b32_e32 v23, 31, v21
	v_ashrrev_i32_e32 v21, 2, v21
	v_add_u32_e32 v20, v20, v22
	v_add_u32_e32 v21, v21, v23
	v_cmp_ne_u32_e32 vcc, v20, v21
	s_and_b64 s[14:15], vcc, exec
.LBB246_55:
	s_or_b64 exec, exec, s[16:17]
	v_or_b32_e32 v20, 9, v17
	v_cmp_gt_u32_e32 vcc, s7, v20
	s_mov_b64 s[18:19], 0
	s_mov_b64 s[16:17], 0
	s_and_saveexec_b64 s[20:21], vcc
	s_cbranch_execz .LBB246_57
; %bb.56:
	s_mov_b32 s16, 0x66666667
	v_mul_hi_i32 v20, v7, s16
	v_mul_hi_i32 v21, v8, s16
	v_lshrrev_b32_e32 v22, 31, v20
	v_ashrrev_i32_e32 v20, 2, v20
	v_lshrrev_b32_e32 v23, 31, v21
	v_ashrrev_i32_e32 v21, 2, v21
	v_add_u32_e32 v20, v20, v22
	v_add_u32_e32 v21, v21, v23
	v_cmp_ne_u32_e32 vcc, v20, v21
	s_and_b64 s[16:17], vcc, exec
.LBB246_57:
	s_or_b64 exec, exec, s[20:21]
	v_or_b32_e32 v20, 8, v17
	v_cmp_gt_u32_e32 vcc, s7, v20
	s_and_saveexec_b64 s[20:21], vcc
	s_cbranch_execz .LBB246_59
; %bb.58:
	s_mov_b32 s18, 0x66666667
	v_mul_hi_i32 v20, v10, s18
	v_mul_hi_i32 v21, v7, s18
	v_lshrrev_b32_e32 v22, 31, v20
	v_ashrrev_i32_e32 v20, 2, v20
	v_lshrrev_b32_e32 v23, 31, v21
	v_ashrrev_i32_e32 v21, 2, v21
	v_add_u32_e32 v20, v20, v22
	v_add_u32_e32 v21, v21, v23
	v_cmp_ne_u32_e32 vcc, v20, v21
	s_and_b64 s[18:19], vcc, exec
.LBB246_59:
	s_or_b64 exec, exec, s[20:21]
	v_or_b32_e32 v20, 7, v17
	v_cmp_gt_u32_e32 vcc, s7, v20
	s_mov_b64 s[22:23], 0
	s_mov_b64 s[20:21], 0
	s_and_saveexec_b64 s[24:25], vcc
	s_cbranch_execz .LBB246_61
; %bb.60:
	s_mov_b32 s20, 0x66666667
	v_mul_hi_i32 v20, v9, s20
	v_mul_hi_i32 v21, v10, s20
	v_lshrrev_b32_e32 v22, 31, v20
	v_ashrrev_i32_e32 v20, 2, v20
	v_lshrrev_b32_e32 v23, 31, v21
	v_ashrrev_i32_e32 v21, 2, v21
	v_add_u32_e32 v20, v20, v22
	v_add_u32_e32 v21, v21, v23
	v_cmp_ne_u32_e32 vcc, v20, v21
	s_and_b64 s[20:21], vcc, exec
.LBB246_61:
	s_or_b64 exec, exec, s[24:25]
	v_or_b32_e32 v20, 6, v17
	v_cmp_gt_u32_e32 vcc, s7, v20
	s_and_saveexec_b64 s[24:25], vcc
	s_cbranch_execz .LBB246_63
; %bb.62:
	s_mov_b32 s22, 0x66666667
	v_mul_hi_i32 v20, v12, s22
	v_mul_hi_i32 v21, v9, s22
	v_lshrrev_b32_e32 v22, 31, v20
	v_ashrrev_i32_e32 v20, 2, v20
	v_lshrrev_b32_e32 v23, 31, v21
	v_ashrrev_i32_e32 v21, 2, v21
	v_add_u32_e32 v20, v20, v22
	v_add_u32_e32 v21, v21, v23
	v_cmp_ne_u32_e32 vcc, v20, v21
	s_and_b64 s[22:23], vcc, exec
.LBB246_63:
	s_or_b64 exec, exec, s[24:25]
	v_or_b32_e32 v20, 5, v17
	v_cmp_gt_u32_e32 vcc, s7, v20
	s_mov_b64 s[26:27], 0
	s_mov_b64 s[24:25], 0
	s_and_saveexec_b64 s[28:29], vcc
	s_cbranch_execz .LBB246_65
; %bb.64:
	s_mov_b32 s24, 0x66666667
	v_mul_hi_i32 v20, v11, s24
	v_mul_hi_i32 v21, v12, s24
	v_lshrrev_b32_e32 v22, 31, v20
	v_ashrrev_i32_e32 v20, 2, v20
	v_lshrrev_b32_e32 v23, 31, v21
	v_ashrrev_i32_e32 v21, 2, v21
	v_add_u32_e32 v20, v20, v22
	v_add_u32_e32 v21, v21, v23
	v_cmp_ne_u32_e32 vcc, v20, v21
	s_and_b64 s[24:25], vcc, exec
.LBB246_65:
	s_or_b64 exec, exec, s[28:29]
	v_or_b32_e32 v20, 4, v17
	v_cmp_gt_u32_e32 vcc, s7, v20
	s_and_saveexec_b64 s[28:29], vcc
	s_cbranch_execz .LBB246_67
; %bb.66:
	s_mov_b32 s26, 0x66666667
	v_mul_hi_i32 v20, v14, s26
	v_mul_hi_i32 v21, v11, s26
	v_lshrrev_b32_e32 v22, 31, v20
	v_ashrrev_i32_e32 v20, 2, v20
	v_lshrrev_b32_e32 v23, 31, v21
	v_ashrrev_i32_e32 v21, 2, v21
	v_add_u32_e32 v20, v20, v22
	v_add_u32_e32 v21, v21, v23
	v_cmp_ne_u32_e32 vcc, v20, v21
	s_and_b64 s[26:27], vcc, exec
.LBB246_67:
	s_or_b64 exec, exec, s[28:29]
	v_or_b32_e32 v20, 3, v17
	v_cmp_gt_u32_e32 vcc, s7, v20
	s_mov_b64 s[30:31], 0
	s_mov_b64 s[28:29], 0
	s_and_saveexec_b64 s[34:35], vcc
	s_cbranch_execz .LBB246_69
; %bb.68:
	s_mov_b32 s28, 0x66666667
	v_mul_hi_i32 v20, v13, s28
	v_mul_hi_i32 v21, v14, s28
	v_lshrrev_b32_e32 v22, 31, v20
	v_ashrrev_i32_e32 v20, 2, v20
	v_lshrrev_b32_e32 v23, 31, v21
	v_ashrrev_i32_e32 v21, 2, v21
	v_add_u32_e32 v20, v20, v22
	v_add_u32_e32 v21, v21, v23
	v_cmp_ne_u32_e32 vcc, v20, v21
	s_and_b64 s[28:29], vcc, exec
.LBB246_69:
	s_or_b64 exec, exec, s[34:35]
	v_or_b32_e32 v20, 2, v17
	v_cmp_gt_u32_e32 vcc, s7, v20
	s_and_saveexec_b64 s[34:35], vcc
	s_cbranch_execz .LBB246_71
; %bb.70:
	s_mov_b32 s30, 0x66666667
	v_mul_hi_i32 v20, v16, s30
	v_mul_hi_i32 v21, v13, s30
	v_lshrrev_b32_e32 v22, 31, v20
	v_ashrrev_i32_e32 v20, 2, v20
	v_lshrrev_b32_e32 v23, 31, v21
	v_ashrrev_i32_e32 v21, 2, v21
	v_add_u32_e32 v20, v20, v22
	v_add_u32_e32 v21, v21, v23
	v_cmp_ne_u32_e32 vcc, v20, v21
	s_and_b64 s[30:31], vcc, exec
.LBB246_71:
	s_or_b64 exec, exec, s[34:35]
	v_or_b32_e32 v20, 1, v17
	v_cmp_gt_u32_e32 vcc, s7, v20
	s_mov_b64 s[34:35], 0
	s_and_saveexec_b64 s[48:49], vcc
	s_cbranch_execz .LBB246_73
; %bb.72:
	s_mov_b32 s33, 0x66666667
	v_mul_hi_i32 v20, v15, s33
	v_mul_hi_i32 v21, v16, s33
	v_lshrrev_b32_e32 v22, 31, v20
	v_ashrrev_i32_e32 v20, 2, v20
	v_lshrrev_b32_e32 v23, 31, v21
	v_ashrrev_i32_e32 v21, 2, v21
	v_add_u32_e32 v20, v20, v22
	v_add_u32_e32 v21, v21, v23
	v_cmp_ne_u32_e32 vcc, v20, v21
	s_and_b64 s[34:35], vcc, exec
.LBB246_73:
	s_or_b64 exec, exec, s[48:49]
	v_cmp_ne_u32_e32 vcc, 0, v0
	s_waitcnt vmcnt(0) lgkmcnt(0)
	s_barrier
	s_and_saveexec_b64 s[48:49], vcc
; %bb.74:
	v_add_u32_e32 v18, -4, v19
	ds_read_b32 v18, v18
; %bb.75:
	s_or_b64 exec, exec, s[48:49]
	v_cmp_gt_u32_e32 vcc, s7, v17
	s_mov_b64 s[50:51], 0
	s_and_saveexec_b64 s[48:49], vcc
	s_cbranch_execz .LBB246_77
; %bb.76:
	s_mov_b32 s33, 0x66666667
	s_waitcnt lgkmcnt(0)
	v_mul_hi_i32 v18, v18, s33
	v_mul_hi_i32 v19, v15, s33
	v_lshrrev_b32_e32 v20, 31, v18
	v_ashrrev_i32_e32 v18, 2, v18
	v_lshrrev_b32_e32 v21, 31, v19
	v_ashrrev_i32_e32 v19, 2, v19
	v_add_u32_e32 v18, v18, v20
	v_add_u32_e32 v19, v19, v21
	v_cmp_ne_u32_e32 vcc, v18, v19
	s_and_b64 s[50:51], vcc, exec
.LBB246_77:
	s_or_b64 exec, exec, s[48:49]
	v_cndmask_b32_e64 v65, 0, 1, s[34:35]
	v_cndmask_b32_e64 v64, 0, 1, s[30:31]
	;; [unrolled: 1-line block ×15, first 2 shown]
.LBB246_78:
	s_mov_b64 s[48:49], -1
	s_cbranch_execnz .LBB246_119
.LBB246_79:
	s_waitcnt vmcnt(0) lgkmcnt(0)
	v_lshlrev_b32_e32 v18, 2, v0
	s_and_b64 vcc, exec, s[42:43]
	ds_write_b32 v18, v2
	s_cbranch_vccz .LBB246_83
; %bb.80:
	s_mov_b32 s33, 0x66666667
	v_mul_hi_i32 v19, v1, s33
	v_mul_hi_i32 v20, v2, s33
	v_cmp_ne_u32_e64 s[34:35], 0, v0
	s_waitcnt lgkmcnt(0)
	v_lshrrev_b32_e32 v21, 31, v19
	v_ashrrev_i32_e32 v19, 2, v19
	v_add_u32_e32 v19, v19, v21
	v_mul_hi_i32 v21, v4, s33
	v_lshrrev_b32_e32 v22, 31, v20
	v_ashrrev_i32_e32 v20, 2, v20
	v_add_u32_e32 v20, v20, v22
	v_mul_hi_i32 v22, v3, s33
	v_cmp_ne_u32_e32 vcc, v19, v20
	v_lshrrev_b32_e32 v20, 31, v21
	v_ashrrev_i32_e32 v21, 2, v21
	v_add_u32_e32 v20, v21, v20
	v_mul_hi_i32 v21, v6, s33
	v_cmp_ne_u32_e64 s[0:1], v20, v19
	v_lshrrev_b32_e32 v19, 31, v22
	v_ashrrev_i32_e32 v22, 2, v22
	v_add_u32_e32 v19, v22, v19
	v_mul_hi_i32 v22, v5, s33
	v_cmp_ne_u32_e64 s[2:3], v19, v20
	v_lshrrev_b32_e32 v20, 31, v21
	v_ashrrev_i32_e32 v21, 2, v21
	v_add_u32_e32 v20, v21, v20
	v_mul_hi_i32 v21, v8, s33
	v_cmp_ne_u32_e64 s[30:31], v20, v19
	v_lshrrev_b32_e32 v19, 31, v22
	v_ashrrev_i32_e32 v22, 2, v22
	v_add_u32_e32 v19, v22, v19
	v_mul_hi_i32 v22, v7, s33
	v_cmp_ne_u32_e64 s[8:9], v19, v20
	v_lshrrev_b32_e32 v20, 31, v21
	v_ashrrev_i32_e32 v21, 2, v21
	v_add_u32_e32 v20, v21, v20
	v_mul_hi_i32 v21, v10, s33
	v_cmp_ne_u32_e64 s[10:11], v20, v19
	v_lshrrev_b32_e32 v19, 31, v22
	v_ashrrev_i32_e32 v22, 2, v22
	v_add_u32_e32 v19, v22, v19
	v_mul_hi_i32 v22, v9, s33
	v_cmp_ne_u32_e64 s[12:13], v19, v20
	v_lshrrev_b32_e32 v20, 31, v21
	v_ashrrev_i32_e32 v21, 2, v21
	v_add_u32_e32 v20, v21, v20
	v_mul_hi_i32 v21, v12, s33
	v_cmp_ne_u32_e64 s[14:15], v20, v19
	v_lshrrev_b32_e32 v19, 31, v22
	v_ashrrev_i32_e32 v22, 2, v22
	v_add_u32_e32 v19, v22, v19
	v_mul_hi_i32 v22, v11, s33
	v_cmp_ne_u32_e64 s[16:17], v19, v20
	v_lshrrev_b32_e32 v20, 31, v21
	v_ashrrev_i32_e32 v21, 2, v21
	v_add_u32_e32 v20, v21, v20
	v_mul_hi_i32 v21, v14, s33
	v_cmp_ne_u32_e64 s[18:19], v20, v19
	v_lshrrev_b32_e32 v19, 31, v22
	v_ashrrev_i32_e32 v22, 2, v22
	v_add_u32_e32 v19, v22, v19
	v_mul_hi_i32 v22, v13, s33
	v_cmp_ne_u32_e64 s[20:21], v19, v20
	v_lshrrev_b32_e32 v20, 31, v21
	v_ashrrev_i32_e32 v21, 2, v21
	v_add_u32_e32 v20, v21, v20
	v_mul_hi_i32 v21, v16, s33
	v_cmp_ne_u32_e64 s[22:23], v20, v19
	v_lshrrev_b32_e32 v19, 31, v22
	v_ashrrev_i32_e32 v22, 2, v22
	v_add_u32_e32 v19, v22, v19
	v_mul_hi_i32 v22, v15, s33
	v_cmp_ne_u32_e64 s[24:25], v19, v20
	v_lshrrev_b32_e32 v20, 31, v21
	v_ashrrev_i32_e32 v21, 2, v21
	v_add_u32_e32 v20, v21, v20
	v_cmp_ne_u32_e64 s[26:27], v20, v19
	v_lshrrev_b32_e32 v19, 31, v22
	v_ashrrev_i32_e32 v21, 2, v22
	v_add_u32_e32 v19, v21, v19
	v_cmp_ne_u32_e64 s[28:29], v19, v20
	s_barrier
                                        ; implicit-def: $sgpr50_sgpr51
	s_and_saveexec_b64 s[52:53], s[34:35]
	s_xor_b64 s[34:35], exec, s[52:53]
	s_cbranch_execz .LBB246_82
; %bb.81:
	v_add_u32_e32 v20, -4, v18
	ds_read_b32 v20, v20
	s_or_b64 s[48:49], s[48:49], exec
	s_waitcnt lgkmcnt(0)
	v_mul_hi_i32 v20, v20, s33
	v_lshrrev_b32_e32 v21, 31, v20
	v_ashrrev_i32_e32 v20, 2, v20
	v_add_u32_e32 v20, v20, v21
	v_cmp_ne_u32_e64 s[50:51], v20, v19
.LBB246_82:
	s_or_b64 exec, exec, s[34:35]
	v_cndmask_b32_e64 v51, 0, 1, vcc
	v_cndmask_b32_e64 v52, 0, 1, s[0:1]
	v_cndmask_b32_e64 v53, 0, 1, s[2:3]
	;; [unrolled: 1-line block ×14, first 2 shown]
	s_branch .LBB246_119
.LBB246_83:
                                        ; implicit-def: $sgpr50_sgpr51
                                        ; implicit-def: $vgpr51
                                        ; implicit-def: $vgpr52
                                        ; implicit-def: $vgpr53
                                        ; implicit-def: $vgpr54
                                        ; implicit-def: $vgpr55
                                        ; implicit-def: $vgpr56
                                        ; implicit-def: $vgpr57
                                        ; implicit-def: $vgpr58
                                        ; implicit-def: $vgpr59
                                        ; implicit-def: $vgpr65
                                        ; implicit-def: $vgpr64
                                        ; implicit-def: $vgpr63
                                        ; implicit-def: $vgpr62
                                        ; implicit-def: $vgpr61
                                        ; implicit-def: $vgpr60
	s_cbranch_execz .LBB246_119
; %bb.84:
	v_or_b32_e32 v19, 15, v17
	v_cmp_gt_u32_e32 vcc, s7, v19
	s_mov_b64 s[2:3], 0
	s_mov_b64 s[0:1], 0
	s_and_saveexec_b64 s[8:9], vcc
	s_cbranch_execz .LBB246_86
; %bb.85:
	s_mov_b32 s0, 0x66666667
	v_mul_hi_i32 v19, v1, s0
	v_mul_hi_i32 v20, v2, s0
	v_lshrrev_b32_e32 v21, 31, v19
	v_ashrrev_i32_e32 v19, 2, v19
	v_lshrrev_b32_e32 v22, 31, v20
	v_ashrrev_i32_e32 v20, 2, v20
	v_add_u32_e32 v19, v19, v21
	v_add_u32_e32 v20, v20, v22
	v_cmp_ne_u32_e32 vcc, v19, v20
	s_and_b64 s[0:1], vcc, exec
.LBB246_86:
	s_or_b64 exec, exec, s[8:9]
	v_or_b32_e32 v19, 14, v17
	v_cmp_gt_u32_e32 vcc, s7, v19
	s_and_saveexec_b64 s[8:9], vcc
	s_cbranch_execz .LBB246_88
; %bb.87:
	s_mov_b32 s2, 0x66666667
	v_mul_hi_i32 v19, v4, s2
	v_mul_hi_i32 v20, v1, s2
	v_lshrrev_b32_e32 v21, 31, v19
	v_ashrrev_i32_e32 v19, 2, v19
	v_lshrrev_b32_e32 v22, 31, v20
	v_ashrrev_i32_e32 v20, 2, v20
	v_add_u32_e32 v19, v19, v21
	v_add_u32_e32 v20, v20, v22
	v_cmp_ne_u32_e32 vcc, v19, v20
	s_and_b64 s[2:3], vcc, exec
.LBB246_88:
	s_or_b64 exec, exec, s[8:9]
	v_or_b32_e32 v19, 13, v17
	v_cmp_gt_u32_e32 vcc, s7, v19
	s_mov_b64 s[10:11], 0
	s_mov_b64 s[8:9], 0
	s_and_saveexec_b64 s[12:13], vcc
	s_cbranch_execz .LBB246_90
; %bb.89:
	s_mov_b32 s8, 0x66666667
	v_mul_hi_i32 v19, v3, s8
	v_mul_hi_i32 v20, v4, s8
	v_lshrrev_b32_e32 v21, 31, v19
	v_ashrrev_i32_e32 v19, 2, v19
	v_lshrrev_b32_e32 v22, 31, v20
	v_ashrrev_i32_e32 v20, 2, v20
	v_add_u32_e32 v19, v19, v21
	v_add_u32_e32 v20, v20, v22
	v_cmp_ne_u32_e32 vcc, v19, v20
	s_and_b64 s[8:9], vcc, exec
.LBB246_90:
	s_or_b64 exec, exec, s[12:13]
	v_or_b32_e32 v19, 12, v17
	v_cmp_gt_u32_e32 vcc, s7, v19
	s_and_saveexec_b64 s[12:13], vcc
	s_cbranch_execz .LBB246_92
; %bb.91:
	s_mov_b32 s10, 0x66666667
	v_mul_hi_i32 v19, v6, s10
	v_mul_hi_i32 v20, v3, s10
	v_lshrrev_b32_e32 v21, 31, v19
	v_ashrrev_i32_e32 v19, 2, v19
	v_lshrrev_b32_e32 v22, 31, v20
	v_ashrrev_i32_e32 v20, 2, v20
	v_add_u32_e32 v19, v19, v21
	v_add_u32_e32 v20, v20, v22
	v_cmp_ne_u32_e32 vcc, v19, v20
	s_and_b64 s[10:11], vcc, exec
.LBB246_92:
	s_or_b64 exec, exec, s[12:13]
	;; [unrolled: 38-line block ×7, first 2 shown]
	v_or_b32_e32 v19, 1, v17
	v_cmp_gt_u32_e32 vcc, s7, v19
	s_mov_b64 s[34:35], 0
	s_and_saveexec_b64 s[50:51], vcc
	s_cbranch_execz .LBB246_114
; %bb.113:
	s_mov_b32 s33, 0x66666667
	v_mul_hi_i32 v19, v15, s33
	v_mul_hi_i32 v20, v16, s33
	v_lshrrev_b32_e32 v21, 31, v19
	v_ashrrev_i32_e32 v19, 2, v19
	v_lshrrev_b32_e32 v22, 31, v20
	v_ashrrev_i32_e32 v20, 2, v20
	v_add_u32_e32 v19, v19, v21
	v_add_u32_e32 v20, v20, v22
	v_cmp_ne_u32_e32 vcc, v19, v20
	s_and_b64 s[34:35], vcc, exec
.LBB246_114:
	s_or_b64 exec, exec, s[50:51]
	v_cmp_ne_u32_e32 vcc, 0, v0
	s_waitcnt lgkmcnt(0)
	s_barrier
                                        ; implicit-def: $sgpr50_sgpr51
	s_and_saveexec_b64 s[52:53], vcc
	s_cbranch_execz .LBB246_118
; %bb.115:
	v_cmp_gt_u32_e32 vcc, s7, v17
	s_mov_b64 s[50:51], 0
	s_and_saveexec_b64 s[54:55], vcc
	s_cbranch_execz .LBB246_117
; %bb.116:
	v_add_u32_e32 v18, -4, v18
	ds_read_b32 v18, v18
	s_mov_b32 s33, 0x66666667
	v_mul_hi_i32 v19, v15, s33
	s_waitcnt lgkmcnt(0)
	v_mul_hi_i32 v18, v18, s33
	v_lshrrev_b32_e32 v20, 31, v19
	v_ashrrev_i32_e32 v19, 2, v19
	v_add_u32_e32 v19, v19, v20
	v_lshrrev_b32_e32 v21, 31, v18
	v_ashrrev_i32_e32 v18, 2, v18
	v_add_u32_e32 v18, v18, v21
	v_cmp_ne_u32_e32 vcc, v18, v19
	s_and_b64 s[50:51], vcc, exec
.LBB246_117:
	s_or_b64 exec, exec, s[54:55]
	s_or_b64 s[48:49], s[48:49], exec
.LBB246_118:
	s_or_b64 exec, exec, s[52:53]
	v_cndmask_b32_e64 v64, 0, 1, s[30:31]
	v_cndmask_b32_e64 v63, 0, 1, s[28:29]
	;; [unrolled: 1-line block ×15, first 2 shown]
.LBB246_119:
	v_mov_b32_e32 v28, 1
	s_and_saveexec_b64 s[0:1], s[48:49]
; %bb.120:
	v_cndmask_b32_e64 v28, 0, 1, s[50:51]
; %bb.121:
	s_or_b64 exec, exec, s[0:1]
	s_load_dwordx2 s[22:23], s[4:5], 0x60
	s_andn2_b64 vcc, exec, s[44:45]
	s_cbranch_vccnz .LBB246_123
; %bb.122:
	v_cmp_gt_u32_e32 vcc, s7, v17
	s_waitcnt vmcnt(0) lgkmcnt(0)
	v_or_b32_e32 v18, 1, v17
	v_cndmask_b32_e32 v28, 0, v28, vcc
	v_cmp_gt_u32_e32 vcc, s7, v18
	v_or_b32_e32 v18, 2, v17
	v_cndmask_b32_e32 v65, 0, v65, vcc
	v_cmp_gt_u32_e32 vcc, s7, v18
	;; [unrolled: 3-line block ×15, first 2 shown]
	v_cndmask_b32_e32 v51, 0, v51, vcc
.LBB246_123:
	v_and_b32_e32 v37, 0xff, v63
	v_and_b32_e32 v39, 0xff, v62
	s_waitcnt vmcnt(0) lgkmcnt(0)
	v_add_u32_sdwa v18, v61, v60 dst_sel:DWORD dst_unused:UNUSED_PAD src0_sel:BYTE_0 src1_sel:BYTE_0
	v_and_b32_e32 v33, 0xff, v65
	v_and_b32_e32 v35, 0xff, v64
	v_add3_u32 v18, v18, v39, v37
	v_and_b32_e32 v31, 0xffff, v28
	v_and_b32_e32 v27, 0xff, v59
	v_add3_u32 v18, v18, v35, v33
	;; [unrolled: 3-line block ×6, first 2 shown]
	v_add3_u32 v44, v18, v40, v17
	v_mbcnt_lo_u32_b32 v17, -1, 0
	v_mbcnt_hi_u32_b32 v41, -1, v17
	v_and_b32_e32 v17, 15, v41
	v_cmp_eq_u32_e64 s[14:15], 0, v17
	v_cmp_lt_u32_e64 s[12:13], 1, v17
	v_cmp_lt_u32_e64 s[10:11], 3, v17
	;; [unrolled: 1-line block ×3, first 2 shown]
	v_and_b32_e32 v17, 16, v41
	v_cmp_eq_u32_e64 s[18:19], 0, v17
	v_or_b32_e32 v17, 63, v0
	v_cmp_lt_u32_e64 s[0:1], 31, v41
	v_lshrrev_b32_e32 v42, 6, v0
	v_cmp_eq_u32_e64 s[2:3], v0, v17
	s_and_b64 vcc, exec, s[46:47]
	s_barrier
	s_cbranch_vccz .LBB246_145
; %bb.124:
	v_mov_b32_dpp v17, v44 row_shr:1 row_mask:0xf bank_mask:0xf
	v_cndmask_b32_e64 v17, v17, 0, s[14:15]
	v_add_u32_e32 v17, v17, v44
	s_nop 1
	v_mov_b32_dpp v18, v17 row_shr:2 row_mask:0xf bank_mask:0xf
	v_cndmask_b32_e64 v18, 0, v18, s[12:13]
	v_add_u32_e32 v17, v17, v18
	s_nop 1
	v_mov_b32_dpp v18, v17 row_shr:4 row_mask:0xf bank_mask:0xf
	v_cndmask_b32_e64 v18, 0, v18, s[10:11]
	v_add_u32_e32 v17, v17, v18
	s_nop 1
	v_mov_b32_dpp v18, v17 row_shr:8 row_mask:0xf bank_mask:0xf
	v_cndmask_b32_e64 v18, 0, v18, s[8:9]
	v_add_u32_e32 v17, v17, v18
	s_nop 1
	v_mov_b32_dpp v18, v17 row_bcast:15 row_mask:0xf bank_mask:0xf
	v_cndmask_b32_e64 v18, v18, 0, s[18:19]
	v_add_u32_e32 v17, v17, v18
	s_nop 1
	v_mov_b32_dpp v18, v17 row_bcast:31 row_mask:0xf bank_mask:0xf
	v_cndmask_b32_e64 v18, 0, v18, s[0:1]
	v_add_u32_e32 v17, v17, v18
	s_and_saveexec_b64 s[16:17], s[2:3]
; %bb.125:
	v_lshlrev_b32_e32 v18, 2, v42
	ds_write_b32 v18, v17
; %bb.126:
	s_or_b64 exec, exec, s[16:17]
	v_cmp_gt_u32_e32 vcc, 4, v0
	s_waitcnt lgkmcnt(0)
	s_barrier
	s_and_saveexec_b64 s[16:17], vcc
	s_cbranch_execz .LBB246_128
; %bb.127:
	v_lshlrev_b32_e32 v18, 2, v0
	ds_read_b32 v19, v18
	v_and_b32_e32 v20, 3, v41
	v_cmp_ne_u32_e32 vcc, 0, v20
	s_waitcnt lgkmcnt(0)
	v_mov_b32_dpp v21, v19 row_shr:1 row_mask:0xf bank_mask:0xf
	v_cndmask_b32_e32 v21, 0, v21, vcc
	v_add_u32_e32 v19, v21, v19
	v_cmp_lt_u32_e32 vcc, 1, v20
	s_nop 0
	v_mov_b32_dpp v21, v19 row_shr:2 row_mask:0xf bank_mask:0xf
	v_cndmask_b32_e32 v20, 0, v21, vcc
	v_add_u32_e32 v19, v19, v20
	ds_write_b32 v18, v19
.LBB246_128:
	s_or_b64 exec, exec, s[16:17]
	v_cmp_gt_u32_e32 vcc, 64, v0
	v_cmp_lt_u32_e64 s[16:17], 63, v0
	s_waitcnt lgkmcnt(0)
	s_barrier
                                        ; implicit-def: $vgpr43
	s_and_saveexec_b64 s[20:21], s[16:17]
	s_cbranch_execz .LBB246_130
; %bb.129:
	v_lshl_add_u32 v18, v42, 2, -4
	ds_read_b32 v43, v18
	s_waitcnt lgkmcnt(0)
	v_add_u32_e32 v17, v43, v17
.LBB246_130:
	s_or_b64 exec, exec, s[20:21]
	v_subrev_co_u32_e64 v18, s[16:17], 1, v41
	v_and_b32_e32 v19, 64, v41
	v_cmp_lt_i32_e64 s[20:21], v18, v19
	v_cndmask_b32_e64 v18, v18, v41, s[20:21]
	v_lshlrev_b32_e32 v18, 2, v18
	ds_bpermute_b32 v45, v18, v17
	s_and_saveexec_b64 s[20:21], vcc
	s_cbranch_execz .LBB246_150
; %bb.131:
	v_mov_b32_e32 v23, 0
	ds_read_b32 v17, v23 offset:12
	s_and_saveexec_b64 s[24:25], s[16:17]
	s_cbranch_execz .LBB246_133
; %bb.132:
	s_add_i32 s26, s6, 64
	s_mov_b32 s27, 0
	s_lshl_b64 s[26:27], s[26:27], 3
	s_add_u32 s26, s22, s26
	v_mov_b32_e32 v18, 1
	s_addc_u32 s27, s23, s27
	s_waitcnt lgkmcnt(0)
	global_store_dwordx2 v23, v[17:18], s[26:27]
.LBB246_133:
	s_or_b64 exec, exec, s[24:25]
	v_xad_u32 v19, v41, -1, s6
	v_add_u32_e32 v22, 64, v19
	v_lshlrev_b64 v[20:21], 3, v[22:23]
	v_mov_b32_e32 v18, s23
	v_add_co_u32_e32 v24, vcc, s22, v20
	v_addc_co_u32_e32 v25, vcc, v18, v21, vcc
	global_load_dwordx2 v[21:22], v[24:25], off glc
	s_waitcnt vmcnt(0)
	v_cmp_eq_u16_sdwa s[26:27], v22, v23 src0_sel:BYTE_0 src1_sel:DWORD
	s_and_saveexec_b64 s[24:25], s[26:27]
	s_cbranch_execz .LBB246_137
; %bb.134:
	s_mov_b64 s[26:27], 0
	v_mov_b32_e32 v18, 0
.LBB246_135:                            ; =>This Inner Loop Header: Depth=1
	global_load_dwordx2 v[21:22], v[24:25], off glc
	s_waitcnt vmcnt(0)
	v_cmp_ne_u16_sdwa s[28:29], v22, v18 src0_sel:BYTE_0 src1_sel:DWORD
	s_or_b64 s[26:27], s[28:29], s[26:27]
	s_andn2_b64 exec, exec, s[26:27]
	s_cbranch_execnz .LBB246_135
; %bb.136:
	s_or_b64 exec, exec, s[26:27]
.LBB246_137:
	s_or_b64 exec, exec, s[24:25]
	v_and_b32_e32 v47, 63, v41
	v_mov_b32_e32 v46, 2
	v_lshlrev_b64 v[23:24], v41, -1
	v_cmp_ne_u32_e32 vcc, 63, v47
	v_cmp_eq_u16_sdwa s[24:25], v22, v46 src0_sel:BYTE_0 src1_sel:DWORD
	v_addc_co_u32_e32 v25, vcc, 0, v41, vcc
	v_and_b32_e32 v18, s25, v24
	v_lshlrev_b32_e32 v48, 2, v25
	v_or_b32_e32 v18, 0x80000000, v18
	ds_bpermute_b32 v25, v48, v21
	v_and_b32_e32 v20, s24, v23
	v_ffbl_b32_e32 v18, v18
	v_add_u32_e32 v18, 32, v18
	v_ffbl_b32_e32 v20, v20
	v_min_u32_e32 v18, v20, v18
	v_cmp_lt_u32_e32 vcc, v47, v18
	s_waitcnt lgkmcnt(0)
	v_cndmask_b32_e32 v20, 0, v25, vcc
	v_cmp_gt_u32_e32 vcc, 62, v47
	v_add_u32_e32 v20, v20, v21
	v_cndmask_b32_e64 v21, 0, 2, vcc
	v_add_lshl_u32 v49, v21, v41, 2
	ds_bpermute_b32 v21, v49, v20
	v_add_u32_e32 v50, 2, v47
	v_cmp_le_u32_e32 vcc, v50, v18
	v_add_u32_e32 v67, 4, v47
	v_add_u32_e32 v69, 8, v47
	s_waitcnt lgkmcnt(0)
	v_cndmask_b32_e32 v21, 0, v21, vcc
	v_cmp_gt_u32_e32 vcc, 60, v47
	v_add_u32_e32 v20, v20, v21
	v_cndmask_b32_e64 v21, 0, 4, vcc
	v_add_lshl_u32 v66, v21, v41, 2
	ds_bpermute_b32 v21, v66, v20
	v_cmp_le_u32_e32 vcc, v67, v18
	v_add_u32_e32 v71, 16, v47
	v_add_u32_e32 v73, 32, v47
	s_waitcnt lgkmcnt(0)
	v_cndmask_b32_e32 v21, 0, v21, vcc
	v_cmp_gt_u32_e32 vcc, 56, v47
	v_add_u32_e32 v20, v20, v21
	v_cndmask_b32_e64 v21, 0, 8, vcc
	v_add_lshl_u32 v68, v21, v41, 2
	ds_bpermute_b32 v21, v68, v20
	v_cmp_le_u32_e32 vcc, v69, v18
	s_waitcnt lgkmcnt(0)
	v_cndmask_b32_e32 v21, 0, v21, vcc
	v_cmp_gt_u32_e32 vcc, 48, v47
	v_add_u32_e32 v20, v20, v21
	v_cndmask_b32_e64 v21, 0, 16, vcc
	v_add_lshl_u32 v70, v21, v41, 2
	ds_bpermute_b32 v21, v70, v20
	v_cmp_le_u32_e32 vcc, v71, v18
	s_waitcnt lgkmcnt(0)
	v_cndmask_b32_e32 v21, 0, v21, vcc
	v_add_u32_e32 v20, v20, v21
	v_mov_b32_e32 v21, 0x80
	v_lshl_or_b32 v72, v41, 2, v21
	ds_bpermute_b32 v21, v72, v20
	v_cmp_le_u32_e32 vcc, v73, v18
	s_waitcnt lgkmcnt(0)
	v_cndmask_b32_e32 v18, 0, v21, vcc
	v_add_u32_e32 v21, v20, v18
	v_mov_b32_e32 v20, 0
	s_branch .LBB246_140
.LBB246_138:                            ;   in Loop: Header=BB246_140 Depth=1
	s_or_b64 exec, exec, s[24:25]
	v_cmp_eq_u16_sdwa s[24:25], v22, v46 src0_sel:BYTE_0 src1_sel:DWORD
	v_and_b32_e32 v25, s25, v24
	v_or_b32_e32 v25, 0x80000000, v25
	ds_bpermute_b32 v74, v48, v21
	v_and_b32_e32 v26, s24, v23
	v_ffbl_b32_e32 v25, v25
	v_add_u32_e32 v25, 32, v25
	v_ffbl_b32_e32 v26, v26
	v_min_u32_e32 v25, v26, v25
	v_cmp_lt_u32_e32 vcc, v47, v25
	s_waitcnt lgkmcnt(0)
	v_cndmask_b32_e32 v26, 0, v74, vcc
	v_add_u32_e32 v21, v26, v21
	ds_bpermute_b32 v26, v49, v21
	v_cmp_le_u32_e32 vcc, v50, v25
	v_subrev_u32_e32 v19, 64, v19
	s_mov_b64 s[24:25], 0
	s_waitcnt lgkmcnt(0)
	v_cndmask_b32_e32 v26, 0, v26, vcc
	v_add_u32_e32 v21, v21, v26
	ds_bpermute_b32 v26, v66, v21
	v_cmp_le_u32_e32 vcc, v67, v25
	s_waitcnt lgkmcnt(0)
	v_cndmask_b32_e32 v26, 0, v26, vcc
	v_add_u32_e32 v21, v21, v26
	ds_bpermute_b32 v26, v68, v21
	v_cmp_le_u32_e32 vcc, v69, v25
	;; [unrolled: 5-line block ×4, first 2 shown]
	s_waitcnt lgkmcnt(0)
	v_cndmask_b32_e32 v25, 0, v26, vcc
	v_add3_u32 v21, v25, v18, v21
.LBB246_139:                            ;   in Loop: Header=BB246_140 Depth=1
	s_and_b64 vcc, exec, s[24:25]
	s_cbranch_vccnz .LBB246_146
.LBB246_140:                            ; =>This Loop Header: Depth=1
                                        ;     Child Loop BB246_143 Depth 2
	v_cmp_ne_u16_sdwa s[24:25], v22, v46 src0_sel:BYTE_0 src1_sel:DWORD
	v_mov_b32_e32 v18, v21
	s_cmp_lg_u64 s[24:25], exec
	s_mov_b64 s[24:25], -1
                                        ; implicit-def: $vgpr21
                                        ; implicit-def: $vgpr22
	s_cbranch_scc1 .LBB246_139
; %bb.141:                              ;   in Loop: Header=BB246_140 Depth=1
	v_lshlrev_b64 v[21:22], 3, v[19:20]
	v_mov_b32_e32 v26, s23
	v_add_co_u32_e32 v25, vcc, s22, v21
	v_addc_co_u32_e32 v26, vcc, v26, v22, vcc
	global_load_dwordx2 v[21:22], v[25:26], off glc
	s_waitcnt vmcnt(0)
	v_cmp_eq_u16_sdwa s[26:27], v22, v20 src0_sel:BYTE_0 src1_sel:DWORD
	s_and_saveexec_b64 s[24:25], s[26:27]
	s_cbranch_execz .LBB246_138
; %bb.142:                              ;   in Loop: Header=BB246_140 Depth=1
	s_mov_b64 s[26:27], 0
.LBB246_143:                            ;   Parent Loop BB246_140 Depth=1
                                        ; =>  This Inner Loop Header: Depth=2
	global_load_dwordx2 v[21:22], v[25:26], off glc
	s_waitcnt vmcnt(0)
	v_cmp_ne_u16_sdwa s[28:29], v22, v20 src0_sel:BYTE_0 src1_sel:DWORD
	s_or_b64 s[26:27], s[28:29], s[26:27]
	s_andn2_b64 exec, exec, s[26:27]
	s_cbranch_execnz .LBB246_143
; %bb.144:                              ;   in Loop: Header=BB246_140 Depth=1
	s_or_b64 exec, exec, s[26:27]
	s_branch .LBB246_138
.LBB246_145:
                                        ; implicit-def: $vgpr18
                                        ; implicit-def: $vgpr43
	s_load_dwordx2 s[4:5], s[4:5], 0x28
	s_cbranch_execnz .LBB246_151
	s_branch .LBB246_160
.LBB246_146:
	s_and_saveexec_b64 s[24:25], s[16:17]
	s_cbranch_execz .LBB246_148
; %bb.147:
	s_add_i32 s6, s6, 64
	s_mov_b32 s7, 0
	s_lshl_b64 s[6:7], s[6:7], 3
	s_add_u32 s6, s22, s6
	v_add_u32_e32 v19, v18, v17
	v_mov_b32_e32 v20, 2
	s_addc_u32 s7, s23, s7
	v_mov_b32_e32 v21, 0
	global_store_dwordx2 v21, v[19:20], s[6:7]
	ds_write_b64 v21, v[17:18] offset:16896
.LBB246_148:
	s_or_b64 exec, exec, s[24:25]
	v_cmp_eq_u32_e32 vcc, 0, v0
	s_and_b64 exec, exec, vcc
; %bb.149:
	v_mov_b32_e32 v17, 0
	ds_write_b32 v17, v18 offset:12
.LBB246_150:
	s_or_b64 exec, exec, s[20:21]
	v_mov_b32_e32 v17, 0
	s_waitcnt vmcnt(0) lgkmcnt(0)
	s_barrier
	ds_read_b32 v20, v17 offset:12
	s_waitcnt lgkmcnt(0)
	s_barrier
	ds_read_b64 v[17:18], v17 offset:16896
	v_cndmask_b32_e64 v19, v45, v43, s[16:17]
	v_cmp_ne_u32_e32 vcc, 0, v0
	v_cndmask_b32_e32 v19, 0, v19, vcc
	v_add_u32_e32 v43, v20, v19
	s_load_dwordx2 s[4:5], s[4:5], 0x28
	s_branch .LBB246_160
.LBB246_151:
	s_waitcnt lgkmcnt(0)
	v_mov_b32_dpp v17, v44 row_shr:1 row_mask:0xf bank_mask:0xf
	v_cndmask_b32_e64 v17, v17, 0, s[14:15]
	v_add_u32_e32 v17, v17, v44
	s_nop 1
	v_mov_b32_dpp v18, v17 row_shr:2 row_mask:0xf bank_mask:0xf
	v_cndmask_b32_e64 v18, 0, v18, s[12:13]
	v_add_u32_e32 v17, v17, v18
	s_nop 1
	;; [unrolled: 4-line block ×4, first 2 shown]
	v_mov_b32_dpp v18, v17 row_bcast:15 row_mask:0xf bank_mask:0xf
	v_cndmask_b32_e64 v18, v18, 0, s[18:19]
	v_add_u32_e32 v17, v17, v18
	s_nop 1
	v_mov_b32_dpp v18, v17 row_bcast:31 row_mask:0xf bank_mask:0xf
	v_cndmask_b32_e64 v18, 0, v18, s[0:1]
	v_add_u32_e32 v17, v17, v18
	s_and_saveexec_b64 s[0:1], s[2:3]
; %bb.152:
	v_lshlrev_b32_e32 v18, 2, v42
	ds_write_b32 v18, v17
; %bb.153:
	s_or_b64 exec, exec, s[0:1]
	v_cmp_gt_u32_e32 vcc, 4, v0
	s_waitcnt lgkmcnt(0)
	s_barrier
	s_and_saveexec_b64 s[0:1], vcc
	s_cbranch_execz .LBB246_155
; %bb.154:
	v_lshlrev_b32_e32 v18, 2, v0
	ds_read_b32 v19, v18
	v_and_b32_e32 v20, 3, v41
	v_cmp_ne_u32_e32 vcc, 0, v20
	s_waitcnt lgkmcnt(0)
	v_mov_b32_dpp v21, v19 row_shr:1 row_mask:0xf bank_mask:0xf
	v_cndmask_b32_e32 v21, 0, v21, vcc
	v_add_u32_e32 v19, v21, v19
	v_cmp_lt_u32_e32 vcc, 1, v20
	s_nop 0
	v_mov_b32_dpp v21, v19 row_shr:2 row_mask:0xf bank_mask:0xf
	v_cndmask_b32_e32 v20, 0, v21, vcc
	v_add_u32_e32 v19, v19, v20
	ds_write_b32 v18, v19
.LBB246_155:
	s_or_b64 exec, exec, s[0:1]
	v_cmp_lt_u32_e32 vcc, 63, v0
	v_mov_b32_e32 v18, 0
	v_mov_b32_e32 v19, 0
	s_waitcnt lgkmcnt(0)
	s_barrier
	s_and_saveexec_b64 s[0:1], vcc
; %bb.156:
	v_lshl_add_u32 v19, v42, 2, -4
	ds_read_b32 v19, v19
; %bb.157:
	s_or_b64 exec, exec, s[0:1]
	v_subrev_co_u32_e32 v20, vcc, 1, v41
	v_and_b32_e32 v21, 64, v41
	v_cmp_lt_i32_e64 s[0:1], v20, v21
	v_cndmask_b32_e64 v20, v20, v41, s[0:1]
	s_waitcnt lgkmcnt(0)
	v_add_u32_e32 v17, v19, v17
	v_lshlrev_b32_e32 v20, 2, v20
	ds_bpermute_b32 v20, v20, v17
	ds_read_b32 v17, v18 offset:12
	v_cmp_eq_u32_e64 s[0:1], 0, v0
	s_and_saveexec_b64 s[2:3], s[0:1]
	s_cbranch_execz .LBB246_159
; %bb.158:
	v_mov_b32_e32 v21, 0
	v_mov_b32_e32 v18, 2
	s_waitcnt lgkmcnt(0)
	global_store_dwordx2 v21, v[17:18], s[22:23] offset:512
.LBB246_159:
	s_or_b64 exec, exec, s[2:3]
	s_waitcnt lgkmcnt(1)
	v_cndmask_b32_e32 v18, v20, v19, vcc
	v_cndmask_b32_e64 v43, v18, 0, s[0:1]
	s_waitcnt vmcnt(0) lgkmcnt(0)
	s_barrier
	v_mov_b32_e32 v18, 0
.LBB246_160:
	v_add_u32_e32 v49, v43, v31
	v_add_u32_e32 v47, v49, v33
	;; [unrolled: 1-line block ×5, first 2 shown]
	v_add_u32_sdwa v37, v39, v61 dst_sel:DWORD dst_unused:UNUSED_PAD src0_sel:DWORD src1_sel:BYTE_0
	v_add_u32_sdwa v35, v37, v60 dst_sel:DWORD dst_unused:UNUSED_PAD src0_sel:DWORD src1_sel:BYTE_0
	v_add_u32_e32 v33, v35, v27
	v_add_u32_e32 v31, v33, v29
	v_add_u32_e32 v29, v31, v30
	v_add_u32_e32 v27, v29, v32
	v_add_u32_e32 v25, v27, v34
	v_add_u32_e32 v23, v25, v36
	s_movk_i32 s2, 0x101
	v_add_u32_e32 v21, v23, v38
	s_waitcnt lgkmcnt(0)
	v_cmp_gt_u32_e32 vcc, s2, v17
	v_add_u32_e32 v19, v21, v40
	s_mov_b64 s[0:1], -1
	v_and_b32_e32 v66, 1, v28
	s_cbranch_vccnz .LBB246_164
; %bb.161:
	s_and_b64 vcc, exec, s[0:1]
	s_cbranch_vccnz .LBB246_197
.LBB246_162:
	v_cmp_eq_u32_e32 vcc, 0, v0
	s_and_b64 s[0:1], vcc, s[40:41]
	s_and_saveexec_b64 s[2:3], s[0:1]
	s_cbranch_execnz .LBB246_233
.LBB246_163:
	s_endpgm
.LBB246_164:
	v_add_u32_e32 v20, v18, v17
	s_lshl_b64 s[0:1], s[38:39], 2
	s_add_u32 s2, s4, s0
	v_cmp_lt_u32_e32 vcc, v43, v20
	s_addc_u32 s3, s5, s1
	s_or_b64 s[0:1], s[42:43], vcc
	v_cmp_eq_u32_e32 vcc, 1, v66
	s_and_b64 s[6:7], s[0:1], vcc
	s_and_saveexec_b64 s[0:1], s[6:7]
	s_cbranch_execz .LBB246_166
; %bb.165:
	v_mov_b32_e32 v44, 0
	v_lshlrev_b64 v[67:68], 2, v[43:44]
	v_mov_b32_e32 v22, s3
	v_add_co_u32_e32 v67, vcc, s2, v67
	v_addc_co_u32_e32 v68, vcc, v22, v68, vcc
	global_store_dword v[67:68], v15, off
.LBB246_166:
	s_or_b64 exec, exec, s[0:1]
	v_cmp_lt_u32_e32 vcc, v49, v20
	v_and_b32_e32 v22, 1, v65
	s_or_b64 s[0:1], s[42:43], vcc
	v_cmp_eq_u32_e32 vcc, 1, v22
	s_and_b64 s[6:7], s[0:1], vcc
	s_and_saveexec_b64 s[0:1], s[6:7]
	s_cbranch_execz .LBB246_168
; %bb.167:
	v_mov_b32_e32 v50, 0
	v_lshlrev_b64 v[67:68], 2, v[49:50]
	v_mov_b32_e32 v22, s3
	v_add_co_u32_e32 v67, vcc, s2, v67
	v_addc_co_u32_e32 v68, vcc, v22, v68, vcc
	global_store_dword v[67:68], v16, off
.LBB246_168:
	s_or_b64 exec, exec, s[0:1]
	v_cmp_lt_u32_e32 vcc, v47, v20
	v_and_b32_e32 v22, 1, v64
	;; [unrolled: 16-line block ×15, first 2 shown]
	s_or_b64 s[0:1], s[42:43], vcc
	v_cmp_eq_u32_e32 vcc, 1, v20
	s_and_b64 s[6:7], s[0:1], vcc
	s_and_saveexec_b64 s[0:1], s[6:7]
	s_cbranch_execz .LBB246_196
; %bb.195:
	v_mov_b32_e32 v20, 0
	v_lshlrev_b64 v[67:68], 2, v[19:20]
	v_mov_b32_e32 v20, s3
	v_add_co_u32_e32 v67, vcc, s2, v67
	v_addc_co_u32_e32 v68, vcc, v20, v68, vcc
	global_store_dword v[67:68], v2, off
.LBB246_196:
	s_or_b64 exec, exec, s[0:1]
	s_branch .LBB246_162
.LBB246_197:
	v_cmp_eq_u32_e32 vcc, 1, v66
	s_and_saveexec_b64 s[0:1], vcc
; %bb.198:
	v_sub_u32_e32 v20, v43, v18
	v_lshlrev_b32_e32 v20, 2, v20
	ds_write_b32 v20, v15
; %bb.199:
	s_or_b64 exec, exec, s[0:1]
	v_and_b32_e32 v15, 1, v65
	v_cmp_eq_u32_e32 vcc, 1, v15
	s_and_saveexec_b64 s[0:1], vcc
; %bb.200:
	v_sub_u32_e32 v15, v49, v18
	v_lshlrev_b32_e32 v15, 2, v15
	ds_write_b32 v15, v16
; %bb.201:
	s_or_b64 exec, exec, s[0:1]
	v_and_b32_e32 v15, 1, v64
	;; [unrolled: 9-line block ×15, first 2 shown]
	v_cmp_eq_u32_e32 vcc, 1, v1
	s_and_saveexec_b64 s[0:1], vcc
; %bb.228:
	v_sub_u32_e32 v1, v19, v18
	v_lshlrev_b32_e32 v1, 2, v1
	ds_write_b32 v1, v2
; %bb.229:
	s_or_b64 exec, exec, s[0:1]
	v_cmp_lt_u32_e32 vcc, v0, v17
	s_waitcnt vmcnt(0) lgkmcnt(0)
	s_barrier
	s_and_saveexec_b64 s[2:3], vcc
	s_cbranch_execz .LBB246_232
; %bb.230:
	v_mov_b32_e32 v2, 0
	v_mov_b32_e32 v1, v18
	s_lshl_b64 s[0:1], s[38:39], 2
	s_add_u32 s0, s4, s0
	v_lshlrev_b64 v[3:4], 2, v[1:2]
	s_addc_u32 s1, s5, s1
	v_mov_b32_e32 v1, s1
	v_add_co_u32_e32 v3, vcc, s0, v3
	v_addc_co_u32_e32 v4, vcc, v1, v4, vcc
	v_lshlrev_b32_e32 v5, 2, v0
	s_mov_b64 s[4:5], 0
	v_mov_b32_e32 v1, v0
.LBB246_231:                            ; =>This Inner Loop Header: Depth=1
	ds_read_b32 v8, v5
	v_lshlrev_b64 v[6:7], 2, v[1:2]
	v_add_u32_e32 v1, 0x100, v1
	v_cmp_ge_u32_e32 vcc, v1, v17
	v_add_co_u32_e64 v6, s[0:1], v3, v6
	v_add_u32_e32 v5, 0x400, v5
	v_addc_co_u32_e64 v7, s[0:1], v4, v7, s[0:1]
	s_or_b64 s[4:5], vcc, s[4:5]
	s_waitcnt lgkmcnt(0)
	global_store_dword v[6:7], v8, off
	s_andn2_b64 exec, exec, s[4:5]
	s_cbranch_execnz .LBB246_231
.LBB246_232:
	s_or_b64 exec, exec, s[2:3]
	v_cmp_eq_u32_e32 vcc, 0, v0
	s_and_b64 s[0:1], vcc, s[40:41]
	s_and_saveexec_b64 s[2:3], s[0:1]
	s_cbranch_execz .LBB246_163
.LBB246_233:
	v_mov_b32_e32 v0, s39
	v_add_co_u32_e32 v1, vcc, s38, v17
	v_addc_co_u32_e32 v3, vcc, 0, v0, vcc
	v_add_co_u32_e32 v0, vcc, v1, v18
	v_mov_b32_e32 v2, 0
	v_addc_co_u32_e32 v1, vcc, 0, v3, vcc
	global_store_dwordx2 v2, v[0:1], s[36:37]
	s_endpgm
	.section	.rodata,"a",@progbits
	.p2align	6, 0x0
	.amdhsa_kernel _ZN7rocprim17ROCPRIM_400000_NS6detail17trampoline_kernelINS0_14default_configENS1_25partition_config_selectorILNS1_17partition_subalgoE8EjNS0_10empty_typeEbEEZZNS1_14partition_implILS5_8ELb0ES3_jN6thrust23THRUST_200600_302600_NS6detail15normal_iteratorINSA_10device_ptrIjEEEEPS6_PKS6_NS0_5tupleIJSF_S6_EEENSJ_IJSG_SG_EEENS0_18inequality_wrapperI22is_equal_div_10_uniqueIjEEEPmJS6_EEE10hipError_tPvRmT3_T4_T5_T6_T7_T9_mT8_P12ihipStream_tbDpT10_ENKUlT_T0_E_clISt17integral_constantIbLb0EES1A_EEDaS15_S16_EUlS15_E_NS1_11comp_targetILNS1_3genE2ELNS1_11target_archE906ELNS1_3gpuE6ELNS1_3repE0EEENS1_30default_config_static_selectorELNS0_4arch9wavefront6targetE1EEEvT1_
		.amdhsa_group_segment_fixed_size 16904
		.amdhsa_private_segment_fixed_size 0
		.amdhsa_kernarg_size 112
		.amdhsa_user_sgpr_count 6
		.amdhsa_user_sgpr_private_segment_buffer 1
		.amdhsa_user_sgpr_dispatch_ptr 0
		.amdhsa_user_sgpr_queue_ptr 0
		.amdhsa_user_sgpr_kernarg_segment_ptr 1
		.amdhsa_user_sgpr_dispatch_id 0
		.amdhsa_user_sgpr_flat_scratch_init 0
		.amdhsa_user_sgpr_private_segment_size 0
		.amdhsa_uses_dynamic_stack 0
		.amdhsa_system_sgpr_private_segment_wavefront_offset 0
		.amdhsa_system_sgpr_workgroup_id_x 1
		.amdhsa_system_sgpr_workgroup_id_y 0
		.amdhsa_system_sgpr_workgroup_id_z 0
		.amdhsa_system_sgpr_workgroup_info 0
		.amdhsa_system_vgpr_workitem_id 0
		.amdhsa_next_free_vgpr 75
		.amdhsa_next_free_sgpr 98
		.amdhsa_reserve_vcc 1
		.amdhsa_reserve_flat_scratch 0
		.amdhsa_float_round_mode_32 0
		.amdhsa_float_round_mode_16_64 0
		.amdhsa_float_denorm_mode_32 3
		.amdhsa_float_denorm_mode_16_64 3
		.amdhsa_dx10_clamp 1
		.amdhsa_ieee_mode 1
		.amdhsa_fp16_overflow 0
		.amdhsa_exception_fp_ieee_invalid_op 0
		.amdhsa_exception_fp_denorm_src 0
		.amdhsa_exception_fp_ieee_div_zero 0
		.amdhsa_exception_fp_ieee_overflow 0
		.amdhsa_exception_fp_ieee_underflow 0
		.amdhsa_exception_fp_ieee_inexact 0
		.amdhsa_exception_int_div_zero 0
	.end_amdhsa_kernel
	.section	.text._ZN7rocprim17ROCPRIM_400000_NS6detail17trampoline_kernelINS0_14default_configENS1_25partition_config_selectorILNS1_17partition_subalgoE8EjNS0_10empty_typeEbEEZZNS1_14partition_implILS5_8ELb0ES3_jN6thrust23THRUST_200600_302600_NS6detail15normal_iteratorINSA_10device_ptrIjEEEEPS6_PKS6_NS0_5tupleIJSF_S6_EEENSJ_IJSG_SG_EEENS0_18inequality_wrapperI22is_equal_div_10_uniqueIjEEEPmJS6_EEE10hipError_tPvRmT3_T4_T5_T6_T7_T9_mT8_P12ihipStream_tbDpT10_ENKUlT_T0_E_clISt17integral_constantIbLb0EES1A_EEDaS15_S16_EUlS15_E_NS1_11comp_targetILNS1_3genE2ELNS1_11target_archE906ELNS1_3gpuE6ELNS1_3repE0EEENS1_30default_config_static_selectorELNS0_4arch9wavefront6targetE1EEEvT1_,"axG",@progbits,_ZN7rocprim17ROCPRIM_400000_NS6detail17trampoline_kernelINS0_14default_configENS1_25partition_config_selectorILNS1_17partition_subalgoE8EjNS0_10empty_typeEbEEZZNS1_14partition_implILS5_8ELb0ES3_jN6thrust23THRUST_200600_302600_NS6detail15normal_iteratorINSA_10device_ptrIjEEEEPS6_PKS6_NS0_5tupleIJSF_S6_EEENSJ_IJSG_SG_EEENS0_18inequality_wrapperI22is_equal_div_10_uniqueIjEEEPmJS6_EEE10hipError_tPvRmT3_T4_T5_T6_T7_T9_mT8_P12ihipStream_tbDpT10_ENKUlT_T0_E_clISt17integral_constantIbLb0EES1A_EEDaS15_S16_EUlS15_E_NS1_11comp_targetILNS1_3genE2ELNS1_11target_archE906ELNS1_3gpuE6ELNS1_3repE0EEENS1_30default_config_static_selectorELNS0_4arch9wavefront6targetE1EEEvT1_,comdat
.Lfunc_end246:
	.size	_ZN7rocprim17ROCPRIM_400000_NS6detail17trampoline_kernelINS0_14default_configENS1_25partition_config_selectorILNS1_17partition_subalgoE8EjNS0_10empty_typeEbEEZZNS1_14partition_implILS5_8ELb0ES3_jN6thrust23THRUST_200600_302600_NS6detail15normal_iteratorINSA_10device_ptrIjEEEEPS6_PKS6_NS0_5tupleIJSF_S6_EEENSJ_IJSG_SG_EEENS0_18inequality_wrapperI22is_equal_div_10_uniqueIjEEEPmJS6_EEE10hipError_tPvRmT3_T4_T5_T6_T7_T9_mT8_P12ihipStream_tbDpT10_ENKUlT_T0_E_clISt17integral_constantIbLb0EES1A_EEDaS15_S16_EUlS15_E_NS1_11comp_targetILNS1_3genE2ELNS1_11target_archE906ELNS1_3gpuE6ELNS1_3repE0EEENS1_30default_config_static_selectorELNS0_4arch9wavefront6targetE1EEEvT1_, .Lfunc_end246-_ZN7rocprim17ROCPRIM_400000_NS6detail17trampoline_kernelINS0_14default_configENS1_25partition_config_selectorILNS1_17partition_subalgoE8EjNS0_10empty_typeEbEEZZNS1_14partition_implILS5_8ELb0ES3_jN6thrust23THRUST_200600_302600_NS6detail15normal_iteratorINSA_10device_ptrIjEEEEPS6_PKS6_NS0_5tupleIJSF_S6_EEENSJ_IJSG_SG_EEENS0_18inequality_wrapperI22is_equal_div_10_uniqueIjEEEPmJS6_EEE10hipError_tPvRmT3_T4_T5_T6_T7_T9_mT8_P12ihipStream_tbDpT10_ENKUlT_T0_E_clISt17integral_constantIbLb0EES1A_EEDaS15_S16_EUlS15_E_NS1_11comp_targetILNS1_3genE2ELNS1_11target_archE906ELNS1_3gpuE6ELNS1_3repE0EEENS1_30default_config_static_selectorELNS0_4arch9wavefront6targetE1EEEvT1_
                                        ; -- End function
	.set _ZN7rocprim17ROCPRIM_400000_NS6detail17trampoline_kernelINS0_14default_configENS1_25partition_config_selectorILNS1_17partition_subalgoE8EjNS0_10empty_typeEbEEZZNS1_14partition_implILS5_8ELb0ES3_jN6thrust23THRUST_200600_302600_NS6detail15normal_iteratorINSA_10device_ptrIjEEEEPS6_PKS6_NS0_5tupleIJSF_S6_EEENSJ_IJSG_SG_EEENS0_18inequality_wrapperI22is_equal_div_10_uniqueIjEEEPmJS6_EEE10hipError_tPvRmT3_T4_T5_T6_T7_T9_mT8_P12ihipStream_tbDpT10_ENKUlT_T0_E_clISt17integral_constantIbLb0EES1A_EEDaS15_S16_EUlS15_E_NS1_11comp_targetILNS1_3genE2ELNS1_11target_archE906ELNS1_3gpuE6ELNS1_3repE0EEENS1_30default_config_static_selectorELNS0_4arch9wavefront6targetE1EEEvT1_.num_vgpr, 75
	.set _ZN7rocprim17ROCPRIM_400000_NS6detail17trampoline_kernelINS0_14default_configENS1_25partition_config_selectorILNS1_17partition_subalgoE8EjNS0_10empty_typeEbEEZZNS1_14partition_implILS5_8ELb0ES3_jN6thrust23THRUST_200600_302600_NS6detail15normal_iteratorINSA_10device_ptrIjEEEEPS6_PKS6_NS0_5tupleIJSF_S6_EEENSJ_IJSG_SG_EEENS0_18inequality_wrapperI22is_equal_div_10_uniqueIjEEEPmJS6_EEE10hipError_tPvRmT3_T4_T5_T6_T7_T9_mT8_P12ihipStream_tbDpT10_ENKUlT_T0_E_clISt17integral_constantIbLb0EES1A_EEDaS15_S16_EUlS15_E_NS1_11comp_targetILNS1_3genE2ELNS1_11target_archE906ELNS1_3gpuE6ELNS1_3repE0EEENS1_30default_config_static_selectorELNS0_4arch9wavefront6targetE1EEEvT1_.num_agpr, 0
	.set _ZN7rocprim17ROCPRIM_400000_NS6detail17trampoline_kernelINS0_14default_configENS1_25partition_config_selectorILNS1_17partition_subalgoE8EjNS0_10empty_typeEbEEZZNS1_14partition_implILS5_8ELb0ES3_jN6thrust23THRUST_200600_302600_NS6detail15normal_iteratorINSA_10device_ptrIjEEEEPS6_PKS6_NS0_5tupleIJSF_S6_EEENSJ_IJSG_SG_EEENS0_18inequality_wrapperI22is_equal_div_10_uniqueIjEEEPmJS6_EEE10hipError_tPvRmT3_T4_T5_T6_T7_T9_mT8_P12ihipStream_tbDpT10_ENKUlT_T0_E_clISt17integral_constantIbLb0EES1A_EEDaS15_S16_EUlS15_E_NS1_11comp_targetILNS1_3genE2ELNS1_11target_archE906ELNS1_3gpuE6ELNS1_3repE0EEENS1_30default_config_static_selectorELNS0_4arch9wavefront6targetE1EEEvT1_.numbered_sgpr, 56
	.set _ZN7rocprim17ROCPRIM_400000_NS6detail17trampoline_kernelINS0_14default_configENS1_25partition_config_selectorILNS1_17partition_subalgoE8EjNS0_10empty_typeEbEEZZNS1_14partition_implILS5_8ELb0ES3_jN6thrust23THRUST_200600_302600_NS6detail15normal_iteratorINSA_10device_ptrIjEEEEPS6_PKS6_NS0_5tupleIJSF_S6_EEENSJ_IJSG_SG_EEENS0_18inequality_wrapperI22is_equal_div_10_uniqueIjEEEPmJS6_EEE10hipError_tPvRmT3_T4_T5_T6_T7_T9_mT8_P12ihipStream_tbDpT10_ENKUlT_T0_E_clISt17integral_constantIbLb0EES1A_EEDaS15_S16_EUlS15_E_NS1_11comp_targetILNS1_3genE2ELNS1_11target_archE906ELNS1_3gpuE6ELNS1_3repE0EEENS1_30default_config_static_selectorELNS0_4arch9wavefront6targetE1EEEvT1_.num_named_barrier, 0
	.set _ZN7rocprim17ROCPRIM_400000_NS6detail17trampoline_kernelINS0_14default_configENS1_25partition_config_selectorILNS1_17partition_subalgoE8EjNS0_10empty_typeEbEEZZNS1_14partition_implILS5_8ELb0ES3_jN6thrust23THRUST_200600_302600_NS6detail15normal_iteratorINSA_10device_ptrIjEEEEPS6_PKS6_NS0_5tupleIJSF_S6_EEENSJ_IJSG_SG_EEENS0_18inequality_wrapperI22is_equal_div_10_uniqueIjEEEPmJS6_EEE10hipError_tPvRmT3_T4_T5_T6_T7_T9_mT8_P12ihipStream_tbDpT10_ENKUlT_T0_E_clISt17integral_constantIbLb0EES1A_EEDaS15_S16_EUlS15_E_NS1_11comp_targetILNS1_3genE2ELNS1_11target_archE906ELNS1_3gpuE6ELNS1_3repE0EEENS1_30default_config_static_selectorELNS0_4arch9wavefront6targetE1EEEvT1_.private_seg_size, 0
	.set _ZN7rocprim17ROCPRIM_400000_NS6detail17trampoline_kernelINS0_14default_configENS1_25partition_config_selectorILNS1_17partition_subalgoE8EjNS0_10empty_typeEbEEZZNS1_14partition_implILS5_8ELb0ES3_jN6thrust23THRUST_200600_302600_NS6detail15normal_iteratorINSA_10device_ptrIjEEEEPS6_PKS6_NS0_5tupleIJSF_S6_EEENSJ_IJSG_SG_EEENS0_18inequality_wrapperI22is_equal_div_10_uniqueIjEEEPmJS6_EEE10hipError_tPvRmT3_T4_T5_T6_T7_T9_mT8_P12ihipStream_tbDpT10_ENKUlT_T0_E_clISt17integral_constantIbLb0EES1A_EEDaS15_S16_EUlS15_E_NS1_11comp_targetILNS1_3genE2ELNS1_11target_archE906ELNS1_3gpuE6ELNS1_3repE0EEENS1_30default_config_static_selectorELNS0_4arch9wavefront6targetE1EEEvT1_.uses_vcc, 1
	.set _ZN7rocprim17ROCPRIM_400000_NS6detail17trampoline_kernelINS0_14default_configENS1_25partition_config_selectorILNS1_17partition_subalgoE8EjNS0_10empty_typeEbEEZZNS1_14partition_implILS5_8ELb0ES3_jN6thrust23THRUST_200600_302600_NS6detail15normal_iteratorINSA_10device_ptrIjEEEEPS6_PKS6_NS0_5tupleIJSF_S6_EEENSJ_IJSG_SG_EEENS0_18inequality_wrapperI22is_equal_div_10_uniqueIjEEEPmJS6_EEE10hipError_tPvRmT3_T4_T5_T6_T7_T9_mT8_P12ihipStream_tbDpT10_ENKUlT_T0_E_clISt17integral_constantIbLb0EES1A_EEDaS15_S16_EUlS15_E_NS1_11comp_targetILNS1_3genE2ELNS1_11target_archE906ELNS1_3gpuE6ELNS1_3repE0EEENS1_30default_config_static_selectorELNS0_4arch9wavefront6targetE1EEEvT1_.uses_flat_scratch, 0
	.set _ZN7rocprim17ROCPRIM_400000_NS6detail17trampoline_kernelINS0_14default_configENS1_25partition_config_selectorILNS1_17partition_subalgoE8EjNS0_10empty_typeEbEEZZNS1_14partition_implILS5_8ELb0ES3_jN6thrust23THRUST_200600_302600_NS6detail15normal_iteratorINSA_10device_ptrIjEEEEPS6_PKS6_NS0_5tupleIJSF_S6_EEENSJ_IJSG_SG_EEENS0_18inequality_wrapperI22is_equal_div_10_uniqueIjEEEPmJS6_EEE10hipError_tPvRmT3_T4_T5_T6_T7_T9_mT8_P12ihipStream_tbDpT10_ENKUlT_T0_E_clISt17integral_constantIbLb0EES1A_EEDaS15_S16_EUlS15_E_NS1_11comp_targetILNS1_3genE2ELNS1_11target_archE906ELNS1_3gpuE6ELNS1_3repE0EEENS1_30default_config_static_selectorELNS0_4arch9wavefront6targetE1EEEvT1_.has_dyn_sized_stack, 0
	.set _ZN7rocprim17ROCPRIM_400000_NS6detail17trampoline_kernelINS0_14default_configENS1_25partition_config_selectorILNS1_17partition_subalgoE8EjNS0_10empty_typeEbEEZZNS1_14partition_implILS5_8ELb0ES3_jN6thrust23THRUST_200600_302600_NS6detail15normal_iteratorINSA_10device_ptrIjEEEEPS6_PKS6_NS0_5tupleIJSF_S6_EEENSJ_IJSG_SG_EEENS0_18inequality_wrapperI22is_equal_div_10_uniqueIjEEEPmJS6_EEE10hipError_tPvRmT3_T4_T5_T6_T7_T9_mT8_P12ihipStream_tbDpT10_ENKUlT_T0_E_clISt17integral_constantIbLb0EES1A_EEDaS15_S16_EUlS15_E_NS1_11comp_targetILNS1_3genE2ELNS1_11target_archE906ELNS1_3gpuE6ELNS1_3repE0EEENS1_30default_config_static_selectorELNS0_4arch9wavefront6targetE1EEEvT1_.has_recursion, 0
	.set _ZN7rocprim17ROCPRIM_400000_NS6detail17trampoline_kernelINS0_14default_configENS1_25partition_config_selectorILNS1_17partition_subalgoE8EjNS0_10empty_typeEbEEZZNS1_14partition_implILS5_8ELb0ES3_jN6thrust23THRUST_200600_302600_NS6detail15normal_iteratorINSA_10device_ptrIjEEEEPS6_PKS6_NS0_5tupleIJSF_S6_EEENSJ_IJSG_SG_EEENS0_18inequality_wrapperI22is_equal_div_10_uniqueIjEEEPmJS6_EEE10hipError_tPvRmT3_T4_T5_T6_T7_T9_mT8_P12ihipStream_tbDpT10_ENKUlT_T0_E_clISt17integral_constantIbLb0EES1A_EEDaS15_S16_EUlS15_E_NS1_11comp_targetILNS1_3genE2ELNS1_11target_archE906ELNS1_3gpuE6ELNS1_3repE0EEENS1_30default_config_static_selectorELNS0_4arch9wavefront6targetE1EEEvT1_.has_indirect_call, 0
	.section	.AMDGPU.csdata,"",@progbits
; Kernel info:
; codeLenInByte = 10664
; TotalNumSgprs: 60
; NumVgprs: 75
; ScratchSize: 0
; MemoryBound: 0
; FloatMode: 240
; IeeeMode: 1
; LDSByteSize: 16904 bytes/workgroup (compile time only)
; SGPRBlocks: 12
; VGPRBlocks: 18
; NumSGPRsForWavesPerEU: 102
; NumVGPRsForWavesPerEU: 75
; Occupancy: 3
; WaveLimiterHint : 1
; COMPUTE_PGM_RSRC2:SCRATCH_EN: 0
; COMPUTE_PGM_RSRC2:USER_SGPR: 6
; COMPUTE_PGM_RSRC2:TRAP_HANDLER: 0
; COMPUTE_PGM_RSRC2:TGID_X_EN: 1
; COMPUTE_PGM_RSRC2:TGID_Y_EN: 0
; COMPUTE_PGM_RSRC2:TGID_Z_EN: 0
; COMPUTE_PGM_RSRC2:TIDIG_COMP_CNT: 0
	.section	.text._ZN7rocprim17ROCPRIM_400000_NS6detail17trampoline_kernelINS0_14default_configENS1_25partition_config_selectorILNS1_17partition_subalgoE8EjNS0_10empty_typeEbEEZZNS1_14partition_implILS5_8ELb0ES3_jN6thrust23THRUST_200600_302600_NS6detail15normal_iteratorINSA_10device_ptrIjEEEEPS6_PKS6_NS0_5tupleIJSF_S6_EEENSJ_IJSG_SG_EEENS0_18inequality_wrapperI22is_equal_div_10_uniqueIjEEEPmJS6_EEE10hipError_tPvRmT3_T4_T5_T6_T7_T9_mT8_P12ihipStream_tbDpT10_ENKUlT_T0_E_clISt17integral_constantIbLb0EES1A_EEDaS15_S16_EUlS15_E_NS1_11comp_targetILNS1_3genE10ELNS1_11target_archE1200ELNS1_3gpuE4ELNS1_3repE0EEENS1_30default_config_static_selectorELNS0_4arch9wavefront6targetE1EEEvT1_,"axG",@progbits,_ZN7rocprim17ROCPRIM_400000_NS6detail17trampoline_kernelINS0_14default_configENS1_25partition_config_selectorILNS1_17partition_subalgoE8EjNS0_10empty_typeEbEEZZNS1_14partition_implILS5_8ELb0ES3_jN6thrust23THRUST_200600_302600_NS6detail15normal_iteratorINSA_10device_ptrIjEEEEPS6_PKS6_NS0_5tupleIJSF_S6_EEENSJ_IJSG_SG_EEENS0_18inequality_wrapperI22is_equal_div_10_uniqueIjEEEPmJS6_EEE10hipError_tPvRmT3_T4_T5_T6_T7_T9_mT8_P12ihipStream_tbDpT10_ENKUlT_T0_E_clISt17integral_constantIbLb0EES1A_EEDaS15_S16_EUlS15_E_NS1_11comp_targetILNS1_3genE10ELNS1_11target_archE1200ELNS1_3gpuE4ELNS1_3repE0EEENS1_30default_config_static_selectorELNS0_4arch9wavefront6targetE1EEEvT1_,comdat
	.protected	_ZN7rocprim17ROCPRIM_400000_NS6detail17trampoline_kernelINS0_14default_configENS1_25partition_config_selectorILNS1_17partition_subalgoE8EjNS0_10empty_typeEbEEZZNS1_14partition_implILS5_8ELb0ES3_jN6thrust23THRUST_200600_302600_NS6detail15normal_iteratorINSA_10device_ptrIjEEEEPS6_PKS6_NS0_5tupleIJSF_S6_EEENSJ_IJSG_SG_EEENS0_18inequality_wrapperI22is_equal_div_10_uniqueIjEEEPmJS6_EEE10hipError_tPvRmT3_T4_T5_T6_T7_T9_mT8_P12ihipStream_tbDpT10_ENKUlT_T0_E_clISt17integral_constantIbLb0EES1A_EEDaS15_S16_EUlS15_E_NS1_11comp_targetILNS1_3genE10ELNS1_11target_archE1200ELNS1_3gpuE4ELNS1_3repE0EEENS1_30default_config_static_selectorELNS0_4arch9wavefront6targetE1EEEvT1_ ; -- Begin function _ZN7rocprim17ROCPRIM_400000_NS6detail17trampoline_kernelINS0_14default_configENS1_25partition_config_selectorILNS1_17partition_subalgoE8EjNS0_10empty_typeEbEEZZNS1_14partition_implILS5_8ELb0ES3_jN6thrust23THRUST_200600_302600_NS6detail15normal_iteratorINSA_10device_ptrIjEEEEPS6_PKS6_NS0_5tupleIJSF_S6_EEENSJ_IJSG_SG_EEENS0_18inequality_wrapperI22is_equal_div_10_uniqueIjEEEPmJS6_EEE10hipError_tPvRmT3_T4_T5_T6_T7_T9_mT8_P12ihipStream_tbDpT10_ENKUlT_T0_E_clISt17integral_constantIbLb0EES1A_EEDaS15_S16_EUlS15_E_NS1_11comp_targetILNS1_3genE10ELNS1_11target_archE1200ELNS1_3gpuE4ELNS1_3repE0EEENS1_30default_config_static_selectorELNS0_4arch9wavefront6targetE1EEEvT1_
	.globl	_ZN7rocprim17ROCPRIM_400000_NS6detail17trampoline_kernelINS0_14default_configENS1_25partition_config_selectorILNS1_17partition_subalgoE8EjNS0_10empty_typeEbEEZZNS1_14partition_implILS5_8ELb0ES3_jN6thrust23THRUST_200600_302600_NS6detail15normal_iteratorINSA_10device_ptrIjEEEEPS6_PKS6_NS0_5tupleIJSF_S6_EEENSJ_IJSG_SG_EEENS0_18inequality_wrapperI22is_equal_div_10_uniqueIjEEEPmJS6_EEE10hipError_tPvRmT3_T4_T5_T6_T7_T9_mT8_P12ihipStream_tbDpT10_ENKUlT_T0_E_clISt17integral_constantIbLb0EES1A_EEDaS15_S16_EUlS15_E_NS1_11comp_targetILNS1_3genE10ELNS1_11target_archE1200ELNS1_3gpuE4ELNS1_3repE0EEENS1_30default_config_static_selectorELNS0_4arch9wavefront6targetE1EEEvT1_
	.p2align	8
	.type	_ZN7rocprim17ROCPRIM_400000_NS6detail17trampoline_kernelINS0_14default_configENS1_25partition_config_selectorILNS1_17partition_subalgoE8EjNS0_10empty_typeEbEEZZNS1_14partition_implILS5_8ELb0ES3_jN6thrust23THRUST_200600_302600_NS6detail15normal_iteratorINSA_10device_ptrIjEEEEPS6_PKS6_NS0_5tupleIJSF_S6_EEENSJ_IJSG_SG_EEENS0_18inequality_wrapperI22is_equal_div_10_uniqueIjEEEPmJS6_EEE10hipError_tPvRmT3_T4_T5_T6_T7_T9_mT8_P12ihipStream_tbDpT10_ENKUlT_T0_E_clISt17integral_constantIbLb0EES1A_EEDaS15_S16_EUlS15_E_NS1_11comp_targetILNS1_3genE10ELNS1_11target_archE1200ELNS1_3gpuE4ELNS1_3repE0EEENS1_30default_config_static_selectorELNS0_4arch9wavefront6targetE1EEEvT1_,@function
_ZN7rocprim17ROCPRIM_400000_NS6detail17trampoline_kernelINS0_14default_configENS1_25partition_config_selectorILNS1_17partition_subalgoE8EjNS0_10empty_typeEbEEZZNS1_14partition_implILS5_8ELb0ES3_jN6thrust23THRUST_200600_302600_NS6detail15normal_iteratorINSA_10device_ptrIjEEEEPS6_PKS6_NS0_5tupleIJSF_S6_EEENSJ_IJSG_SG_EEENS0_18inequality_wrapperI22is_equal_div_10_uniqueIjEEEPmJS6_EEE10hipError_tPvRmT3_T4_T5_T6_T7_T9_mT8_P12ihipStream_tbDpT10_ENKUlT_T0_E_clISt17integral_constantIbLb0EES1A_EEDaS15_S16_EUlS15_E_NS1_11comp_targetILNS1_3genE10ELNS1_11target_archE1200ELNS1_3gpuE4ELNS1_3repE0EEENS1_30default_config_static_selectorELNS0_4arch9wavefront6targetE1EEEvT1_: ; @_ZN7rocprim17ROCPRIM_400000_NS6detail17trampoline_kernelINS0_14default_configENS1_25partition_config_selectorILNS1_17partition_subalgoE8EjNS0_10empty_typeEbEEZZNS1_14partition_implILS5_8ELb0ES3_jN6thrust23THRUST_200600_302600_NS6detail15normal_iteratorINSA_10device_ptrIjEEEEPS6_PKS6_NS0_5tupleIJSF_S6_EEENSJ_IJSG_SG_EEENS0_18inequality_wrapperI22is_equal_div_10_uniqueIjEEEPmJS6_EEE10hipError_tPvRmT3_T4_T5_T6_T7_T9_mT8_P12ihipStream_tbDpT10_ENKUlT_T0_E_clISt17integral_constantIbLb0EES1A_EEDaS15_S16_EUlS15_E_NS1_11comp_targetILNS1_3genE10ELNS1_11target_archE1200ELNS1_3gpuE4ELNS1_3repE0EEENS1_30default_config_static_selectorELNS0_4arch9wavefront6targetE1EEEvT1_
; %bb.0:
	.section	.rodata,"a",@progbits
	.p2align	6, 0x0
	.amdhsa_kernel _ZN7rocprim17ROCPRIM_400000_NS6detail17trampoline_kernelINS0_14default_configENS1_25partition_config_selectorILNS1_17partition_subalgoE8EjNS0_10empty_typeEbEEZZNS1_14partition_implILS5_8ELb0ES3_jN6thrust23THRUST_200600_302600_NS6detail15normal_iteratorINSA_10device_ptrIjEEEEPS6_PKS6_NS0_5tupleIJSF_S6_EEENSJ_IJSG_SG_EEENS0_18inequality_wrapperI22is_equal_div_10_uniqueIjEEEPmJS6_EEE10hipError_tPvRmT3_T4_T5_T6_T7_T9_mT8_P12ihipStream_tbDpT10_ENKUlT_T0_E_clISt17integral_constantIbLb0EES1A_EEDaS15_S16_EUlS15_E_NS1_11comp_targetILNS1_3genE10ELNS1_11target_archE1200ELNS1_3gpuE4ELNS1_3repE0EEENS1_30default_config_static_selectorELNS0_4arch9wavefront6targetE1EEEvT1_
		.amdhsa_group_segment_fixed_size 0
		.amdhsa_private_segment_fixed_size 0
		.amdhsa_kernarg_size 112
		.amdhsa_user_sgpr_count 6
		.amdhsa_user_sgpr_private_segment_buffer 1
		.amdhsa_user_sgpr_dispatch_ptr 0
		.amdhsa_user_sgpr_queue_ptr 0
		.amdhsa_user_sgpr_kernarg_segment_ptr 1
		.amdhsa_user_sgpr_dispatch_id 0
		.amdhsa_user_sgpr_flat_scratch_init 0
		.amdhsa_user_sgpr_private_segment_size 0
		.amdhsa_uses_dynamic_stack 0
		.amdhsa_system_sgpr_private_segment_wavefront_offset 0
		.amdhsa_system_sgpr_workgroup_id_x 1
		.amdhsa_system_sgpr_workgroup_id_y 0
		.amdhsa_system_sgpr_workgroup_id_z 0
		.amdhsa_system_sgpr_workgroup_info 0
		.amdhsa_system_vgpr_workitem_id 0
		.amdhsa_next_free_vgpr 1
		.amdhsa_next_free_sgpr 0
		.amdhsa_reserve_vcc 0
		.amdhsa_reserve_flat_scratch 0
		.amdhsa_float_round_mode_32 0
		.amdhsa_float_round_mode_16_64 0
		.amdhsa_float_denorm_mode_32 3
		.amdhsa_float_denorm_mode_16_64 3
		.amdhsa_dx10_clamp 1
		.amdhsa_ieee_mode 1
		.amdhsa_fp16_overflow 0
		.amdhsa_exception_fp_ieee_invalid_op 0
		.amdhsa_exception_fp_denorm_src 0
		.amdhsa_exception_fp_ieee_div_zero 0
		.amdhsa_exception_fp_ieee_overflow 0
		.amdhsa_exception_fp_ieee_underflow 0
		.amdhsa_exception_fp_ieee_inexact 0
		.amdhsa_exception_int_div_zero 0
	.end_amdhsa_kernel
	.section	.text._ZN7rocprim17ROCPRIM_400000_NS6detail17trampoline_kernelINS0_14default_configENS1_25partition_config_selectorILNS1_17partition_subalgoE8EjNS0_10empty_typeEbEEZZNS1_14partition_implILS5_8ELb0ES3_jN6thrust23THRUST_200600_302600_NS6detail15normal_iteratorINSA_10device_ptrIjEEEEPS6_PKS6_NS0_5tupleIJSF_S6_EEENSJ_IJSG_SG_EEENS0_18inequality_wrapperI22is_equal_div_10_uniqueIjEEEPmJS6_EEE10hipError_tPvRmT3_T4_T5_T6_T7_T9_mT8_P12ihipStream_tbDpT10_ENKUlT_T0_E_clISt17integral_constantIbLb0EES1A_EEDaS15_S16_EUlS15_E_NS1_11comp_targetILNS1_3genE10ELNS1_11target_archE1200ELNS1_3gpuE4ELNS1_3repE0EEENS1_30default_config_static_selectorELNS0_4arch9wavefront6targetE1EEEvT1_,"axG",@progbits,_ZN7rocprim17ROCPRIM_400000_NS6detail17trampoline_kernelINS0_14default_configENS1_25partition_config_selectorILNS1_17partition_subalgoE8EjNS0_10empty_typeEbEEZZNS1_14partition_implILS5_8ELb0ES3_jN6thrust23THRUST_200600_302600_NS6detail15normal_iteratorINSA_10device_ptrIjEEEEPS6_PKS6_NS0_5tupleIJSF_S6_EEENSJ_IJSG_SG_EEENS0_18inequality_wrapperI22is_equal_div_10_uniqueIjEEEPmJS6_EEE10hipError_tPvRmT3_T4_T5_T6_T7_T9_mT8_P12ihipStream_tbDpT10_ENKUlT_T0_E_clISt17integral_constantIbLb0EES1A_EEDaS15_S16_EUlS15_E_NS1_11comp_targetILNS1_3genE10ELNS1_11target_archE1200ELNS1_3gpuE4ELNS1_3repE0EEENS1_30default_config_static_selectorELNS0_4arch9wavefront6targetE1EEEvT1_,comdat
.Lfunc_end247:
	.size	_ZN7rocprim17ROCPRIM_400000_NS6detail17trampoline_kernelINS0_14default_configENS1_25partition_config_selectorILNS1_17partition_subalgoE8EjNS0_10empty_typeEbEEZZNS1_14partition_implILS5_8ELb0ES3_jN6thrust23THRUST_200600_302600_NS6detail15normal_iteratorINSA_10device_ptrIjEEEEPS6_PKS6_NS0_5tupleIJSF_S6_EEENSJ_IJSG_SG_EEENS0_18inequality_wrapperI22is_equal_div_10_uniqueIjEEEPmJS6_EEE10hipError_tPvRmT3_T4_T5_T6_T7_T9_mT8_P12ihipStream_tbDpT10_ENKUlT_T0_E_clISt17integral_constantIbLb0EES1A_EEDaS15_S16_EUlS15_E_NS1_11comp_targetILNS1_3genE10ELNS1_11target_archE1200ELNS1_3gpuE4ELNS1_3repE0EEENS1_30default_config_static_selectorELNS0_4arch9wavefront6targetE1EEEvT1_, .Lfunc_end247-_ZN7rocprim17ROCPRIM_400000_NS6detail17trampoline_kernelINS0_14default_configENS1_25partition_config_selectorILNS1_17partition_subalgoE8EjNS0_10empty_typeEbEEZZNS1_14partition_implILS5_8ELb0ES3_jN6thrust23THRUST_200600_302600_NS6detail15normal_iteratorINSA_10device_ptrIjEEEEPS6_PKS6_NS0_5tupleIJSF_S6_EEENSJ_IJSG_SG_EEENS0_18inequality_wrapperI22is_equal_div_10_uniqueIjEEEPmJS6_EEE10hipError_tPvRmT3_T4_T5_T6_T7_T9_mT8_P12ihipStream_tbDpT10_ENKUlT_T0_E_clISt17integral_constantIbLb0EES1A_EEDaS15_S16_EUlS15_E_NS1_11comp_targetILNS1_3genE10ELNS1_11target_archE1200ELNS1_3gpuE4ELNS1_3repE0EEENS1_30default_config_static_selectorELNS0_4arch9wavefront6targetE1EEEvT1_
                                        ; -- End function
	.set _ZN7rocprim17ROCPRIM_400000_NS6detail17trampoline_kernelINS0_14default_configENS1_25partition_config_selectorILNS1_17partition_subalgoE8EjNS0_10empty_typeEbEEZZNS1_14partition_implILS5_8ELb0ES3_jN6thrust23THRUST_200600_302600_NS6detail15normal_iteratorINSA_10device_ptrIjEEEEPS6_PKS6_NS0_5tupleIJSF_S6_EEENSJ_IJSG_SG_EEENS0_18inequality_wrapperI22is_equal_div_10_uniqueIjEEEPmJS6_EEE10hipError_tPvRmT3_T4_T5_T6_T7_T9_mT8_P12ihipStream_tbDpT10_ENKUlT_T0_E_clISt17integral_constantIbLb0EES1A_EEDaS15_S16_EUlS15_E_NS1_11comp_targetILNS1_3genE10ELNS1_11target_archE1200ELNS1_3gpuE4ELNS1_3repE0EEENS1_30default_config_static_selectorELNS0_4arch9wavefront6targetE1EEEvT1_.num_vgpr, 0
	.set _ZN7rocprim17ROCPRIM_400000_NS6detail17trampoline_kernelINS0_14default_configENS1_25partition_config_selectorILNS1_17partition_subalgoE8EjNS0_10empty_typeEbEEZZNS1_14partition_implILS5_8ELb0ES3_jN6thrust23THRUST_200600_302600_NS6detail15normal_iteratorINSA_10device_ptrIjEEEEPS6_PKS6_NS0_5tupleIJSF_S6_EEENSJ_IJSG_SG_EEENS0_18inequality_wrapperI22is_equal_div_10_uniqueIjEEEPmJS6_EEE10hipError_tPvRmT3_T4_T5_T6_T7_T9_mT8_P12ihipStream_tbDpT10_ENKUlT_T0_E_clISt17integral_constantIbLb0EES1A_EEDaS15_S16_EUlS15_E_NS1_11comp_targetILNS1_3genE10ELNS1_11target_archE1200ELNS1_3gpuE4ELNS1_3repE0EEENS1_30default_config_static_selectorELNS0_4arch9wavefront6targetE1EEEvT1_.num_agpr, 0
	.set _ZN7rocprim17ROCPRIM_400000_NS6detail17trampoline_kernelINS0_14default_configENS1_25partition_config_selectorILNS1_17partition_subalgoE8EjNS0_10empty_typeEbEEZZNS1_14partition_implILS5_8ELb0ES3_jN6thrust23THRUST_200600_302600_NS6detail15normal_iteratorINSA_10device_ptrIjEEEEPS6_PKS6_NS0_5tupleIJSF_S6_EEENSJ_IJSG_SG_EEENS0_18inequality_wrapperI22is_equal_div_10_uniqueIjEEEPmJS6_EEE10hipError_tPvRmT3_T4_T5_T6_T7_T9_mT8_P12ihipStream_tbDpT10_ENKUlT_T0_E_clISt17integral_constantIbLb0EES1A_EEDaS15_S16_EUlS15_E_NS1_11comp_targetILNS1_3genE10ELNS1_11target_archE1200ELNS1_3gpuE4ELNS1_3repE0EEENS1_30default_config_static_selectorELNS0_4arch9wavefront6targetE1EEEvT1_.numbered_sgpr, 0
	.set _ZN7rocprim17ROCPRIM_400000_NS6detail17trampoline_kernelINS0_14default_configENS1_25partition_config_selectorILNS1_17partition_subalgoE8EjNS0_10empty_typeEbEEZZNS1_14partition_implILS5_8ELb0ES3_jN6thrust23THRUST_200600_302600_NS6detail15normal_iteratorINSA_10device_ptrIjEEEEPS6_PKS6_NS0_5tupleIJSF_S6_EEENSJ_IJSG_SG_EEENS0_18inequality_wrapperI22is_equal_div_10_uniqueIjEEEPmJS6_EEE10hipError_tPvRmT3_T4_T5_T6_T7_T9_mT8_P12ihipStream_tbDpT10_ENKUlT_T0_E_clISt17integral_constantIbLb0EES1A_EEDaS15_S16_EUlS15_E_NS1_11comp_targetILNS1_3genE10ELNS1_11target_archE1200ELNS1_3gpuE4ELNS1_3repE0EEENS1_30default_config_static_selectorELNS0_4arch9wavefront6targetE1EEEvT1_.num_named_barrier, 0
	.set _ZN7rocprim17ROCPRIM_400000_NS6detail17trampoline_kernelINS0_14default_configENS1_25partition_config_selectorILNS1_17partition_subalgoE8EjNS0_10empty_typeEbEEZZNS1_14partition_implILS5_8ELb0ES3_jN6thrust23THRUST_200600_302600_NS6detail15normal_iteratorINSA_10device_ptrIjEEEEPS6_PKS6_NS0_5tupleIJSF_S6_EEENSJ_IJSG_SG_EEENS0_18inequality_wrapperI22is_equal_div_10_uniqueIjEEEPmJS6_EEE10hipError_tPvRmT3_T4_T5_T6_T7_T9_mT8_P12ihipStream_tbDpT10_ENKUlT_T0_E_clISt17integral_constantIbLb0EES1A_EEDaS15_S16_EUlS15_E_NS1_11comp_targetILNS1_3genE10ELNS1_11target_archE1200ELNS1_3gpuE4ELNS1_3repE0EEENS1_30default_config_static_selectorELNS0_4arch9wavefront6targetE1EEEvT1_.private_seg_size, 0
	.set _ZN7rocprim17ROCPRIM_400000_NS6detail17trampoline_kernelINS0_14default_configENS1_25partition_config_selectorILNS1_17partition_subalgoE8EjNS0_10empty_typeEbEEZZNS1_14partition_implILS5_8ELb0ES3_jN6thrust23THRUST_200600_302600_NS6detail15normal_iteratorINSA_10device_ptrIjEEEEPS6_PKS6_NS0_5tupleIJSF_S6_EEENSJ_IJSG_SG_EEENS0_18inequality_wrapperI22is_equal_div_10_uniqueIjEEEPmJS6_EEE10hipError_tPvRmT3_T4_T5_T6_T7_T9_mT8_P12ihipStream_tbDpT10_ENKUlT_T0_E_clISt17integral_constantIbLb0EES1A_EEDaS15_S16_EUlS15_E_NS1_11comp_targetILNS1_3genE10ELNS1_11target_archE1200ELNS1_3gpuE4ELNS1_3repE0EEENS1_30default_config_static_selectorELNS0_4arch9wavefront6targetE1EEEvT1_.uses_vcc, 0
	.set _ZN7rocprim17ROCPRIM_400000_NS6detail17trampoline_kernelINS0_14default_configENS1_25partition_config_selectorILNS1_17partition_subalgoE8EjNS0_10empty_typeEbEEZZNS1_14partition_implILS5_8ELb0ES3_jN6thrust23THRUST_200600_302600_NS6detail15normal_iteratorINSA_10device_ptrIjEEEEPS6_PKS6_NS0_5tupleIJSF_S6_EEENSJ_IJSG_SG_EEENS0_18inequality_wrapperI22is_equal_div_10_uniqueIjEEEPmJS6_EEE10hipError_tPvRmT3_T4_T5_T6_T7_T9_mT8_P12ihipStream_tbDpT10_ENKUlT_T0_E_clISt17integral_constantIbLb0EES1A_EEDaS15_S16_EUlS15_E_NS1_11comp_targetILNS1_3genE10ELNS1_11target_archE1200ELNS1_3gpuE4ELNS1_3repE0EEENS1_30default_config_static_selectorELNS0_4arch9wavefront6targetE1EEEvT1_.uses_flat_scratch, 0
	.set _ZN7rocprim17ROCPRIM_400000_NS6detail17trampoline_kernelINS0_14default_configENS1_25partition_config_selectorILNS1_17partition_subalgoE8EjNS0_10empty_typeEbEEZZNS1_14partition_implILS5_8ELb0ES3_jN6thrust23THRUST_200600_302600_NS6detail15normal_iteratorINSA_10device_ptrIjEEEEPS6_PKS6_NS0_5tupleIJSF_S6_EEENSJ_IJSG_SG_EEENS0_18inequality_wrapperI22is_equal_div_10_uniqueIjEEEPmJS6_EEE10hipError_tPvRmT3_T4_T5_T6_T7_T9_mT8_P12ihipStream_tbDpT10_ENKUlT_T0_E_clISt17integral_constantIbLb0EES1A_EEDaS15_S16_EUlS15_E_NS1_11comp_targetILNS1_3genE10ELNS1_11target_archE1200ELNS1_3gpuE4ELNS1_3repE0EEENS1_30default_config_static_selectorELNS0_4arch9wavefront6targetE1EEEvT1_.has_dyn_sized_stack, 0
	.set _ZN7rocprim17ROCPRIM_400000_NS6detail17trampoline_kernelINS0_14default_configENS1_25partition_config_selectorILNS1_17partition_subalgoE8EjNS0_10empty_typeEbEEZZNS1_14partition_implILS5_8ELb0ES3_jN6thrust23THRUST_200600_302600_NS6detail15normal_iteratorINSA_10device_ptrIjEEEEPS6_PKS6_NS0_5tupleIJSF_S6_EEENSJ_IJSG_SG_EEENS0_18inequality_wrapperI22is_equal_div_10_uniqueIjEEEPmJS6_EEE10hipError_tPvRmT3_T4_T5_T6_T7_T9_mT8_P12ihipStream_tbDpT10_ENKUlT_T0_E_clISt17integral_constantIbLb0EES1A_EEDaS15_S16_EUlS15_E_NS1_11comp_targetILNS1_3genE10ELNS1_11target_archE1200ELNS1_3gpuE4ELNS1_3repE0EEENS1_30default_config_static_selectorELNS0_4arch9wavefront6targetE1EEEvT1_.has_recursion, 0
	.set _ZN7rocprim17ROCPRIM_400000_NS6detail17trampoline_kernelINS0_14default_configENS1_25partition_config_selectorILNS1_17partition_subalgoE8EjNS0_10empty_typeEbEEZZNS1_14partition_implILS5_8ELb0ES3_jN6thrust23THRUST_200600_302600_NS6detail15normal_iteratorINSA_10device_ptrIjEEEEPS6_PKS6_NS0_5tupleIJSF_S6_EEENSJ_IJSG_SG_EEENS0_18inequality_wrapperI22is_equal_div_10_uniqueIjEEEPmJS6_EEE10hipError_tPvRmT3_T4_T5_T6_T7_T9_mT8_P12ihipStream_tbDpT10_ENKUlT_T0_E_clISt17integral_constantIbLb0EES1A_EEDaS15_S16_EUlS15_E_NS1_11comp_targetILNS1_3genE10ELNS1_11target_archE1200ELNS1_3gpuE4ELNS1_3repE0EEENS1_30default_config_static_selectorELNS0_4arch9wavefront6targetE1EEEvT1_.has_indirect_call, 0
	.section	.AMDGPU.csdata,"",@progbits
; Kernel info:
; codeLenInByte = 0
; TotalNumSgprs: 4
; NumVgprs: 0
; ScratchSize: 0
; MemoryBound: 0
; FloatMode: 240
; IeeeMode: 1
; LDSByteSize: 0 bytes/workgroup (compile time only)
; SGPRBlocks: 0
; VGPRBlocks: 0
; NumSGPRsForWavesPerEU: 4
; NumVGPRsForWavesPerEU: 1
; Occupancy: 10
; WaveLimiterHint : 0
; COMPUTE_PGM_RSRC2:SCRATCH_EN: 0
; COMPUTE_PGM_RSRC2:USER_SGPR: 6
; COMPUTE_PGM_RSRC2:TRAP_HANDLER: 0
; COMPUTE_PGM_RSRC2:TGID_X_EN: 1
; COMPUTE_PGM_RSRC2:TGID_Y_EN: 0
; COMPUTE_PGM_RSRC2:TGID_Z_EN: 0
; COMPUTE_PGM_RSRC2:TIDIG_COMP_CNT: 0
	.section	.text._ZN7rocprim17ROCPRIM_400000_NS6detail17trampoline_kernelINS0_14default_configENS1_25partition_config_selectorILNS1_17partition_subalgoE8EjNS0_10empty_typeEbEEZZNS1_14partition_implILS5_8ELb0ES3_jN6thrust23THRUST_200600_302600_NS6detail15normal_iteratorINSA_10device_ptrIjEEEEPS6_PKS6_NS0_5tupleIJSF_S6_EEENSJ_IJSG_SG_EEENS0_18inequality_wrapperI22is_equal_div_10_uniqueIjEEEPmJS6_EEE10hipError_tPvRmT3_T4_T5_T6_T7_T9_mT8_P12ihipStream_tbDpT10_ENKUlT_T0_E_clISt17integral_constantIbLb0EES1A_EEDaS15_S16_EUlS15_E_NS1_11comp_targetILNS1_3genE9ELNS1_11target_archE1100ELNS1_3gpuE3ELNS1_3repE0EEENS1_30default_config_static_selectorELNS0_4arch9wavefront6targetE1EEEvT1_,"axG",@progbits,_ZN7rocprim17ROCPRIM_400000_NS6detail17trampoline_kernelINS0_14default_configENS1_25partition_config_selectorILNS1_17partition_subalgoE8EjNS0_10empty_typeEbEEZZNS1_14partition_implILS5_8ELb0ES3_jN6thrust23THRUST_200600_302600_NS6detail15normal_iteratorINSA_10device_ptrIjEEEEPS6_PKS6_NS0_5tupleIJSF_S6_EEENSJ_IJSG_SG_EEENS0_18inequality_wrapperI22is_equal_div_10_uniqueIjEEEPmJS6_EEE10hipError_tPvRmT3_T4_T5_T6_T7_T9_mT8_P12ihipStream_tbDpT10_ENKUlT_T0_E_clISt17integral_constantIbLb0EES1A_EEDaS15_S16_EUlS15_E_NS1_11comp_targetILNS1_3genE9ELNS1_11target_archE1100ELNS1_3gpuE3ELNS1_3repE0EEENS1_30default_config_static_selectorELNS0_4arch9wavefront6targetE1EEEvT1_,comdat
	.protected	_ZN7rocprim17ROCPRIM_400000_NS6detail17trampoline_kernelINS0_14default_configENS1_25partition_config_selectorILNS1_17partition_subalgoE8EjNS0_10empty_typeEbEEZZNS1_14partition_implILS5_8ELb0ES3_jN6thrust23THRUST_200600_302600_NS6detail15normal_iteratorINSA_10device_ptrIjEEEEPS6_PKS6_NS0_5tupleIJSF_S6_EEENSJ_IJSG_SG_EEENS0_18inequality_wrapperI22is_equal_div_10_uniqueIjEEEPmJS6_EEE10hipError_tPvRmT3_T4_T5_T6_T7_T9_mT8_P12ihipStream_tbDpT10_ENKUlT_T0_E_clISt17integral_constantIbLb0EES1A_EEDaS15_S16_EUlS15_E_NS1_11comp_targetILNS1_3genE9ELNS1_11target_archE1100ELNS1_3gpuE3ELNS1_3repE0EEENS1_30default_config_static_selectorELNS0_4arch9wavefront6targetE1EEEvT1_ ; -- Begin function _ZN7rocprim17ROCPRIM_400000_NS6detail17trampoline_kernelINS0_14default_configENS1_25partition_config_selectorILNS1_17partition_subalgoE8EjNS0_10empty_typeEbEEZZNS1_14partition_implILS5_8ELb0ES3_jN6thrust23THRUST_200600_302600_NS6detail15normal_iteratorINSA_10device_ptrIjEEEEPS6_PKS6_NS0_5tupleIJSF_S6_EEENSJ_IJSG_SG_EEENS0_18inequality_wrapperI22is_equal_div_10_uniqueIjEEEPmJS6_EEE10hipError_tPvRmT3_T4_T5_T6_T7_T9_mT8_P12ihipStream_tbDpT10_ENKUlT_T0_E_clISt17integral_constantIbLb0EES1A_EEDaS15_S16_EUlS15_E_NS1_11comp_targetILNS1_3genE9ELNS1_11target_archE1100ELNS1_3gpuE3ELNS1_3repE0EEENS1_30default_config_static_selectorELNS0_4arch9wavefront6targetE1EEEvT1_
	.globl	_ZN7rocprim17ROCPRIM_400000_NS6detail17trampoline_kernelINS0_14default_configENS1_25partition_config_selectorILNS1_17partition_subalgoE8EjNS0_10empty_typeEbEEZZNS1_14partition_implILS5_8ELb0ES3_jN6thrust23THRUST_200600_302600_NS6detail15normal_iteratorINSA_10device_ptrIjEEEEPS6_PKS6_NS0_5tupleIJSF_S6_EEENSJ_IJSG_SG_EEENS0_18inequality_wrapperI22is_equal_div_10_uniqueIjEEEPmJS6_EEE10hipError_tPvRmT3_T4_T5_T6_T7_T9_mT8_P12ihipStream_tbDpT10_ENKUlT_T0_E_clISt17integral_constantIbLb0EES1A_EEDaS15_S16_EUlS15_E_NS1_11comp_targetILNS1_3genE9ELNS1_11target_archE1100ELNS1_3gpuE3ELNS1_3repE0EEENS1_30default_config_static_selectorELNS0_4arch9wavefront6targetE1EEEvT1_
	.p2align	8
	.type	_ZN7rocprim17ROCPRIM_400000_NS6detail17trampoline_kernelINS0_14default_configENS1_25partition_config_selectorILNS1_17partition_subalgoE8EjNS0_10empty_typeEbEEZZNS1_14partition_implILS5_8ELb0ES3_jN6thrust23THRUST_200600_302600_NS6detail15normal_iteratorINSA_10device_ptrIjEEEEPS6_PKS6_NS0_5tupleIJSF_S6_EEENSJ_IJSG_SG_EEENS0_18inequality_wrapperI22is_equal_div_10_uniqueIjEEEPmJS6_EEE10hipError_tPvRmT3_T4_T5_T6_T7_T9_mT8_P12ihipStream_tbDpT10_ENKUlT_T0_E_clISt17integral_constantIbLb0EES1A_EEDaS15_S16_EUlS15_E_NS1_11comp_targetILNS1_3genE9ELNS1_11target_archE1100ELNS1_3gpuE3ELNS1_3repE0EEENS1_30default_config_static_selectorELNS0_4arch9wavefront6targetE1EEEvT1_,@function
_ZN7rocprim17ROCPRIM_400000_NS6detail17trampoline_kernelINS0_14default_configENS1_25partition_config_selectorILNS1_17partition_subalgoE8EjNS0_10empty_typeEbEEZZNS1_14partition_implILS5_8ELb0ES3_jN6thrust23THRUST_200600_302600_NS6detail15normal_iteratorINSA_10device_ptrIjEEEEPS6_PKS6_NS0_5tupleIJSF_S6_EEENSJ_IJSG_SG_EEENS0_18inequality_wrapperI22is_equal_div_10_uniqueIjEEEPmJS6_EEE10hipError_tPvRmT3_T4_T5_T6_T7_T9_mT8_P12ihipStream_tbDpT10_ENKUlT_T0_E_clISt17integral_constantIbLb0EES1A_EEDaS15_S16_EUlS15_E_NS1_11comp_targetILNS1_3genE9ELNS1_11target_archE1100ELNS1_3gpuE3ELNS1_3repE0EEENS1_30default_config_static_selectorELNS0_4arch9wavefront6targetE1EEEvT1_: ; @_ZN7rocprim17ROCPRIM_400000_NS6detail17trampoline_kernelINS0_14default_configENS1_25partition_config_selectorILNS1_17partition_subalgoE8EjNS0_10empty_typeEbEEZZNS1_14partition_implILS5_8ELb0ES3_jN6thrust23THRUST_200600_302600_NS6detail15normal_iteratorINSA_10device_ptrIjEEEEPS6_PKS6_NS0_5tupleIJSF_S6_EEENSJ_IJSG_SG_EEENS0_18inequality_wrapperI22is_equal_div_10_uniqueIjEEEPmJS6_EEE10hipError_tPvRmT3_T4_T5_T6_T7_T9_mT8_P12ihipStream_tbDpT10_ENKUlT_T0_E_clISt17integral_constantIbLb0EES1A_EEDaS15_S16_EUlS15_E_NS1_11comp_targetILNS1_3genE9ELNS1_11target_archE1100ELNS1_3gpuE3ELNS1_3repE0EEENS1_30default_config_static_selectorELNS0_4arch9wavefront6targetE1EEEvT1_
; %bb.0:
	.section	.rodata,"a",@progbits
	.p2align	6, 0x0
	.amdhsa_kernel _ZN7rocprim17ROCPRIM_400000_NS6detail17trampoline_kernelINS0_14default_configENS1_25partition_config_selectorILNS1_17partition_subalgoE8EjNS0_10empty_typeEbEEZZNS1_14partition_implILS5_8ELb0ES3_jN6thrust23THRUST_200600_302600_NS6detail15normal_iteratorINSA_10device_ptrIjEEEEPS6_PKS6_NS0_5tupleIJSF_S6_EEENSJ_IJSG_SG_EEENS0_18inequality_wrapperI22is_equal_div_10_uniqueIjEEEPmJS6_EEE10hipError_tPvRmT3_T4_T5_T6_T7_T9_mT8_P12ihipStream_tbDpT10_ENKUlT_T0_E_clISt17integral_constantIbLb0EES1A_EEDaS15_S16_EUlS15_E_NS1_11comp_targetILNS1_3genE9ELNS1_11target_archE1100ELNS1_3gpuE3ELNS1_3repE0EEENS1_30default_config_static_selectorELNS0_4arch9wavefront6targetE1EEEvT1_
		.amdhsa_group_segment_fixed_size 0
		.amdhsa_private_segment_fixed_size 0
		.amdhsa_kernarg_size 112
		.amdhsa_user_sgpr_count 6
		.amdhsa_user_sgpr_private_segment_buffer 1
		.amdhsa_user_sgpr_dispatch_ptr 0
		.amdhsa_user_sgpr_queue_ptr 0
		.amdhsa_user_sgpr_kernarg_segment_ptr 1
		.amdhsa_user_sgpr_dispatch_id 0
		.amdhsa_user_sgpr_flat_scratch_init 0
		.amdhsa_user_sgpr_private_segment_size 0
		.amdhsa_uses_dynamic_stack 0
		.amdhsa_system_sgpr_private_segment_wavefront_offset 0
		.amdhsa_system_sgpr_workgroup_id_x 1
		.amdhsa_system_sgpr_workgroup_id_y 0
		.amdhsa_system_sgpr_workgroup_id_z 0
		.amdhsa_system_sgpr_workgroup_info 0
		.amdhsa_system_vgpr_workitem_id 0
		.amdhsa_next_free_vgpr 1
		.amdhsa_next_free_sgpr 0
		.amdhsa_reserve_vcc 0
		.amdhsa_reserve_flat_scratch 0
		.amdhsa_float_round_mode_32 0
		.amdhsa_float_round_mode_16_64 0
		.amdhsa_float_denorm_mode_32 3
		.amdhsa_float_denorm_mode_16_64 3
		.amdhsa_dx10_clamp 1
		.amdhsa_ieee_mode 1
		.amdhsa_fp16_overflow 0
		.amdhsa_exception_fp_ieee_invalid_op 0
		.amdhsa_exception_fp_denorm_src 0
		.amdhsa_exception_fp_ieee_div_zero 0
		.amdhsa_exception_fp_ieee_overflow 0
		.amdhsa_exception_fp_ieee_underflow 0
		.amdhsa_exception_fp_ieee_inexact 0
		.amdhsa_exception_int_div_zero 0
	.end_amdhsa_kernel
	.section	.text._ZN7rocprim17ROCPRIM_400000_NS6detail17trampoline_kernelINS0_14default_configENS1_25partition_config_selectorILNS1_17partition_subalgoE8EjNS0_10empty_typeEbEEZZNS1_14partition_implILS5_8ELb0ES3_jN6thrust23THRUST_200600_302600_NS6detail15normal_iteratorINSA_10device_ptrIjEEEEPS6_PKS6_NS0_5tupleIJSF_S6_EEENSJ_IJSG_SG_EEENS0_18inequality_wrapperI22is_equal_div_10_uniqueIjEEEPmJS6_EEE10hipError_tPvRmT3_T4_T5_T6_T7_T9_mT8_P12ihipStream_tbDpT10_ENKUlT_T0_E_clISt17integral_constantIbLb0EES1A_EEDaS15_S16_EUlS15_E_NS1_11comp_targetILNS1_3genE9ELNS1_11target_archE1100ELNS1_3gpuE3ELNS1_3repE0EEENS1_30default_config_static_selectorELNS0_4arch9wavefront6targetE1EEEvT1_,"axG",@progbits,_ZN7rocprim17ROCPRIM_400000_NS6detail17trampoline_kernelINS0_14default_configENS1_25partition_config_selectorILNS1_17partition_subalgoE8EjNS0_10empty_typeEbEEZZNS1_14partition_implILS5_8ELb0ES3_jN6thrust23THRUST_200600_302600_NS6detail15normal_iteratorINSA_10device_ptrIjEEEEPS6_PKS6_NS0_5tupleIJSF_S6_EEENSJ_IJSG_SG_EEENS0_18inequality_wrapperI22is_equal_div_10_uniqueIjEEEPmJS6_EEE10hipError_tPvRmT3_T4_T5_T6_T7_T9_mT8_P12ihipStream_tbDpT10_ENKUlT_T0_E_clISt17integral_constantIbLb0EES1A_EEDaS15_S16_EUlS15_E_NS1_11comp_targetILNS1_3genE9ELNS1_11target_archE1100ELNS1_3gpuE3ELNS1_3repE0EEENS1_30default_config_static_selectorELNS0_4arch9wavefront6targetE1EEEvT1_,comdat
.Lfunc_end248:
	.size	_ZN7rocprim17ROCPRIM_400000_NS6detail17trampoline_kernelINS0_14default_configENS1_25partition_config_selectorILNS1_17partition_subalgoE8EjNS0_10empty_typeEbEEZZNS1_14partition_implILS5_8ELb0ES3_jN6thrust23THRUST_200600_302600_NS6detail15normal_iteratorINSA_10device_ptrIjEEEEPS6_PKS6_NS0_5tupleIJSF_S6_EEENSJ_IJSG_SG_EEENS0_18inequality_wrapperI22is_equal_div_10_uniqueIjEEEPmJS6_EEE10hipError_tPvRmT3_T4_T5_T6_T7_T9_mT8_P12ihipStream_tbDpT10_ENKUlT_T0_E_clISt17integral_constantIbLb0EES1A_EEDaS15_S16_EUlS15_E_NS1_11comp_targetILNS1_3genE9ELNS1_11target_archE1100ELNS1_3gpuE3ELNS1_3repE0EEENS1_30default_config_static_selectorELNS0_4arch9wavefront6targetE1EEEvT1_, .Lfunc_end248-_ZN7rocprim17ROCPRIM_400000_NS6detail17trampoline_kernelINS0_14default_configENS1_25partition_config_selectorILNS1_17partition_subalgoE8EjNS0_10empty_typeEbEEZZNS1_14partition_implILS5_8ELb0ES3_jN6thrust23THRUST_200600_302600_NS6detail15normal_iteratorINSA_10device_ptrIjEEEEPS6_PKS6_NS0_5tupleIJSF_S6_EEENSJ_IJSG_SG_EEENS0_18inequality_wrapperI22is_equal_div_10_uniqueIjEEEPmJS6_EEE10hipError_tPvRmT3_T4_T5_T6_T7_T9_mT8_P12ihipStream_tbDpT10_ENKUlT_T0_E_clISt17integral_constantIbLb0EES1A_EEDaS15_S16_EUlS15_E_NS1_11comp_targetILNS1_3genE9ELNS1_11target_archE1100ELNS1_3gpuE3ELNS1_3repE0EEENS1_30default_config_static_selectorELNS0_4arch9wavefront6targetE1EEEvT1_
                                        ; -- End function
	.set _ZN7rocprim17ROCPRIM_400000_NS6detail17trampoline_kernelINS0_14default_configENS1_25partition_config_selectorILNS1_17partition_subalgoE8EjNS0_10empty_typeEbEEZZNS1_14partition_implILS5_8ELb0ES3_jN6thrust23THRUST_200600_302600_NS6detail15normal_iteratorINSA_10device_ptrIjEEEEPS6_PKS6_NS0_5tupleIJSF_S6_EEENSJ_IJSG_SG_EEENS0_18inequality_wrapperI22is_equal_div_10_uniqueIjEEEPmJS6_EEE10hipError_tPvRmT3_T4_T5_T6_T7_T9_mT8_P12ihipStream_tbDpT10_ENKUlT_T0_E_clISt17integral_constantIbLb0EES1A_EEDaS15_S16_EUlS15_E_NS1_11comp_targetILNS1_3genE9ELNS1_11target_archE1100ELNS1_3gpuE3ELNS1_3repE0EEENS1_30default_config_static_selectorELNS0_4arch9wavefront6targetE1EEEvT1_.num_vgpr, 0
	.set _ZN7rocprim17ROCPRIM_400000_NS6detail17trampoline_kernelINS0_14default_configENS1_25partition_config_selectorILNS1_17partition_subalgoE8EjNS0_10empty_typeEbEEZZNS1_14partition_implILS5_8ELb0ES3_jN6thrust23THRUST_200600_302600_NS6detail15normal_iteratorINSA_10device_ptrIjEEEEPS6_PKS6_NS0_5tupleIJSF_S6_EEENSJ_IJSG_SG_EEENS0_18inequality_wrapperI22is_equal_div_10_uniqueIjEEEPmJS6_EEE10hipError_tPvRmT3_T4_T5_T6_T7_T9_mT8_P12ihipStream_tbDpT10_ENKUlT_T0_E_clISt17integral_constantIbLb0EES1A_EEDaS15_S16_EUlS15_E_NS1_11comp_targetILNS1_3genE9ELNS1_11target_archE1100ELNS1_3gpuE3ELNS1_3repE0EEENS1_30default_config_static_selectorELNS0_4arch9wavefront6targetE1EEEvT1_.num_agpr, 0
	.set _ZN7rocprim17ROCPRIM_400000_NS6detail17trampoline_kernelINS0_14default_configENS1_25partition_config_selectorILNS1_17partition_subalgoE8EjNS0_10empty_typeEbEEZZNS1_14partition_implILS5_8ELb0ES3_jN6thrust23THRUST_200600_302600_NS6detail15normal_iteratorINSA_10device_ptrIjEEEEPS6_PKS6_NS0_5tupleIJSF_S6_EEENSJ_IJSG_SG_EEENS0_18inequality_wrapperI22is_equal_div_10_uniqueIjEEEPmJS6_EEE10hipError_tPvRmT3_T4_T5_T6_T7_T9_mT8_P12ihipStream_tbDpT10_ENKUlT_T0_E_clISt17integral_constantIbLb0EES1A_EEDaS15_S16_EUlS15_E_NS1_11comp_targetILNS1_3genE9ELNS1_11target_archE1100ELNS1_3gpuE3ELNS1_3repE0EEENS1_30default_config_static_selectorELNS0_4arch9wavefront6targetE1EEEvT1_.numbered_sgpr, 0
	.set _ZN7rocprim17ROCPRIM_400000_NS6detail17trampoline_kernelINS0_14default_configENS1_25partition_config_selectorILNS1_17partition_subalgoE8EjNS0_10empty_typeEbEEZZNS1_14partition_implILS5_8ELb0ES3_jN6thrust23THRUST_200600_302600_NS6detail15normal_iteratorINSA_10device_ptrIjEEEEPS6_PKS6_NS0_5tupleIJSF_S6_EEENSJ_IJSG_SG_EEENS0_18inequality_wrapperI22is_equal_div_10_uniqueIjEEEPmJS6_EEE10hipError_tPvRmT3_T4_T5_T6_T7_T9_mT8_P12ihipStream_tbDpT10_ENKUlT_T0_E_clISt17integral_constantIbLb0EES1A_EEDaS15_S16_EUlS15_E_NS1_11comp_targetILNS1_3genE9ELNS1_11target_archE1100ELNS1_3gpuE3ELNS1_3repE0EEENS1_30default_config_static_selectorELNS0_4arch9wavefront6targetE1EEEvT1_.num_named_barrier, 0
	.set _ZN7rocprim17ROCPRIM_400000_NS6detail17trampoline_kernelINS0_14default_configENS1_25partition_config_selectorILNS1_17partition_subalgoE8EjNS0_10empty_typeEbEEZZNS1_14partition_implILS5_8ELb0ES3_jN6thrust23THRUST_200600_302600_NS6detail15normal_iteratorINSA_10device_ptrIjEEEEPS6_PKS6_NS0_5tupleIJSF_S6_EEENSJ_IJSG_SG_EEENS0_18inequality_wrapperI22is_equal_div_10_uniqueIjEEEPmJS6_EEE10hipError_tPvRmT3_T4_T5_T6_T7_T9_mT8_P12ihipStream_tbDpT10_ENKUlT_T0_E_clISt17integral_constantIbLb0EES1A_EEDaS15_S16_EUlS15_E_NS1_11comp_targetILNS1_3genE9ELNS1_11target_archE1100ELNS1_3gpuE3ELNS1_3repE0EEENS1_30default_config_static_selectorELNS0_4arch9wavefront6targetE1EEEvT1_.private_seg_size, 0
	.set _ZN7rocprim17ROCPRIM_400000_NS6detail17trampoline_kernelINS0_14default_configENS1_25partition_config_selectorILNS1_17partition_subalgoE8EjNS0_10empty_typeEbEEZZNS1_14partition_implILS5_8ELb0ES3_jN6thrust23THRUST_200600_302600_NS6detail15normal_iteratorINSA_10device_ptrIjEEEEPS6_PKS6_NS0_5tupleIJSF_S6_EEENSJ_IJSG_SG_EEENS0_18inequality_wrapperI22is_equal_div_10_uniqueIjEEEPmJS6_EEE10hipError_tPvRmT3_T4_T5_T6_T7_T9_mT8_P12ihipStream_tbDpT10_ENKUlT_T0_E_clISt17integral_constantIbLb0EES1A_EEDaS15_S16_EUlS15_E_NS1_11comp_targetILNS1_3genE9ELNS1_11target_archE1100ELNS1_3gpuE3ELNS1_3repE0EEENS1_30default_config_static_selectorELNS0_4arch9wavefront6targetE1EEEvT1_.uses_vcc, 0
	.set _ZN7rocprim17ROCPRIM_400000_NS6detail17trampoline_kernelINS0_14default_configENS1_25partition_config_selectorILNS1_17partition_subalgoE8EjNS0_10empty_typeEbEEZZNS1_14partition_implILS5_8ELb0ES3_jN6thrust23THRUST_200600_302600_NS6detail15normal_iteratorINSA_10device_ptrIjEEEEPS6_PKS6_NS0_5tupleIJSF_S6_EEENSJ_IJSG_SG_EEENS0_18inequality_wrapperI22is_equal_div_10_uniqueIjEEEPmJS6_EEE10hipError_tPvRmT3_T4_T5_T6_T7_T9_mT8_P12ihipStream_tbDpT10_ENKUlT_T0_E_clISt17integral_constantIbLb0EES1A_EEDaS15_S16_EUlS15_E_NS1_11comp_targetILNS1_3genE9ELNS1_11target_archE1100ELNS1_3gpuE3ELNS1_3repE0EEENS1_30default_config_static_selectorELNS0_4arch9wavefront6targetE1EEEvT1_.uses_flat_scratch, 0
	.set _ZN7rocprim17ROCPRIM_400000_NS6detail17trampoline_kernelINS0_14default_configENS1_25partition_config_selectorILNS1_17partition_subalgoE8EjNS0_10empty_typeEbEEZZNS1_14partition_implILS5_8ELb0ES3_jN6thrust23THRUST_200600_302600_NS6detail15normal_iteratorINSA_10device_ptrIjEEEEPS6_PKS6_NS0_5tupleIJSF_S6_EEENSJ_IJSG_SG_EEENS0_18inequality_wrapperI22is_equal_div_10_uniqueIjEEEPmJS6_EEE10hipError_tPvRmT3_T4_T5_T6_T7_T9_mT8_P12ihipStream_tbDpT10_ENKUlT_T0_E_clISt17integral_constantIbLb0EES1A_EEDaS15_S16_EUlS15_E_NS1_11comp_targetILNS1_3genE9ELNS1_11target_archE1100ELNS1_3gpuE3ELNS1_3repE0EEENS1_30default_config_static_selectorELNS0_4arch9wavefront6targetE1EEEvT1_.has_dyn_sized_stack, 0
	.set _ZN7rocprim17ROCPRIM_400000_NS6detail17trampoline_kernelINS0_14default_configENS1_25partition_config_selectorILNS1_17partition_subalgoE8EjNS0_10empty_typeEbEEZZNS1_14partition_implILS5_8ELb0ES3_jN6thrust23THRUST_200600_302600_NS6detail15normal_iteratorINSA_10device_ptrIjEEEEPS6_PKS6_NS0_5tupleIJSF_S6_EEENSJ_IJSG_SG_EEENS0_18inequality_wrapperI22is_equal_div_10_uniqueIjEEEPmJS6_EEE10hipError_tPvRmT3_T4_T5_T6_T7_T9_mT8_P12ihipStream_tbDpT10_ENKUlT_T0_E_clISt17integral_constantIbLb0EES1A_EEDaS15_S16_EUlS15_E_NS1_11comp_targetILNS1_3genE9ELNS1_11target_archE1100ELNS1_3gpuE3ELNS1_3repE0EEENS1_30default_config_static_selectorELNS0_4arch9wavefront6targetE1EEEvT1_.has_recursion, 0
	.set _ZN7rocprim17ROCPRIM_400000_NS6detail17trampoline_kernelINS0_14default_configENS1_25partition_config_selectorILNS1_17partition_subalgoE8EjNS0_10empty_typeEbEEZZNS1_14partition_implILS5_8ELb0ES3_jN6thrust23THRUST_200600_302600_NS6detail15normal_iteratorINSA_10device_ptrIjEEEEPS6_PKS6_NS0_5tupleIJSF_S6_EEENSJ_IJSG_SG_EEENS0_18inequality_wrapperI22is_equal_div_10_uniqueIjEEEPmJS6_EEE10hipError_tPvRmT3_T4_T5_T6_T7_T9_mT8_P12ihipStream_tbDpT10_ENKUlT_T0_E_clISt17integral_constantIbLb0EES1A_EEDaS15_S16_EUlS15_E_NS1_11comp_targetILNS1_3genE9ELNS1_11target_archE1100ELNS1_3gpuE3ELNS1_3repE0EEENS1_30default_config_static_selectorELNS0_4arch9wavefront6targetE1EEEvT1_.has_indirect_call, 0
	.section	.AMDGPU.csdata,"",@progbits
; Kernel info:
; codeLenInByte = 0
; TotalNumSgprs: 4
; NumVgprs: 0
; ScratchSize: 0
; MemoryBound: 0
; FloatMode: 240
; IeeeMode: 1
; LDSByteSize: 0 bytes/workgroup (compile time only)
; SGPRBlocks: 0
; VGPRBlocks: 0
; NumSGPRsForWavesPerEU: 4
; NumVGPRsForWavesPerEU: 1
; Occupancy: 10
; WaveLimiterHint : 0
; COMPUTE_PGM_RSRC2:SCRATCH_EN: 0
; COMPUTE_PGM_RSRC2:USER_SGPR: 6
; COMPUTE_PGM_RSRC2:TRAP_HANDLER: 0
; COMPUTE_PGM_RSRC2:TGID_X_EN: 1
; COMPUTE_PGM_RSRC2:TGID_Y_EN: 0
; COMPUTE_PGM_RSRC2:TGID_Z_EN: 0
; COMPUTE_PGM_RSRC2:TIDIG_COMP_CNT: 0
	.section	.text._ZN7rocprim17ROCPRIM_400000_NS6detail17trampoline_kernelINS0_14default_configENS1_25partition_config_selectorILNS1_17partition_subalgoE8EjNS0_10empty_typeEbEEZZNS1_14partition_implILS5_8ELb0ES3_jN6thrust23THRUST_200600_302600_NS6detail15normal_iteratorINSA_10device_ptrIjEEEEPS6_PKS6_NS0_5tupleIJSF_S6_EEENSJ_IJSG_SG_EEENS0_18inequality_wrapperI22is_equal_div_10_uniqueIjEEEPmJS6_EEE10hipError_tPvRmT3_T4_T5_T6_T7_T9_mT8_P12ihipStream_tbDpT10_ENKUlT_T0_E_clISt17integral_constantIbLb0EES1A_EEDaS15_S16_EUlS15_E_NS1_11comp_targetILNS1_3genE8ELNS1_11target_archE1030ELNS1_3gpuE2ELNS1_3repE0EEENS1_30default_config_static_selectorELNS0_4arch9wavefront6targetE1EEEvT1_,"axG",@progbits,_ZN7rocprim17ROCPRIM_400000_NS6detail17trampoline_kernelINS0_14default_configENS1_25partition_config_selectorILNS1_17partition_subalgoE8EjNS0_10empty_typeEbEEZZNS1_14partition_implILS5_8ELb0ES3_jN6thrust23THRUST_200600_302600_NS6detail15normal_iteratorINSA_10device_ptrIjEEEEPS6_PKS6_NS0_5tupleIJSF_S6_EEENSJ_IJSG_SG_EEENS0_18inequality_wrapperI22is_equal_div_10_uniqueIjEEEPmJS6_EEE10hipError_tPvRmT3_T4_T5_T6_T7_T9_mT8_P12ihipStream_tbDpT10_ENKUlT_T0_E_clISt17integral_constantIbLb0EES1A_EEDaS15_S16_EUlS15_E_NS1_11comp_targetILNS1_3genE8ELNS1_11target_archE1030ELNS1_3gpuE2ELNS1_3repE0EEENS1_30default_config_static_selectorELNS0_4arch9wavefront6targetE1EEEvT1_,comdat
	.protected	_ZN7rocprim17ROCPRIM_400000_NS6detail17trampoline_kernelINS0_14default_configENS1_25partition_config_selectorILNS1_17partition_subalgoE8EjNS0_10empty_typeEbEEZZNS1_14partition_implILS5_8ELb0ES3_jN6thrust23THRUST_200600_302600_NS6detail15normal_iteratorINSA_10device_ptrIjEEEEPS6_PKS6_NS0_5tupleIJSF_S6_EEENSJ_IJSG_SG_EEENS0_18inequality_wrapperI22is_equal_div_10_uniqueIjEEEPmJS6_EEE10hipError_tPvRmT3_T4_T5_T6_T7_T9_mT8_P12ihipStream_tbDpT10_ENKUlT_T0_E_clISt17integral_constantIbLb0EES1A_EEDaS15_S16_EUlS15_E_NS1_11comp_targetILNS1_3genE8ELNS1_11target_archE1030ELNS1_3gpuE2ELNS1_3repE0EEENS1_30default_config_static_selectorELNS0_4arch9wavefront6targetE1EEEvT1_ ; -- Begin function _ZN7rocprim17ROCPRIM_400000_NS6detail17trampoline_kernelINS0_14default_configENS1_25partition_config_selectorILNS1_17partition_subalgoE8EjNS0_10empty_typeEbEEZZNS1_14partition_implILS5_8ELb0ES3_jN6thrust23THRUST_200600_302600_NS6detail15normal_iteratorINSA_10device_ptrIjEEEEPS6_PKS6_NS0_5tupleIJSF_S6_EEENSJ_IJSG_SG_EEENS0_18inequality_wrapperI22is_equal_div_10_uniqueIjEEEPmJS6_EEE10hipError_tPvRmT3_T4_T5_T6_T7_T9_mT8_P12ihipStream_tbDpT10_ENKUlT_T0_E_clISt17integral_constantIbLb0EES1A_EEDaS15_S16_EUlS15_E_NS1_11comp_targetILNS1_3genE8ELNS1_11target_archE1030ELNS1_3gpuE2ELNS1_3repE0EEENS1_30default_config_static_selectorELNS0_4arch9wavefront6targetE1EEEvT1_
	.globl	_ZN7rocprim17ROCPRIM_400000_NS6detail17trampoline_kernelINS0_14default_configENS1_25partition_config_selectorILNS1_17partition_subalgoE8EjNS0_10empty_typeEbEEZZNS1_14partition_implILS5_8ELb0ES3_jN6thrust23THRUST_200600_302600_NS6detail15normal_iteratorINSA_10device_ptrIjEEEEPS6_PKS6_NS0_5tupleIJSF_S6_EEENSJ_IJSG_SG_EEENS0_18inequality_wrapperI22is_equal_div_10_uniqueIjEEEPmJS6_EEE10hipError_tPvRmT3_T4_T5_T6_T7_T9_mT8_P12ihipStream_tbDpT10_ENKUlT_T0_E_clISt17integral_constantIbLb0EES1A_EEDaS15_S16_EUlS15_E_NS1_11comp_targetILNS1_3genE8ELNS1_11target_archE1030ELNS1_3gpuE2ELNS1_3repE0EEENS1_30default_config_static_selectorELNS0_4arch9wavefront6targetE1EEEvT1_
	.p2align	8
	.type	_ZN7rocprim17ROCPRIM_400000_NS6detail17trampoline_kernelINS0_14default_configENS1_25partition_config_selectorILNS1_17partition_subalgoE8EjNS0_10empty_typeEbEEZZNS1_14partition_implILS5_8ELb0ES3_jN6thrust23THRUST_200600_302600_NS6detail15normal_iteratorINSA_10device_ptrIjEEEEPS6_PKS6_NS0_5tupleIJSF_S6_EEENSJ_IJSG_SG_EEENS0_18inequality_wrapperI22is_equal_div_10_uniqueIjEEEPmJS6_EEE10hipError_tPvRmT3_T4_T5_T6_T7_T9_mT8_P12ihipStream_tbDpT10_ENKUlT_T0_E_clISt17integral_constantIbLb0EES1A_EEDaS15_S16_EUlS15_E_NS1_11comp_targetILNS1_3genE8ELNS1_11target_archE1030ELNS1_3gpuE2ELNS1_3repE0EEENS1_30default_config_static_selectorELNS0_4arch9wavefront6targetE1EEEvT1_,@function
_ZN7rocprim17ROCPRIM_400000_NS6detail17trampoline_kernelINS0_14default_configENS1_25partition_config_selectorILNS1_17partition_subalgoE8EjNS0_10empty_typeEbEEZZNS1_14partition_implILS5_8ELb0ES3_jN6thrust23THRUST_200600_302600_NS6detail15normal_iteratorINSA_10device_ptrIjEEEEPS6_PKS6_NS0_5tupleIJSF_S6_EEENSJ_IJSG_SG_EEENS0_18inequality_wrapperI22is_equal_div_10_uniqueIjEEEPmJS6_EEE10hipError_tPvRmT3_T4_T5_T6_T7_T9_mT8_P12ihipStream_tbDpT10_ENKUlT_T0_E_clISt17integral_constantIbLb0EES1A_EEDaS15_S16_EUlS15_E_NS1_11comp_targetILNS1_3genE8ELNS1_11target_archE1030ELNS1_3gpuE2ELNS1_3repE0EEENS1_30default_config_static_selectorELNS0_4arch9wavefront6targetE1EEEvT1_: ; @_ZN7rocprim17ROCPRIM_400000_NS6detail17trampoline_kernelINS0_14default_configENS1_25partition_config_selectorILNS1_17partition_subalgoE8EjNS0_10empty_typeEbEEZZNS1_14partition_implILS5_8ELb0ES3_jN6thrust23THRUST_200600_302600_NS6detail15normal_iteratorINSA_10device_ptrIjEEEEPS6_PKS6_NS0_5tupleIJSF_S6_EEENSJ_IJSG_SG_EEENS0_18inequality_wrapperI22is_equal_div_10_uniqueIjEEEPmJS6_EEE10hipError_tPvRmT3_T4_T5_T6_T7_T9_mT8_P12ihipStream_tbDpT10_ENKUlT_T0_E_clISt17integral_constantIbLb0EES1A_EEDaS15_S16_EUlS15_E_NS1_11comp_targetILNS1_3genE8ELNS1_11target_archE1030ELNS1_3gpuE2ELNS1_3repE0EEENS1_30default_config_static_selectorELNS0_4arch9wavefront6targetE1EEEvT1_
; %bb.0:
	.section	.rodata,"a",@progbits
	.p2align	6, 0x0
	.amdhsa_kernel _ZN7rocprim17ROCPRIM_400000_NS6detail17trampoline_kernelINS0_14default_configENS1_25partition_config_selectorILNS1_17partition_subalgoE8EjNS0_10empty_typeEbEEZZNS1_14partition_implILS5_8ELb0ES3_jN6thrust23THRUST_200600_302600_NS6detail15normal_iteratorINSA_10device_ptrIjEEEEPS6_PKS6_NS0_5tupleIJSF_S6_EEENSJ_IJSG_SG_EEENS0_18inequality_wrapperI22is_equal_div_10_uniqueIjEEEPmJS6_EEE10hipError_tPvRmT3_T4_T5_T6_T7_T9_mT8_P12ihipStream_tbDpT10_ENKUlT_T0_E_clISt17integral_constantIbLb0EES1A_EEDaS15_S16_EUlS15_E_NS1_11comp_targetILNS1_3genE8ELNS1_11target_archE1030ELNS1_3gpuE2ELNS1_3repE0EEENS1_30default_config_static_selectorELNS0_4arch9wavefront6targetE1EEEvT1_
		.amdhsa_group_segment_fixed_size 0
		.amdhsa_private_segment_fixed_size 0
		.amdhsa_kernarg_size 112
		.amdhsa_user_sgpr_count 6
		.amdhsa_user_sgpr_private_segment_buffer 1
		.amdhsa_user_sgpr_dispatch_ptr 0
		.amdhsa_user_sgpr_queue_ptr 0
		.amdhsa_user_sgpr_kernarg_segment_ptr 1
		.amdhsa_user_sgpr_dispatch_id 0
		.amdhsa_user_sgpr_flat_scratch_init 0
		.amdhsa_user_sgpr_private_segment_size 0
		.amdhsa_uses_dynamic_stack 0
		.amdhsa_system_sgpr_private_segment_wavefront_offset 0
		.amdhsa_system_sgpr_workgroup_id_x 1
		.amdhsa_system_sgpr_workgroup_id_y 0
		.amdhsa_system_sgpr_workgroup_id_z 0
		.amdhsa_system_sgpr_workgroup_info 0
		.amdhsa_system_vgpr_workitem_id 0
		.amdhsa_next_free_vgpr 1
		.amdhsa_next_free_sgpr 0
		.amdhsa_reserve_vcc 0
		.amdhsa_reserve_flat_scratch 0
		.amdhsa_float_round_mode_32 0
		.amdhsa_float_round_mode_16_64 0
		.amdhsa_float_denorm_mode_32 3
		.amdhsa_float_denorm_mode_16_64 3
		.amdhsa_dx10_clamp 1
		.amdhsa_ieee_mode 1
		.amdhsa_fp16_overflow 0
		.amdhsa_exception_fp_ieee_invalid_op 0
		.amdhsa_exception_fp_denorm_src 0
		.amdhsa_exception_fp_ieee_div_zero 0
		.amdhsa_exception_fp_ieee_overflow 0
		.amdhsa_exception_fp_ieee_underflow 0
		.amdhsa_exception_fp_ieee_inexact 0
		.amdhsa_exception_int_div_zero 0
	.end_amdhsa_kernel
	.section	.text._ZN7rocprim17ROCPRIM_400000_NS6detail17trampoline_kernelINS0_14default_configENS1_25partition_config_selectorILNS1_17partition_subalgoE8EjNS0_10empty_typeEbEEZZNS1_14partition_implILS5_8ELb0ES3_jN6thrust23THRUST_200600_302600_NS6detail15normal_iteratorINSA_10device_ptrIjEEEEPS6_PKS6_NS0_5tupleIJSF_S6_EEENSJ_IJSG_SG_EEENS0_18inequality_wrapperI22is_equal_div_10_uniqueIjEEEPmJS6_EEE10hipError_tPvRmT3_T4_T5_T6_T7_T9_mT8_P12ihipStream_tbDpT10_ENKUlT_T0_E_clISt17integral_constantIbLb0EES1A_EEDaS15_S16_EUlS15_E_NS1_11comp_targetILNS1_3genE8ELNS1_11target_archE1030ELNS1_3gpuE2ELNS1_3repE0EEENS1_30default_config_static_selectorELNS0_4arch9wavefront6targetE1EEEvT1_,"axG",@progbits,_ZN7rocprim17ROCPRIM_400000_NS6detail17trampoline_kernelINS0_14default_configENS1_25partition_config_selectorILNS1_17partition_subalgoE8EjNS0_10empty_typeEbEEZZNS1_14partition_implILS5_8ELb0ES3_jN6thrust23THRUST_200600_302600_NS6detail15normal_iteratorINSA_10device_ptrIjEEEEPS6_PKS6_NS0_5tupleIJSF_S6_EEENSJ_IJSG_SG_EEENS0_18inequality_wrapperI22is_equal_div_10_uniqueIjEEEPmJS6_EEE10hipError_tPvRmT3_T4_T5_T6_T7_T9_mT8_P12ihipStream_tbDpT10_ENKUlT_T0_E_clISt17integral_constantIbLb0EES1A_EEDaS15_S16_EUlS15_E_NS1_11comp_targetILNS1_3genE8ELNS1_11target_archE1030ELNS1_3gpuE2ELNS1_3repE0EEENS1_30default_config_static_selectorELNS0_4arch9wavefront6targetE1EEEvT1_,comdat
.Lfunc_end249:
	.size	_ZN7rocprim17ROCPRIM_400000_NS6detail17trampoline_kernelINS0_14default_configENS1_25partition_config_selectorILNS1_17partition_subalgoE8EjNS0_10empty_typeEbEEZZNS1_14partition_implILS5_8ELb0ES3_jN6thrust23THRUST_200600_302600_NS6detail15normal_iteratorINSA_10device_ptrIjEEEEPS6_PKS6_NS0_5tupleIJSF_S6_EEENSJ_IJSG_SG_EEENS0_18inequality_wrapperI22is_equal_div_10_uniqueIjEEEPmJS6_EEE10hipError_tPvRmT3_T4_T5_T6_T7_T9_mT8_P12ihipStream_tbDpT10_ENKUlT_T0_E_clISt17integral_constantIbLb0EES1A_EEDaS15_S16_EUlS15_E_NS1_11comp_targetILNS1_3genE8ELNS1_11target_archE1030ELNS1_3gpuE2ELNS1_3repE0EEENS1_30default_config_static_selectorELNS0_4arch9wavefront6targetE1EEEvT1_, .Lfunc_end249-_ZN7rocprim17ROCPRIM_400000_NS6detail17trampoline_kernelINS0_14default_configENS1_25partition_config_selectorILNS1_17partition_subalgoE8EjNS0_10empty_typeEbEEZZNS1_14partition_implILS5_8ELb0ES3_jN6thrust23THRUST_200600_302600_NS6detail15normal_iteratorINSA_10device_ptrIjEEEEPS6_PKS6_NS0_5tupleIJSF_S6_EEENSJ_IJSG_SG_EEENS0_18inequality_wrapperI22is_equal_div_10_uniqueIjEEEPmJS6_EEE10hipError_tPvRmT3_T4_T5_T6_T7_T9_mT8_P12ihipStream_tbDpT10_ENKUlT_T0_E_clISt17integral_constantIbLb0EES1A_EEDaS15_S16_EUlS15_E_NS1_11comp_targetILNS1_3genE8ELNS1_11target_archE1030ELNS1_3gpuE2ELNS1_3repE0EEENS1_30default_config_static_selectorELNS0_4arch9wavefront6targetE1EEEvT1_
                                        ; -- End function
	.set _ZN7rocprim17ROCPRIM_400000_NS6detail17trampoline_kernelINS0_14default_configENS1_25partition_config_selectorILNS1_17partition_subalgoE8EjNS0_10empty_typeEbEEZZNS1_14partition_implILS5_8ELb0ES3_jN6thrust23THRUST_200600_302600_NS6detail15normal_iteratorINSA_10device_ptrIjEEEEPS6_PKS6_NS0_5tupleIJSF_S6_EEENSJ_IJSG_SG_EEENS0_18inequality_wrapperI22is_equal_div_10_uniqueIjEEEPmJS6_EEE10hipError_tPvRmT3_T4_T5_T6_T7_T9_mT8_P12ihipStream_tbDpT10_ENKUlT_T0_E_clISt17integral_constantIbLb0EES1A_EEDaS15_S16_EUlS15_E_NS1_11comp_targetILNS1_3genE8ELNS1_11target_archE1030ELNS1_3gpuE2ELNS1_3repE0EEENS1_30default_config_static_selectorELNS0_4arch9wavefront6targetE1EEEvT1_.num_vgpr, 0
	.set _ZN7rocprim17ROCPRIM_400000_NS6detail17trampoline_kernelINS0_14default_configENS1_25partition_config_selectorILNS1_17partition_subalgoE8EjNS0_10empty_typeEbEEZZNS1_14partition_implILS5_8ELb0ES3_jN6thrust23THRUST_200600_302600_NS6detail15normal_iteratorINSA_10device_ptrIjEEEEPS6_PKS6_NS0_5tupleIJSF_S6_EEENSJ_IJSG_SG_EEENS0_18inequality_wrapperI22is_equal_div_10_uniqueIjEEEPmJS6_EEE10hipError_tPvRmT3_T4_T5_T6_T7_T9_mT8_P12ihipStream_tbDpT10_ENKUlT_T0_E_clISt17integral_constantIbLb0EES1A_EEDaS15_S16_EUlS15_E_NS1_11comp_targetILNS1_3genE8ELNS1_11target_archE1030ELNS1_3gpuE2ELNS1_3repE0EEENS1_30default_config_static_selectorELNS0_4arch9wavefront6targetE1EEEvT1_.num_agpr, 0
	.set _ZN7rocprim17ROCPRIM_400000_NS6detail17trampoline_kernelINS0_14default_configENS1_25partition_config_selectorILNS1_17partition_subalgoE8EjNS0_10empty_typeEbEEZZNS1_14partition_implILS5_8ELb0ES3_jN6thrust23THRUST_200600_302600_NS6detail15normal_iteratorINSA_10device_ptrIjEEEEPS6_PKS6_NS0_5tupleIJSF_S6_EEENSJ_IJSG_SG_EEENS0_18inequality_wrapperI22is_equal_div_10_uniqueIjEEEPmJS6_EEE10hipError_tPvRmT3_T4_T5_T6_T7_T9_mT8_P12ihipStream_tbDpT10_ENKUlT_T0_E_clISt17integral_constantIbLb0EES1A_EEDaS15_S16_EUlS15_E_NS1_11comp_targetILNS1_3genE8ELNS1_11target_archE1030ELNS1_3gpuE2ELNS1_3repE0EEENS1_30default_config_static_selectorELNS0_4arch9wavefront6targetE1EEEvT1_.numbered_sgpr, 0
	.set _ZN7rocprim17ROCPRIM_400000_NS6detail17trampoline_kernelINS0_14default_configENS1_25partition_config_selectorILNS1_17partition_subalgoE8EjNS0_10empty_typeEbEEZZNS1_14partition_implILS5_8ELb0ES3_jN6thrust23THRUST_200600_302600_NS6detail15normal_iteratorINSA_10device_ptrIjEEEEPS6_PKS6_NS0_5tupleIJSF_S6_EEENSJ_IJSG_SG_EEENS0_18inequality_wrapperI22is_equal_div_10_uniqueIjEEEPmJS6_EEE10hipError_tPvRmT3_T4_T5_T6_T7_T9_mT8_P12ihipStream_tbDpT10_ENKUlT_T0_E_clISt17integral_constantIbLb0EES1A_EEDaS15_S16_EUlS15_E_NS1_11comp_targetILNS1_3genE8ELNS1_11target_archE1030ELNS1_3gpuE2ELNS1_3repE0EEENS1_30default_config_static_selectorELNS0_4arch9wavefront6targetE1EEEvT1_.num_named_barrier, 0
	.set _ZN7rocprim17ROCPRIM_400000_NS6detail17trampoline_kernelINS0_14default_configENS1_25partition_config_selectorILNS1_17partition_subalgoE8EjNS0_10empty_typeEbEEZZNS1_14partition_implILS5_8ELb0ES3_jN6thrust23THRUST_200600_302600_NS6detail15normal_iteratorINSA_10device_ptrIjEEEEPS6_PKS6_NS0_5tupleIJSF_S6_EEENSJ_IJSG_SG_EEENS0_18inequality_wrapperI22is_equal_div_10_uniqueIjEEEPmJS6_EEE10hipError_tPvRmT3_T4_T5_T6_T7_T9_mT8_P12ihipStream_tbDpT10_ENKUlT_T0_E_clISt17integral_constantIbLb0EES1A_EEDaS15_S16_EUlS15_E_NS1_11comp_targetILNS1_3genE8ELNS1_11target_archE1030ELNS1_3gpuE2ELNS1_3repE0EEENS1_30default_config_static_selectorELNS0_4arch9wavefront6targetE1EEEvT1_.private_seg_size, 0
	.set _ZN7rocprim17ROCPRIM_400000_NS6detail17trampoline_kernelINS0_14default_configENS1_25partition_config_selectorILNS1_17partition_subalgoE8EjNS0_10empty_typeEbEEZZNS1_14partition_implILS5_8ELb0ES3_jN6thrust23THRUST_200600_302600_NS6detail15normal_iteratorINSA_10device_ptrIjEEEEPS6_PKS6_NS0_5tupleIJSF_S6_EEENSJ_IJSG_SG_EEENS0_18inequality_wrapperI22is_equal_div_10_uniqueIjEEEPmJS6_EEE10hipError_tPvRmT3_T4_T5_T6_T7_T9_mT8_P12ihipStream_tbDpT10_ENKUlT_T0_E_clISt17integral_constantIbLb0EES1A_EEDaS15_S16_EUlS15_E_NS1_11comp_targetILNS1_3genE8ELNS1_11target_archE1030ELNS1_3gpuE2ELNS1_3repE0EEENS1_30default_config_static_selectorELNS0_4arch9wavefront6targetE1EEEvT1_.uses_vcc, 0
	.set _ZN7rocprim17ROCPRIM_400000_NS6detail17trampoline_kernelINS0_14default_configENS1_25partition_config_selectorILNS1_17partition_subalgoE8EjNS0_10empty_typeEbEEZZNS1_14partition_implILS5_8ELb0ES3_jN6thrust23THRUST_200600_302600_NS6detail15normal_iteratorINSA_10device_ptrIjEEEEPS6_PKS6_NS0_5tupleIJSF_S6_EEENSJ_IJSG_SG_EEENS0_18inequality_wrapperI22is_equal_div_10_uniqueIjEEEPmJS6_EEE10hipError_tPvRmT3_T4_T5_T6_T7_T9_mT8_P12ihipStream_tbDpT10_ENKUlT_T0_E_clISt17integral_constantIbLb0EES1A_EEDaS15_S16_EUlS15_E_NS1_11comp_targetILNS1_3genE8ELNS1_11target_archE1030ELNS1_3gpuE2ELNS1_3repE0EEENS1_30default_config_static_selectorELNS0_4arch9wavefront6targetE1EEEvT1_.uses_flat_scratch, 0
	.set _ZN7rocprim17ROCPRIM_400000_NS6detail17trampoline_kernelINS0_14default_configENS1_25partition_config_selectorILNS1_17partition_subalgoE8EjNS0_10empty_typeEbEEZZNS1_14partition_implILS5_8ELb0ES3_jN6thrust23THRUST_200600_302600_NS6detail15normal_iteratorINSA_10device_ptrIjEEEEPS6_PKS6_NS0_5tupleIJSF_S6_EEENSJ_IJSG_SG_EEENS0_18inequality_wrapperI22is_equal_div_10_uniqueIjEEEPmJS6_EEE10hipError_tPvRmT3_T4_T5_T6_T7_T9_mT8_P12ihipStream_tbDpT10_ENKUlT_T0_E_clISt17integral_constantIbLb0EES1A_EEDaS15_S16_EUlS15_E_NS1_11comp_targetILNS1_3genE8ELNS1_11target_archE1030ELNS1_3gpuE2ELNS1_3repE0EEENS1_30default_config_static_selectorELNS0_4arch9wavefront6targetE1EEEvT1_.has_dyn_sized_stack, 0
	.set _ZN7rocprim17ROCPRIM_400000_NS6detail17trampoline_kernelINS0_14default_configENS1_25partition_config_selectorILNS1_17partition_subalgoE8EjNS0_10empty_typeEbEEZZNS1_14partition_implILS5_8ELb0ES3_jN6thrust23THRUST_200600_302600_NS6detail15normal_iteratorINSA_10device_ptrIjEEEEPS6_PKS6_NS0_5tupleIJSF_S6_EEENSJ_IJSG_SG_EEENS0_18inequality_wrapperI22is_equal_div_10_uniqueIjEEEPmJS6_EEE10hipError_tPvRmT3_T4_T5_T6_T7_T9_mT8_P12ihipStream_tbDpT10_ENKUlT_T0_E_clISt17integral_constantIbLb0EES1A_EEDaS15_S16_EUlS15_E_NS1_11comp_targetILNS1_3genE8ELNS1_11target_archE1030ELNS1_3gpuE2ELNS1_3repE0EEENS1_30default_config_static_selectorELNS0_4arch9wavefront6targetE1EEEvT1_.has_recursion, 0
	.set _ZN7rocprim17ROCPRIM_400000_NS6detail17trampoline_kernelINS0_14default_configENS1_25partition_config_selectorILNS1_17partition_subalgoE8EjNS0_10empty_typeEbEEZZNS1_14partition_implILS5_8ELb0ES3_jN6thrust23THRUST_200600_302600_NS6detail15normal_iteratorINSA_10device_ptrIjEEEEPS6_PKS6_NS0_5tupleIJSF_S6_EEENSJ_IJSG_SG_EEENS0_18inequality_wrapperI22is_equal_div_10_uniqueIjEEEPmJS6_EEE10hipError_tPvRmT3_T4_T5_T6_T7_T9_mT8_P12ihipStream_tbDpT10_ENKUlT_T0_E_clISt17integral_constantIbLb0EES1A_EEDaS15_S16_EUlS15_E_NS1_11comp_targetILNS1_3genE8ELNS1_11target_archE1030ELNS1_3gpuE2ELNS1_3repE0EEENS1_30default_config_static_selectorELNS0_4arch9wavefront6targetE1EEEvT1_.has_indirect_call, 0
	.section	.AMDGPU.csdata,"",@progbits
; Kernel info:
; codeLenInByte = 0
; TotalNumSgprs: 4
; NumVgprs: 0
; ScratchSize: 0
; MemoryBound: 0
; FloatMode: 240
; IeeeMode: 1
; LDSByteSize: 0 bytes/workgroup (compile time only)
; SGPRBlocks: 0
; VGPRBlocks: 0
; NumSGPRsForWavesPerEU: 4
; NumVGPRsForWavesPerEU: 1
; Occupancy: 10
; WaveLimiterHint : 0
; COMPUTE_PGM_RSRC2:SCRATCH_EN: 0
; COMPUTE_PGM_RSRC2:USER_SGPR: 6
; COMPUTE_PGM_RSRC2:TRAP_HANDLER: 0
; COMPUTE_PGM_RSRC2:TGID_X_EN: 1
; COMPUTE_PGM_RSRC2:TGID_Y_EN: 0
; COMPUTE_PGM_RSRC2:TGID_Z_EN: 0
; COMPUTE_PGM_RSRC2:TIDIG_COMP_CNT: 0
	.section	.text._ZN7rocprim17ROCPRIM_400000_NS6detail17trampoline_kernelINS0_14default_configENS1_25partition_config_selectorILNS1_17partition_subalgoE8EjNS0_10empty_typeEbEEZZNS1_14partition_implILS5_8ELb0ES3_jN6thrust23THRUST_200600_302600_NS6detail15normal_iteratorINSA_10device_ptrIjEEEEPS6_PKS6_NS0_5tupleIJSF_S6_EEENSJ_IJSG_SG_EEENS0_18inequality_wrapperI22is_equal_div_10_uniqueIjEEEPmJS6_EEE10hipError_tPvRmT3_T4_T5_T6_T7_T9_mT8_P12ihipStream_tbDpT10_ENKUlT_T0_E_clISt17integral_constantIbLb1EES1A_EEDaS15_S16_EUlS15_E_NS1_11comp_targetILNS1_3genE0ELNS1_11target_archE4294967295ELNS1_3gpuE0ELNS1_3repE0EEENS1_30default_config_static_selectorELNS0_4arch9wavefront6targetE1EEEvT1_,"axG",@progbits,_ZN7rocprim17ROCPRIM_400000_NS6detail17trampoline_kernelINS0_14default_configENS1_25partition_config_selectorILNS1_17partition_subalgoE8EjNS0_10empty_typeEbEEZZNS1_14partition_implILS5_8ELb0ES3_jN6thrust23THRUST_200600_302600_NS6detail15normal_iteratorINSA_10device_ptrIjEEEEPS6_PKS6_NS0_5tupleIJSF_S6_EEENSJ_IJSG_SG_EEENS0_18inequality_wrapperI22is_equal_div_10_uniqueIjEEEPmJS6_EEE10hipError_tPvRmT3_T4_T5_T6_T7_T9_mT8_P12ihipStream_tbDpT10_ENKUlT_T0_E_clISt17integral_constantIbLb1EES1A_EEDaS15_S16_EUlS15_E_NS1_11comp_targetILNS1_3genE0ELNS1_11target_archE4294967295ELNS1_3gpuE0ELNS1_3repE0EEENS1_30default_config_static_selectorELNS0_4arch9wavefront6targetE1EEEvT1_,comdat
	.protected	_ZN7rocprim17ROCPRIM_400000_NS6detail17trampoline_kernelINS0_14default_configENS1_25partition_config_selectorILNS1_17partition_subalgoE8EjNS0_10empty_typeEbEEZZNS1_14partition_implILS5_8ELb0ES3_jN6thrust23THRUST_200600_302600_NS6detail15normal_iteratorINSA_10device_ptrIjEEEEPS6_PKS6_NS0_5tupleIJSF_S6_EEENSJ_IJSG_SG_EEENS0_18inequality_wrapperI22is_equal_div_10_uniqueIjEEEPmJS6_EEE10hipError_tPvRmT3_T4_T5_T6_T7_T9_mT8_P12ihipStream_tbDpT10_ENKUlT_T0_E_clISt17integral_constantIbLb1EES1A_EEDaS15_S16_EUlS15_E_NS1_11comp_targetILNS1_3genE0ELNS1_11target_archE4294967295ELNS1_3gpuE0ELNS1_3repE0EEENS1_30default_config_static_selectorELNS0_4arch9wavefront6targetE1EEEvT1_ ; -- Begin function _ZN7rocprim17ROCPRIM_400000_NS6detail17trampoline_kernelINS0_14default_configENS1_25partition_config_selectorILNS1_17partition_subalgoE8EjNS0_10empty_typeEbEEZZNS1_14partition_implILS5_8ELb0ES3_jN6thrust23THRUST_200600_302600_NS6detail15normal_iteratorINSA_10device_ptrIjEEEEPS6_PKS6_NS0_5tupleIJSF_S6_EEENSJ_IJSG_SG_EEENS0_18inequality_wrapperI22is_equal_div_10_uniqueIjEEEPmJS6_EEE10hipError_tPvRmT3_T4_T5_T6_T7_T9_mT8_P12ihipStream_tbDpT10_ENKUlT_T0_E_clISt17integral_constantIbLb1EES1A_EEDaS15_S16_EUlS15_E_NS1_11comp_targetILNS1_3genE0ELNS1_11target_archE4294967295ELNS1_3gpuE0ELNS1_3repE0EEENS1_30default_config_static_selectorELNS0_4arch9wavefront6targetE1EEEvT1_
	.globl	_ZN7rocprim17ROCPRIM_400000_NS6detail17trampoline_kernelINS0_14default_configENS1_25partition_config_selectorILNS1_17partition_subalgoE8EjNS0_10empty_typeEbEEZZNS1_14partition_implILS5_8ELb0ES3_jN6thrust23THRUST_200600_302600_NS6detail15normal_iteratorINSA_10device_ptrIjEEEEPS6_PKS6_NS0_5tupleIJSF_S6_EEENSJ_IJSG_SG_EEENS0_18inequality_wrapperI22is_equal_div_10_uniqueIjEEEPmJS6_EEE10hipError_tPvRmT3_T4_T5_T6_T7_T9_mT8_P12ihipStream_tbDpT10_ENKUlT_T0_E_clISt17integral_constantIbLb1EES1A_EEDaS15_S16_EUlS15_E_NS1_11comp_targetILNS1_3genE0ELNS1_11target_archE4294967295ELNS1_3gpuE0ELNS1_3repE0EEENS1_30default_config_static_selectorELNS0_4arch9wavefront6targetE1EEEvT1_
	.p2align	8
	.type	_ZN7rocprim17ROCPRIM_400000_NS6detail17trampoline_kernelINS0_14default_configENS1_25partition_config_selectorILNS1_17partition_subalgoE8EjNS0_10empty_typeEbEEZZNS1_14partition_implILS5_8ELb0ES3_jN6thrust23THRUST_200600_302600_NS6detail15normal_iteratorINSA_10device_ptrIjEEEEPS6_PKS6_NS0_5tupleIJSF_S6_EEENSJ_IJSG_SG_EEENS0_18inequality_wrapperI22is_equal_div_10_uniqueIjEEEPmJS6_EEE10hipError_tPvRmT3_T4_T5_T6_T7_T9_mT8_P12ihipStream_tbDpT10_ENKUlT_T0_E_clISt17integral_constantIbLb1EES1A_EEDaS15_S16_EUlS15_E_NS1_11comp_targetILNS1_3genE0ELNS1_11target_archE4294967295ELNS1_3gpuE0ELNS1_3repE0EEENS1_30default_config_static_selectorELNS0_4arch9wavefront6targetE1EEEvT1_,@function
_ZN7rocprim17ROCPRIM_400000_NS6detail17trampoline_kernelINS0_14default_configENS1_25partition_config_selectorILNS1_17partition_subalgoE8EjNS0_10empty_typeEbEEZZNS1_14partition_implILS5_8ELb0ES3_jN6thrust23THRUST_200600_302600_NS6detail15normal_iteratorINSA_10device_ptrIjEEEEPS6_PKS6_NS0_5tupleIJSF_S6_EEENSJ_IJSG_SG_EEENS0_18inequality_wrapperI22is_equal_div_10_uniqueIjEEEPmJS6_EEE10hipError_tPvRmT3_T4_T5_T6_T7_T9_mT8_P12ihipStream_tbDpT10_ENKUlT_T0_E_clISt17integral_constantIbLb1EES1A_EEDaS15_S16_EUlS15_E_NS1_11comp_targetILNS1_3genE0ELNS1_11target_archE4294967295ELNS1_3gpuE0ELNS1_3repE0EEENS1_30default_config_static_selectorELNS0_4arch9wavefront6targetE1EEEvT1_: ; @_ZN7rocprim17ROCPRIM_400000_NS6detail17trampoline_kernelINS0_14default_configENS1_25partition_config_selectorILNS1_17partition_subalgoE8EjNS0_10empty_typeEbEEZZNS1_14partition_implILS5_8ELb0ES3_jN6thrust23THRUST_200600_302600_NS6detail15normal_iteratorINSA_10device_ptrIjEEEEPS6_PKS6_NS0_5tupleIJSF_S6_EEENSJ_IJSG_SG_EEENS0_18inequality_wrapperI22is_equal_div_10_uniqueIjEEEPmJS6_EEE10hipError_tPvRmT3_T4_T5_T6_T7_T9_mT8_P12ihipStream_tbDpT10_ENKUlT_T0_E_clISt17integral_constantIbLb1EES1A_EEDaS15_S16_EUlS15_E_NS1_11comp_targetILNS1_3genE0ELNS1_11target_archE4294967295ELNS1_3gpuE0ELNS1_3repE0EEENS1_30default_config_static_selectorELNS0_4arch9wavefront6targetE1EEEvT1_
; %bb.0:
	.section	.rodata,"a",@progbits
	.p2align	6, 0x0
	.amdhsa_kernel _ZN7rocprim17ROCPRIM_400000_NS6detail17trampoline_kernelINS0_14default_configENS1_25partition_config_selectorILNS1_17partition_subalgoE8EjNS0_10empty_typeEbEEZZNS1_14partition_implILS5_8ELb0ES3_jN6thrust23THRUST_200600_302600_NS6detail15normal_iteratorINSA_10device_ptrIjEEEEPS6_PKS6_NS0_5tupleIJSF_S6_EEENSJ_IJSG_SG_EEENS0_18inequality_wrapperI22is_equal_div_10_uniqueIjEEEPmJS6_EEE10hipError_tPvRmT3_T4_T5_T6_T7_T9_mT8_P12ihipStream_tbDpT10_ENKUlT_T0_E_clISt17integral_constantIbLb1EES1A_EEDaS15_S16_EUlS15_E_NS1_11comp_targetILNS1_3genE0ELNS1_11target_archE4294967295ELNS1_3gpuE0ELNS1_3repE0EEENS1_30default_config_static_selectorELNS0_4arch9wavefront6targetE1EEEvT1_
		.amdhsa_group_segment_fixed_size 0
		.amdhsa_private_segment_fixed_size 0
		.amdhsa_kernarg_size 128
		.amdhsa_user_sgpr_count 6
		.amdhsa_user_sgpr_private_segment_buffer 1
		.amdhsa_user_sgpr_dispatch_ptr 0
		.amdhsa_user_sgpr_queue_ptr 0
		.amdhsa_user_sgpr_kernarg_segment_ptr 1
		.amdhsa_user_sgpr_dispatch_id 0
		.amdhsa_user_sgpr_flat_scratch_init 0
		.amdhsa_user_sgpr_private_segment_size 0
		.amdhsa_uses_dynamic_stack 0
		.amdhsa_system_sgpr_private_segment_wavefront_offset 0
		.amdhsa_system_sgpr_workgroup_id_x 1
		.amdhsa_system_sgpr_workgroup_id_y 0
		.amdhsa_system_sgpr_workgroup_id_z 0
		.amdhsa_system_sgpr_workgroup_info 0
		.amdhsa_system_vgpr_workitem_id 0
		.amdhsa_next_free_vgpr 1
		.amdhsa_next_free_sgpr 0
		.amdhsa_reserve_vcc 0
		.amdhsa_reserve_flat_scratch 0
		.amdhsa_float_round_mode_32 0
		.amdhsa_float_round_mode_16_64 0
		.amdhsa_float_denorm_mode_32 3
		.amdhsa_float_denorm_mode_16_64 3
		.amdhsa_dx10_clamp 1
		.amdhsa_ieee_mode 1
		.amdhsa_fp16_overflow 0
		.amdhsa_exception_fp_ieee_invalid_op 0
		.amdhsa_exception_fp_denorm_src 0
		.amdhsa_exception_fp_ieee_div_zero 0
		.amdhsa_exception_fp_ieee_overflow 0
		.amdhsa_exception_fp_ieee_underflow 0
		.amdhsa_exception_fp_ieee_inexact 0
		.amdhsa_exception_int_div_zero 0
	.end_amdhsa_kernel
	.section	.text._ZN7rocprim17ROCPRIM_400000_NS6detail17trampoline_kernelINS0_14default_configENS1_25partition_config_selectorILNS1_17partition_subalgoE8EjNS0_10empty_typeEbEEZZNS1_14partition_implILS5_8ELb0ES3_jN6thrust23THRUST_200600_302600_NS6detail15normal_iteratorINSA_10device_ptrIjEEEEPS6_PKS6_NS0_5tupleIJSF_S6_EEENSJ_IJSG_SG_EEENS0_18inequality_wrapperI22is_equal_div_10_uniqueIjEEEPmJS6_EEE10hipError_tPvRmT3_T4_T5_T6_T7_T9_mT8_P12ihipStream_tbDpT10_ENKUlT_T0_E_clISt17integral_constantIbLb1EES1A_EEDaS15_S16_EUlS15_E_NS1_11comp_targetILNS1_3genE0ELNS1_11target_archE4294967295ELNS1_3gpuE0ELNS1_3repE0EEENS1_30default_config_static_selectorELNS0_4arch9wavefront6targetE1EEEvT1_,"axG",@progbits,_ZN7rocprim17ROCPRIM_400000_NS6detail17trampoline_kernelINS0_14default_configENS1_25partition_config_selectorILNS1_17partition_subalgoE8EjNS0_10empty_typeEbEEZZNS1_14partition_implILS5_8ELb0ES3_jN6thrust23THRUST_200600_302600_NS6detail15normal_iteratorINSA_10device_ptrIjEEEEPS6_PKS6_NS0_5tupleIJSF_S6_EEENSJ_IJSG_SG_EEENS0_18inequality_wrapperI22is_equal_div_10_uniqueIjEEEPmJS6_EEE10hipError_tPvRmT3_T4_T5_T6_T7_T9_mT8_P12ihipStream_tbDpT10_ENKUlT_T0_E_clISt17integral_constantIbLb1EES1A_EEDaS15_S16_EUlS15_E_NS1_11comp_targetILNS1_3genE0ELNS1_11target_archE4294967295ELNS1_3gpuE0ELNS1_3repE0EEENS1_30default_config_static_selectorELNS0_4arch9wavefront6targetE1EEEvT1_,comdat
.Lfunc_end250:
	.size	_ZN7rocprim17ROCPRIM_400000_NS6detail17trampoline_kernelINS0_14default_configENS1_25partition_config_selectorILNS1_17partition_subalgoE8EjNS0_10empty_typeEbEEZZNS1_14partition_implILS5_8ELb0ES3_jN6thrust23THRUST_200600_302600_NS6detail15normal_iteratorINSA_10device_ptrIjEEEEPS6_PKS6_NS0_5tupleIJSF_S6_EEENSJ_IJSG_SG_EEENS0_18inequality_wrapperI22is_equal_div_10_uniqueIjEEEPmJS6_EEE10hipError_tPvRmT3_T4_T5_T6_T7_T9_mT8_P12ihipStream_tbDpT10_ENKUlT_T0_E_clISt17integral_constantIbLb1EES1A_EEDaS15_S16_EUlS15_E_NS1_11comp_targetILNS1_3genE0ELNS1_11target_archE4294967295ELNS1_3gpuE0ELNS1_3repE0EEENS1_30default_config_static_selectorELNS0_4arch9wavefront6targetE1EEEvT1_, .Lfunc_end250-_ZN7rocprim17ROCPRIM_400000_NS6detail17trampoline_kernelINS0_14default_configENS1_25partition_config_selectorILNS1_17partition_subalgoE8EjNS0_10empty_typeEbEEZZNS1_14partition_implILS5_8ELb0ES3_jN6thrust23THRUST_200600_302600_NS6detail15normal_iteratorINSA_10device_ptrIjEEEEPS6_PKS6_NS0_5tupleIJSF_S6_EEENSJ_IJSG_SG_EEENS0_18inequality_wrapperI22is_equal_div_10_uniqueIjEEEPmJS6_EEE10hipError_tPvRmT3_T4_T5_T6_T7_T9_mT8_P12ihipStream_tbDpT10_ENKUlT_T0_E_clISt17integral_constantIbLb1EES1A_EEDaS15_S16_EUlS15_E_NS1_11comp_targetILNS1_3genE0ELNS1_11target_archE4294967295ELNS1_3gpuE0ELNS1_3repE0EEENS1_30default_config_static_selectorELNS0_4arch9wavefront6targetE1EEEvT1_
                                        ; -- End function
	.set _ZN7rocprim17ROCPRIM_400000_NS6detail17trampoline_kernelINS0_14default_configENS1_25partition_config_selectorILNS1_17partition_subalgoE8EjNS0_10empty_typeEbEEZZNS1_14partition_implILS5_8ELb0ES3_jN6thrust23THRUST_200600_302600_NS6detail15normal_iteratorINSA_10device_ptrIjEEEEPS6_PKS6_NS0_5tupleIJSF_S6_EEENSJ_IJSG_SG_EEENS0_18inequality_wrapperI22is_equal_div_10_uniqueIjEEEPmJS6_EEE10hipError_tPvRmT3_T4_T5_T6_T7_T9_mT8_P12ihipStream_tbDpT10_ENKUlT_T0_E_clISt17integral_constantIbLb1EES1A_EEDaS15_S16_EUlS15_E_NS1_11comp_targetILNS1_3genE0ELNS1_11target_archE4294967295ELNS1_3gpuE0ELNS1_3repE0EEENS1_30default_config_static_selectorELNS0_4arch9wavefront6targetE1EEEvT1_.num_vgpr, 0
	.set _ZN7rocprim17ROCPRIM_400000_NS6detail17trampoline_kernelINS0_14default_configENS1_25partition_config_selectorILNS1_17partition_subalgoE8EjNS0_10empty_typeEbEEZZNS1_14partition_implILS5_8ELb0ES3_jN6thrust23THRUST_200600_302600_NS6detail15normal_iteratorINSA_10device_ptrIjEEEEPS6_PKS6_NS0_5tupleIJSF_S6_EEENSJ_IJSG_SG_EEENS0_18inequality_wrapperI22is_equal_div_10_uniqueIjEEEPmJS6_EEE10hipError_tPvRmT3_T4_T5_T6_T7_T9_mT8_P12ihipStream_tbDpT10_ENKUlT_T0_E_clISt17integral_constantIbLb1EES1A_EEDaS15_S16_EUlS15_E_NS1_11comp_targetILNS1_3genE0ELNS1_11target_archE4294967295ELNS1_3gpuE0ELNS1_3repE0EEENS1_30default_config_static_selectorELNS0_4arch9wavefront6targetE1EEEvT1_.num_agpr, 0
	.set _ZN7rocprim17ROCPRIM_400000_NS6detail17trampoline_kernelINS0_14default_configENS1_25partition_config_selectorILNS1_17partition_subalgoE8EjNS0_10empty_typeEbEEZZNS1_14partition_implILS5_8ELb0ES3_jN6thrust23THRUST_200600_302600_NS6detail15normal_iteratorINSA_10device_ptrIjEEEEPS6_PKS6_NS0_5tupleIJSF_S6_EEENSJ_IJSG_SG_EEENS0_18inequality_wrapperI22is_equal_div_10_uniqueIjEEEPmJS6_EEE10hipError_tPvRmT3_T4_T5_T6_T7_T9_mT8_P12ihipStream_tbDpT10_ENKUlT_T0_E_clISt17integral_constantIbLb1EES1A_EEDaS15_S16_EUlS15_E_NS1_11comp_targetILNS1_3genE0ELNS1_11target_archE4294967295ELNS1_3gpuE0ELNS1_3repE0EEENS1_30default_config_static_selectorELNS0_4arch9wavefront6targetE1EEEvT1_.numbered_sgpr, 0
	.set _ZN7rocprim17ROCPRIM_400000_NS6detail17trampoline_kernelINS0_14default_configENS1_25partition_config_selectorILNS1_17partition_subalgoE8EjNS0_10empty_typeEbEEZZNS1_14partition_implILS5_8ELb0ES3_jN6thrust23THRUST_200600_302600_NS6detail15normal_iteratorINSA_10device_ptrIjEEEEPS6_PKS6_NS0_5tupleIJSF_S6_EEENSJ_IJSG_SG_EEENS0_18inequality_wrapperI22is_equal_div_10_uniqueIjEEEPmJS6_EEE10hipError_tPvRmT3_T4_T5_T6_T7_T9_mT8_P12ihipStream_tbDpT10_ENKUlT_T0_E_clISt17integral_constantIbLb1EES1A_EEDaS15_S16_EUlS15_E_NS1_11comp_targetILNS1_3genE0ELNS1_11target_archE4294967295ELNS1_3gpuE0ELNS1_3repE0EEENS1_30default_config_static_selectorELNS0_4arch9wavefront6targetE1EEEvT1_.num_named_barrier, 0
	.set _ZN7rocprim17ROCPRIM_400000_NS6detail17trampoline_kernelINS0_14default_configENS1_25partition_config_selectorILNS1_17partition_subalgoE8EjNS0_10empty_typeEbEEZZNS1_14partition_implILS5_8ELb0ES3_jN6thrust23THRUST_200600_302600_NS6detail15normal_iteratorINSA_10device_ptrIjEEEEPS6_PKS6_NS0_5tupleIJSF_S6_EEENSJ_IJSG_SG_EEENS0_18inequality_wrapperI22is_equal_div_10_uniqueIjEEEPmJS6_EEE10hipError_tPvRmT3_T4_T5_T6_T7_T9_mT8_P12ihipStream_tbDpT10_ENKUlT_T0_E_clISt17integral_constantIbLb1EES1A_EEDaS15_S16_EUlS15_E_NS1_11comp_targetILNS1_3genE0ELNS1_11target_archE4294967295ELNS1_3gpuE0ELNS1_3repE0EEENS1_30default_config_static_selectorELNS0_4arch9wavefront6targetE1EEEvT1_.private_seg_size, 0
	.set _ZN7rocprim17ROCPRIM_400000_NS6detail17trampoline_kernelINS0_14default_configENS1_25partition_config_selectorILNS1_17partition_subalgoE8EjNS0_10empty_typeEbEEZZNS1_14partition_implILS5_8ELb0ES3_jN6thrust23THRUST_200600_302600_NS6detail15normal_iteratorINSA_10device_ptrIjEEEEPS6_PKS6_NS0_5tupleIJSF_S6_EEENSJ_IJSG_SG_EEENS0_18inequality_wrapperI22is_equal_div_10_uniqueIjEEEPmJS6_EEE10hipError_tPvRmT3_T4_T5_T6_T7_T9_mT8_P12ihipStream_tbDpT10_ENKUlT_T0_E_clISt17integral_constantIbLb1EES1A_EEDaS15_S16_EUlS15_E_NS1_11comp_targetILNS1_3genE0ELNS1_11target_archE4294967295ELNS1_3gpuE0ELNS1_3repE0EEENS1_30default_config_static_selectorELNS0_4arch9wavefront6targetE1EEEvT1_.uses_vcc, 0
	.set _ZN7rocprim17ROCPRIM_400000_NS6detail17trampoline_kernelINS0_14default_configENS1_25partition_config_selectorILNS1_17partition_subalgoE8EjNS0_10empty_typeEbEEZZNS1_14partition_implILS5_8ELb0ES3_jN6thrust23THRUST_200600_302600_NS6detail15normal_iteratorINSA_10device_ptrIjEEEEPS6_PKS6_NS0_5tupleIJSF_S6_EEENSJ_IJSG_SG_EEENS0_18inequality_wrapperI22is_equal_div_10_uniqueIjEEEPmJS6_EEE10hipError_tPvRmT3_T4_T5_T6_T7_T9_mT8_P12ihipStream_tbDpT10_ENKUlT_T0_E_clISt17integral_constantIbLb1EES1A_EEDaS15_S16_EUlS15_E_NS1_11comp_targetILNS1_3genE0ELNS1_11target_archE4294967295ELNS1_3gpuE0ELNS1_3repE0EEENS1_30default_config_static_selectorELNS0_4arch9wavefront6targetE1EEEvT1_.uses_flat_scratch, 0
	.set _ZN7rocprim17ROCPRIM_400000_NS6detail17trampoline_kernelINS0_14default_configENS1_25partition_config_selectorILNS1_17partition_subalgoE8EjNS0_10empty_typeEbEEZZNS1_14partition_implILS5_8ELb0ES3_jN6thrust23THRUST_200600_302600_NS6detail15normal_iteratorINSA_10device_ptrIjEEEEPS6_PKS6_NS0_5tupleIJSF_S6_EEENSJ_IJSG_SG_EEENS0_18inequality_wrapperI22is_equal_div_10_uniqueIjEEEPmJS6_EEE10hipError_tPvRmT3_T4_T5_T6_T7_T9_mT8_P12ihipStream_tbDpT10_ENKUlT_T0_E_clISt17integral_constantIbLb1EES1A_EEDaS15_S16_EUlS15_E_NS1_11comp_targetILNS1_3genE0ELNS1_11target_archE4294967295ELNS1_3gpuE0ELNS1_3repE0EEENS1_30default_config_static_selectorELNS0_4arch9wavefront6targetE1EEEvT1_.has_dyn_sized_stack, 0
	.set _ZN7rocprim17ROCPRIM_400000_NS6detail17trampoline_kernelINS0_14default_configENS1_25partition_config_selectorILNS1_17partition_subalgoE8EjNS0_10empty_typeEbEEZZNS1_14partition_implILS5_8ELb0ES3_jN6thrust23THRUST_200600_302600_NS6detail15normal_iteratorINSA_10device_ptrIjEEEEPS6_PKS6_NS0_5tupleIJSF_S6_EEENSJ_IJSG_SG_EEENS0_18inequality_wrapperI22is_equal_div_10_uniqueIjEEEPmJS6_EEE10hipError_tPvRmT3_T4_T5_T6_T7_T9_mT8_P12ihipStream_tbDpT10_ENKUlT_T0_E_clISt17integral_constantIbLb1EES1A_EEDaS15_S16_EUlS15_E_NS1_11comp_targetILNS1_3genE0ELNS1_11target_archE4294967295ELNS1_3gpuE0ELNS1_3repE0EEENS1_30default_config_static_selectorELNS0_4arch9wavefront6targetE1EEEvT1_.has_recursion, 0
	.set _ZN7rocprim17ROCPRIM_400000_NS6detail17trampoline_kernelINS0_14default_configENS1_25partition_config_selectorILNS1_17partition_subalgoE8EjNS0_10empty_typeEbEEZZNS1_14partition_implILS5_8ELb0ES3_jN6thrust23THRUST_200600_302600_NS6detail15normal_iteratorINSA_10device_ptrIjEEEEPS6_PKS6_NS0_5tupleIJSF_S6_EEENSJ_IJSG_SG_EEENS0_18inequality_wrapperI22is_equal_div_10_uniqueIjEEEPmJS6_EEE10hipError_tPvRmT3_T4_T5_T6_T7_T9_mT8_P12ihipStream_tbDpT10_ENKUlT_T0_E_clISt17integral_constantIbLb1EES1A_EEDaS15_S16_EUlS15_E_NS1_11comp_targetILNS1_3genE0ELNS1_11target_archE4294967295ELNS1_3gpuE0ELNS1_3repE0EEENS1_30default_config_static_selectorELNS0_4arch9wavefront6targetE1EEEvT1_.has_indirect_call, 0
	.section	.AMDGPU.csdata,"",@progbits
; Kernel info:
; codeLenInByte = 0
; TotalNumSgprs: 4
; NumVgprs: 0
; ScratchSize: 0
; MemoryBound: 0
; FloatMode: 240
; IeeeMode: 1
; LDSByteSize: 0 bytes/workgroup (compile time only)
; SGPRBlocks: 0
; VGPRBlocks: 0
; NumSGPRsForWavesPerEU: 4
; NumVGPRsForWavesPerEU: 1
; Occupancy: 10
; WaveLimiterHint : 0
; COMPUTE_PGM_RSRC2:SCRATCH_EN: 0
; COMPUTE_PGM_RSRC2:USER_SGPR: 6
; COMPUTE_PGM_RSRC2:TRAP_HANDLER: 0
; COMPUTE_PGM_RSRC2:TGID_X_EN: 1
; COMPUTE_PGM_RSRC2:TGID_Y_EN: 0
; COMPUTE_PGM_RSRC2:TGID_Z_EN: 0
; COMPUTE_PGM_RSRC2:TIDIG_COMP_CNT: 0
	.section	.text._ZN7rocprim17ROCPRIM_400000_NS6detail17trampoline_kernelINS0_14default_configENS1_25partition_config_selectorILNS1_17partition_subalgoE8EjNS0_10empty_typeEbEEZZNS1_14partition_implILS5_8ELb0ES3_jN6thrust23THRUST_200600_302600_NS6detail15normal_iteratorINSA_10device_ptrIjEEEEPS6_PKS6_NS0_5tupleIJSF_S6_EEENSJ_IJSG_SG_EEENS0_18inequality_wrapperI22is_equal_div_10_uniqueIjEEEPmJS6_EEE10hipError_tPvRmT3_T4_T5_T6_T7_T9_mT8_P12ihipStream_tbDpT10_ENKUlT_T0_E_clISt17integral_constantIbLb1EES1A_EEDaS15_S16_EUlS15_E_NS1_11comp_targetILNS1_3genE5ELNS1_11target_archE942ELNS1_3gpuE9ELNS1_3repE0EEENS1_30default_config_static_selectorELNS0_4arch9wavefront6targetE1EEEvT1_,"axG",@progbits,_ZN7rocprim17ROCPRIM_400000_NS6detail17trampoline_kernelINS0_14default_configENS1_25partition_config_selectorILNS1_17partition_subalgoE8EjNS0_10empty_typeEbEEZZNS1_14partition_implILS5_8ELb0ES3_jN6thrust23THRUST_200600_302600_NS6detail15normal_iteratorINSA_10device_ptrIjEEEEPS6_PKS6_NS0_5tupleIJSF_S6_EEENSJ_IJSG_SG_EEENS0_18inequality_wrapperI22is_equal_div_10_uniqueIjEEEPmJS6_EEE10hipError_tPvRmT3_T4_T5_T6_T7_T9_mT8_P12ihipStream_tbDpT10_ENKUlT_T0_E_clISt17integral_constantIbLb1EES1A_EEDaS15_S16_EUlS15_E_NS1_11comp_targetILNS1_3genE5ELNS1_11target_archE942ELNS1_3gpuE9ELNS1_3repE0EEENS1_30default_config_static_selectorELNS0_4arch9wavefront6targetE1EEEvT1_,comdat
	.protected	_ZN7rocprim17ROCPRIM_400000_NS6detail17trampoline_kernelINS0_14default_configENS1_25partition_config_selectorILNS1_17partition_subalgoE8EjNS0_10empty_typeEbEEZZNS1_14partition_implILS5_8ELb0ES3_jN6thrust23THRUST_200600_302600_NS6detail15normal_iteratorINSA_10device_ptrIjEEEEPS6_PKS6_NS0_5tupleIJSF_S6_EEENSJ_IJSG_SG_EEENS0_18inequality_wrapperI22is_equal_div_10_uniqueIjEEEPmJS6_EEE10hipError_tPvRmT3_T4_T5_T6_T7_T9_mT8_P12ihipStream_tbDpT10_ENKUlT_T0_E_clISt17integral_constantIbLb1EES1A_EEDaS15_S16_EUlS15_E_NS1_11comp_targetILNS1_3genE5ELNS1_11target_archE942ELNS1_3gpuE9ELNS1_3repE0EEENS1_30default_config_static_selectorELNS0_4arch9wavefront6targetE1EEEvT1_ ; -- Begin function _ZN7rocprim17ROCPRIM_400000_NS6detail17trampoline_kernelINS0_14default_configENS1_25partition_config_selectorILNS1_17partition_subalgoE8EjNS0_10empty_typeEbEEZZNS1_14partition_implILS5_8ELb0ES3_jN6thrust23THRUST_200600_302600_NS6detail15normal_iteratorINSA_10device_ptrIjEEEEPS6_PKS6_NS0_5tupleIJSF_S6_EEENSJ_IJSG_SG_EEENS0_18inequality_wrapperI22is_equal_div_10_uniqueIjEEEPmJS6_EEE10hipError_tPvRmT3_T4_T5_T6_T7_T9_mT8_P12ihipStream_tbDpT10_ENKUlT_T0_E_clISt17integral_constantIbLb1EES1A_EEDaS15_S16_EUlS15_E_NS1_11comp_targetILNS1_3genE5ELNS1_11target_archE942ELNS1_3gpuE9ELNS1_3repE0EEENS1_30default_config_static_selectorELNS0_4arch9wavefront6targetE1EEEvT1_
	.globl	_ZN7rocprim17ROCPRIM_400000_NS6detail17trampoline_kernelINS0_14default_configENS1_25partition_config_selectorILNS1_17partition_subalgoE8EjNS0_10empty_typeEbEEZZNS1_14partition_implILS5_8ELb0ES3_jN6thrust23THRUST_200600_302600_NS6detail15normal_iteratorINSA_10device_ptrIjEEEEPS6_PKS6_NS0_5tupleIJSF_S6_EEENSJ_IJSG_SG_EEENS0_18inequality_wrapperI22is_equal_div_10_uniqueIjEEEPmJS6_EEE10hipError_tPvRmT3_T4_T5_T6_T7_T9_mT8_P12ihipStream_tbDpT10_ENKUlT_T0_E_clISt17integral_constantIbLb1EES1A_EEDaS15_S16_EUlS15_E_NS1_11comp_targetILNS1_3genE5ELNS1_11target_archE942ELNS1_3gpuE9ELNS1_3repE0EEENS1_30default_config_static_selectorELNS0_4arch9wavefront6targetE1EEEvT1_
	.p2align	8
	.type	_ZN7rocprim17ROCPRIM_400000_NS6detail17trampoline_kernelINS0_14default_configENS1_25partition_config_selectorILNS1_17partition_subalgoE8EjNS0_10empty_typeEbEEZZNS1_14partition_implILS5_8ELb0ES3_jN6thrust23THRUST_200600_302600_NS6detail15normal_iteratorINSA_10device_ptrIjEEEEPS6_PKS6_NS0_5tupleIJSF_S6_EEENSJ_IJSG_SG_EEENS0_18inequality_wrapperI22is_equal_div_10_uniqueIjEEEPmJS6_EEE10hipError_tPvRmT3_T4_T5_T6_T7_T9_mT8_P12ihipStream_tbDpT10_ENKUlT_T0_E_clISt17integral_constantIbLb1EES1A_EEDaS15_S16_EUlS15_E_NS1_11comp_targetILNS1_3genE5ELNS1_11target_archE942ELNS1_3gpuE9ELNS1_3repE0EEENS1_30default_config_static_selectorELNS0_4arch9wavefront6targetE1EEEvT1_,@function
_ZN7rocprim17ROCPRIM_400000_NS6detail17trampoline_kernelINS0_14default_configENS1_25partition_config_selectorILNS1_17partition_subalgoE8EjNS0_10empty_typeEbEEZZNS1_14partition_implILS5_8ELb0ES3_jN6thrust23THRUST_200600_302600_NS6detail15normal_iteratorINSA_10device_ptrIjEEEEPS6_PKS6_NS0_5tupleIJSF_S6_EEENSJ_IJSG_SG_EEENS0_18inequality_wrapperI22is_equal_div_10_uniqueIjEEEPmJS6_EEE10hipError_tPvRmT3_T4_T5_T6_T7_T9_mT8_P12ihipStream_tbDpT10_ENKUlT_T0_E_clISt17integral_constantIbLb1EES1A_EEDaS15_S16_EUlS15_E_NS1_11comp_targetILNS1_3genE5ELNS1_11target_archE942ELNS1_3gpuE9ELNS1_3repE0EEENS1_30default_config_static_selectorELNS0_4arch9wavefront6targetE1EEEvT1_: ; @_ZN7rocprim17ROCPRIM_400000_NS6detail17trampoline_kernelINS0_14default_configENS1_25partition_config_selectorILNS1_17partition_subalgoE8EjNS0_10empty_typeEbEEZZNS1_14partition_implILS5_8ELb0ES3_jN6thrust23THRUST_200600_302600_NS6detail15normal_iteratorINSA_10device_ptrIjEEEEPS6_PKS6_NS0_5tupleIJSF_S6_EEENSJ_IJSG_SG_EEENS0_18inequality_wrapperI22is_equal_div_10_uniqueIjEEEPmJS6_EEE10hipError_tPvRmT3_T4_T5_T6_T7_T9_mT8_P12ihipStream_tbDpT10_ENKUlT_T0_E_clISt17integral_constantIbLb1EES1A_EEDaS15_S16_EUlS15_E_NS1_11comp_targetILNS1_3genE5ELNS1_11target_archE942ELNS1_3gpuE9ELNS1_3repE0EEENS1_30default_config_static_selectorELNS0_4arch9wavefront6targetE1EEEvT1_
; %bb.0:
	.section	.rodata,"a",@progbits
	.p2align	6, 0x0
	.amdhsa_kernel _ZN7rocprim17ROCPRIM_400000_NS6detail17trampoline_kernelINS0_14default_configENS1_25partition_config_selectorILNS1_17partition_subalgoE8EjNS0_10empty_typeEbEEZZNS1_14partition_implILS5_8ELb0ES3_jN6thrust23THRUST_200600_302600_NS6detail15normal_iteratorINSA_10device_ptrIjEEEEPS6_PKS6_NS0_5tupleIJSF_S6_EEENSJ_IJSG_SG_EEENS0_18inequality_wrapperI22is_equal_div_10_uniqueIjEEEPmJS6_EEE10hipError_tPvRmT3_T4_T5_T6_T7_T9_mT8_P12ihipStream_tbDpT10_ENKUlT_T0_E_clISt17integral_constantIbLb1EES1A_EEDaS15_S16_EUlS15_E_NS1_11comp_targetILNS1_3genE5ELNS1_11target_archE942ELNS1_3gpuE9ELNS1_3repE0EEENS1_30default_config_static_selectorELNS0_4arch9wavefront6targetE1EEEvT1_
		.amdhsa_group_segment_fixed_size 0
		.amdhsa_private_segment_fixed_size 0
		.amdhsa_kernarg_size 128
		.amdhsa_user_sgpr_count 6
		.amdhsa_user_sgpr_private_segment_buffer 1
		.amdhsa_user_sgpr_dispatch_ptr 0
		.amdhsa_user_sgpr_queue_ptr 0
		.amdhsa_user_sgpr_kernarg_segment_ptr 1
		.amdhsa_user_sgpr_dispatch_id 0
		.amdhsa_user_sgpr_flat_scratch_init 0
		.amdhsa_user_sgpr_private_segment_size 0
		.amdhsa_uses_dynamic_stack 0
		.amdhsa_system_sgpr_private_segment_wavefront_offset 0
		.amdhsa_system_sgpr_workgroup_id_x 1
		.amdhsa_system_sgpr_workgroup_id_y 0
		.amdhsa_system_sgpr_workgroup_id_z 0
		.amdhsa_system_sgpr_workgroup_info 0
		.amdhsa_system_vgpr_workitem_id 0
		.amdhsa_next_free_vgpr 1
		.amdhsa_next_free_sgpr 0
		.amdhsa_reserve_vcc 0
		.amdhsa_reserve_flat_scratch 0
		.amdhsa_float_round_mode_32 0
		.amdhsa_float_round_mode_16_64 0
		.amdhsa_float_denorm_mode_32 3
		.amdhsa_float_denorm_mode_16_64 3
		.amdhsa_dx10_clamp 1
		.amdhsa_ieee_mode 1
		.amdhsa_fp16_overflow 0
		.amdhsa_exception_fp_ieee_invalid_op 0
		.amdhsa_exception_fp_denorm_src 0
		.amdhsa_exception_fp_ieee_div_zero 0
		.amdhsa_exception_fp_ieee_overflow 0
		.amdhsa_exception_fp_ieee_underflow 0
		.amdhsa_exception_fp_ieee_inexact 0
		.amdhsa_exception_int_div_zero 0
	.end_amdhsa_kernel
	.section	.text._ZN7rocprim17ROCPRIM_400000_NS6detail17trampoline_kernelINS0_14default_configENS1_25partition_config_selectorILNS1_17partition_subalgoE8EjNS0_10empty_typeEbEEZZNS1_14partition_implILS5_8ELb0ES3_jN6thrust23THRUST_200600_302600_NS6detail15normal_iteratorINSA_10device_ptrIjEEEEPS6_PKS6_NS0_5tupleIJSF_S6_EEENSJ_IJSG_SG_EEENS0_18inequality_wrapperI22is_equal_div_10_uniqueIjEEEPmJS6_EEE10hipError_tPvRmT3_T4_T5_T6_T7_T9_mT8_P12ihipStream_tbDpT10_ENKUlT_T0_E_clISt17integral_constantIbLb1EES1A_EEDaS15_S16_EUlS15_E_NS1_11comp_targetILNS1_3genE5ELNS1_11target_archE942ELNS1_3gpuE9ELNS1_3repE0EEENS1_30default_config_static_selectorELNS0_4arch9wavefront6targetE1EEEvT1_,"axG",@progbits,_ZN7rocprim17ROCPRIM_400000_NS6detail17trampoline_kernelINS0_14default_configENS1_25partition_config_selectorILNS1_17partition_subalgoE8EjNS0_10empty_typeEbEEZZNS1_14partition_implILS5_8ELb0ES3_jN6thrust23THRUST_200600_302600_NS6detail15normal_iteratorINSA_10device_ptrIjEEEEPS6_PKS6_NS0_5tupleIJSF_S6_EEENSJ_IJSG_SG_EEENS0_18inequality_wrapperI22is_equal_div_10_uniqueIjEEEPmJS6_EEE10hipError_tPvRmT3_T4_T5_T6_T7_T9_mT8_P12ihipStream_tbDpT10_ENKUlT_T0_E_clISt17integral_constantIbLb1EES1A_EEDaS15_S16_EUlS15_E_NS1_11comp_targetILNS1_3genE5ELNS1_11target_archE942ELNS1_3gpuE9ELNS1_3repE0EEENS1_30default_config_static_selectorELNS0_4arch9wavefront6targetE1EEEvT1_,comdat
.Lfunc_end251:
	.size	_ZN7rocprim17ROCPRIM_400000_NS6detail17trampoline_kernelINS0_14default_configENS1_25partition_config_selectorILNS1_17partition_subalgoE8EjNS0_10empty_typeEbEEZZNS1_14partition_implILS5_8ELb0ES3_jN6thrust23THRUST_200600_302600_NS6detail15normal_iteratorINSA_10device_ptrIjEEEEPS6_PKS6_NS0_5tupleIJSF_S6_EEENSJ_IJSG_SG_EEENS0_18inequality_wrapperI22is_equal_div_10_uniqueIjEEEPmJS6_EEE10hipError_tPvRmT3_T4_T5_T6_T7_T9_mT8_P12ihipStream_tbDpT10_ENKUlT_T0_E_clISt17integral_constantIbLb1EES1A_EEDaS15_S16_EUlS15_E_NS1_11comp_targetILNS1_3genE5ELNS1_11target_archE942ELNS1_3gpuE9ELNS1_3repE0EEENS1_30default_config_static_selectorELNS0_4arch9wavefront6targetE1EEEvT1_, .Lfunc_end251-_ZN7rocprim17ROCPRIM_400000_NS6detail17trampoline_kernelINS0_14default_configENS1_25partition_config_selectorILNS1_17partition_subalgoE8EjNS0_10empty_typeEbEEZZNS1_14partition_implILS5_8ELb0ES3_jN6thrust23THRUST_200600_302600_NS6detail15normal_iteratorINSA_10device_ptrIjEEEEPS6_PKS6_NS0_5tupleIJSF_S6_EEENSJ_IJSG_SG_EEENS0_18inequality_wrapperI22is_equal_div_10_uniqueIjEEEPmJS6_EEE10hipError_tPvRmT3_T4_T5_T6_T7_T9_mT8_P12ihipStream_tbDpT10_ENKUlT_T0_E_clISt17integral_constantIbLb1EES1A_EEDaS15_S16_EUlS15_E_NS1_11comp_targetILNS1_3genE5ELNS1_11target_archE942ELNS1_3gpuE9ELNS1_3repE0EEENS1_30default_config_static_selectorELNS0_4arch9wavefront6targetE1EEEvT1_
                                        ; -- End function
	.set _ZN7rocprim17ROCPRIM_400000_NS6detail17trampoline_kernelINS0_14default_configENS1_25partition_config_selectorILNS1_17partition_subalgoE8EjNS0_10empty_typeEbEEZZNS1_14partition_implILS5_8ELb0ES3_jN6thrust23THRUST_200600_302600_NS6detail15normal_iteratorINSA_10device_ptrIjEEEEPS6_PKS6_NS0_5tupleIJSF_S6_EEENSJ_IJSG_SG_EEENS0_18inequality_wrapperI22is_equal_div_10_uniqueIjEEEPmJS6_EEE10hipError_tPvRmT3_T4_T5_T6_T7_T9_mT8_P12ihipStream_tbDpT10_ENKUlT_T0_E_clISt17integral_constantIbLb1EES1A_EEDaS15_S16_EUlS15_E_NS1_11comp_targetILNS1_3genE5ELNS1_11target_archE942ELNS1_3gpuE9ELNS1_3repE0EEENS1_30default_config_static_selectorELNS0_4arch9wavefront6targetE1EEEvT1_.num_vgpr, 0
	.set _ZN7rocprim17ROCPRIM_400000_NS6detail17trampoline_kernelINS0_14default_configENS1_25partition_config_selectorILNS1_17partition_subalgoE8EjNS0_10empty_typeEbEEZZNS1_14partition_implILS5_8ELb0ES3_jN6thrust23THRUST_200600_302600_NS6detail15normal_iteratorINSA_10device_ptrIjEEEEPS6_PKS6_NS0_5tupleIJSF_S6_EEENSJ_IJSG_SG_EEENS0_18inequality_wrapperI22is_equal_div_10_uniqueIjEEEPmJS6_EEE10hipError_tPvRmT3_T4_T5_T6_T7_T9_mT8_P12ihipStream_tbDpT10_ENKUlT_T0_E_clISt17integral_constantIbLb1EES1A_EEDaS15_S16_EUlS15_E_NS1_11comp_targetILNS1_3genE5ELNS1_11target_archE942ELNS1_3gpuE9ELNS1_3repE0EEENS1_30default_config_static_selectorELNS0_4arch9wavefront6targetE1EEEvT1_.num_agpr, 0
	.set _ZN7rocprim17ROCPRIM_400000_NS6detail17trampoline_kernelINS0_14default_configENS1_25partition_config_selectorILNS1_17partition_subalgoE8EjNS0_10empty_typeEbEEZZNS1_14partition_implILS5_8ELb0ES3_jN6thrust23THRUST_200600_302600_NS6detail15normal_iteratorINSA_10device_ptrIjEEEEPS6_PKS6_NS0_5tupleIJSF_S6_EEENSJ_IJSG_SG_EEENS0_18inequality_wrapperI22is_equal_div_10_uniqueIjEEEPmJS6_EEE10hipError_tPvRmT3_T4_T5_T6_T7_T9_mT8_P12ihipStream_tbDpT10_ENKUlT_T0_E_clISt17integral_constantIbLb1EES1A_EEDaS15_S16_EUlS15_E_NS1_11comp_targetILNS1_3genE5ELNS1_11target_archE942ELNS1_3gpuE9ELNS1_3repE0EEENS1_30default_config_static_selectorELNS0_4arch9wavefront6targetE1EEEvT1_.numbered_sgpr, 0
	.set _ZN7rocprim17ROCPRIM_400000_NS6detail17trampoline_kernelINS0_14default_configENS1_25partition_config_selectorILNS1_17partition_subalgoE8EjNS0_10empty_typeEbEEZZNS1_14partition_implILS5_8ELb0ES3_jN6thrust23THRUST_200600_302600_NS6detail15normal_iteratorINSA_10device_ptrIjEEEEPS6_PKS6_NS0_5tupleIJSF_S6_EEENSJ_IJSG_SG_EEENS0_18inequality_wrapperI22is_equal_div_10_uniqueIjEEEPmJS6_EEE10hipError_tPvRmT3_T4_T5_T6_T7_T9_mT8_P12ihipStream_tbDpT10_ENKUlT_T0_E_clISt17integral_constantIbLb1EES1A_EEDaS15_S16_EUlS15_E_NS1_11comp_targetILNS1_3genE5ELNS1_11target_archE942ELNS1_3gpuE9ELNS1_3repE0EEENS1_30default_config_static_selectorELNS0_4arch9wavefront6targetE1EEEvT1_.num_named_barrier, 0
	.set _ZN7rocprim17ROCPRIM_400000_NS6detail17trampoline_kernelINS0_14default_configENS1_25partition_config_selectorILNS1_17partition_subalgoE8EjNS0_10empty_typeEbEEZZNS1_14partition_implILS5_8ELb0ES3_jN6thrust23THRUST_200600_302600_NS6detail15normal_iteratorINSA_10device_ptrIjEEEEPS6_PKS6_NS0_5tupleIJSF_S6_EEENSJ_IJSG_SG_EEENS0_18inequality_wrapperI22is_equal_div_10_uniqueIjEEEPmJS6_EEE10hipError_tPvRmT3_T4_T5_T6_T7_T9_mT8_P12ihipStream_tbDpT10_ENKUlT_T0_E_clISt17integral_constantIbLb1EES1A_EEDaS15_S16_EUlS15_E_NS1_11comp_targetILNS1_3genE5ELNS1_11target_archE942ELNS1_3gpuE9ELNS1_3repE0EEENS1_30default_config_static_selectorELNS0_4arch9wavefront6targetE1EEEvT1_.private_seg_size, 0
	.set _ZN7rocprim17ROCPRIM_400000_NS6detail17trampoline_kernelINS0_14default_configENS1_25partition_config_selectorILNS1_17partition_subalgoE8EjNS0_10empty_typeEbEEZZNS1_14partition_implILS5_8ELb0ES3_jN6thrust23THRUST_200600_302600_NS6detail15normal_iteratorINSA_10device_ptrIjEEEEPS6_PKS6_NS0_5tupleIJSF_S6_EEENSJ_IJSG_SG_EEENS0_18inequality_wrapperI22is_equal_div_10_uniqueIjEEEPmJS6_EEE10hipError_tPvRmT3_T4_T5_T6_T7_T9_mT8_P12ihipStream_tbDpT10_ENKUlT_T0_E_clISt17integral_constantIbLb1EES1A_EEDaS15_S16_EUlS15_E_NS1_11comp_targetILNS1_3genE5ELNS1_11target_archE942ELNS1_3gpuE9ELNS1_3repE0EEENS1_30default_config_static_selectorELNS0_4arch9wavefront6targetE1EEEvT1_.uses_vcc, 0
	.set _ZN7rocprim17ROCPRIM_400000_NS6detail17trampoline_kernelINS0_14default_configENS1_25partition_config_selectorILNS1_17partition_subalgoE8EjNS0_10empty_typeEbEEZZNS1_14partition_implILS5_8ELb0ES3_jN6thrust23THRUST_200600_302600_NS6detail15normal_iteratorINSA_10device_ptrIjEEEEPS6_PKS6_NS0_5tupleIJSF_S6_EEENSJ_IJSG_SG_EEENS0_18inequality_wrapperI22is_equal_div_10_uniqueIjEEEPmJS6_EEE10hipError_tPvRmT3_T4_T5_T6_T7_T9_mT8_P12ihipStream_tbDpT10_ENKUlT_T0_E_clISt17integral_constantIbLb1EES1A_EEDaS15_S16_EUlS15_E_NS1_11comp_targetILNS1_3genE5ELNS1_11target_archE942ELNS1_3gpuE9ELNS1_3repE0EEENS1_30default_config_static_selectorELNS0_4arch9wavefront6targetE1EEEvT1_.uses_flat_scratch, 0
	.set _ZN7rocprim17ROCPRIM_400000_NS6detail17trampoline_kernelINS0_14default_configENS1_25partition_config_selectorILNS1_17partition_subalgoE8EjNS0_10empty_typeEbEEZZNS1_14partition_implILS5_8ELb0ES3_jN6thrust23THRUST_200600_302600_NS6detail15normal_iteratorINSA_10device_ptrIjEEEEPS6_PKS6_NS0_5tupleIJSF_S6_EEENSJ_IJSG_SG_EEENS0_18inequality_wrapperI22is_equal_div_10_uniqueIjEEEPmJS6_EEE10hipError_tPvRmT3_T4_T5_T6_T7_T9_mT8_P12ihipStream_tbDpT10_ENKUlT_T0_E_clISt17integral_constantIbLb1EES1A_EEDaS15_S16_EUlS15_E_NS1_11comp_targetILNS1_3genE5ELNS1_11target_archE942ELNS1_3gpuE9ELNS1_3repE0EEENS1_30default_config_static_selectorELNS0_4arch9wavefront6targetE1EEEvT1_.has_dyn_sized_stack, 0
	.set _ZN7rocprim17ROCPRIM_400000_NS6detail17trampoline_kernelINS0_14default_configENS1_25partition_config_selectorILNS1_17partition_subalgoE8EjNS0_10empty_typeEbEEZZNS1_14partition_implILS5_8ELb0ES3_jN6thrust23THRUST_200600_302600_NS6detail15normal_iteratorINSA_10device_ptrIjEEEEPS6_PKS6_NS0_5tupleIJSF_S6_EEENSJ_IJSG_SG_EEENS0_18inequality_wrapperI22is_equal_div_10_uniqueIjEEEPmJS6_EEE10hipError_tPvRmT3_T4_T5_T6_T7_T9_mT8_P12ihipStream_tbDpT10_ENKUlT_T0_E_clISt17integral_constantIbLb1EES1A_EEDaS15_S16_EUlS15_E_NS1_11comp_targetILNS1_3genE5ELNS1_11target_archE942ELNS1_3gpuE9ELNS1_3repE0EEENS1_30default_config_static_selectorELNS0_4arch9wavefront6targetE1EEEvT1_.has_recursion, 0
	.set _ZN7rocprim17ROCPRIM_400000_NS6detail17trampoline_kernelINS0_14default_configENS1_25partition_config_selectorILNS1_17partition_subalgoE8EjNS0_10empty_typeEbEEZZNS1_14partition_implILS5_8ELb0ES3_jN6thrust23THRUST_200600_302600_NS6detail15normal_iteratorINSA_10device_ptrIjEEEEPS6_PKS6_NS0_5tupleIJSF_S6_EEENSJ_IJSG_SG_EEENS0_18inequality_wrapperI22is_equal_div_10_uniqueIjEEEPmJS6_EEE10hipError_tPvRmT3_T4_T5_T6_T7_T9_mT8_P12ihipStream_tbDpT10_ENKUlT_T0_E_clISt17integral_constantIbLb1EES1A_EEDaS15_S16_EUlS15_E_NS1_11comp_targetILNS1_3genE5ELNS1_11target_archE942ELNS1_3gpuE9ELNS1_3repE0EEENS1_30default_config_static_selectorELNS0_4arch9wavefront6targetE1EEEvT1_.has_indirect_call, 0
	.section	.AMDGPU.csdata,"",@progbits
; Kernel info:
; codeLenInByte = 0
; TotalNumSgprs: 4
; NumVgprs: 0
; ScratchSize: 0
; MemoryBound: 0
; FloatMode: 240
; IeeeMode: 1
; LDSByteSize: 0 bytes/workgroup (compile time only)
; SGPRBlocks: 0
; VGPRBlocks: 0
; NumSGPRsForWavesPerEU: 4
; NumVGPRsForWavesPerEU: 1
; Occupancy: 10
; WaveLimiterHint : 0
; COMPUTE_PGM_RSRC2:SCRATCH_EN: 0
; COMPUTE_PGM_RSRC2:USER_SGPR: 6
; COMPUTE_PGM_RSRC2:TRAP_HANDLER: 0
; COMPUTE_PGM_RSRC2:TGID_X_EN: 1
; COMPUTE_PGM_RSRC2:TGID_Y_EN: 0
; COMPUTE_PGM_RSRC2:TGID_Z_EN: 0
; COMPUTE_PGM_RSRC2:TIDIG_COMP_CNT: 0
	.section	.text._ZN7rocprim17ROCPRIM_400000_NS6detail17trampoline_kernelINS0_14default_configENS1_25partition_config_selectorILNS1_17partition_subalgoE8EjNS0_10empty_typeEbEEZZNS1_14partition_implILS5_8ELb0ES3_jN6thrust23THRUST_200600_302600_NS6detail15normal_iteratorINSA_10device_ptrIjEEEEPS6_PKS6_NS0_5tupleIJSF_S6_EEENSJ_IJSG_SG_EEENS0_18inequality_wrapperI22is_equal_div_10_uniqueIjEEEPmJS6_EEE10hipError_tPvRmT3_T4_T5_T6_T7_T9_mT8_P12ihipStream_tbDpT10_ENKUlT_T0_E_clISt17integral_constantIbLb1EES1A_EEDaS15_S16_EUlS15_E_NS1_11comp_targetILNS1_3genE4ELNS1_11target_archE910ELNS1_3gpuE8ELNS1_3repE0EEENS1_30default_config_static_selectorELNS0_4arch9wavefront6targetE1EEEvT1_,"axG",@progbits,_ZN7rocprim17ROCPRIM_400000_NS6detail17trampoline_kernelINS0_14default_configENS1_25partition_config_selectorILNS1_17partition_subalgoE8EjNS0_10empty_typeEbEEZZNS1_14partition_implILS5_8ELb0ES3_jN6thrust23THRUST_200600_302600_NS6detail15normal_iteratorINSA_10device_ptrIjEEEEPS6_PKS6_NS0_5tupleIJSF_S6_EEENSJ_IJSG_SG_EEENS0_18inequality_wrapperI22is_equal_div_10_uniqueIjEEEPmJS6_EEE10hipError_tPvRmT3_T4_T5_T6_T7_T9_mT8_P12ihipStream_tbDpT10_ENKUlT_T0_E_clISt17integral_constantIbLb1EES1A_EEDaS15_S16_EUlS15_E_NS1_11comp_targetILNS1_3genE4ELNS1_11target_archE910ELNS1_3gpuE8ELNS1_3repE0EEENS1_30default_config_static_selectorELNS0_4arch9wavefront6targetE1EEEvT1_,comdat
	.protected	_ZN7rocprim17ROCPRIM_400000_NS6detail17trampoline_kernelINS0_14default_configENS1_25partition_config_selectorILNS1_17partition_subalgoE8EjNS0_10empty_typeEbEEZZNS1_14partition_implILS5_8ELb0ES3_jN6thrust23THRUST_200600_302600_NS6detail15normal_iteratorINSA_10device_ptrIjEEEEPS6_PKS6_NS0_5tupleIJSF_S6_EEENSJ_IJSG_SG_EEENS0_18inequality_wrapperI22is_equal_div_10_uniqueIjEEEPmJS6_EEE10hipError_tPvRmT3_T4_T5_T6_T7_T9_mT8_P12ihipStream_tbDpT10_ENKUlT_T0_E_clISt17integral_constantIbLb1EES1A_EEDaS15_S16_EUlS15_E_NS1_11comp_targetILNS1_3genE4ELNS1_11target_archE910ELNS1_3gpuE8ELNS1_3repE0EEENS1_30default_config_static_selectorELNS0_4arch9wavefront6targetE1EEEvT1_ ; -- Begin function _ZN7rocprim17ROCPRIM_400000_NS6detail17trampoline_kernelINS0_14default_configENS1_25partition_config_selectorILNS1_17partition_subalgoE8EjNS0_10empty_typeEbEEZZNS1_14partition_implILS5_8ELb0ES3_jN6thrust23THRUST_200600_302600_NS6detail15normal_iteratorINSA_10device_ptrIjEEEEPS6_PKS6_NS0_5tupleIJSF_S6_EEENSJ_IJSG_SG_EEENS0_18inequality_wrapperI22is_equal_div_10_uniqueIjEEEPmJS6_EEE10hipError_tPvRmT3_T4_T5_T6_T7_T9_mT8_P12ihipStream_tbDpT10_ENKUlT_T0_E_clISt17integral_constantIbLb1EES1A_EEDaS15_S16_EUlS15_E_NS1_11comp_targetILNS1_3genE4ELNS1_11target_archE910ELNS1_3gpuE8ELNS1_3repE0EEENS1_30default_config_static_selectorELNS0_4arch9wavefront6targetE1EEEvT1_
	.globl	_ZN7rocprim17ROCPRIM_400000_NS6detail17trampoline_kernelINS0_14default_configENS1_25partition_config_selectorILNS1_17partition_subalgoE8EjNS0_10empty_typeEbEEZZNS1_14partition_implILS5_8ELb0ES3_jN6thrust23THRUST_200600_302600_NS6detail15normal_iteratorINSA_10device_ptrIjEEEEPS6_PKS6_NS0_5tupleIJSF_S6_EEENSJ_IJSG_SG_EEENS0_18inequality_wrapperI22is_equal_div_10_uniqueIjEEEPmJS6_EEE10hipError_tPvRmT3_T4_T5_T6_T7_T9_mT8_P12ihipStream_tbDpT10_ENKUlT_T0_E_clISt17integral_constantIbLb1EES1A_EEDaS15_S16_EUlS15_E_NS1_11comp_targetILNS1_3genE4ELNS1_11target_archE910ELNS1_3gpuE8ELNS1_3repE0EEENS1_30default_config_static_selectorELNS0_4arch9wavefront6targetE1EEEvT1_
	.p2align	8
	.type	_ZN7rocprim17ROCPRIM_400000_NS6detail17trampoline_kernelINS0_14default_configENS1_25partition_config_selectorILNS1_17partition_subalgoE8EjNS0_10empty_typeEbEEZZNS1_14partition_implILS5_8ELb0ES3_jN6thrust23THRUST_200600_302600_NS6detail15normal_iteratorINSA_10device_ptrIjEEEEPS6_PKS6_NS0_5tupleIJSF_S6_EEENSJ_IJSG_SG_EEENS0_18inequality_wrapperI22is_equal_div_10_uniqueIjEEEPmJS6_EEE10hipError_tPvRmT3_T4_T5_T6_T7_T9_mT8_P12ihipStream_tbDpT10_ENKUlT_T0_E_clISt17integral_constantIbLb1EES1A_EEDaS15_S16_EUlS15_E_NS1_11comp_targetILNS1_3genE4ELNS1_11target_archE910ELNS1_3gpuE8ELNS1_3repE0EEENS1_30default_config_static_selectorELNS0_4arch9wavefront6targetE1EEEvT1_,@function
_ZN7rocprim17ROCPRIM_400000_NS6detail17trampoline_kernelINS0_14default_configENS1_25partition_config_selectorILNS1_17partition_subalgoE8EjNS0_10empty_typeEbEEZZNS1_14partition_implILS5_8ELb0ES3_jN6thrust23THRUST_200600_302600_NS6detail15normal_iteratorINSA_10device_ptrIjEEEEPS6_PKS6_NS0_5tupleIJSF_S6_EEENSJ_IJSG_SG_EEENS0_18inequality_wrapperI22is_equal_div_10_uniqueIjEEEPmJS6_EEE10hipError_tPvRmT3_T4_T5_T6_T7_T9_mT8_P12ihipStream_tbDpT10_ENKUlT_T0_E_clISt17integral_constantIbLb1EES1A_EEDaS15_S16_EUlS15_E_NS1_11comp_targetILNS1_3genE4ELNS1_11target_archE910ELNS1_3gpuE8ELNS1_3repE0EEENS1_30default_config_static_selectorELNS0_4arch9wavefront6targetE1EEEvT1_: ; @_ZN7rocprim17ROCPRIM_400000_NS6detail17trampoline_kernelINS0_14default_configENS1_25partition_config_selectorILNS1_17partition_subalgoE8EjNS0_10empty_typeEbEEZZNS1_14partition_implILS5_8ELb0ES3_jN6thrust23THRUST_200600_302600_NS6detail15normal_iteratorINSA_10device_ptrIjEEEEPS6_PKS6_NS0_5tupleIJSF_S6_EEENSJ_IJSG_SG_EEENS0_18inequality_wrapperI22is_equal_div_10_uniqueIjEEEPmJS6_EEE10hipError_tPvRmT3_T4_T5_T6_T7_T9_mT8_P12ihipStream_tbDpT10_ENKUlT_T0_E_clISt17integral_constantIbLb1EES1A_EEDaS15_S16_EUlS15_E_NS1_11comp_targetILNS1_3genE4ELNS1_11target_archE910ELNS1_3gpuE8ELNS1_3repE0EEENS1_30default_config_static_selectorELNS0_4arch9wavefront6targetE1EEEvT1_
; %bb.0:
	.section	.rodata,"a",@progbits
	.p2align	6, 0x0
	.amdhsa_kernel _ZN7rocprim17ROCPRIM_400000_NS6detail17trampoline_kernelINS0_14default_configENS1_25partition_config_selectorILNS1_17partition_subalgoE8EjNS0_10empty_typeEbEEZZNS1_14partition_implILS5_8ELb0ES3_jN6thrust23THRUST_200600_302600_NS6detail15normal_iteratorINSA_10device_ptrIjEEEEPS6_PKS6_NS0_5tupleIJSF_S6_EEENSJ_IJSG_SG_EEENS0_18inequality_wrapperI22is_equal_div_10_uniqueIjEEEPmJS6_EEE10hipError_tPvRmT3_T4_T5_T6_T7_T9_mT8_P12ihipStream_tbDpT10_ENKUlT_T0_E_clISt17integral_constantIbLb1EES1A_EEDaS15_S16_EUlS15_E_NS1_11comp_targetILNS1_3genE4ELNS1_11target_archE910ELNS1_3gpuE8ELNS1_3repE0EEENS1_30default_config_static_selectorELNS0_4arch9wavefront6targetE1EEEvT1_
		.amdhsa_group_segment_fixed_size 0
		.amdhsa_private_segment_fixed_size 0
		.amdhsa_kernarg_size 128
		.amdhsa_user_sgpr_count 6
		.amdhsa_user_sgpr_private_segment_buffer 1
		.amdhsa_user_sgpr_dispatch_ptr 0
		.amdhsa_user_sgpr_queue_ptr 0
		.amdhsa_user_sgpr_kernarg_segment_ptr 1
		.amdhsa_user_sgpr_dispatch_id 0
		.amdhsa_user_sgpr_flat_scratch_init 0
		.amdhsa_user_sgpr_private_segment_size 0
		.amdhsa_uses_dynamic_stack 0
		.amdhsa_system_sgpr_private_segment_wavefront_offset 0
		.amdhsa_system_sgpr_workgroup_id_x 1
		.amdhsa_system_sgpr_workgroup_id_y 0
		.amdhsa_system_sgpr_workgroup_id_z 0
		.amdhsa_system_sgpr_workgroup_info 0
		.amdhsa_system_vgpr_workitem_id 0
		.amdhsa_next_free_vgpr 1
		.amdhsa_next_free_sgpr 0
		.amdhsa_reserve_vcc 0
		.amdhsa_reserve_flat_scratch 0
		.amdhsa_float_round_mode_32 0
		.amdhsa_float_round_mode_16_64 0
		.amdhsa_float_denorm_mode_32 3
		.amdhsa_float_denorm_mode_16_64 3
		.amdhsa_dx10_clamp 1
		.amdhsa_ieee_mode 1
		.amdhsa_fp16_overflow 0
		.amdhsa_exception_fp_ieee_invalid_op 0
		.amdhsa_exception_fp_denorm_src 0
		.amdhsa_exception_fp_ieee_div_zero 0
		.amdhsa_exception_fp_ieee_overflow 0
		.amdhsa_exception_fp_ieee_underflow 0
		.amdhsa_exception_fp_ieee_inexact 0
		.amdhsa_exception_int_div_zero 0
	.end_amdhsa_kernel
	.section	.text._ZN7rocprim17ROCPRIM_400000_NS6detail17trampoline_kernelINS0_14default_configENS1_25partition_config_selectorILNS1_17partition_subalgoE8EjNS0_10empty_typeEbEEZZNS1_14partition_implILS5_8ELb0ES3_jN6thrust23THRUST_200600_302600_NS6detail15normal_iteratorINSA_10device_ptrIjEEEEPS6_PKS6_NS0_5tupleIJSF_S6_EEENSJ_IJSG_SG_EEENS0_18inequality_wrapperI22is_equal_div_10_uniqueIjEEEPmJS6_EEE10hipError_tPvRmT3_T4_T5_T6_T7_T9_mT8_P12ihipStream_tbDpT10_ENKUlT_T0_E_clISt17integral_constantIbLb1EES1A_EEDaS15_S16_EUlS15_E_NS1_11comp_targetILNS1_3genE4ELNS1_11target_archE910ELNS1_3gpuE8ELNS1_3repE0EEENS1_30default_config_static_selectorELNS0_4arch9wavefront6targetE1EEEvT1_,"axG",@progbits,_ZN7rocprim17ROCPRIM_400000_NS6detail17trampoline_kernelINS0_14default_configENS1_25partition_config_selectorILNS1_17partition_subalgoE8EjNS0_10empty_typeEbEEZZNS1_14partition_implILS5_8ELb0ES3_jN6thrust23THRUST_200600_302600_NS6detail15normal_iteratorINSA_10device_ptrIjEEEEPS6_PKS6_NS0_5tupleIJSF_S6_EEENSJ_IJSG_SG_EEENS0_18inequality_wrapperI22is_equal_div_10_uniqueIjEEEPmJS6_EEE10hipError_tPvRmT3_T4_T5_T6_T7_T9_mT8_P12ihipStream_tbDpT10_ENKUlT_T0_E_clISt17integral_constantIbLb1EES1A_EEDaS15_S16_EUlS15_E_NS1_11comp_targetILNS1_3genE4ELNS1_11target_archE910ELNS1_3gpuE8ELNS1_3repE0EEENS1_30default_config_static_selectorELNS0_4arch9wavefront6targetE1EEEvT1_,comdat
.Lfunc_end252:
	.size	_ZN7rocprim17ROCPRIM_400000_NS6detail17trampoline_kernelINS0_14default_configENS1_25partition_config_selectorILNS1_17partition_subalgoE8EjNS0_10empty_typeEbEEZZNS1_14partition_implILS5_8ELb0ES3_jN6thrust23THRUST_200600_302600_NS6detail15normal_iteratorINSA_10device_ptrIjEEEEPS6_PKS6_NS0_5tupleIJSF_S6_EEENSJ_IJSG_SG_EEENS0_18inequality_wrapperI22is_equal_div_10_uniqueIjEEEPmJS6_EEE10hipError_tPvRmT3_T4_T5_T6_T7_T9_mT8_P12ihipStream_tbDpT10_ENKUlT_T0_E_clISt17integral_constantIbLb1EES1A_EEDaS15_S16_EUlS15_E_NS1_11comp_targetILNS1_3genE4ELNS1_11target_archE910ELNS1_3gpuE8ELNS1_3repE0EEENS1_30default_config_static_selectorELNS0_4arch9wavefront6targetE1EEEvT1_, .Lfunc_end252-_ZN7rocprim17ROCPRIM_400000_NS6detail17trampoline_kernelINS0_14default_configENS1_25partition_config_selectorILNS1_17partition_subalgoE8EjNS0_10empty_typeEbEEZZNS1_14partition_implILS5_8ELb0ES3_jN6thrust23THRUST_200600_302600_NS6detail15normal_iteratorINSA_10device_ptrIjEEEEPS6_PKS6_NS0_5tupleIJSF_S6_EEENSJ_IJSG_SG_EEENS0_18inequality_wrapperI22is_equal_div_10_uniqueIjEEEPmJS6_EEE10hipError_tPvRmT3_T4_T5_T6_T7_T9_mT8_P12ihipStream_tbDpT10_ENKUlT_T0_E_clISt17integral_constantIbLb1EES1A_EEDaS15_S16_EUlS15_E_NS1_11comp_targetILNS1_3genE4ELNS1_11target_archE910ELNS1_3gpuE8ELNS1_3repE0EEENS1_30default_config_static_selectorELNS0_4arch9wavefront6targetE1EEEvT1_
                                        ; -- End function
	.set _ZN7rocprim17ROCPRIM_400000_NS6detail17trampoline_kernelINS0_14default_configENS1_25partition_config_selectorILNS1_17partition_subalgoE8EjNS0_10empty_typeEbEEZZNS1_14partition_implILS5_8ELb0ES3_jN6thrust23THRUST_200600_302600_NS6detail15normal_iteratorINSA_10device_ptrIjEEEEPS6_PKS6_NS0_5tupleIJSF_S6_EEENSJ_IJSG_SG_EEENS0_18inequality_wrapperI22is_equal_div_10_uniqueIjEEEPmJS6_EEE10hipError_tPvRmT3_T4_T5_T6_T7_T9_mT8_P12ihipStream_tbDpT10_ENKUlT_T0_E_clISt17integral_constantIbLb1EES1A_EEDaS15_S16_EUlS15_E_NS1_11comp_targetILNS1_3genE4ELNS1_11target_archE910ELNS1_3gpuE8ELNS1_3repE0EEENS1_30default_config_static_selectorELNS0_4arch9wavefront6targetE1EEEvT1_.num_vgpr, 0
	.set _ZN7rocprim17ROCPRIM_400000_NS6detail17trampoline_kernelINS0_14default_configENS1_25partition_config_selectorILNS1_17partition_subalgoE8EjNS0_10empty_typeEbEEZZNS1_14partition_implILS5_8ELb0ES3_jN6thrust23THRUST_200600_302600_NS6detail15normal_iteratorINSA_10device_ptrIjEEEEPS6_PKS6_NS0_5tupleIJSF_S6_EEENSJ_IJSG_SG_EEENS0_18inequality_wrapperI22is_equal_div_10_uniqueIjEEEPmJS6_EEE10hipError_tPvRmT3_T4_T5_T6_T7_T9_mT8_P12ihipStream_tbDpT10_ENKUlT_T0_E_clISt17integral_constantIbLb1EES1A_EEDaS15_S16_EUlS15_E_NS1_11comp_targetILNS1_3genE4ELNS1_11target_archE910ELNS1_3gpuE8ELNS1_3repE0EEENS1_30default_config_static_selectorELNS0_4arch9wavefront6targetE1EEEvT1_.num_agpr, 0
	.set _ZN7rocprim17ROCPRIM_400000_NS6detail17trampoline_kernelINS0_14default_configENS1_25partition_config_selectorILNS1_17partition_subalgoE8EjNS0_10empty_typeEbEEZZNS1_14partition_implILS5_8ELb0ES3_jN6thrust23THRUST_200600_302600_NS6detail15normal_iteratorINSA_10device_ptrIjEEEEPS6_PKS6_NS0_5tupleIJSF_S6_EEENSJ_IJSG_SG_EEENS0_18inequality_wrapperI22is_equal_div_10_uniqueIjEEEPmJS6_EEE10hipError_tPvRmT3_T4_T5_T6_T7_T9_mT8_P12ihipStream_tbDpT10_ENKUlT_T0_E_clISt17integral_constantIbLb1EES1A_EEDaS15_S16_EUlS15_E_NS1_11comp_targetILNS1_3genE4ELNS1_11target_archE910ELNS1_3gpuE8ELNS1_3repE0EEENS1_30default_config_static_selectorELNS0_4arch9wavefront6targetE1EEEvT1_.numbered_sgpr, 0
	.set _ZN7rocprim17ROCPRIM_400000_NS6detail17trampoline_kernelINS0_14default_configENS1_25partition_config_selectorILNS1_17partition_subalgoE8EjNS0_10empty_typeEbEEZZNS1_14partition_implILS5_8ELb0ES3_jN6thrust23THRUST_200600_302600_NS6detail15normal_iteratorINSA_10device_ptrIjEEEEPS6_PKS6_NS0_5tupleIJSF_S6_EEENSJ_IJSG_SG_EEENS0_18inequality_wrapperI22is_equal_div_10_uniqueIjEEEPmJS6_EEE10hipError_tPvRmT3_T4_T5_T6_T7_T9_mT8_P12ihipStream_tbDpT10_ENKUlT_T0_E_clISt17integral_constantIbLb1EES1A_EEDaS15_S16_EUlS15_E_NS1_11comp_targetILNS1_3genE4ELNS1_11target_archE910ELNS1_3gpuE8ELNS1_3repE0EEENS1_30default_config_static_selectorELNS0_4arch9wavefront6targetE1EEEvT1_.num_named_barrier, 0
	.set _ZN7rocprim17ROCPRIM_400000_NS6detail17trampoline_kernelINS0_14default_configENS1_25partition_config_selectorILNS1_17partition_subalgoE8EjNS0_10empty_typeEbEEZZNS1_14partition_implILS5_8ELb0ES3_jN6thrust23THRUST_200600_302600_NS6detail15normal_iteratorINSA_10device_ptrIjEEEEPS6_PKS6_NS0_5tupleIJSF_S6_EEENSJ_IJSG_SG_EEENS0_18inequality_wrapperI22is_equal_div_10_uniqueIjEEEPmJS6_EEE10hipError_tPvRmT3_T4_T5_T6_T7_T9_mT8_P12ihipStream_tbDpT10_ENKUlT_T0_E_clISt17integral_constantIbLb1EES1A_EEDaS15_S16_EUlS15_E_NS1_11comp_targetILNS1_3genE4ELNS1_11target_archE910ELNS1_3gpuE8ELNS1_3repE0EEENS1_30default_config_static_selectorELNS0_4arch9wavefront6targetE1EEEvT1_.private_seg_size, 0
	.set _ZN7rocprim17ROCPRIM_400000_NS6detail17trampoline_kernelINS0_14default_configENS1_25partition_config_selectorILNS1_17partition_subalgoE8EjNS0_10empty_typeEbEEZZNS1_14partition_implILS5_8ELb0ES3_jN6thrust23THRUST_200600_302600_NS6detail15normal_iteratorINSA_10device_ptrIjEEEEPS6_PKS6_NS0_5tupleIJSF_S6_EEENSJ_IJSG_SG_EEENS0_18inequality_wrapperI22is_equal_div_10_uniqueIjEEEPmJS6_EEE10hipError_tPvRmT3_T4_T5_T6_T7_T9_mT8_P12ihipStream_tbDpT10_ENKUlT_T0_E_clISt17integral_constantIbLb1EES1A_EEDaS15_S16_EUlS15_E_NS1_11comp_targetILNS1_3genE4ELNS1_11target_archE910ELNS1_3gpuE8ELNS1_3repE0EEENS1_30default_config_static_selectorELNS0_4arch9wavefront6targetE1EEEvT1_.uses_vcc, 0
	.set _ZN7rocprim17ROCPRIM_400000_NS6detail17trampoline_kernelINS0_14default_configENS1_25partition_config_selectorILNS1_17partition_subalgoE8EjNS0_10empty_typeEbEEZZNS1_14partition_implILS5_8ELb0ES3_jN6thrust23THRUST_200600_302600_NS6detail15normal_iteratorINSA_10device_ptrIjEEEEPS6_PKS6_NS0_5tupleIJSF_S6_EEENSJ_IJSG_SG_EEENS0_18inequality_wrapperI22is_equal_div_10_uniqueIjEEEPmJS6_EEE10hipError_tPvRmT3_T4_T5_T6_T7_T9_mT8_P12ihipStream_tbDpT10_ENKUlT_T0_E_clISt17integral_constantIbLb1EES1A_EEDaS15_S16_EUlS15_E_NS1_11comp_targetILNS1_3genE4ELNS1_11target_archE910ELNS1_3gpuE8ELNS1_3repE0EEENS1_30default_config_static_selectorELNS0_4arch9wavefront6targetE1EEEvT1_.uses_flat_scratch, 0
	.set _ZN7rocprim17ROCPRIM_400000_NS6detail17trampoline_kernelINS0_14default_configENS1_25partition_config_selectorILNS1_17partition_subalgoE8EjNS0_10empty_typeEbEEZZNS1_14partition_implILS5_8ELb0ES3_jN6thrust23THRUST_200600_302600_NS6detail15normal_iteratorINSA_10device_ptrIjEEEEPS6_PKS6_NS0_5tupleIJSF_S6_EEENSJ_IJSG_SG_EEENS0_18inequality_wrapperI22is_equal_div_10_uniqueIjEEEPmJS6_EEE10hipError_tPvRmT3_T4_T5_T6_T7_T9_mT8_P12ihipStream_tbDpT10_ENKUlT_T0_E_clISt17integral_constantIbLb1EES1A_EEDaS15_S16_EUlS15_E_NS1_11comp_targetILNS1_3genE4ELNS1_11target_archE910ELNS1_3gpuE8ELNS1_3repE0EEENS1_30default_config_static_selectorELNS0_4arch9wavefront6targetE1EEEvT1_.has_dyn_sized_stack, 0
	.set _ZN7rocprim17ROCPRIM_400000_NS6detail17trampoline_kernelINS0_14default_configENS1_25partition_config_selectorILNS1_17partition_subalgoE8EjNS0_10empty_typeEbEEZZNS1_14partition_implILS5_8ELb0ES3_jN6thrust23THRUST_200600_302600_NS6detail15normal_iteratorINSA_10device_ptrIjEEEEPS6_PKS6_NS0_5tupleIJSF_S6_EEENSJ_IJSG_SG_EEENS0_18inequality_wrapperI22is_equal_div_10_uniqueIjEEEPmJS6_EEE10hipError_tPvRmT3_T4_T5_T6_T7_T9_mT8_P12ihipStream_tbDpT10_ENKUlT_T0_E_clISt17integral_constantIbLb1EES1A_EEDaS15_S16_EUlS15_E_NS1_11comp_targetILNS1_3genE4ELNS1_11target_archE910ELNS1_3gpuE8ELNS1_3repE0EEENS1_30default_config_static_selectorELNS0_4arch9wavefront6targetE1EEEvT1_.has_recursion, 0
	.set _ZN7rocprim17ROCPRIM_400000_NS6detail17trampoline_kernelINS0_14default_configENS1_25partition_config_selectorILNS1_17partition_subalgoE8EjNS0_10empty_typeEbEEZZNS1_14partition_implILS5_8ELb0ES3_jN6thrust23THRUST_200600_302600_NS6detail15normal_iteratorINSA_10device_ptrIjEEEEPS6_PKS6_NS0_5tupleIJSF_S6_EEENSJ_IJSG_SG_EEENS0_18inequality_wrapperI22is_equal_div_10_uniqueIjEEEPmJS6_EEE10hipError_tPvRmT3_T4_T5_T6_T7_T9_mT8_P12ihipStream_tbDpT10_ENKUlT_T0_E_clISt17integral_constantIbLb1EES1A_EEDaS15_S16_EUlS15_E_NS1_11comp_targetILNS1_3genE4ELNS1_11target_archE910ELNS1_3gpuE8ELNS1_3repE0EEENS1_30default_config_static_selectorELNS0_4arch9wavefront6targetE1EEEvT1_.has_indirect_call, 0
	.section	.AMDGPU.csdata,"",@progbits
; Kernel info:
; codeLenInByte = 0
; TotalNumSgprs: 4
; NumVgprs: 0
; ScratchSize: 0
; MemoryBound: 0
; FloatMode: 240
; IeeeMode: 1
; LDSByteSize: 0 bytes/workgroup (compile time only)
; SGPRBlocks: 0
; VGPRBlocks: 0
; NumSGPRsForWavesPerEU: 4
; NumVGPRsForWavesPerEU: 1
; Occupancy: 10
; WaveLimiterHint : 0
; COMPUTE_PGM_RSRC2:SCRATCH_EN: 0
; COMPUTE_PGM_RSRC2:USER_SGPR: 6
; COMPUTE_PGM_RSRC2:TRAP_HANDLER: 0
; COMPUTE_PGM_RSRC2:TGID_X_EN: 1
; COMPUTE_PGM_RSRC2:TGID_Y_EN: 0
; COMPUTE_PGM_RSRC2:TGID_Z_EN: 0
; COMPUTE_PGM_RSRC2:TIDIG_COMP_CNT: 0
	.section	.text._ZN7rocprim17ROCPRIM_400000_NS6detail17trampoline_kernelINS0_14default_configENS1_25partition_config_selectorILNS1_17partition_subalgoE8EjNS0_10empty_typeEbEEZZNS1_14partition_implILS5_8ELb0ES3_jN6thrust23THRUST_200600_302600_NS6detail15normal_iteratorINSA_10device_ptrIjEEEEPS6_PKS6_NS0_5tupleIJSF_S6_EEENSJ_IJSG_SG_EEENS0_18inequality_wrapperI22is_equal_div_10_uniqueIjEEEPmJS6_EEE10hipError_tPvRmT3_T4_T5_T6_T7_T9_mT8_P12ihipStream_tbDpT10_ENKUlT_T0_E_clISt17integral_constantIbLb1EES1A_EEDaS15_S16_EUlS15_E_NS1_11comp_targetILNS1_3genE3ELNS1_11target_archE908ELNS1_3gpuE7ELNS1_3repE0EEENS1_30default_config_static_selectorELNS0_4arch9wavefront6targetE1EEEvT1_,"axG",@progbits,_ZN7rocprim17ROCPRIM_400000_NS6detail17trampoline_kernelINS0_14default_configENS1_25partition_config_selectorILNS1_17partition_subalgoE8EjNS0_10empty_typeEbEEZZNS1_14partition_implILS5_8ELb0ES3_jN6thrust23THRUST_200600_302600_NS6detail15normal_iteratorINSA_10device_ptrIjEEEEPS6_PKS6_NS0_5tupleIJSF_S6_EEENSJ_IJSG_SG_EEENS0_18inequality_wrapperI22is_equal_div_10_uniqueIjEEEPmJS6_EEE10hipError_tPvRmT3_T4_T5_T6_T7_T9_mT8_P12ihipStream_tbDpT10_ENKUlT_T0_E_clISt17integral_constantIbLb1EES1A_EEDaS15_S16_EUlS15_E_NS1_11comp_targetILNS1_3genE3ELNS1_11target_archE908ELNS1_3gpuE7ELNS1_3repE0EEENS1_30default_config_static_selectorELNS0_4arch9wavefront6targetE1EEEvT1_,comdat
	.protected	_ZN7rocprim17ROCPRIM_400000_NS6detail17trampoline_kernelINS0_14default_configENS1_25partition_config_selectorILNS1_17partition_subalgoE8EjNS0_10empty_typeEbEEZZNS1_14partition_implILS5_8ELb0ES3_jN6thrust23THRUST_200600_302600_NS6detail15normal_iteratorINSA_10device_ptrIjEEEEPS6_PKS6_NS0_5tupleIJSF_S6_EEENSJ_IJSG_SG_EEENS0_18inequality_wrapperI22is_equal_div_10_uniqueIjEEEPmJS6_EEE10hipError_tPvRmT3_T4_T5_T6_T7_T9_mT8_P12ihipStream_tbDpT10_ENKUlT_T0_E_clISt17integral_constantIbLb1EES1A_EEDaS15_S16_EUlS15_E_NS1_11comp_targetILNS1_3genE3ELNS1_11target_archE908ELNS1_3gpuE7ELNS1_3repE0EEENS1_30default_config_static_selectorELNS0_4arch9wavefront6targetE1EEEvT1_ ; -- Begin function _ZN7rocprim17ROCPRIM_400000_NS6detail17trampoline_kernelINS0_14default_configENS1_25partition_config_selectorILNS1_17partition_subalgoE8EjNS0_10empty_typeEbEEZZNS1_14partition_implILS5_8ELb0ES3_jN6thrust23THRUST_200600_302600_NS6detail15normal_iteratorINSA_10device_ptrIjEEEEPS6_PKS6_NS0_5tupleIJSF_S6_EEENSJ_IJSG_SG_EEENS0_18inequality_wrapperI22is_equal_div_10_uniqueIjEEEPmJS6_EEE10hipError_tPvRmT3_T4_T5_T6_T7_T9_mT8_P12ihipStream_tbDpT10_ENKUlT_T0_E_clISt17integral_constantIbLb1EES1A_EEDaS15_S16_EUlS15_E_NS1_11comp_targetILNS1_3genE3ELNS1_11target_archE908ELNS1_3gpuE7ELNS1_3repE0EEENS1_30default_config_static_selectorELNS0_4arch9wavefront6targetE1EEEvT1_
	.globl	_ZN7rocprim17ROCPRIM_400000_NS6detail17trampoline_kernelINS0_14default_configENS1_25partition_config_selectorILNS1_17partition_subalgoE8EjNS0_10empty_typeEbEEZZNS1_14partition_implILS5_8ELb0ES3_jN6thrust23THRUST_200600_302600_NS6detail15normal_iteratorINSA_10device_ptrIjEEEEPS6_PKS6_NS0_5tupleIJSF_S6_EEENSJ_IJSG_SG_EEENS0_18inequality_wrapperI22is_equal_div_10_uniqueIjEEEPmJS6_EEE10hipError_tPvRmT3_T4_T5_T6_T7_T9_mT8_P12ihipStream_tbDpT10_ENKUlT_T0_E_clISt17integral_constantIbLb1EES1A_EEDaS15_S16_EUlS15_E_NS1_11comp_targetILNS1_3genE3ELNS1_11target_archE908ELNS1_3gpuE7ELNS1_3repE0EEENS1_30default_config_static_selectorELNS0_4arch9wavefront6targetE1EEEvT1_
	.p2align	8
	.type	_ZN7rocprim17ROCPRIM_400000_NS6detail17trampoline_kernelINS0_14default_configENS1_25partition_config_selectorILNS1_17partition_subalgoE8EjNS0_10empty_typeEbEEZZNS1_14partition_implILS5_8ELb0ES3_jN6thrust23THRUST_200600_302600_NS6detail15normal_iteratorINSA_10device_ptrIjEEEEPS6_PKS6_NS0_5tupleIJSF_S6_EEENSJ_IJSG_SG_EEENS0_18inequality_wrapperI22is_equal_div_10_uniqueIjEEEPmJS6_EEE10hipError_tPvRmT3_T4_T5_T6_T7_T9_mT8_P12ihipStream_tbDpT10_ENKUlT_T0_E_clISt17integral_constantIbLb1EES1A_EEDaS15_S16_EUlS15_E_NS1_11comp_targetILNS1_3genE3ELNS1_11target_archE908ELNS1_3gpuE7ELNS1_3repE0EEENS1_30default_config_static_selectorELNS0_4arch9wavefront6targetE1EEEvT1_,@function
_ZN7rocprim17ROCPRIM_400000_NS6detail17trampoline_kernelINS0_14default_configENS1_25partition_config_selectorILNS1_17partition_subalgoE8EjNS0_10empty_typeEbEEZZNS1_14partition_implILS5_8ELb0ES3_jN6thrust23THRUST_200600_302600_NS6detail15normal_iteratorINSA_10device_ptrIjEEEEPS6_PKS6_NS0_5tupleIJSF_S6_EEENSJ_IJSG_SG_EEENS0_18inequality_wrapperI22is_equal_div_10_uniqueIjEEEPmJS6_EEE10hipError_tPvRmT3_T4_T5_T6_T7_T9_mT8_P12ihipStream_tbDpT10_ENKUlT_T0_E_clISt17integral_constantIbLb1EES1A_EEDaS15_S16_EUlS15_E_NS1_11comp_targetILNS1_3genE3ELNS1_11target_archE908ELNS1_3gpuE7ELNS1_3repE0EEENS1_30default_config_static_selectorELNS0_4arch9wavefront6targetE1EEEvT1_: ; @_ZN7rocprim17ROCPRIM_400000_NS6detail17trampoline_kernelINS0_14default_configENS1_25partition_config_selectorILNS1_17partition_subalgoE8EjNS0_10empty_typeEbEEZZNS1_14partition_implILS5_8ELb0ES3_jN6thrust23THRUST_200600_302600_NS6detail15normal_iteratorINSA_10device_ptrIjEEEEPS6_PKS6_NS0_5tupleIJSF_S6_EEENSJ_IJSG_SG_EEENS0_18inequality_wrapperI22is_equal_div_10_uniqueIjEEEPmJS6_EEE10hipError_tPvRmT3_T4_T5_T6_T7_T9_mT8_P12ihipStream_tbDpT10_ENKUlT_T0_E_clISt17integral_constantIbLb1EES1A_EEDaS15_S16_EUlS15_E_NS1_11comp_targetILNS1_3genE3ELNS1_11target_archE908ELNS1_3gpuE7ELNS1_3repE0EEENS1_30default_config_static_selectorELNS0_4arch9wavefront6targetE1EEEvT1_
; %bb.0:
	.section	.rodata,"a",@progbits
	.p2align	6, 0x0
	.amdhsa_kernel _ZN7rocprim17ROCPRIM_400000_NS6detail17trampoline_kernelINS0_14default_configENS1_25partition_config_selectorILNS1_17partition_subalgoE8EjNS0_10empty_typeEbEEZZNS1_14partition_implILS5_8ELb0ES3_jN6thrust23THRUST_200600_302600_NS6detail15normal_iteratorINSA_10device_ptrIjEEEEPS6_PKS6_NS0_5tupleIJSF_S6_EEENSJ_IJSG_SG_EEENS0_18inequality_wrapperI22is_equal_div_10_uniqueIjEEEPmJS6_EEE10hipError_tPvRmT3_T4_T5_T6_T7_T9_mT8_P12ihipStream_tbDpT10_ENKUlT_T0_E_clISt17integral_constantIbLb1EES1A_EEDaS15_S16_EUlS15_E_NS1_11comp_targetILNS1_3genE3ELNS1_11target_archE908ELNS1_3gpuE7ELNS1_3repE0EEENS1_30default_config_static_selectorELNS0_4arch9wavefront6targetE1EEEvT1_
		.amdhsa_group_segment_fixed_size 0
		.amdhsa_private_segment_fixed_size 0
		.amdhsa_kernarg_size 128
		.amdhsa_user_sgpr_count 6
		.amdhsa_user_sgpr_private_segment_buffer 1
		.amdhsa_user_sgpr_dispatch_ptr 0
		.amdhsa_user_sgpr_queue_ptr 0
		.amdhsa_user_sgpr_kernarg_segment_ptr 1
		.amdhsa_user_sgpr_dispatch_id 0
		.amdhsa_user_sgpr_flat_scratch_init 0
		.amdhsa_user_sgpr_private_segment_size 0
		.amdhsa_uses_dynamic_stack 0
		.amdhsa_system_sgpr_private_segment_wavefront_offset 0
		.amdhsa_system_sgpr_workgroup_id_x 1
		.amdhsa_system_sgpr_workgroup_id_y 0
		.amdhsa_system_sgpr_workgroup_id_z 0
		.amdhsa_system_sgpr_workgroup_info 0
		.amdhsa_system_vgpr_workitem_id 0
		.amdhsa_next_free_vgpr 1
		.amdhsa_next_free_sgpr 0
		.amdhsa_reserve_vcc 0
		.amdhsa_reserve_flat_scratch 0
		.amdhsa_float_round_mode_32 0
		.amdhsa_float_round_mode_16_64 0
		.amdhsa_float_denorm_mode_32 3
		.amdhsa_float_denorm_mode_16_64 3
		.amdhsa_dx10_clamp 1
		.amdhsa_ieee_mode 1
		.amdhsa_fp16_overflow 0
		.amdhsa_exception_fp_ieee_invalid_op 0
		.amdhsa_exception_fp_denorm_src 0
		.amdhsa_exception_fp_ieee_div_zero 0
		.amdhsa_exception_fp_ieee_overflow 0
		.amdhsa_exception_fp_ieee_underflow 0
		.amdhsa_exception_fp_ieee_inexact 0
		.amdhsa_exception_int_div_zero 0
	.end_amdhsa_kernel
	.section	.text._ZN7rocprim17ROCPRIM_400000_NS6detail17trampoline_kernelINS0_14default_configENS1_25partition_config_selectorILNS1_17partition_subalgoE8EjNS0_10empty_typeEbEEZZNS1_14partition_implILS5_8ELb0ES3_jN6thrust23THRUST_200600_302600_NS6detail15normal_iteratorINSA_10device_ptrIjEEEEPS6_PKS6_NS0_5tupleIJSF_S6_EEENSJ_IJSG_SG_EEENS0_18inequality_wrapperI22is_equal_div_10_uniqueIjEEEPmJS6_EEE10hipError_tPvRmT3_T4_T5_T6_T7_T9_mT8_P12ihipStream_tbDpT10_ENKUlT_T0_E_clISt17integral_constantIbLb1EES1A_EEDaS15_S16_EUlS15_E_NS1_11comp_targetILNS1_3genE3ELNS1_11target_archE908ELNS1_3gpuE7ELNS1_3repE0EEENS1_30default_config_static_selectorELNS0_4arch9wavefront6targetE1EEEvT1_,"axG",@progbits,_ZN7rocprim17ROCPRIM_400000_NS6detail17trampoline_kernelINS0_14default_configENS1_25partition_config_selectorILNS1_17partition_subalgoE8EjNS0_10empty_typeEbEEZZNS1_14partition_implILS5_8ELb0ES3_jN6thrust23THRUST_200600_302600_NS6detail15normal_iteratorINSA_10device_ptrIjEEEEPS6_PKS6_NS0_5tupleIJSF_S6_EEENSJ_IJSG_SG_EEENS0_18inequality_wrapperI22is_equal_div_10_uniqueIjEEEPmJS6_EEE10hipError_tPvRmT3_T4_T5_T6_T7_T9_mT8_P12ihipStream_tbDpT10_ENKUlT_T0_E_clISt17integral_constantIbLb1EES1A_EEDaS15_S16_EUlS15_E_NS1_11comp_targetILNS1_3genE3ELNS1_11target_archE908ELNS1_3gpuE7ELNS1_3repE0EEENS1_30default_config_static_selectorELNS0_4arch9wavefront6targetE1EEEvT1_,comdat
.Lfunc_end253:
	.size	_ZN7rocprim17ROCPRIM_400000_NS6detail17trampoline_kernelINS0_14default_configENS1_25partition_config_selectorILNS1_17partition_subalgoE8EjNS0_10empty_typeEbEEZZNS1_14partition_implILS5_8ELb0ES3_jN6thrust23THRUST_200600_302600_NS6detail15normal_iteratorINSA_10device_ptrIjEEEEPS6_PKS6_NS0_5tupleIJSF_S6_EEENSJ_IJSG_SG_EEENS0_18inequality_wrapperI22is_equal_div_10_uniqueIjEEEPmJS6_EEE10hipError_tPvRmT3_T4_T5_T6_T7_T9_mT8_P12ihipStream_tbDpT10_ENKUlT_T0_E_clISt17integral_constantIbLb1EES1A_EEDaS15_S16_EUlS15_E_NS1_11comp_targetILNS1_3genE3ELNS1_11target_archE908ELNS1_3gpuE7ELNS1_3repE0EEENS1_30default_config_static_selectorELNS0_4arch9wavefront6targetE1EEEvT1_, .Lfunc_end253-_ZN7rocprim17ROCPRIM_400000_NS6detail17trampoline_kernelINS0_14default_configENS1_25partition_config_selectorILNS1_17partition_subalgoE8EjNS0_10empty_typeEbEEZZNS1_14partition_implILS5_8ELb0ES3_jN6thrust23THRUST_200600_302600_NS6detail15normal_iteratorINSA_10device_ptrIjEEEEPS6_PKS6_NS0_5tupleIJSF_S6_EEENSJ_IJSG_SG_EEENS0_18inequality_wrapperI22is_equal_div_10_uniqueIjEEEPmJS6_EEE10hipError_tPvRmT3_T4_T5_T6_T7_T9_mT8_P12ihipStream_tbDpT10_ENKUlT_T0_E_clISt17integral_constantIbLb1EES1A_EEDaS15_S16_EUlS15_E_NS1_11comp_targetILNS1_3genE3ELNS1_11target_archE908ELNS1_3gpuE7ELNS1_3repE0EEENS1_30default_config_static_selectorELNS0_4arch9wavefront6targetE1EEEvT1_
                                        ; -- End function
	.set _ZN7rocprim17ROCPRIM_400000_NS6detail17trampoline_kernelINS0_14default_configENS1_25partition_config_selectorILNS1_17partition_subalgoE8EjNS0_10empty_typeEbEEZZNS1_14partition_implILS5_8ELb0ES3_jN6thrust23THRUST_200600_302600_NS6detail15normal_iteratorINSA_10device_ptrIjEEEEPS6_PKS6_NS0_5tupleIJSF_S6_EEENSJ_IJSG_SG_EEENS0_18inequality_wrapperI22is_equal_div_10_uniqueIjEEEPmJS6_EEE10hipError_tPvRmT3_T4_T5_T6_T7_T9_mT8_P12ihipStream_tbDpT10_ENKUlT_T0_E_clISt17integral_constantIbLb1EES1A_EEDaS15_S16_EUlS15_E_NS1_11comp_targetILNS1_3genE3ELNS1_11target_archE908ELNS1_3gpuE7ELNS1_3repE0EEENS1_30default_config_static_selectorELNS0_4arch9wavefront6targetE1EEEvT1_.num_vgpr, 0
	.set _ZN7rocprim17ROCPRIM_400000_NS6detail17trampoline_kernelINS0_14default_configENS1_25partition_config_selectorILNS1_17partition_subalgoE8EjNS0_10empty_typeEbEEZZNS1_14partition_implILS5_8ELb0ES3_jN6thrust23THRUST_200600_302600_NS6detail15normal_iteratorINSA_10device_ptrIjEEEEPS6_PKS6_NS0_5tupleIJSF_S6_EEENSJ_IJSG_SG_EEENS0_18inequality_wrapperI22is_equal_div_10_uniqueIjEEEPmJS6_EEE10hipError_tPvRmT3_T4_T5_T6_T7_T9_mT8_P12ihipStream_tbDpT10_ENKUlT_T0_E_clISt17integral_constantIbLb1EES1A_EEDaS15_S16_EUlS15_E_NS1_11comp_targetILNS1_3genE3ELNS1_11target_archE908ELNS1_3gpuE7ELNS1_3repE0EEENS1_30default_config_static_selectorELNS0_4arch9wavefront6targetE1EEEvT1_.num_agpr, 0
	.set _ZN7rocprim17ROCPRIM_400000_NS6detail17trampoline_kernelINS0_14default_configENS1_25partition_config_selectorILNS1_17partition_subalgoE8EjNS0_10empty_typeEbEEZZNS1_14partition_implILS5_8ELb0ES3_jN6thrust23THRUST_200600_302600_NS6detail15normal_iteratorINSA_10device_ptrIjEEEEPS6_PKS6_NS0_5tupleIJSF_S6_EEENSJ_IJSG_SG_EEENS0_18inequality_wrapperI22is_equal_div_10_uniqueIjEEEPmJS6_EEE10hipError_tPvRmT3_T4_T5_T6_T7_T9_mT8_P12ihipStream_tbDpT10_ENKUlT_T0_E_clISt17integral_constantIbLb1EES1A_EEDaS15_S16_EUlS15_E_NS1_11comp_targetILNS1_3genE3ELNS1_11target_archE908ELNS1_3gpuE7ELNS1_3repE0EEENS1_30default_config_static_selectorELNS0_4arch9wavefront6targetE1EEEvT1_.numbered_sgpr, 0
	.set _ZN7rocprim17ROCPRIM_400000_NS6detail17trampoline_kernelINS0_14default_configENS1_25partition_config_selectorILNS1_17partition_subalgoE8EjNS0_10empty_typeEbEEZZNS1_14partition_implILS5_8ELb0ES3_jN6thrust23THRUST_200600_302600_NS6detail15normal_iteratorINSA_10device_ptrIjEEEEPS6_PKS6_NS0_5tupleIJSF_S6_EEENSJ_IJSG_SG_EEENS0_18inequality_wrapperI22is_equal_div_10_uniqueIjEEEPmJS6_EEE10hipError_tPvRmT3_T4_T5_T6_T7_T9_mT8_P12ihipStream_tbDpT10_ENKUlT_T0_E_clISt17integral_constantIbLb1EES1A_EEDaS15_S16_EUlS15_E_NS1_11comp_targetILNS1_3genE3ELNS1_11target_archE908ELNS1_3gpuE7ELNS1_3repE0EEENS1_30default_config_static_selectorELNS0_4arch9wavefront6targetE1EEEvT1_.num_named_barrier, 0
	.set _ZN7rocprim17ROCPRIM_400000_NS6detail17trampoline_kernelINS0_14default_configENS1_25partition_config_selectorILNS1_17partition_subalgoE8EjNS0_10empty_typeEbEEZZNS1_14partition_implILS5_8ELb0ES3_jN6thrust23THRUST_200600_302600_NS6detail15normal_iteratorINSA_10device_ptrIjEEEEPS6_PKS6_NS0_5tupleIJSF_S6_EEENSJ_IJSG_SG_EEENS0_18inequality_wrapperI22is_equal_div_10_uniqueIjEEEPmJS6_EEE10hipError_tPvRmT3_T4_T5_T6_T7_T9_mT8_P12ihipStream_tbDpT10_ENKUlT_T0_E_clISt17integral_constantIbLb1EES1A_EEDaS15_S16_EUlS15_E_NS1_11comp_targetILNS1_3genE3ELNS1_11target_archE908ELNS1_3gpuE7ELNS1_3repE0EEENS1_30default_config_static_selectorELNS0_4arch9wavefront6targetE1EEEvT1_.private_seg_size, 0
	.set _ZN7rocprim17ROCPRIM_400000_NS6detail17trampoline_kernelINS0_14default_configENS1_25partition_config_selectorILNS1_17partition_subalgoE8EjNS0_10empty_typeEbEEZZNS1_14partition_implILS5_8ELb0ES3_jN6thrust23THRUST_200600_302600_NS6detail15normal_iteratorINSA_10device_ptrIjEEEEPS6_PKS6_NS0_5tupleIJSF_S6_EEENSJ_IJSG_SG_EEENS0_18inequality_wrapperI22is_equal_div_10_uniqueIjEEEPmJS6_EEE10hipError_tPvRmT3_T4_T5_T6_T7_T9_mT8_P12ihipStream_tbDpT10_ENKUlT_T0_E_clISt17integral_constantIbLb1EES1A_EEDaS15_S16_EUlS15_E_NS1_11comp_targetILNS1_3genE3ELNS1_11target_archE908ELNS1_3gpuE7ELNS1_3repE0EEENS1_30default_config_static_selectorELNS0_4arch9wavefront6targetE1EEEvT1_.uses_vcc, 0
	.set _ZN7rocprim17ROCPRIM_400000_NS6detail17trampoline_kernelINS0_14default_configENS1_25partition_config_selectorILNS1_17partition_subalgoE8EjNS0_10empty_typeEbEEZZNS1_14partition_implILS5_8ELb0ES3_jN6thrust23THRUST_200600_302600_NS6detail15normal_iteratorINSA_10device_ptrIjEEEEPS6_PKS6_NS0_5tupleIJSF_S6_EEENSJ_IJSG_SG_EEENS0_18inequality_wrapperI22is_equal_div_10_uniqueIjEEEPmJS6_EEE10hipError_tPvRmT3_T4_T5_T6_T7_T9_mT8_P12ihipStream_tbDpT10_ENKUlT_T0_E_clISt17integral_constantIbLb1EES1A_EEDaS15_S16_EUlS15_E_NS1_11comp_targetILNS1_3genE3ELNS1_11target_archE908ELNS1_3gpuE7ELNS1_3repE0EEENS1_30default_config_static_selectorELNS0_4arch9wavefront6targetE1EEEvT1_.uses_flat_scratch, 0
	.set _ZN7rocprim17ROCPRIM_400000_NS6detail17trampoline_kernelINS0_14default_configENS1_25partition_config_selectorILNS1_17partition_subalgoE8EjNS0_10empty_typeEbEEZZNS1_14partition_implILS5_8ELb0ES3_jN6thrust23THRUST_200600_302600_NS6detail15normal_iteratorINSA_10device_ptrIjEEEEPS6_PKS6_NS0_5tupleIJSF_S6_EEENSJ_IJSG_SG_EEENS0_18inequality_wrapperI22is_equal_div_10_uniqueIjEEEPmJS6_EEE10hipError_tPvRmT3_T4_T5_T6_T7_T9_mT8_P12ihipStream_tbDpT10_ENKUlT_T0_E_clISt17integral_constantIbLb1EES1A_EEDaS15_S16_EUlS15_E_NS1_11comp_targetILNS1_3genE3ELNS1_11target_archE908ELNS1_3gpuE7ELNS1_3repE0EEENS1_30default_config_static_selectorELNS0_4arch9wavefront6targetE1EEEvT1_.has_dyn_sized_stack, 0
	.set _ZN7rocprim17ROCPRIM_400000_NS6detail17trampoline_kernelINS0_14default_configENS1_25partition_config_selectorILNS1_17partition_subalgoE8EjNS0_10empty_typeEbEEZZNS1_14partition_implILS5_8ELb0ES3_jN6thrust23THRUST_200600_302600_NS6detail15normal_iteratorINSA_10device_ptrIjEEEEPS6_PKS6_NS0_5tupleIJSF_S6_EEENSJ_IJSG_SG_EEENS0_18inequality_wrapperI22is_equal_div_10_uniqueIjEEEPmJS6_EEE10hipError_tPvRmT3_T4_T5_T6_T7_T9_mT8_P12ihipStream_tbDpT10_ENKUlT_T0_E_clISt17integral_constantIbLb1EES1A_EEDaS15_S16_EUlS15_E_NS1_11comp_targetILNS1_3genE3ELNS1_11target_archE908ELNS1_3gpuE7ELNS1_3repE0EEENS1_30default_config_static_selectorELNS0_4arch9wavefront6targetE1EEEvT1_.has_recursion, 0
	.set _ZN7rocprim17ROCPRIM_400000_NS6detail17trampoline_kernelINS0_14default_configENS1_25partition_config_selectorILNS1_17partition_subalgoE8EjNS0_10empty_typeEbEEZZNS1_14partition_implILS5_8ELb0ES3_jN6thrust23THRUST_200600_302600_NS6detail15normal_iteratorINSA_10device_ptrIjEEEEPS6_PKS6_NS0_5tupleIJSF_S6_EEENSJ_IJSG_SG_EEENS0_18inequality_wrapperI22is_equal_div_10_uniqueIjEEEPmJS6_EEE10hipError_tPvRmT3_T4_T5_T6_T7_T9_mT8_P12ihipStream_tbDpT10_ENKUlT_T0_E_clISt17integral_constantIbLb1EES1A_EEDaS15_S16_EUlS15_E_NS1_11comp_targetILNS1_3genE3ELNS1_11target_archE908ELNS1_3gpuE7ELNS1_3repE0EEENS1_30default_config_static_selectorELNS0_4arch9wavefront6targetE1EEEvT1_.has_indirect_call, 0
	.section	.AMDGPU.csdata,"",@progbits
; Kernel info:
; codeLenInByte = 0
; TotalNumSgprs: 4
; NumVgprs: 0
; ScratchSize: 0
; MemoryBound: 0
; FloatMode: 240
; IeeeMode: 1
; LDSByteSize: 0 bytes/workgroup (compile time only)
; SGPRBlocks: 0
; VGPRBlocks: 0
; NumSGPRsForWavesPerEU: 4
; NumVGPRsForWavesPerEU: 1
; Occupancy: 10
; WaveLimiterHint : 0
; COMPUTE_PGM_RSRC2:SCRATCH_EN: 0
; COMPUTE_PGM_RSRC2:USER_SGPR: 6
; COMPUTE_PGM_RSRC2:TRAP_HANDLER: 0
; COMPUTE_PGM_RSRC2:TGID_X_EN: 1
; COMPUTE_PGM_RSRC2:TGID_Y_EN: 0
; COMPUTE_PGM_RSRC2:TGID_Z_EN: 0
; COMPUTE_PGM_RSRC2:TIDIG_COMP_CNT: 0
	.section	.text._ZN7rocprim17ROCPRIM_400000_NS6detail17trampoline_kernelINS0_14default_configENS1_25partition_config_selectorILNS1_17partition_subalgoE8EjNS0_10empty_typeEbEEZZNS1_14partition_implILS5_8ELb0ES3_jN6thrust23THRUST_200600_302600_NS6detail15normal_iteratorINSA_10device_ptrIjEEEEPS6_PKS6_NS0_5tupleIJSF_S6_EEENSJ_IJSG_SG_EEENS0_18inequality_wrapperI22is_equal_div_10_uniqueIjEEEPmJS6_EEE10hipError_tPvRmT3_T4_T5_T6_T7_T9_mT8_P12ihipStream_tbDpT10_ENKUlT_T0_E_clISt17integral_constantIbLb1EES1A_EEDaS15_S16_EUlS15_E_NS1_11comp_targetILNS1_3genE2ELNS1_11target_archE906ELNS1_3gpuE6ELNS1_3repE0EEENS1_30default_config_static_selectorELNS0_4arch9wavefront6targetE1EEEvT1_,"axG",@progbits,_ZN7rocprim17ROCPRIM_400000_NS6detail17trampoline_kernelINS0_14default_configENS1_25partition_config_selectorILNS1_17partition_subalgoE8EjNS0_10empty_typeEbEEZZNS1_14partition_implILS5_8ELb0ES3_jN6thrust23THRUST_200600_302600_NS6detail15normal_iteratorINSA_10device_ptrIjEEEEPS6_PKS6_NS0_5tupleIJSF_S6_EEENSJ_IJSG_SG_EEENS0_18inequality_wrapperI22is_equal_div_10_uniqueIjEEEPmJS6_EEE10hipError_tPvRmT3_T4_T5_T6_T7_T9_mT8_P12ihipStream_tbDpT10_ENKUlT_T0_E_clISt17integral_constantIbLb1EES1A_EEDaS15_S16_EUlS15_E_NS1_11comp_targetILNS1_3genE2ELNS1_11target_archE906ELNS1_3gpuE6ELNS1_3repE0EEENS1_30default_config_static_selectorELNS0_4arch9wavefront6targetE1EEEvT1_,comdat
	.protected	_ZN7rocprim17ROCPRIM_400000_NS6detail17trampoline_kernelINS0_14default_configENS1_25partition_config_selectorILNS1_17partition_subalgoE8EjNS0_10empty_typeEbEEZZNS1_14partition_implILS5_8ELb0ES3_jN6thrust23THRUST_200600_302600_NS6detail15normal_iteratorINSA_10device_ptrIjEEEEPS6_PKS6_NS0_5tupleIJSF_S6_EEENSJ_IJSG_SG_EEENS0_18inequality_wrapperI22is_equal_div_10_uniqueIjEEEPmJS6_EEE10hipError_tPvRmT3_T4_T5_T6_T7_T9_mT8_P12ihipStream_tbDpT10_ENKUlT_T0_E_clISt17integral_constantIbLb1EES1A_EEDaS15_S16_EUlS15_E_NS1_11comp_targetILNS1_3genE2ELNS1_11target_archE906ELNS1_3gpuE6ELNS1_3repE0EEENS1_30default_config_static_selectorELNS0_4arch9wavefront6targetE1EEEvT1_ ; -- Begin function _ZN7rocprim17ROCPRIM_400000_NS6detail17trampoline_kernelINS0_14default_configENS1_25partition_config_selectorILNS1_17partition_subalgoE8EjNS0_10empty_typeEbEEZZNS1_14partition_implILS5_8ELb0ES3_jN6thrust23THRUST_200600_302600_NS6detail15normal_iteratorINSA_10device_ptrIjEEEEPS6_PKS6_NS0_5tupleIJSF_S6_EEENSJ_IJSG_SG_EEENS0_18inequality_wrapperI22is_equal_div_10_uniqueIjEEEPmJS6_EEE10hipError_tPvRmT3_T4_T5_T6_T7_T9_mT8_P12ihipStream_tbDpT10_ENKUlT_T0_E_clISt17integral_constantIbLb1EES1A_EEDaS15_S16_EUlS15_E_NS1_11comp_targetILNS1_3genE2ELNS1_11target_archE906ELNS1_3gpuE6ELNS1_3repE0EEENS1_30default_config_static_selectorELNS0_4arch9wavefront6targetE1EEEvT1_
	.globl	_ZN7rocprim17ROCPRIM_400000_NS6detail17trampoline_kernelINS0_14default_configENS1_25partition_config_selectorILNS1_17partition_subalgoE8EjNS0_10empty_typeEbEEZZNS1_14partition_implILS5_8ELb0ES3_jN6thrust23THRUST_200600_302600_NS6detail15normal_iteratorINSA_10device_ptrIjEEEEPS6_PKS6_NS0_5tupleIJSF_S6_EEENSJ_IJSG_SG_EEENS0_18inequality_wrapperI22is_equal_div_10_uniqueIjEEEPmJS6_EEE10hipError_tPvRmT3_T4_T5_T6_T7_T9_mT8_P12ihipStream_tbDpT10_ENKUlT_T0_E_clISt17integral_constantIbLb1EES1A_EEDaS15_S16_EUlS15_E_NS1_11comp_targetILNS1_3genE2ELNS1_11target_archE906ELNS1_3gpuE6ELNS1_3repE0EEENS1_30default_config_static_selectorELNS0_4arch9wavefront6targetE1EEEvT1_
	.p2align	8
	.type	_ZN7rocprim17ROCPRIM_400000_NS6detail17trampoline_kernelINS0_14default_configENS1_25partition_config_selectorILNS1_17partition_subalgoE8EjNS0_10empty_typeEbEEZZNS1_14partition_implILS5_8ELb0ES3_jN6thrust23THRUST_200600_302600_NS6detail15normal_iteratorINSA_10device_ptrIjEEEEPS6_PKS6_NS0_5tupleIJSF_S6_EEENSJ_IJSG_SG_EEENS0_18inequality_wrapperI22is_equal_div_10_uniqueIjEEEPmJS6_EEE10hipError_tPvRmT3_T4_T5_T6_T7_T9_mT8_P12ihipStream_tbDpT10_ENKUlT_T0_E_clISt17integral_constantIbLb1EES1A_EEDaS15_S16_EUlS15_E_NS1_11comp_targetILNS1_3genE2ELNS1_11target_archE906ELNS1_3gpuE6ELNS1_3repE0EEENS1_30default_config_static_selectorELNS0_4arch9wavefront6targetE1EEEvT1_,@function
_ZN7rocprim17ROCPRIM_400000_NS6detail17trampoline_kernelINS0_14default_configENS1_25partition_config_selectorILNS1_17partition_subalgoE8EjNS0_10empty_typeEbEEZZNS1_14partition_implILS5_8ELb0ES3_jN6thrust23THRUST_200600_302600_NS6detail15normal_iteratorINSA_10device_ptrIjEEEEPS6_PKS6_NS0_5tupleIJSF_S6_EEENSJ_IJSG_SG_EEENS0_18inequality_wrapperI22is_equal_div_10_uniqueIjEEEPmJS6_EEE10hipError_tPvRmT3_T4_T5_T6_T7_T9_mT8_P12ihipStream_tbDpT10_ENKUlT_T0_E_clISt17integral_constantIbLb1EES1A_EEDaS15_S16_EUlS15_E_NS1_11comp_targetILNS1_3genE2ELNS1_11target_archE906ELNS1_3gpuE6ELNS1_3repE0EEENS1_30default_config_static_selectorELNS0_4arch9wavefront6targetE1EEEvT1_: ; @_ZN7rocprim17ROCPRIM_400000_NS6detail17trampoline_kernelINS0_14default_configENS1_25partition_config_selectorILNS1_17partition_subalgoE8EjNS0_10empty_typeEbEEZZNS1_14partition_implILS5_8ELb0ES3_jN6thrust23THRUST_200600_302600_NS6detail15normal_iteratorINSA_10device_ptrIjEEEEPS6_PKS6_NS0_5tupleIJSF_S6_EEENSJ_IJSG_SG_EEENS0_18inequality_wrapperI22is_equal_div_10_uniqueIjEEEPmJS6_EEE10hipError_tPvRmT3_T4_T5_T6_T7_T9_mT8_P12ihipStream_tbDpT10_ENKUlT_T0_E_clISt17integral_constantIbLb1EES1A_EEDaS15_S16_EUlS15_E_NS1_11comp_targetILNS1_3genE2ELNS1_11target_archE906ELNS1_3gpuE6ELNS1_3repE0EEENS1_30default_config_static_selectorELNS0_4arch9wavefront6targetE1EEEvT1_
; %bb.0:
	s_endpgm
	.section	.rodata,"a",@progbits
	.p2align	6, 0x0
	.amdhsa_kernel _ZN7rocprim17ROCPRIM_400000_NS6detail17trampoline_kernelINS0_14default_configENS1_25partition_config_selectorILNS1_17partition_subalgoE8EjNS0_10empty_typeEbEEZZNS1_14partition_implILS5_8ELb0ES3_jN6thrust23THRUST_200600_302600_NS6detail15normal_iteratorINSA_10device_ptrIjEEEEPS6_PKS6_NS0_5tupleIJSF_S6_EEENSJ_IJSG_SG_EEENS0_18inequality_wrapperI22is_equal_div_10_uniqueIjEEEPmJS6_EEE10hipError_tPvRmT3_T4_T5_T6_T7_T9_mT8_P12ihipStream_tbDpT10_ENKUlT_T0_E_clISt17integral_constantIbLb1EES1A_EEDaS15_S16_EUlS15_E_NS1_11comp_targetILNS1_3genE2ELNS1_11target_archE906ELNS1_3gpuE6ELNS1_3repE0EEENS1_30default_config_static_selectorELNS0_4arch9wavefront6targetE1EEEvT1_
		.amdhsa_group_segment_fixed_size 0
		.amdhsa_private_segment_fixed_size 0
		.amdhsa_kernarg_size 128
		.amdhsa_user_sgpr_count 6
		.amdhsa_user_sgpr_private_segment_buffer 1
		.amdhsa_user_sgpr_dispatch_ptr 0
		.amdhsa_user_sgpr_queue_ptr 0
		.amdhsa_user_sgpr_kernarg_segment_ptr 1
		.amdhsa_user_sgpr_dispatch_id 0
		.amdhsa_user_sgpr_flat_scratch_init 0
		.amdhsa_user_sgpr_private_segment_size 0
		.amdhsa_uses_dynamic_stack 0
		.amdhsa_system_sgpr_private_segment_wavefront_offset 0
		.amdhsa_system_sgpr_workgroup_id_x 1
		.amdhsa_system_sgpr_workgroup_id_y 0
		.amdhsa_system_sgpr_workgroup_id_z 0
		.amdhsa_system_sgpr_workgroup_info 0
		.amdhsa_system_vgpr_workitem_id 0
		.amdhsa_next_free_vgpr 1
		.amdhsa_next_free_sgpr 0
		.amdhsa_reserve_vcc 0
		.amdhsa_reserve_flat_scratch 0
		.amdhsa_float_round_mode_32 0
		.amdhsa_float_round_mode_16_64 0
		.amdhsa_float_denorm_mode_32 3
		.amdhsa_float_denorm_mode_16_64 3
		.amdhsa_dx10_clamp 1
		.amdhsa_ieee_mode 1
		.amdhsa_fp16_overflow 0
		.amdhsa_exception_fp_ieee_invalid_op 0
		.amdhsa_exception_fp_denorm_src 0
		.amdhsa_exception_fp_ieee_div_zero 0
		.amdhsa_exception_fp_ieee_overflow 0
		.amdhsa_exception_fp_ieee_underflow 0
		.amdhsa_exception_fp_ieee_inexact 0
		.amdhsa_exception_int_div_zero 0
	.end_amdhsa_kernel
	.section	.text._ZN7rocprim17ROCPRIM_400000_NS6detail17trampoline_kernelINS0_14default_configENS1_25partition_config_selectorILNS1_17partition_subalgoE8EjNS0_10empty_typeEbEEZZNS1_14partition_implILS5_8ELb0ES3_jN6thrust23THRUST_200600_302600_NS6detail15normal_iteratorINSA_10device_ptrIjEEEEPS6_PKS6_NS0_5tupleIJSF_S6_EEENSJ_IJSG_SG_EEENS0_18inequality_wrapperI22is_equal_div_10_uniqueIjEEEPmJS6_EEE10hipError_tPvRmT3_T4_T5_T6_T7_T9_mT8_P12ihipStream_tbDpT10_ENKUlT_T0_E_clISt17integral_constantIbLb1EES1A_EEDaS15_S16_EUlS15_E_NS1_11comp_targetILNS1_3genE2ELNS1_11target_archE906ELNS1_3gpuE6ELNS1_3repE0EEENS1_30default_config_static_selectorELNS0_4arch9wavefront6targetE1EEEvT1_,"axG",@progbits,_ZN7rocprim17ROCPRIM_400000_NS6detail17trampoline_kernelINS0_14default_configENS1_25partition_config_selectorILNS1_17partition_subalgoE8EjNS0_10empty_typeEbEEZZNS1_14partition_implILS5_8ELb0ES3_jN6thrust23THRUST_200600_302600_NS6detail15normal_iteratorINSA_10device_ptrIjEEEEPS6_PKS6_NS0_5tupleIJSF_S6_EEENSJ_IJSG_SG_EEENS0_18inequality_wrapperI22is_equal_div_10_uniqueIjEEEPmJS6_EEE10hipError_tPvRmT3_T4_T5_T6_T7_T9_mT8_P12ihipStream_tbDpT10_ENKUlT_T0_E_clISt17integral_constantIbLb1EES1A_EEDaS15_S16_EUlS15_E_NS1_11comp_targetILNS1_3genE2ELNS1_11target_archE906ELNS1_3gpuE6ELNS1_3repE0EEENS1_30default_config_static_selectorELNS0_4arch9wavefront6targetE1EEEvT1_,comdat
.Lfunc_end254:
	.size	_ZN7rocprim17ROCPRIM_400000_NS6detail17trampoline_kernelINS0_14default_configENS1_25partition_config_selectorILNS1_17partition_subalgoE8EjNS0_10empty_typeEbEEZZNS1_14partition_implILS5_8ELb0ES3_jN6thrust23THRUST_200600_302600_NS6detail15normal_iteratorINSA_10device_ptrIjEEEEPS6_PKS6_NS0_5tupleIJSF_S6_EEENSJ_IJSG_SG_EEENS0_18inequality_wrapperI22is_equal_div_10_uniqueIjEEEPmJS6_EEE10hipError_tPvRmT3_T4_T5_T6_T7_T9_mT8_P12ihipStream_tbDpT10_ENKUlT_T0_E_clISt17integral_constantIbLb1EES1A_EEDaS15_S16_EUlS15_E_NS1_11comp_targetILNS1_3genE2ELNS1_11target_archE906ELNS1_3gpuE6ELNS1_3repE0EEENS1_30default_config_static_selectorELNS0_4arch9wavefront6targetE1EEEvT1_, .Lfunc_end254-_ZN7rocprim17ROCPRIM_400000_NS6detail17trampoline_kernelINS0_14default_configENS1_25partition_config_selectorILNS1_17partition_subalgoE8EjNS0_10empty_typeEbEEZZNS1_14partition_implILS5_8ELb0ES3_jN6thrust23THRUST_200600_302600_NS6detail15normal_iteratorINSA_10device_ptrIjEEEEPS6_PKS6_NS0_5tupleIJSF_S6_EEENSJ_IJSG_SG_EEENS0_18inequality_wrapperI22is_equal_div_10_uniqueIjEEEPmJS6_EEE10hipError_tPvRmT3_T4_T5_T6_T7_T9_mT8_P12ihipStream_tbDpT10_ENKUlT_T0_E_clISt17integral_constantIbLb1EES1A_EEDaS15_S16_EUlS15_E_NS1_11comp_targetILNS1_3genE2ELNS1_11target_archE906ELNS1_3gpuE6ELNS1_3repE0EEENS1_30default_config_static_selectorELNS0_4arch9wavefront6targetE1EEEvT1_
                                        ; -- End function
	.set _ZN7rocprim17ROCPRIM_400000_NS6detail17trampoline_kernelINS0_14default_configENS1_25partition_config_selectorILNS1_17partition_subalgoE8EjNS0_10empty_typeEbEEZZNS1_14partition_implILS5_8ELb0ES3_jN6thrust23THRUST_200600_302600_NS6detail15normal_iteratorINSA_10device_ptrIjEEEEPS6_PKS6_NS0_5tupleIJSF_S6_EEENSJ_IJSG_SG_EEENS0_18inequality_wrapperI22is_equal_div_10_uniqueIjEEEPmJS6_EEE10hipError_tPvRmT3_T4_T5_T6_T7_T9_mT8_P12ihipStream_tbDpT10_ENKUlT_T0_E_clISt17integral_constantIbLb1EES1A_EEDaS15_S16_EUlS15_E_NS1_11comp_targetILNS1_3genE2ELNS1_11target_archE906ELNS1_3gpuE6ELNS1_3repE0EEENS1_30default_config_static_selectorELNS0_4arch9wavefront6targetE1EEEvT1_.num_vgpr, 0
	.set _ZN7rocprim17ROCPRIM_400000_NS6detail17trampoline_kernelINS0_14default_configENS1_25partition_config_selectorILNS1_17partition_subalgoE8EjNS0_10empty_typeEbEEZZNS1_14partition_implILS5_8ELb0ES3_jN6thrust23THRUST_200600_302600_NS6detail15normal_iteratorINSA_10device_ptrIjEEEEPS6_PKS6_NS0_5tupleIJSF_S6_EEENSJ_IJSG_SG_EEENS0_18inequality_wrapperI22is_equal_div_10_uniqueIjEEEPmJS6_EEE10hipError_tPvRmT3_T4_T5_T6_T7_T9_mT8_P12ihipStream_tbDpT10_ENKUlT_T0_E_clISt17integral_constantIbLb1EES1A_EEDaS15_S16_EUlS15_E_NS1_11comp_targetILNS1_3genE2ELNS1_11target_archE906ELNS1_3gpuE6ELNS1_3repE0EEENS1_30default_config_static_selectorELNS0_4arch9wavefront6targetE1EEEvT1_.num_agpr, 0
	.set _ZN7rocprim17ROCPRIM_400000_NS6detail17trampoline_kernelINS0_14default_configENS1_25partition_config_selectorILNS1_17partition_subalgoE8EjNS0_10empty_typeEbEEZZNS1_14partition_implILS5_8ELb0ES3_jN6thrust23THRUST_200600_302600_NS6detail15normal_iteratorINSA_10device_ptrIjEEEEPS6_PKS6_NS0_5tupleIJSF_S6_EEENSJ_IJSG_SG_EEENS0_18inequality_wrapperI22is_equal_div_10_uniqueIjEEEPmJS6_EEE10hipError_tPvRmT3_T4_T5_T6_T7_T9_mT8_P12ihipStream_tbDpT10_ENKUlT_T0_E_clISt17integral_constantIbLb1EES1A_EEDaS15_S16_EUlS15_E_NS1_11comp_targetILNS1_3genE2ELNS1_11target_archE906ELNS1_3gpuE6ELNS1_3repE0EEENS1_30default_config_static_selectorELNS0_4arch9wavefront6targetE1EEEvT1_.numbered_sgpr, 0
	.set _ZN7rocprim17ROCPRIM_400000_NS6detail17trampoline_kernelINS0_14default_configENS1_25partition_config_selectorILNS1_17partition_subalgoE8EjNS0_10empty_typeEbEEZZNS1_14partition_implILS5_8ELb0ES3_jN6thrust23THRUST_200600_302600_NS6detail15normal_iteratorINSA_10device_ptrIjEEEEPS6_PKS6_NS0_5tupleIJSF_S6_EEENSJ_IJSG_SG_EEENS0_18inequality_wrapperI22is_equal_div_10_uniqueIjEEEPmJS6_EEE10hipError_tPvRmT3_T4_T5_T6_T7_T9_mT8_P12ihipStream_tbDpT10_ENKUlT_T0_E_clISt17integral_constantIbLb1EES1A_EEDaS15_S16_EUlS15_E_NS1_11comp_targetILNS1_3genE2ELNS1_11target_archE906ELNS1_3gpuE6ELNS1_3repE0EEENS1_30default_config_static_selectorELNS0_4arch9wavefront6targetE1EEEvT1_.num_named_barrier, 0
	.set _ZN7rocprim17ROCPRIM_400000_NS6detail17trampoline_kernelINS0_14default_configENS1_25partition_config_selectorILNS1_17partition_subalgoE8EjNS0_10empty_typeEbEEZZNS1_14partition_implILS5_8ELb0ES3_jN6thrust23THRUST_200600_302600_NS6detail15normal_iteratorINSA_10device_ptrIjEEEEPS6_PKS6_NS0_5tupleIJSF_S6_EEENSJ_IJSG_SG_EEENS0_18inequality_wrapperI22is_equal_div_10_uniqueIjEEEPmJS6_EEE10hipError_tPvRmT3_T4_T5_T6_T7_T9_mT8_P12ihipStream_tbDpT10_ENKUlT_T0_E_clISt17integral_constantIbLb1EES1A_EEDaS15_S16_EUlS15_E_NS1_11comp_targetILNS1_3genE2ELNS1_11target_archE906ELNS1_3gpuE6ELNS1_3repE0EEENS1_30default_config_static_selectorELNS0_4arch9wavefront6targetE1EEEvT1_.private_seg_size, 0
	.set _ZN7rocprim17ROCPRIM_400000_NS6detail17trampoline_kernelINS0_14default_configENS1_25partition_config_selectorILNS1_17partition_subalgoE8EjNS0_10empty_typeEbEEZZNS1_14partition_implILS5_8ELb0ES3_jN6thrust23THRUST_200600_302600_NS6detail15normal_iteratorINSA_10device_ptrIjEEEEPS6_PKS6_NS0_5tupleIJSF_S6_EEENSJ_IJSG_SG_EEENS0_18inequality_wrapperI22is_equal_div_10_uniqueIjEEEPmJS6_EEE10hipError_tPvRmT3_T4_T5_T6_T7_T9_mT8_P12ihipStream_tbDpT10_ENKUlT_T0_E_clISt17integral_constantIbLb1EES1A_EEDaS15_S16_EUlS15_E_NS1_11comp_targetILNS1_3genE2ELNS1_11target_archE906ELNS1_3gpuE6ELNS1_3repE0EEENS1_30default_config_static_selectorELNS0_4arch9wavefront6targetE1EEEvT1_.uses_vcc, 0
	.set _ZN7rocprim17ROCPRIM_400000_NS6detail17trampoline_kernelINS0_14default_configENS1_25partition_config_selectorILNS1_17partition_subalgoE8EjNS0_10empty_typeEbEEZZNS1_14partition_implILS5_8ELb0ES3_jN6thrust23THRUST_200600_302600_NS6detail15normal_iteratorINSA_10device_ptrIjEEEEPS6_PKS6_NS0_5tupleIJSF_S6_EEENSJ_IJSG_SG_EEENS0_18inequality_wrapperI22is_equal_div_10_uniqueIjEEEPmJS6_EEE10hipError_tPvRmT3_T4_T5_T6_T7_T9_mT8_P12ihipStream_tbDpT10_ENKUlT_T0_E_clISt17integral_constantIbLb1EES1A_EEDaS15_S16_EUlS15_E_NS1_11comp_targetILNS1_3genE2ELNS1_11target_archE906ELNS1_3gpuE6ELNS1_3repE0EEENS1_30default_config_static_selectorELNS0_4arch9wavefront6targetE1EEEvT1_.uses_flat_scratch, 0
	.set _ZN7rocprim17ROCPRIM_400000_NS6detail17trampoline_kernelINS0_14default_configENS1_25partition_config_selectorILNS1_17partition_subalgoE8EjNS0_10empty_typeEbEEZZNS1_14partition_implILS5_8ELb0ES3_jN6thrust23THRUST_200600_302600_NS6detail15normal_iteratorINSA_10device_ptrIjEEEEPS6_PKS6_NS0_5tupleIJSF_S6_EEENSJ_IJSG_SG_EEENS0_18inequality_wrapperI22is_equal_div_10_uniqueIjEEEPmJS6_EEE10hipError_tPvRmT3_T4_T5_T6_T7_T9_mT8_P12ihipStream_tbDpT10_ENKUlT_T0_E_clISt17integral_constantIbLb1EES1A_EEDaS15_S16_EUlS15_E_NS1_11comp_targetILNS1_3genE2ELNS1_11target_archE906ELNS1_3gpuE6ELNS1_3repE0EEENS1_30default_config_static_selectorELNS0_4arch9wavefront6targetE1EEEvT1_.has_dyn_sized_stack, 0
	.set _ZN7rocprim17ROCPRIM_400000_NS6detail17trampoline_kernelINS0_14default_configENS1_25partition_config_selectorILNS1_17partition_subalgoE8EjNS0_10empty_typeEbEEZZNS1_14partition_implILS5_8ELb0ES3_jN6thrust23THRUST_200600_302600_NS6detail15normal_iteratorINSA_10device_ptrIjEEEEPS6_PKS6_NS0_5tupleIJSF_S6_EEENSJ_IJSG_SG_EEENS0_18inequality_wrapperI22is_equal_div_10_uniqueIjEEEPmJS6_EEE10hipError_tPvRmT3_T4_T5_T6_T7_T9_mT8_P12ihipStream_tbDpT10_ENKUlT_T0_E_clISt17integral_constantIbLb1EES1A_EEDaS15_S16_EUlS15_E_NS1_11comp_targetILNS1_3genE2ELNS1_11target_archE906ELNS1_3gpuE6ELNS1_3repE0EEENS1_30default_config_static_selectorELNS0_4arch9wavefront6targetE1EEEvT1_.has_recursion, 0
	.set _ZN7rocprim17ROCPRIM_400000_NS6detail17trampoline_kernelINS0_14default_configENS1_25partition_config_selectorILNS1_17partition_subalgoE8EjNS0_10empty_typeEbEEZZNS1_14partition_implILS5_8ELb0ES3_jN6thrust23THRUST_200600_302600_NS6detail15normal_iteratorINSA_10device_ptrIjEEEEPS6_PKS6_NS0_5tupleIJSF_S6_EEENSJ_IJSG_SG_EEENS0_18inequality_wrapperI22is_equal_div_10_uniqueIjEEEPmJS6_EEE10hipError_tPvRmT3_T4_T5_T6_T7_T9_mT8_P12ihipStream_tbDpT10_ENKUlT_T0_E_clISt17integral_constantIbLb1EES1A_EEDaS15_S16_EUlS15_E_NS1_11comp_targetILNS1_3genE2ELNS1_11target_archE906ELNS1_3gpuE6ELNS1_3repE0EEENS1_30default_config_static_selectorELNS0_4arch9wavefront6targetE1EEEvT1_.has_indirect_call, 0
	.section	.AMDGPU.csdata,"",@progbits
; Kernel info:
; codeLenInByte = 4
; TotalNumSgprs: 4
; NumVgprs: 0
; ScratchSize: 0
; MemoryBound: 0
; FloatMode: 240
; IeeeMode: 1
; LDSByteSize: 0 bytes/workgroup (compile time only)
; SGPRBlocks: 0
; VGPRBlocks: 0
; NumSGPRsForWavesPerEU: 4
; NumVGPRsForWavesPerEU: 1
; Occupancy: 10
; WaveLimiterHint : 0
; COMPUTE_PGM_RSRC2:SCRATCH_EN: 0
; COMPUTE_PGM_RSRC2:USER_SGPR: 6
; COMPUTE_PGM_RSRC2:TRAP_HANDLER: 0
; COMPUTE_PGM_RSRC2:TGID_X_EN: 1
; COMPUTE_PGM_RSRC2:TGID_Y_EN: 0
; COMPUTE_PGM_RSRC2:TGID_Z_EN: 0
; COMPUTE_PGM_RSRC2:TIDIG_COMP_CNT: 0
	.section	.text._ZN7rocprim17ROCPRIM_400000_NS6detail17trampoline_kernelINS0_14default_configENS1_25partition_config_selectorILNS1_17partition_subalgoE8EjNS0_10empty_typeEbEEZZNS1_14partition_implILS5_8ELb0ES3_jN6thrust23THRUST_200600_302600_NS6detail15normal_iteratorINSA_10device_ptrIjEEEEPS6_PKS6_NS0_5tupleIJSF_S6_EEENSJ_IJSG_SG_EEENS0_18inequality_wrapperI22is_equal_div_10_uniqueIjEEEPmJS6_EEE10hipError_tPvRmT3_T4_T5_T6_T7_T9_mT8_P12ihipStream_tbDpT10_ENKUlT_T0_E_clISt17integral_constantIbLb1EES1A_EEDaS15_S16_EUlS15_E_NS1_11comp_targetILNS1_3genE10ELNS1_11target_archE1200ELNS1_3gpuE4ELNS1_3repE0EEENS1_30default_config_static_selectorELNS0_4arch9wavefront6targetE1EEEvT1_,"axG",@progbits,_ZN7rocprim17ROCPRIM_400000_NS6detail17trampoline_kernelINS0_14default_configENS1_25partition_config_selectorILNS1_17partition_subalgoE8EjNS0_10empty_typeEbEEZZNS1_14partition_implILS5_8ELb0ES3_jN6thrust23THRUST_200600_302600_NS6detail15normal_iteratorINSA_10device_ptrIjEEEEPS6_PKS6_NS0_5tupleIJSF_S6_EEENSJ_IJSG_SG_EEENS0_18inequality_wrapperI22is_equal_div_10_uniqueIjEEEPmJS6_EEE10hipError_tPvRmT3_T4_T5_T6_T7_T9_mT8_P12ihipStream_tbDpT10_ENKUlT_T0_E_clISt17integral_constantIbLb1EES1A_EEDaS15_S16_EUlS15_E_NS1_11comp_targetILNS1_3genE10ELNS1_11target_archE1200ELNS1_3gpuE4ELNS1_3repE0EEENS1_30default_config_static_selectorELNS0_4arch9wavefront6targetE1EEEvT1_,comdat
	.protected	_ZN7rocprim17ROCPRIM_400000_NS6detail17trampoline_kernelINS0_14default_configENS1_25partition_config_selectorILNS1_17partition_subalgoE8EjNS0_10empty_typeEbEEZZNS1_14partition_implILS5_8ELb0ES3_jN6thrust23THRUST_200600_302600_NS6detail15normal_iteratorINSA_10device_ptrIjEEEEPS6_PKS6_NS0_5tupleIJSF_S6_EEENSJ_IJSG_SG_EEENS0_18inequality_wrapperI22is_equal_div_10_uniqueIjEEEPmJS6_EEE10hipError_tPvRmT3_T4_T5_T6_T7_T9_mT8_P12ihipStream_tbDpT10_ENKUlT_T0_E_clISt17integral_constantIbLb1EES1A_EEDaS15_S16_EUlS15_E_NS1_11comp_targetILNS1_3genE10ELNS1_11target_archE1200ELNS1_3gpuE4ELNS1_3repE0EEENS1_30default_config_static_selectorELNS0_4arch9wavefront6targetE1EEEvT1_ ; -- Begin function _ZN7rocprim17ROCPRIM_400000_NS6detail17trampoline_kernelINS0_14default_configENS1_25partition_config_selectorILNS1_17partition_subalgoE8EjNS0_10empty_typeEbEEZZNS1_14partition_implILS5_8ELb0ES3_jN6thrust23THRUST_200600_302600_NS6detail15normal_iteratorINSA_10device_ptrIjEEEEPS6_PKS6_NS0_5tupleIJSF_S6_EEENSJ_IJSG_SG_EEENS0_18inequality_wrapperI22is_equal_div_10_uniqueIjEEEPmJS6_EEE10hipError_tPvRmT3_T4_T5_T6_T7_T9_mT8_P12ihipStream_tbDpT10_ENKUlT_T0_E_clISt17integral_constantIbLb1EES1A_EEDaS15_S16_EUlS15_E_NS1_11comp_targetILNS1_3genE10ELNS1_11target_archE1200ELNS1_3gpuE4ELNS1_3repE0EEENS1_30default_config_static_selectorELNS0_4arch9wavefront6targetE1EEEvT1_
	.globl	_ZN7rocprim17ROCPRIM_400000_NS6detail17trampoline_kernelINS0_14default_configENS1_25partition_config_selectorILNS1_17partition_subalgoE8EjNS0_10empty_typeEbEEZZNS1_14partition_implILS5_8ELb0ES3_jN6thrust23THRUST_200600_302600_NS6detail15normal_iteratorINSA_10device_ptrIjEEEEPS6_PKS6_NS0_5tupleIJSF_S6_EEENSJ_IJSG_SG_EEENS0_18inequality_wrapperI22is_equal_div_10_uniqueIjEEEPmJS6_EEE10hipError_tPvRmT3_T4_T5_T6_T7_T9_mT8_P12ihipStream_tbDpT10_ENKUlT_T0_E_clISt17integral_constantIbLb1EES1A_EEDaS15_S16_EUlS15_E_NS1_11comp_targetILNS1_3genE10ELNS1_11target_archE1200ELNS1_3gpuE4ELNS1_3repE0EEENS1_30default_config_static_selectorELNS0_4arch9wavefront6targetE1EEEvT1_
	.p2align	8
	.type	_ZN7rocprim17ROCPRIM_400000_NS6detail17trampoline_kernelINS0_14default_configENS1_25partition_config_selectorILNS1_17partition_subalgoE8EjNS0_10empty_typeEbEEZZNS1_14partition_implILS5_8ELb0ES3_jN6thrust23THRUST_200600_302600_NS6detail15normal_iteratorINSA_10device_ptrIjEEEEPS6_PKS6_NS0_5tupleIJSF_S6_EEENSJ_IJSG_SG_EEENS0_18inequality_wrapperI22is_equal_div_10_uniqueIjEEEPmJS6_EEE10hipError_tPvRmT3_T4_T5_T6_T7_T9_mT8_P12ihipStream_tbDpT10_ENKUlT_T0_E_clISt17integral_constantIbLb1EES1A_EEDaS15_S16_EUlS15_E_NS1_11comp_targetILNS1_3genE10ELNS1_11target_archE1200ELNS1_3gpuE4ELNS1_3repE0EEENS1_30default_config_static_selectorELNS0_4arch9wavefront6targetE1EEEvT1_,@function
_ZN7rocprim17ROCPRIM_400000_NS6detail17trampoline_kernelINS0_14default_configENS1_25partition_config_selectorILNS1_17partition_subalgoE8EjNS0_10empty_typeEbEEZZNS1_14partition_implILS5_8ELb0ES3_jN6thrust23THRUST_200600_302600_NS6detail15normal_iteratorINSA_10device_ptrIjEEEEPS6_PKS6_NS0_5tupleIJSF_S6_EEENSJ_IJSG_SG_EEENS0_18inequality_wrapperI22is_equal_div_10_uniqueIjEEEPmJS6_EEE10hipError_tPvRmT3_T4_T5_T6_T7_T9_mT8_P12ihipStream_tbDpT10_ENKUlT_T0_E_clISt17integral_constantIbLb1EES1A_EEDaS15_S16_EUlS15_E_NS1_11comp_targetILNS1_3genE10ELNS1_11target_archE1200ELNS1_3gpuE4ELNS1_3repE0EEENS1_30default_config_static_selectorELNS0_4arch9wavefront6targetE1EEEvT1_: ; @_ZN7rocprim17ROCPRIM_400000_NS6detail17trampoline_kernelINS0_14default_configENS1_25partition_config_selectorILNS1_17partition_subalgoE8EjNS0_10empty_typeEbEEZZNS1_14partition_implILS5_8ELb0ES3_jN6thrust23THRUST_200600_302600_NS6detail15normal_iteratorINSA_10device_ptrIjEEEEPS6_PKS6_NS0_5tupleIJSF_S6_EEENSJ_IJSG_SG_EEENS0_18inequality_wrapperI22is_equal_div_10_uniqueIjEEEPmJS6_EEE10hipError_tPvRmT3_T4_T5_T6_T7_T9_mT8_P12ihipStream_tbDpT10_ENKUlT_T0_E_clISt17integral_constantIbLb1EES1A_EEDaS15_S16_EUlS15_E_NS1_11comp_targetILNS1_3genE10ELNS1_11target_archE1200ELNS1_3gpuE4ELNS1_3repE0EEENS1_30default_config_static_selectorELNS0_4arch9wavefront6targetE1EEEvT1_
; %bb.0:
	.section	.rodata,"a",@progbits
	.p2align	6, 0x0
	.amdhsa_kernel _ZN7rocprim17ROCPRIM_400000_NS6detail17trampoline_kernelINS0_14default_configENS1_25partition_config_selectorILNS1_17partition_subalgoE8EjNS0_10empty_typeEbEEZZNS1_14partition_implILS5_8ELb0ES3_jN6thrust23THRUST_200600_302600_NS6detail15normal_iteratorINSA_10device_ptrIjEEEEPS6_PKS6_NS0_5tupleIJSF_S6_EEENSJ_IJSG_SG_EEENS0_18inequality_wrapperI22is_equal_div_10_uniqueIjEEEPmJS6_EEE10hipError_tPvRmT3_T4_T5_T6_T7_T9_mT8_P12ihipStream_tbDpT10_ENKUlT_T0_E_clISt17integral_constantIbLb1EES1A_EEDaS15_S16_EUlS15_E_NS1_11comp_targetILNS1_3genE10ELNS1_11target_archE1200ELNS1_3gpuE4ELNS1_3repE0EEENS1_30default_config_static_selectorELNS0_4arch9wavefront6targetE1EEEvT1_
		.amdhsa_group_segment_fixed_size 0
		.amdhsa_private_segment_fixed_size 0
		.amdhsa_kernarg_size 128
		.amdhsa_user_sgpr_count 6
		.amdhsa_user_sgpr_private_segment_buffer 1
		.amdhsa_user_sgpr_dispatch_ptr 0
		.amdhsa_user_sgpr_queue_ptr 0
		.amdhsa_user_sgpr_kernarg_segment_ptr 1
		.amdhsa_user_sgpr_dispatch_id 0
		.amdhsa_user_sgpr_flat_scratch_init 0
		.amdhsa_user_sgpr_private_segment_size 0
		.amdhsa_uses_dynamic_stack 0
		.amdhsa_system_sgpr_private_segment_wavefront_offset 0
		.amdhsa_system_sgpr_workgroup_id_x 1
		.amdhsa_system_sgpr_workgroup_id_y 0
		.amdhsa_system_sgpr_workgroup_id_z 0
		.amdhsa_system_sgpr_workgroup_info 0
		.amdhsa_system_vgpr_workitem_id 0
		.amdhsa_next_free_vgpr 1
		.amdhsa_next_free_sgpr 0
		.amdhsa_reserve_vcc 0
		.amdhsa_reserve_flat_scratch 0
		.amdhsa_float_round_mode_32 0
		.amdhsa_float_round_mode_16_64 0
		.amdhsa_float_denorm_mode_32 3
		.amdhsa_float_denorm_mode_16_64 3
		.amdhsa_dx10_clamp 1
		.amdhsa_ieee_mode 1
		.amdhsa_fp16_overflow 0
		.amdhsa_exception_fp_ieee_invalid_op 0
		.amdhsa_exception_fp_denorm_src 0
		.amdhsa_exception_fp_ieee_div_zero 0
		.amdhsa_exception_fp_ieee_overflow 0
		.amdhsa_exception_fp_ieee_underflow 0
		.amdhsa_exception_fp_ieee_inexact 0
		.amdhsa_exception_int_div_zero 0
	.end_amdhsa_kernel
	.section	.text._ZN7rocprim17ROCPRIM_400000_NS6detail17trampoline_kernelINS0_14default_configENS1_25partition_config_selectorILNS1_17partition_subalgoE8EjNS0_10empty_typeEbEEZZNS1_14partition_implILS5_8ELb0ES3_jN6thrust23THRUST_200600_302600_NS6detail15normal_iteratorINSA_10device_ptrIjEEEEPS6_PKS6_NS0_5tupleIJSF_S6_EEENSJ_IJSG_SG_EEENS0_18inequality_wrapperI22is_equal_div_10_uniqueIjEEEPmJS6_EEE10hipError_tPvRmT3_T4_T5_T6_T7_T9_mT8_P12ihipStream_tbDpT10_ENKUlT_T0_E_clISt17integral_constantIbLb1EES1A_EEDaS15_S16_EUlS15_E_NS1_11comp_targetILNS1_3genE10ELNS1_11target_archE1200ELNS1_3gpuE4ELNS1_3repE0EEENS1_30default_config_static_selectorELNS0_4arch9wavefront6targetE1EEEvT1_,"axG",@progbits,_ZN7rocprim17ROCPRIM_400000_NS6detail17trampoline_kernelINS0_14default_configENS1_25partition_config_selectorILNS1_17partition_subalgoE8EjNS0_10empty_typeEbEEZZNS1_14partition_implILS5_8ELb0ES3_jN6thrust23THRUST_200600_302600_NS6detail15normal_iteratorINSA_10device_ptrIjEEEEPS6_PKS6_NS0_5tupleIJSF_S6_EEENSJ_IJSG_SG_EEENS0_18inequality_wrapperI22is_equal_div_10_uniqueIjEEEPmJS6_EEE10hipError_tPvRmT3_T4_T5_T6_T7_T9_mT8_P12ihipStream_tbDpT10_ENKUlT_T0_E_clISt17integral_constantIbLb1EES1A_EEDaS15_S16_EUlS15_E_NS1_11comp_targetILNS1_3genE10ELNS1_11target_archE1200ELNS1_3gpuE4ELNS1_3repE0EEENS1_30default_config_static_selectorELNS0_4arch9wavefront6targetE1EEEvT1_,comdat
.Lfunc_end255:
	.size	_ZN7rocprim17ROCPRIM_400000_NS6detail17trampoline_kernelINS0_14default_configENS1_25partition_config_selectorILNS1_17partition_subalgoE8EjNS0_10empty_typeEbEEZZNS1_14partition_implILS5_8ELb0ES3_jN6thrust23THRUST_200600_302600_NS6detail15normal_iteratorINSA_10device_ptrIjEEEEPS6_PKS6_NS0_5tupleIJSF_S6_EEENSJ_IJSG_SG_EEENS0_18inequality_wrapperI22is_equal_div_10_uniqueIjEEEPmJS6_EEE10hipError_tPvRmT3_T4_T5_T6_T7_T9_mT8_P12ihipStream_tbDpT10_ENKUlT_T0_E_clISt17integral_constantIbLb1EES1A_EEDaS15_S16_EUlS15_E_NS1_11comp_targetILNS1_3genE10ELNS1_11target_archE1200ELNS1_3gpuE4ELNS1_3repE0EEENS1_30default_config_static_selectorELNS0_4arch9wavefront6targetE1EEEvT1_, .Lfunc_end255-_ZN7rocprim17ROCPRIM_400000_NS6detail17trampoline_kernelINS0_14default_configENS1_25partition_config_selectorILNS1_17partition_subalgoE8EjNS0_10empty_typeEbEEZZNS1_14partition_implILS5_8ELb0ES3_jN6thrust23THRUST_200600_302600_NS6detail15normal_iteratorINSA_10device_ptrIjEEEEPS6_PKS6_NS0_5tupleIJSF_S6_EEENSJ_IJSG_SG_EEENS0_18inequality_wrapperI22is_equal_div_10_uniqueIjEEEPmJS6_EEE10hipError_tPvRmT3_T4_T5_T6_T7_T9_mT8_P12ihipStream_tbDpT10_ENKUlT_T0_E_clISt17integral_constantIbLb1EES1A_EEDaS15_S16_EUlS15_E_NS1_11comp_targetILNS1_3genE10ELNS1_11target_archE1200ELNS1_3gpuE4ELNS1_3repE0EEENS1_30default_config_static_selectorELNS0_4arch9wavefront6targetE1EEEvT1_
                                        ; -- End function
	.set _ZN7rocprim17ROCPRIM_400000_NS6detail17trampoline_kernelINS0_14default_configENS1_25partition_config_selectorILNS1_17partition_subalgoE8EjNS0_10empty_typeEbEEZZNS1_14partition_implILS5_8ELb0ES3_jN6thrust23THRUST_200600_302600_NS6detail15normal_iteratorINSA_10device_ptrIjEEEEPS6_PKS6_NS0_5tupleIJSF_S6_EEENSJ_IJSG_SG_EEENS0_18inequality_wrapperI22is_equal_div_10_uniqueIjEEEPmJS6_EEE10hipError_tPvRmT3_T4_T5_T6_T7_T9_mT8_P12ihipStream_tbDpT10_ENKUlT_T0_E_clISt17integral_constantIbLb1EES1A_EEDaS15_S16_EUlS15_E_NS1_11comp_targetILNS1_3genE10ELNS1_11target_archE1200ELNS1_3gpuE4ELNS1_3repE0EEENS1_30default_config_static_selectorELNS0_4arch9wavefront6targetE1EEEvT1_.num_vgpr, 0
	.set _ZN7rocprim17ROCPRIM_400000_NS6detail17trampoline_kernelINS0_14default_configENS1_25partition_config_selectorILNS1_17partition_subalgoE8EjNS0_10empty_typeEbEEZZNS1_14partition_implILS5_8ELb0ES3_jN6thrust23THRUST_200600_302600_NS6detail15normal_iteratorINSA_10device_ptrIjEEEEPS6_PKS6_NS0_5tupleIJSF_S6_EEENSJ_IJSG_SG_EEENS0_18inequality_wrapperI22is_equal_div_10_uniqueIjEEEPmJS6_EEE10hipError_tPvRmT3_T4_T5_T6_T7_T9_mT8_P12ihipStream_tbDpT10_ENKUlT_T0_E_clISt17integral_constantIbLb1EES1A_EEDaS15_S16_EUlS15_E_NS1_11comp_targetILNS1_3genE10ELNS1_11target_archE1200ELNS1_3gpuE4ELNS1_3repE0EEENS1_30default_config_static_selectorELNS0_4arch9wavefront6targetE1EEEvT1_.num_agpr, 0
	.set _ZN7rocprim17ROCPRIM_400000_NS6detail17trampoline_kernelINS0_14default_configENS1_25partition_config_selectorILNS1_17partition_subalgoE8EjNS0_10empty_typeEbEEZZNS1_14partition_implILS5_8ELb0ES3_jN6thrust23THRUST_200600_302600_NS6detail15normal_iteratorINSA_10device_ptrIjEEEEPS6_PKS6_NS0_5tupleIJSF_S6_EEENSJ_IJSG_SG_EEENS0_18inequality_wrapperI22is_equal_div_10_uniqueIjEEEPmJS6_EEE10hipError_tPvRmT3_T4_T5_T6_T7_T9_mT8_P12ihipStream_tbDpT10_ENKUlT_T0_E_clISt17integral_constantIbLb1EES1A_EEDaS15_S16_EUlS15_E_NS1_11comp_targetILNS1_3genE10ELNS1_11target_archE1200ELNS1_3gpuE4ELNS1_3repE0EEENS1_30default_config_static_selectorELNS0_4arch9wavefront6targetE1EEEvT1_.numbered_sgpr, 0
	.set _ZN7rocprim17ROCPRIM_400000_NS6detail17trampoline_kernelINS0_14default_configENS1_25partition_config_selectorILNS1_17partition_subalgoE8EjNS0_10empty_typeEbEEZZNS1_14partition_implILS5_8ELb0ES3_jN6thrust23THRUST_200600_302600_NS6detail15normal_iteratorINSA_10device_ptrIjEEEEPS6_PKS6_NS0_5tupleIJSF_S6_EEENSJ_IJSG_SG_EEENS0_18inequality_wrapperI22is_equal_div_10_uniqueIjEEEPmJS6_EEE10hipError_tPvRmT3_T4_T5_T6_T7_T9_mT8_P12ihipStream_tbDpT10_ENKUlT_T0_E_clISt17integral_constantIbLb1EES1A_EEDaS15_S16_EUlS15_E_NS1_11comp_targetILNS1_3genE10ELNS1_11target_archE1200ELNS1_3gpuE4ELNS1_3repE0EEENS1_30default_config_static_selectorELNS0_4arch9wavefront6targetE1EEEvT1_.num_named_barrier, 0
	.set _ZN7rocprim17ROCPRIM_400000_NS6detail17trampoline_kernelINS0_14default_configENS1_25partition_config_selectorILNS1_17partition_subalgoE8EjNS0_10empty_typeEbEEZZNS1_14partition_implILS5_8ELb0ES3_jN6thrust23THRUST_200600_302600_NS6detail15normal_iteratorINSA_10device_ptrIjEEEEPS6_PKS6_NS0_5tupleIJSF_S6_EEENSJ_IJSG_SG_EEENS0_18inequality_wrapperI22is_equal_div_10_uniqueIjEEEPmJS6_EEE10hipError_tPvRmT3_T4_T5_T6_T7_T9_mT8_P12ihipStream_tbDpT10_ENKUlT_T0_E_clISt17integral_constantIbLb1EES1A_EEDaS15_S16_EUlS15_E_NS1_11comp_targetILNS1_3genE10ELNS1_11target_archE1200ELNS1_3gpuE4ELNS1_3repE0EEENS1_30default_config_static_selectorELNS0_4arch9wavefront6targetE1EEEvT1_.private_seg_size, 0
	.set _ZN7rocprim17ROCPRIM_400000_NS6detail17trampoline_kernelINS0_14default_configENS1_25partition_config_selectorILNS1_17partition_subalgoE8EjNS0_10empty_typeEbEEZZNS1_14partition_implILS5_8ELb0ES3_jN6thrust23THRUST_200600_302600_NS6detail15normal_iteratorINSA_10device_ptrIjEEEEPS6_PKS6_NS0_5tupleIJSF_S6_EEENSJ_IJSG_SG_EEENS0_18inequality_wrapperI22is_equal_div_10_uniqueIjEEEPmJS6_EEE10hipError_tPvRmT3_T4_T5_T6_T7_T9_mT8_P12ihipStream_tbDpT10_ENKUlT_T0_E_clISt17integral_constantIbLb1EES1A_EEDaS15_S16_EUlS15_E_NS1_11comp_targetILNS1_3genE10ELNS1_11target_archE1200ELNS1_3gpuE4ELNS1_3repE0EEENS1_30default_config_static_selectorELNS0_4arch9wavefront6targetE1EEEvT1_.uses_vcc, 0
	.set _ZN7rocprim17ROCPRIM_400000_NS6detail17trampoline_kernelINS0_14default_configENS1_25partition_config_selectorILNS1_17partition_subalgoE8EjNS0_10empty_typeEbEEZZNS1_14partition_implILS5_8ELb0ES3_jN6thrust23THRUST_200600_302600_NS6detail15normal_iteratorINSA_10device_ptrIjEEEEPS6_PKS6_NS0_5tupleIJSF_S6_EEENSJ_IJSG_SG_EEENS0_18inequality_wrapperI22is_equal_div_10_uniqueIjEEEPmJS6_EEE10hipError_tPvRmT3_T4_T5_T6_T7_T9_mT8_P12ihipStream_tbDpT10_ENKUlT_T0_E_clISt17integral_constantIbLb1EES1A_EEDaS15_S16_EUlS15_E_NS1_11comp_targetILNS1_3genE10ELNS1_11target_archE1200ELNS1_3gpuE4ELNS1_3repE0EEENS1_30default_config_static_selectorELNS0_4arch9wavefront6targetE1EEEvT1_.uses_flat_scratch, 0
	.set _ZN7rocprim17ROCPRIM_400000_NS6detail17trampoline_kernelINS0_14default_configENS1_25partition_config_selectorILNS1_17partition_subalgoE8EjNS0_10empty_typeEbEEZZNS1_14partition_implILS5_8ELb0ES3_jN6thrust23THRUST_200600_302600_NS6detail15normal_iteratorINSA_10device_ptrIjEEEEPS6_PKS6_NS0_5tupleIJSF_S6_EEENSJ_IJSG_SG_EEENS0_18inequality_wrapperI22is_equal_div_10_uniqueIjEEEPmJS6_EEE10hipError_tPvRmT3_T4_T5_T6_T7_T9_mT8_P12ihipStream_tbDpT10_ENKUlT_T0_E_clISt17integral_constantIbLb1EES1A_EEDaS15_S16_EUlS15_E_NS1_11comp_targetILNS1_3genE10ELNS1_11target_archE1200ELNS1_3gpuE4ELNS1_3repE0EEENS1_30default_config_static_selectorELNS0_4arch9wavefront6targetE1EEEvT1_.has_dyn_sized_stack, 0
	.set _ZN7rocprim17ROCPRIM_400000_NS6detail17trampoline_kernelINS0_14default_configENS1_25partition_config_selectorILNS1_17partition_subalgoE8EjNS0_10empty_typeEbEEZZNS1_14partition_implILS5_8ELb0ES3_jN6thrust23THRUST_200600_302600_NS6detail15normal_iteratorINSA_10device_ptrIjEEEEPS6_PKS6_NS0_5tupleIJSF_S6_EEENSJ_IJSG_SG_EEENS0_18inequality_wrapperI22is_equal_div_10_uniqueIjEEEPmJS6_EEE10hipError_tPvRmT3_T4_T5_T6_T7_T9_mT8_P12ihipStream_tbDpT10_ENKUlT_T0_E_clISt17integral_constantIbLb1EES1A_EEDaS15_S16_EUlS15_E_NS1_11comp_targetILNS1_3genE10ELNS1_11target_archE1200ELNS1_3gpuE4ELNS1_3repE0EEENS1_30default_config_static_selectorELNS0_4arch9wavefront6targetE1EEEvT1_.has_recursion, 0
	.set _ZN7rocprim17ROCPRIM_400000_NS6detail17trampoline_kernelINS0_14default_configENS1_25partition_config_selectorILNS1_17partition_subalgoE8EjNS0_10empty_typeEbEEZZNS1_14partition_implILS5_8ELb0ES3_jN6thrust23THRUST_200600_302600_NS6detail15normal_iteratorINSA_10device_ptrIjEEEEPS6_PKS6_NS0_5tupleIJSF_S6_EEENSJ_IJSG_SG_EEENS0_18inequality_wrapperI22is_equal_div_10_uniqueIjEEEPmJS6_EEE10hipError_tPvRmT3_T4_T5_T6_T7_T9_mT8_P12ihipStream_tbDpT10_ENKUlT_T0_E_clISt17integral_constantIbLb1EES1A_EEDaS15_S16_EUlS15_E_NS1_11comp_targetILNS1_3genE10ELNS1_11target_archE1200ELNS1_3gpuE4ELNS1_3repE0EEENS1_30default_config_static_selectorELNS0_4arch9wavefront6targetE1EEEvT1_.has_indirect_call, 0
	.section	.AMDGPU.csdata,"",@progbits
; Kernel info:
; codeLenInByte = 0
; TotalNumSgprs: 4
; NumVgprs: 0
; ScratchSize: 0
; MemoryBound: 0
; FloatMode: 240
; IeeeMode: 1
; LDSByteSize: 0 bytes/workgroup (compile time only)
; SGPRBlocks: 0
; VGPRBlocks: 0
; NumSGPRsForWavesPerEU: 4
; NumVGPRsForWavesPerEU: 1
; Occupancy: 10
; WaveLimiterHint : 0
; COMPUTE_PGM_RSRC2:SCRATCH_EN: 0
; COMPUTE_PGM_RSRC2:USER_SGPR: 6
; COMPUTE_PGM_RSRC2:TRAP_HANDLER: 0
; COMPUTE_PGM_RSRC2:TGID_X_EN: 1
; COMPUTE_PGM_RSRC2:TGID_Y_EN: 0
; COMPUTE_PGM_RSRC2:TGID_Z_EN: 0
; COMPUTE_PGM_RSRC2:TIDIG_COMP_CNT: 0
	.section	.text._ZN7rocprim17ROCPRIM_400000_NS6detail17trampoline_kernelINS0_14default_configENS1_25partition_config_selectorILNS1_17partition_subalgoE8EjNS0_10empty_typeEbEEZZNS1_14partition_implILS5_8ELb0ES3_jN6thrust23THRUST_200600_302600_NS6detail15normal_iteratorINSA_10device_ptrIjEEEEPS6_PKS6_NS0_5tupleIJSF_S6_EEENSJ_IJSG_SG_EEENS0_18inequality_wrapperI22is_equal_div_10_uniqueIjEEEPmJS6_EEE10hipError_tPvRmT3_T4_T5_T6_T7_T9_mT8_P12ihipStream_tbDpT10_ENKUlT_T0_E_clISt17integral_constantIbLb1EES1A_EEDaS15_S16_EUlS15_E_NS1_11comp_targetILNS1_3genE9ELNS1_11target_archE1100ELNS1_3gpuE3ELNS1_3repE0EEENS1_30default_config_static_selectorELNS0_4arch9wavefront6targetE1EEEvT1_,"axG",@progbits,_ZN7rocprim17ROCPRIM_400000_NS6detail17trampoline_kernelINS0_14default_configENS1_25partition_config_selectorILNS1_17partition_subalgoE8EjNS0_10empty_typeEbEEZZNS1_14partition_implILS5_8ELb0ES3_jN6thrust23THRUST_200600_302600_NS6detail15normal_iteratorINSA_10device_ptrIjEEEEPS6_PKS6_NS0_5tupleIJSF_S6_EEENSJ_IJSG_SG_EEENS0_18inequality_wrapperI22is_equal_div_10_uniqueIjEEEPmJS6_EEE10hipError_tPvRmT3_T4_T5_T6_T7_T9_mT8_P12ihipStream_tbDpT10_ENKUlT_T0_E_clISt17integral_constantIbLb1EES1A_EEDaS15_S16_EUlS15_E_NS1_11comp_targetILNS1_3genE9ELNS1_11target_archE1100ELNS1_3gpuE3ELNS1_3repE0EEENS1_30default_config_static_selectorELNS0_4arch9wavefront6targetE1EEEvT1_,comdat
	.protected	_ZN7rocprim17ROCPRIM_400000_NS6detail17trampoline_kernelINS0_14default_configENS1_25partition_config_selectorILNS1_17partition_subalgoE8EjNS0_10empty_typeEbEEZZNS1_14partition_implILS5_8ELb0ES3_jN6thrust23THRUST_200600_302600_NS6detail15normal_iteratorINSA_10device_ptrIjEEEEPS6_PKS6_NS0_5tupleIJSF_S6_EEENSJ_IJSG_SG_EEENS0_18inequality_wrapperI22is_equal_div_10_uniqueIjEEEPmJS6_EEE10hipError_tPvRmT3_T4_T5_T6_T7_T9_mT8_P12ihipStream_tbDpT10_ENKUlT_T0_E_clISt17integral_constantIbLb1EES1A_EEDaS15_S16_EUlS15_E_NS1_11comp_targetILNS1_3genE9ELNS1_11target_archE1100ELNS1_3gpuE3ELNS1_3repE0EEENS1_30default_config_static_selectorELNS0_4arch9wavefront6targetE1EEEvT1_ ; -- Begin function _ZN7rocprim17ROCPRIM_400000_NS6detail17trampoline_kernelINS0_14default_configENS1_25partition_config_selectorILNS1_17partition_subalgoE8EjNS0_10empty_typeEbEEZZNS1_14partition_implILS5_8ELb0ES3_jN6thrust23THRUST_200600_302600_NS6detail15normal_iteratorINSA_10device_ptrIjEEEEPS6_PKS6_NS0_5tupleIJSF_S6_EEENSJ_IJSG_SG_EEENS0_18inequality_wrapperI22is_equal_div_10_uniqueIjEEEPmJS6_EEE10hipError_tPvRmT3_T4_T5_T6_T7_T9_mT8_P12ihipStream_tbDpT10_ENKUlT_T0_E_clISt17integral_constantIbLb1EES1A_EEDaS15_S16_EUlS15_E_NS1_11comp_targetILNS1_3genE9ELNS1_11target_archE1100ELNS1_3gpuE3ELNS1_3repE0EEENS1_30default_config_static_selectorELNS0_4arch9wavefront6targetE1EEEvT1_
	.globl	_ZN7rocprim17ROCPRIM_400000_NS6detail17trampoline_kernelINS0_14default_configENS1_25partition_config_selectorILNS1_17partition_subalgoE8EjNS0_10empty_typeEbEEZZNS1_14partition_implILS5_8ELb0ES3_jN6thrust23THRUST_200600_302600_NS6detail15normal_iteratorINSA_10device_ptrIjEEEEPS6_PKS6_NS0_5tupleIJSF_S6_EEENSJ_IJSG_SG_EEENS0_18inequality_wrapperI22is_equal_div_10_uniqueIjEEEPmJS6_EEE10hipError_tPvRmT3_T4_T5_T6_T7_T9_mT8_P12ihipStream_tbDpT10_ENKUlT_T0_E_clISt17integral_constantIbLb1EES1A_EEDaS15_S16_EUlS15_E_NS1_11comp_targetILNS1_3genE9ELNS1_11target_archE1100ELNS1_3gpuE3ELNS1_3repE0EEENS1_30default_config_static_selectorELNS0_4arch9wavefront6targetE1EEEvT1_
	.p2align	8
	.type	_ZN7rocprim17ROCPRIM_400000_NS6detail17trampoline_kernelINS0_14default_configENS1_25partition_config_selectorILNS1_17partition_subalgoE8EjNS0_10empty_typeEbEEZZNS1_14partition_implILS5_8ELb0ES3_jN6thrust23THRUST_200600_302600_NS6detail15normal_iteratorINSA_10device_ptrIjEEEEPS6_PKS6_NS0_5tupleIJSF_S6_EEENSJ_IJSG_SG_EEENS0_18inequality_wrapperI22is_equal_div_10_uniqueIjEEEPmJS6_EEE10hipError_tPvRmT3_T4_T5_T6_T7_T9_mT8_P12ihipStream_tbDpT10_ENKUlT_T0_E_clISt17integral_constantIbLb1EES1A_EEDaS15_S16_EUlS15_E_NS1_11comp_targetILNS1_3genE9ELNS1_11target_archE1100ELNS1_3gpuE3ELNS1_3repE0EEENS1_30default_config_static_selectorELNS0_4arch9wavefront6targetE1EEEvT1_,@function
_ZN7rocprim17ROCPRIM_400000_NS6detail17trampoline_kernelINS0_14default_configENS1_25partition_config_selectorILNS1_17partition_subalgoE8EjNS0_10empty_typeEbEEZZNS1_14partition_implILS5_8ELb0ES3_jN6thrust23THRUST_200600_302600_NS6detail15normal_iteratorINSA_10device_ptrIjEEEEPS6_PKS6_NS0_5tupleIJSF_S6_EEENSJ_IJSG_SG_EEENS0_18inequality_wrapperI22is_equal_div_10_uniqueIjEEEPmJS6_EEE10hipError_tPvRmT3_T4_T5_T6_T7_T9_mT8_P12ihipStream_tbDpT10_ENKUlT_T0_E_clISt17integral_constantIbLb1EES1A_EEDaS15_S16_EUlS15_E_NS1_11comp_targetILNS1_3genE9ELNS1_11target_archE1100ELNS1_3gpuE3ELNS1_3repE0EEENS1_30default_config_static_selectorELNS0_4arch9wavefront6targetE1EEEvT1_: ; @_ZN7rocprim17ROCPRIM_400000_NS6detail17trampoline_kernelINS0_14default_configENS1_25partition_config_selectorILNS1_17partition_subalgoE8EjNS0_10empty_typeEbEEZZNS1_14partition_implILS5_8ELb0ES3_jN6thrust23THRUST_200600_302600_NS6detail15normal_iteratorINSA_10device_ptrIjEEEEPS6_PKS6_NS0_5tupleIJSF_S6_EEENSJ_IJSG_SG_EEENS0_18inequality_wrapperI22is_equal_div_10_uniqueIjEEEPmJS6_EEE10hipError_tPvRmT3_T4_T5_T6_T7_T9_mT8_P12ihipStream_tbDpT10_ENKUlT_T0_E_clISt17integral_constantIbLb1EES1A_EEDaS15_S16_EUlS15_E_NS1_11comp_targetILNS1_3genE9ELNS1_11target_archE1100ELNS1_3gpuE3ELNS1_3repE0EEENS1_30default_config_static_selectorELNS0_4arch9wavefront6targetE1EEEvT1_
; %bb.0:
	.section	.rodata,"a",@progbits
	.p2align	6, 0x0
	.amdhsa_kernel _ZN7rocprim17ROCPRIM_400000_NS6detail17trampoline_kernelINS0_14default_configENS1_25partition_config_selectorILNS1_17partition_subalgoE8EjNS0_10empty_typeEbEEZZNS1_14partition_implILS5_8ELb0ES3_jN6thrust23THRUST_200600_302600_NS6detail15normal_iteratorINSA_10device_ptrIjEEEEPS6_PKS6_NS0_5tupleIJSF_S6_EEENSJ_IJSG_SG_EEENS0_18inequality_wrapperI22is_equal_div_10_uniqueIjEEEPmJS6_EEE10hipError_tPvRmT3_T4_T5_T6_T7_T9_mT8_P12ihipStream_tbDpT10_ENKUlT_T0_E_clISt17integral_constantIbLb1EES1A_EEDaS15_S16_EUlS15_E_NS1_11comp_targetILNS1_3genE9ELNS1_11target_archE1100ELNS1_3gpuE3ELNS1_3repE0EEENS1_30default_config_static_selectorELNS0_4arch9wavefront6targetE1EEEvT1_
		.amdhsa_group_segment_fixed_size 0
		.amdhsa_private_segment_fixed_size 0
		.amdhsa_kernarg_size 128
		.amdhsa_user_sgpr_count 6
		.amdhsa_user_sgpr_private_segment_buffer 1
		.amdhsa_user_sgpr_dispatch_ptr 0
		.amdhsa_user_sgpr_queue_ptr 0
		.amdhsa_user_sgpr_kernarg_segment_ptr 1
		.amdhsa_user_sgpr_dispatch_id 0
		.amdhsa_user_sgpr_flat_scratch_init 0
		.amdhsa_user_sgpr_private_segment_size 0
		.amdhsa_uses_dynamic_stack 0
		.amdhsa_system_sgpr_private_segment_wavefront_offset 0
		.amdhsa_system_sgpr_workgroup_id_x 1
		.amdhsa_system_sgpr_workgroup_id_y 0
		.amdhsa_system_sgpr_workgroup_id_z 0
		.amdhsa_system_sgpr_workgroup_info 0
		.amdhsa_system_vgpr_workitem_id 0
		.amdhsa_next_free_vgpr 1
		.amdhsa_next_free_sgpr 0
		.amdhsa_reserve_vcc 0
		.amdhsa_reserve_flat_scratch 0
		.amdhsa_float_round_mode_32 0
		.amdhsa_float_round_mode_16_64 0
		.amdhsa_float_denorm_mode_32 3
		.amdhsa_float_denorm_mode_16_64 3
		.amdhsa_dx10_clamp 1
		.amdhsa_ieee_mode 1
		.amdhsa_fp16_overflow 0
		.amdhsa_exception_fp_ieee_invalid_op 0
		.amdhsa_exception_fp_denorm_src 0
		.amdhsa_exception_fp_ieee_div_zero 0
		.amdhsa_exception_fp_ieee_overflow 0
		.amdhsa_exception_fp_ieee_underflow 0
		.amdhsa_exception_fp_ieee_inexact 0
		.amdhsa_exception_int_div_zero 0
	.end_amdhsa_kernel
	.section	.text._ZN7rocprim17ROCPRIM_400000_NS6detail17trampoline_kernelINS0_14default_configENS1_25partition_config_selectorILNS1_17partition_subalgoE8EjNS0_10empty_typeEbEEZZNS1_14partition_implILS5_8ELb0ES3_jN6thrust23THRUST_200600_302600_NS6detail15normal_iteratorINSA_10device_ptrIjEEEEPS6_PKS6_NS0_5tupleIJSF_S6_EEENSJ_IJSG_SG_EEENS0_18inequality_wrapperI22is_equal_div_10_uniqueIjEEEPmJS6_EEE10hipError_tPvRmT3_T4_T5_T6_T7_T9_mT8_P12ihipStream_tbDpT10_ENKUlT_T0_E_clISt17integral_constantIbLb1EES1A_EEDaS15_S16_EUlS15_E_NS1_11comp_targetILNS1_3genE9ELNS1_11target_archE1100ELNS1_3gpuE3ELNS1_3repE0EEENS1_30default_config_static_selectorELNS0_4arch9wavefront6targetE1EEEvT1_,"axG",@progbits,_ZN7rocprim17ROCPRIM_400000_NS6detail17trampoline_kernelINS0_14default_configENS1_25partition_config_selectorILNS1_17partition_subalgoE8EjNS0_10empty_typeEbEEZZNS1_14partition_implILS5_8ELb0ES3_jN6thrust23THRUST_200600_302600_NS6detail15normal_iteratorINSA_10device_ptrIjEEEEPS6_PKS6_NS0_5tupleIJSF_S6_EEENSJ_IJSG_SG_EEENS0_18inequality_wrapperI22is_equal_div_10_uniqueIjEEEPmJS6_EEE10hipError_tPvRmT3_T4_T5_T6_T7_T9_mT8_P12ihipStream_tbDpT10_ENKUlT_T0_E_clISt17integral_constantIbLb1EES1A_EEDaS15_S16_EUlS15_E_NS1_11comp_targetILNS1_3genE9ELNS1_11target_archE1100ELNS1_3gpuE3ELNS1_3repE0EEENS1_30default_config_static_selectorELNS0_4arch9wavefront6targetE1EEEvT1_,comdat
.Lfunc_end256:
	.size	_ZN7rocprim17ROCPRIM_400000_NS6detail17trampoline_kernelINS0_14default_configENS1_25partition_config_selectorILNS1_17partition_subalgoE8EjNS0_10empty_typeEbEEZZNS1_14partition_implILS5_8ELb0ES3_jN6thrust23THRUST_200600_302600_NS6detail15normal_iteratorINSA_10device_ptrIjEEEEPS6_PKS6_NS0_5tupleIJSF_S6_EEENSJ_IJSG_SG_EEENS0_18inequality_wrapperI22is_equal_div_10_uniqueIjEEEPmJS6_EEE10hipError_tPvRmT3_T4_T5_T6_T7_T9_mT8_P12ihipStream_tbDpT10_ENKUlT_T0_E_clISt17integral_constantIbLb1EES1A_EEDaS15_S16_EUlS15_E_NS1_11comp_targetILNS1_3genE9ELNS1_11target_archE1100ELNS1_3gpuE3ELNS1_3repE0EEENS1_30default_config_static_selectorELNS0_4arch9wavefront6targetE1EEEvT1_, .Lfunc_end256-_ZN7rocprim17ROCPRIM_400000_NS6detail17trampoline_kernelINS0_14default_configENS1_25partition_config_selectorILNS1_17partition_subalgoE8EjNS0_10empty_typeEbEEZZNS1_14partition_implILS5_8ELb0ES3_jN6thrust23THRUST_200600_302600_NS6detail15normal_iteratorINSA_10device_ptrIjEEEEPS6_PKS6_NS0_5tupleIJSF_S6_EEENSJ_IJSG_SG_EEENS0_18inequality_wrapperI22is_equal_div_10_uniqueIjEEEPmJS6_EEE10hipError_tPvRmT3_T4_T5_T6_T7_T9_mT8_P12ihipStream_tbDpT10_ENKUlT_T0_E_clISt17integral_constantIbLb1EES1A_EEDaS15_S16_EUlS15_E_NS1_11comp_targetILNS1_3genE9ELNS1_11target_archE1100ELNS1_3gpuE3ELNS1_3repE0EEENS1_30default_config_static_selectorELNS0_4arch9wavefront6targetE1EEEvT1_
                                        ; -- End function
	.set _ZN7rocprim17ROCPRIM_400000_NS6detail17trampoline_kernelINS0_14default_configENS1_25partition_config_selectorILNS1_17partition_subalgoE8EjNS0_10empty_typeEbEEZZNS1_14partition_implILS5_8ELb0ES3_jN6thrust23THRUST_200600_302600_NS6detail15normal_iteratorINSA_10device_ptrIjEEEEPS6_PKS6_NS0_5tupleIJSF_S6_EEENSJ_IJSG_SG_EEENS0_18inequality_wrapperI22is_equal_div_10_uniqueIjEEEPmJS6_EEE10hipError_tPvRmT3_T4_T5_T6_T7_T9_mT8_P12ihipStream_tbDpT10_ENKUlT_T0_E_clISt17integral_constantIbLb1EES1A_EEDaS15_S16_EUlS15_E_NS1_11comp_targetILNS1_3genE9ELNS1_11target_archE1100ELNS1_3gpuE3ELNS1_3repE0EEENS1_30default_config_static_selectorELNS0_4arch9wavefront6targetE1EEEvT1_.num_vgpr, 0
	.set _ZN7rocprim17ROCPRIM_400000_NS6detail17trampoline_kernelINS0_14default_configENS1_25partition_config_selectorILNS1_17partition_subalgoE8EjNS0_10empty_typeEbEEZZNS1_14partition_implILS5_8ELb0ES3_jN6thrust23THRUST_200600_302600_NS6detail15normal_iteratorINSA_10device_ptrIjEEEEPS6_PKS6_NS0_5tupleIJSF_S6_EEENSJ_IJSG_SG_EEENS0_18inequality_wrapperI22is_equal_div_10_uniqueIjEEEPmJS6_EEE10hipError_tPvRmT3_T4_T5_T6_T7_T9_mT8_P12ihipStream_tbDpT10_ENKUlT_T0_E_clISt17integral_constantIbLb1EES1A_EEDaS15_S16_EUlS15_E_NS1_11comp_targetILNS1_3genE9ELNS1_11target_archE1100ELNS1_3gpuE3ELNS1_3repE0EEENS1_30default_config_static_selectorELNS0_4arch9wavefront6targetE1EEEvT1_.num_agpr, 0
	.set _ZN7rocprim17ROCPRIM_400000_NS6detail17trampoline_kernelINS0_14default_configENS1_25partition_config_selectorILNS1_17partition_subalgoE8EjNS0_10empty_typeEbEEZZNS1_14partition_implILS5_8ELb0ES3_jN6thrust23THRUST_200600_302600_NS6detail15normal_iteratorINSA_10device_ptrIjEEEEPS6_PKS6_NS0_5tupleIJSF_S6_EEENSJ_IJSG_SG_EEENS0_18inequality_wrapperI22is_equal_div_10_uniqueIjEEEPmJS6_EEE10hipError_tPvRmT3_T4_T5_T6_T7_T9_mT8_P12ihipStream_tbDpT10_ENKUlT_T0_E_clISt17integral_constantIbLb1EES1A_EEDaS15_S16_EUlS15_E_NS1_11comp_targetILNS1_3genE9ELNS1_11target_archE1100ELNS1_3gpuE3ELNS1_3repE0EEENS1_30default_config_static_selectorELNS0_4arch9wavefront6targetE1EEEvT1_.numbered_sgpr, 0
	.set _ZN7rocprim17ROCPRIM_400000_NS6detail17trampoline_kernelINS0_14default_configENS1_25partition_config_selectorILNS1_17partition_subalgoE8EjNS0_10empty_typeEbEEZZNS1_14partition_implILS5_8ELb0ES3_jN6thrust23THRUST_200600_302600_NS6detail15normal_iteratorINSA_10device_ptrIjEEEEPS6_PKS6_NS0_5tupleIJSF_S6_EEENSJ_IJSG_SG_EEENS0_18inequality_wrapperI22is_equal_div_10_uniqueIjEEEPmJS6_EEE10hipError_tPvRmT3_T4_T5_T6_T7_T9_mT8_P12ihipStream_tbDpT10_ENKUlT_T0_E_clISt17integral_constantIbLb1EES1A_EEDaS15_S16_EUlS15_E_NS1_11comp_targetILNS1_3genE9ELNS1_11target_archE1100ELNS1_3gpuE3ELNS1_3repE0EEENS1_30default_config_static_selectorELNS0_4arch9wavefront6targetE1EEEvT1_.num_named_barrier, 0
	.set _ZN7rocprim17ROCPRIM_400000_NS6detail17trampoline_kernelINS0_14default_configENS1_25partition_config_selectorILNS1_17partition_subalgoE8EjNS0_10empty_typeEbEEZZNS1_14partition_implILS5_8ELb0ES3_jN6thrust23THRUST_200600_302600_NS6detail15normal_iteratorINSA_10device_ptrIjEEEEPS6_PKS6_NS0_5tupleIJSF_S6_EEENSJ_IJSG_SG_EEENS0_18inequality_wrapperI22is_equal_div_10_uniqueIjEEEPmJS6_EEE10hipError_tPvRmT3_T4_T5_T6_T7_T9_mT8_P12ihipStream_tbDpT10_ENKUlT_T0_E_clISt17integral_constantIbLb1EES1A_EEDaS15_S16_EUlS15_E_NS1_11comp_targetILNS1_3genE9ELNS1_11target_archE1100ELNS1_3gpuE3ELNS1_3repE0EEENS1_30default_config_static_selectorELNS0_4arch9wavefront6targetE1EEEvT1_.private_seg_size, 0
	.set _ZN7rocprim17ROCPRIM_400000_NS6detail17trampoline_kernelINS0_14default_configENS1_25partition_config_selectorILNS1_17partition_subalgoE8EjNS0_10empty_typeEbEEZZNS1_14partition_implILS5_8ELb0ES3_jN6thrust23THRUST_200600_302600_NS6detail15normal_iteratorINSA_10device_ptrIjEEEEPS6_PKS6_NS0_5tupleIJSF_S6_EEENSJ_IJSG_SG_EEENS0_18inequality_wrapperI22is_equal_div_10_uniqueIjEEEPmJS6_EEE10hipError_tPvRmT3_T4_T5_T6_T7_T9_mT8_P12ihipStream_tbDpT10_ENKUlT_T0_E_clISt17integral_constantIbLb1EES1A_EEDaS15_S16_EUlS15_E_NS1_11comp_targetILNS1_3genE9ELNS1_11target_archE1100ELNS1_3gpuE3ELNS1_3repE0EEENS1_30default_config_static_selectorELNS0_4arch9wavefront6targetE1EEEvT1_.uses_vcc, 0
	.set _ZN7rocprim17ROCPRIM_400000_NS6detail17trampoline_kernelINS0_14default_configENS1_25partition_config_selectorILNS1_17partition_subalgoE8EjNS0_10empty_typeEbEEZZNS1_14partition_implILS5_8ELb0ES3_jN6thrust23THRUST_200600_302600_NS6detail15normal_iteratorINSA_10device_ptrIjEEEEPS6_PKS6_NS0_5tupleIJSF_S6_EEENSJ_IJSG_SG_EEENS0_18inequality_wrapperI22is_equal_div_10_uniqueIjEEEPmJS6_EEE10hipError_tPvRmT3_T4_T5_T6_T7_T9_mT8_P12ihipStream_tbDpT10_ENKUlT_T0_E_clISt17integral_constantIbLb1EES1A_EEDaS15_S16_EUlS15_E_NS1_11comp_targetILNS1_3genE9ELNS1_11target_archE1100ELNS1_3gpuE3ELNS1_3repE0EEENS1_30default_config_static_selectorELNS0_4arch9wavefront6targetE1EEEvT1_.uses_flat_scratch, 0
	.set _ZN7rocprim17ROCPRIM_400000_NS6detail17trampoline_kernelINS0_14default_configENS1_25partition_config_selectorILNS1_17partition_subalgoE8EjNS0_10empty_typeEbEEZZNS1_14partition_implILS5_8ELb0ES3_jN6thrust23THRUST_200600_302600_NS6detail15normal_iteratorINSA_10device_ptrIjEEEEPS6_PKS6_NS0_5tupleIJSF_S6_EEENSJ_IJSG_SG_EEENS0_18inequality_wrapperI22is_equal_div_10_uniqueIjEEEPmJS6_EEE10hipError_tPvRmT3_T4_T5_T6_T7_T9_mT8_P12ihipStream_tbDpT10_ENKUlT_T0_E_clISt17integral_constantIbLb1EES1A_EEDaS15_S16_EUlS15_E_NS1_11comp_targetILNS1_3genE9ELNS1_11target_archE1100ELNS1_3gpuE3ELNS1_3repE0EEENS1_30default_config_static_selectorELNS0_4arch9wavefront6targetE1EEEvT1_.has_dyn_sized_stack, 0
	.set _ZN7rocprim17ROCPRIM_400000_NS6detail17trampoline_kernelINS0_14default_configENS1_25partition_config_selectorILNS1_17partition_subalgoE8EjNS0_10empty_typeEbEEZZNS1_14partition_implILS5_8ELb0ES3_jN6thrust23THRUST_200600_302600_NS6detail15normal_iteratorINSA_10device_ptrIjEEEEPS6_PKS6_NS0_5tupleIJSF_S6_EEENSJ_IJSG_SG_EEENS0_18inequality_wrapperI22is_equal_div_10_uniqueIjEEEPmJS6_EEE10hipError_tPvRmT3_T4_T5_T6_T7_T9_mT8_P12ihipStream_tbDpT10_ENKUlT_T0_E_clISt17integral_constantIbLb1EES1A_EEDaS15_S16_EUlS15_E_NS1_11comp_targetILNS1_3genE9ELNS1_11target_archE1100ELNS1_3gpuE3ELNS1_3repE0EEENS1_30default_config_static_selectorELNS0_4arch9wavefront6targetE1EEEvT1_.has_recursion, 0
	.set _ZN7rocprim17ROCPRIM_400000_NS6detail17trampoline_kernelINS0_14default_configENS1_25partition_config_selectorILNS1_17partition_subalgoE8EjNS0_10empty_typeEbEEZZNS1_14partition_implILS5_8ELb0ES3_jN6thrust23THRUST_200600_302600_NS6detail15normal_iteratorINSA_10device_ptrIjEEEEPS6_PKS6_NS0_5tupleIJSF_S6_EEENSJ_IJSG_SG_EEENS0_18inequality_wrapperI22is_equal_div_10_uniqueIjEEEPmJS6_EEE10hipError_tPvRmT3_T4_T5_T6_T7_T9_mT8_P12ihipStream_tbDpT10_ENKUlT_T0_E_clISt17integral_constantIbLb1EES1A_EEDaS15_S16_EUlS15_E_NS1_11comp_targetILNS1_3genE9ELNS1_11target_archE1100ELNS1_3gpuE3ELNS1_3repE0EEENS1_30default_config_static_selectorELNS0_4arch9wavefront6targetE1EEEvT1_.has_indirect_call, 0
	.section	.AMDGPU.csdata,"",@progbits
; Kernel info:
; codeLenInByte = 0
; TotalNumSgprs: 4
; NumVgprs: 0
; ScratchSize: 0
; MemoryBound: 0
; FloatMode: 240
; IeeeMode: 1
; LDSByteSize: 0 bytes/workgroup (compile time only)
; SGPRBlocks: 0
; VGPRBlocks: 0
; NumSGPRsForWavesPerEU: 4
; NumVGPRsForWavesPerEU: 1
; Occupancy: 10
; WaveLimiterHint : 0
; COMPUTE_PGM_RSRC2:SCRATCH_EN: 0
; COMPUTE_PGM_RSRC2:USER_SGPR: 6
; COMPUTE_PGM_RSRC2:TRAP_HANDLER: 0
; COMPUTE_PGM_RSRC2:TGID_X_EN: 1
; COMPUTE_PGM_RSRC2:TGID_Y_EN: 0
; COMPUTE_PGM_RSRC2:TGID_Z_EN: 0
; COMPUTE_PGM_RSRC2:TIDIG_COMP_CNT: 0
	.section	.text._ZN7rocprim17ROCPRIM_400000_NS6detail17trampoline_kernelINS0_14default_configENS1_25partition_config_selectorILNS1_17partition_subalgoE8EjNS0_10empty_typeEbEEZZNS1_14partition_implILS5_8ELb0ES3_jN6thrust23THRUST_200600_302600_NS6detail15normal_iteratorINSA_10device_ptrIjEEEEPS6_PKS6_NS0_5tupleIJSF_S6_EEENSJ_IJSG_SG_EEENS0_18inequality_wrapperI22is_equal_div_10_uniqueIjEEEPmJS6_EEE10hipError_tPvRmT3_T4_T5_T6_T7_T9_mT8_P12ihipStream_tbDpT10_ENKUlT_T0_E_clISt17integral_constantIbLb1EES1A_EEDaS15_S16_EUlS15_E_NS1_11comp_targetILNS1_3genE8ELNS1_11target_archE1030ELNS1_3gpuE2ELNS1_3repE0EEENS1_30default_config_static_selectorELNS0_4arch9wavefront6targetE1EEEvT1_,"axG",@progbits,_ZN7rocprim17ROCPRIM_400000_NS6detail17trampoline_kernelINS0_14default_configENS1_25partition_config_selectorILNS1_17partition_subalgoE8EjNS0_10empty_typeEbEEZZNS1_14partition_implILS5_8ELb0ES3_jN6thrust23THRUST_200600_302600_NS6detail15normal_iteratorINSA_10device_ptrIjEEEEPS6_PKS6_NS0_5tupleIJSF_S6_EEENSJ_IJSG_SG_EEENS0_18inequality_wrapperI22is_equal_div_10_uniqueIjEEEPmJS6_EEE10hipError_tPvRmT3_T4_T5_T6_T7_T9_mT8_P12ihipStream_tbDpT10_ENKUlT_T0_E_clISt17integral_constantIbLb1EES1A_EEDaS15_S16_EUlS15_E_NS1_11comp_targetILNS1_3genE8ELNS1_11target_archE1030ELNS1_3gpuE2ELNS1_3repE0EEENS1_30default_config_static_selectorELNS0_4arch9wavefront6targetE1EEEvT1_,comdat
	.protected	_ZN7rocprim17ROCPRIM_400000_NS6detail17trampoline_kernelINS0_14default_configENS1_25partition_config_selectorILNS1_17partition_subalgoE8EjNS0_10empty_typeEbEEZZNS1_14partition_implILS5_8ELb0ES3_jN6thrust23THRUST_200600_302600_NS6detail15normal_iteratorINSA_10device_ptrIjEEEEPS6_PKS6_NS0_5tupleIJSF_S6_EEENSJ_IJSG_SG_EEENS0_18inequality_wrapperI22is_equal_div_10_uniqueIjEEEPmJS6_EEE10hipError_tPvRmT3_T4_T5_T6_T7_T9_mT8_P12ihipStream_tbDpT10_ENKUlT_T0_E_clISt17integral_constantIbLb1EES1A_EEDaS15_S16_EUlS15_E_NS1_11comp_targetILNS1_3genE8ELNS1_11target_archE1030ELNS1_3gpuE2ELNS1_3repE0EEENS1_30default_config_static_selectorELNS0_4arch9wavefront6targetE1EEEvT1_ ; -- Begin function _ZN7rocprim17ROCPRIM_400000_NS6detail17trampoline_kernelINS0_14default_configENS1_25partition_config_selectorILNS1_17partition_subalgoE8EjNS0_10empty_typeEbEEZZNS1_14partition_implILS5_8ELb0ES3_jN6thrust23THRUST_200600_302600_NS6detail15normal_iteratorINSA_10device_ptrIjEEEEPS6_PKS6_NS0_5tupleIJSF_S6_EEENSJ_IJSG_SG_EEENS0_18inequality_wrapperI22is_equal_div_10_uniqueIjEEEPmJS6_EEE10hipError_tPvRmT3_T4_T5_T6_T7_T9_mT8_P12ihipStream_tbDpT10_ENKUlT_T0_E_clISt17integral_constantIbLb1EES1A_EEDaS15_S16_EUlS15_E_NS1_11comp_targetILNS1_3genE8ELNS1_11target_archE1030ELNS1_3gpuE2ELNS1_3repE0EEENS1_30default_config_static_selectorELNS0_4arch9wavefront6targetE1EEEvT1_
	.globl	_ZN7rocprim17ROCPRIM_400000_NS6detail17trampoline_kernelINS0_14default_configENS1_25partition_config_selectorILNS1_17partition_subalgoE8EjNS0_10empty_typeEbEEZZNS1_14partition_implILS5_8ELb0ES3_jN6thrust23THRUST_200600_302600_NS6detail15normal_iteratorINSA_10device_ptrIjEEEEPS6_PKS6_NS0_5tupleIJSF_S6_EEENSJ_IJSG_SG_EEENS0_18inequality_wrapperI22is_equal_div_10_uniqueIjEEEPmJS6_EEE10hipError_tPvRmT3_T4_T5_T6_T7_T9_mT8_P12ihipStream_tbDpT10_ENKUlT_T0_E_clISt17integral_constantIbLb1EES1A_EEDaS15_S16_EUlS15_E_NS1_11comp_targetILNS1_3genE8ELNS1_11target_archE1030ELNS1_3gpuE2ELNS1_3repE0EEENS1_30default_config_static_selectorELNS0_4arch9wavefront6targetE1EEEvT1_
	.p2align	8
	.type	_ZN7rocprim17ROCPRIM_400000_NS6detail17trampoline_kernelINS0_14default_configENS1_25partition_config_selectorILNS1_17partition_subalgoE8EjNS0_10empty_typeEbEEZZNS1_14partition_implILS5_8ELb0ES3_jN6thrust23THRUST_200600_302600_NS6detail15normal_iteratorINSA_10device_ptrIjEEEEPS6_PKS6_NS0_5tupleIJSF_S6_EEENSJ_IJSG_SG_EEENS0_18inequality_wrapperI22is_equal_div_10_uniqueIjEEEPmJS6_EEE10hipError_tPvRmT3_T4_T5_T6_T7_T9_mT8_P12ihipStream_tbDpT10_ENKUlT_T0_E_clISt17integral_constantIbLb1EES1A_EEDaS15_S16_EUlS15_E_NS1_11comp_targetILNS1_3genE8ELNS1_11target_archE1030ELNS1_3gpuE2ELNS1_3repE0EEENS1_30default_config_static_selectorELNS0_4arch9wavefront6targetE1EEEvT1_,@function
_ZN7rocprim17ROCPRIM_400000_NS6detail17trampoline_kernelINS0_14default_configENS1_25partition_config_selectorILNS1_17partition_subalgoE8EjNS0_10empty_typeEbEEZZNS1_14partition_implILS5_8ELb0ES3_jN6thrust23THRUST_200600_302600_NS6detail15normal_iteratorINSA_10device_ptrIjEEEEPS6_PKS6_NS0_5tupleIJSF_S6_EEENSJ_IJSG_SG_EEENS0_18inequality_wrapperI22is_equal_div_10_uniqueIjEEEPmJS6_EEE10hipError_tPvRmT3_T4_T5_T6_T7_T9_mT8_P12ihipStream_tbDpT10_ENKUlT_T0_E_clISt17integral_constantIbLb1EES1A_EEDaS15_S16_EUlS15_E_NS1_11comp_targetILNS1_3genE8ELNS1_11target_archE1030ELNS1_3gpuE2ELNS1_3repE0EEENS1_30default_config_static_selectorELNS0_4arch9wavefront6targetE1EEEvT1_: ; @_ZN7rocprim17ROCPRIM_400000_NS6detail17trampoline_kernelINS0_14default_configENS1_25partition_config_selectorILNS1_17partition_subalgoE8EjNS0_10empty_typeEbEEZZNS1_14partition_implILS5_8ELb0ES3_jN6thrust23THRUST_200600_302600_NS6detail15normal_iteratorINSA_10device_ptrIjEEEEPS6_PKS6_NS0_5tupleIJSF_S6_EEENSJ_IJSG_SG_EEENS0_18inequality_wrapperI22is_equal_div_10_uniqueIjEEEPmJS6_EEE10hipError_tPvRmT3_T4_T5_T6_T7_T9_mT8_P12ihipStream_tbDpT10_ENKUlT_T0_E_clISt17integral_constantIbLb1EES1A_EEDaS15_S16_EUlS15_E_NS1_11comp_targetILNS1_3genE8ELNS1_11target_archE1030ELNS1_3gpuE2ELNS1_3repE0EEENS1_30default_config_static_selectorELNS0_4arch9wavefront6targetE1EEEvT1_
; %bb.0:
	.section	.rodata,"a",@progbits
	.p2align	6, 0x0
	.amdhsa_kernel _ZN7rocprim17ROCPRIM_400000_NS6detail17trampoline_kernelINS0_14default_configENS1_25partition_config_selectorILNS1_17partition_subalgoE8EjNS0_10empty_typeEbEEZZNS1_14partition_implILS5_8ELb0ES3_jN6thrust23THRUST_200600_302600_NS6detail15normal_iteratorINSA_10device_ptrIjEEEEPS6_PKS6_NS0_5tupleIJSF_S6_EEENSJ_IJSG_SG_EEENS0_18inequality_wrapperI22is_equal_div_10_uniqueIjEEEPmJS6_EEE10hipError_tPvRmT3_T4_T5_T6_T7_T9_mT8_P12ihipStream_tbDpT10_ENKUlT_T0_E_clISt17integral_constantIbLb1EES1A_EEDaS15_S16_EUlS15_E_NS1_11comp_targetILNS1_3genE8ELNS1_11target_archE1030ELNS1_3gpuE2ELNS1_3repE0EEENS1_30default_config_static_selectorELNS0_4arch9wavefront6targetE1EEEvT1_
		.amdhsa_group_segment_fixed_size 0
		.amdhsa_private_segment_fixed_size 0
		.amdhsa_kernarg_size 128
		.amdhsa_user_sgpr_count 6
		.amdhsa_user_sgpr_private_segment_buffer 1
		.amdhsa_user_sgpr_dispatch_ptr 0
		.amdhsa_user_sgpr_queue_ptr 0
		.amdhsa_user_sgpr_kernarg_segment_ptr 1
		.amdhsa_user_sgpr_dispatch_id 0
		.amdhsa_user_sgpr_flat_scratch_init 0
		.amdhsa_user_sgpr_private_segment_size 0
		.amdhsa_uses_dynamic_stack 0
		.amdhsa_system_sgpr_private_segment_wavefront_offset 0
		.amdhsa_system_sgpr_workgroup_id_x 1
		.amdhsa_system_sgpr_workgroup_id_y 0
		.amdhsa_system_sgpr_workgroup_id_z 0
		.amdhsa_system_sgpr_workgroup_info 0
		.amdhsa_system_vgpr_workitem_id 0
		.amdhsa_next_free_vgpr 1
		.amdhsa_next_free_sgpr 0
		.amdhsa_reserve_vcc 0
		.amdhsa_reserve_flat_scratch 0
		.amdhsa_float_round_mode_32 0
		.amdhsa_float_round_mode_16_64 0
		.amdhsa_float_denorm_mode_32 3
		.amdhsa_float_denorm_mode_16_64 3
		.amdhsa_dx10_clamp 1
		.amdhsa_ieee_mode 1
		.amdhsa_fp16_overflow 0
		.amdhsa_exception_fp_ieee_invalid_op 0
		.amdhsa_exception_fp_denorm_src 0
		.amdhsa_exception_fp_ieee_div_zero 0
		.amdhsa_exception_fp_ieee_overflow 0
		.amdhsa_exception_fp_ieee_underflow 0
		.amdhsa_exception_fp_ieee_inexact 0
		.amdhsa_exception_int_div_zero 0
	.end_amdhsa_kernel
	.section	.text._ZN7rocprim17ROCPRIM_400000_NS6detail17trampoline_kernelINS0_14default_configENS1_25partition_config_selectorILNS1_17partition_subalgoE8EjNS0_10empty_typeEbEEZZNS1_14partition_implILS5_8ELb0ES3_jN6thrust23THRUST_200600_302600_NS6detail15normal_iteratorINSA_10device_ptrIjEEEEPS6_PKS6_NS0_5tupleIJSF_S6_EEENSJ_IJSG_SG_EEENS0_18inequality_wrapperI22is_equal_div_10_uniqueIjEEEPmJS6_EEE10hipError_tPvRmT3_T4_T5_T6_T7_T9_mT8_P12ihipStream_tbDpT10_ENKUlT_T0_E_clISt17integral_constantIbLb1EES1A_EEDaS15_S16_EUlS15_E_NS1_11comp_targetILNS1_3genE8ELNS1_11target_archE1030ELNS1_3gpuE2ELNS1_3repE0EEENS1_30default_config_static_selectorELNS0_4arch9wavefront6targetE1EEEvT1_,"axG",@progbits,_ZN7rocprim17ROCPRIM_400000_NS6detail17trampoline_kernelINS0_14default_configENS1_25partition_config_selectorILNS1_17partition_subalgoE8EjNS0_10empty_typeEbEEZZNS1_14partition_implILS5_8ELb0ES3_jN6thrust23THRUST_200600_302600_NS6detail15normal_iteratorINSA_10device_ptrIjEEEEPS6_PKS6_NS0_5tupleIJSF_S6_EEENSJ_IJSG_SG_EEENS0_18inequality_wrapperI22is_equal_div_10_uniqueIjEEEPmJS6_EEE10hipError_tPvRmT3_T4_T5_T6_T7_T9_mT8_P12ihipStream_tbDpT10_ENKUlT_T0_E_clISt17integral_constantIbLb1EES1A_EEDaS15_S16_EUlS15_E_NS1_11comp_targetILNS1_3genE8ELNS1_11target_archE1030ELNS1_3gpuE2ELNS1_3repE0EEENS1_30default_config_static_selectorELNS0_4arch9wavefront6targetE1EEEvT1_,comdat
.Lfunc_end257:
	.size	_ZN7rocprim17ROCPRIM_400000_NS6detail17trampoline_kernelINS0_14default_configENS1_25partition_config_selectorILNS1_17partition_subalgoE8EjNS0_10empty_typeEbEEZZNS1_14partition_implILS5_8ELb0ES3_jN6thrust23THRUST_200600_302600_NS6detail15normal_iteratorINSA_10device_ptrIjEEEEPS6_PKS6_NS0_5tupleIJSF_S6_EEENSJ_IJSG_SG_EEENS0_18inequality_wrapperI22is_equal_div_10_uniqueIjEEEPmJS6_EEE10hipError_tPvRmT3_T4_T5_T6_T7_T9_mT8_P12ihipStream_tbDpT10_ENKUlT_T0_E_clISt17integral_constantIbLb1EES1A_EEDaS15_S16_EUlS15_E_NS1_11comp_targetILNS1_3genE8ELNS1_11target_archE1030ELNS1_3gpuE2ELNS1_3repE0EEENS1_30default_config_static_selectorELNS0_4arch9wavefront6targetE1EEEvT1_, .Lfunc_end257-_ZN7rocprim17ROCPRIM_400000_NS6detail17trampoline_kernelINS0_14default_configENS1_25partition_config_selectorILNS1_17partition_subalgoE8EjNS0_10empty_typeEbEEZZNS1_14partition_implILS5_8ELb0ES3_jN6thrust23THRUST_200600_302600_NS6detail15normal_iteratorINSA_10device_ptrIjEEEEPS6_PKS6_NS0_5tupleIJSF_S6_EEENSJ_IJSG_SG_EEENS0_18inequality_wrapperI22is_equal_div_10_uniqueIjEEEPmJS6_EEE10hipError_tPvRmT3_T4_T5_T6_T7_T9_mT8_P12ihipStream_tbDpT10_ENKUlT_T0_E_clISt17integral_constantIbLb1EES1A_EEDaS15_S16_EUlS15_E_NS1_11comp_targetILNS1_3genE8ELNS1_11target_archE1030ELNS1_3gpuE2ELNS1_3repE0EEENS1_30default_config_static_selectorELNS0_4arch9wavefront6targetE1EEEvT1_
                                        ; -- End function
	.set _ZN7rocprim17ROCPRIM_400000_NS6detail17trampoline_kernelINS0_14default_configENS1_25partition_config_selectorILNS1_17partition_subalgoE8EjNS0_10empty_typeEbEEZZNS1_14partition_implILS5_8ELb0ES3_jN6thrust23THRUST_200600_302600_NS6detail15normal_iteratorINSA_10device_ptrIjEEEEPS6_PKS6_NS0_5tupleIJSF_S6_EEENSJ_IJSG_SG_EEENS0_18inequality_wrapperI22is_equal_div_10_uniqueIjEEEPmJS6_EEE10hipError_tPvRmT3_T4_T5_T6_T7_T9_mT8_P12ihipStream_tbDpT10_ENKUlT_T0_E_clISt17integral_constantIbLb1EES1A_EEDaS15_S16_EUlS15_E_NS1_11comp_targetILNS1_3genE8ELNS1_11target_archE1030ELNS1_3gpuE2ELNS1_3repE0EEENS1_30default_config_static_selectorELNS0_4arch9wavefront6targetE1EEEvT1_.num_vgpr, 0
	.set _ZN7rocprim17ROCPRIM_400000_NS6detail17trampoline_kernelINS0_14default_configENS1_25partition_config_selectorILNS1_17partition_subalgoE8EjNS0_10empty_typeEbEEZZNS1_14partition_implILS5_8ELb0ES3_jN6thrust23THRUST_200600_302600_NS6detail15normal_iteratorINSA_10device_ptrIjEEEEPS6_PKS6_NS0_5tupleIJSF_S6_EEENSJ_IJSG_SG_EEENS0_18inequality_wrapperI22is_equal_div_10_uniqueIjEEEPmJS6_EEE10hipError_tPvRmT3_T4_T5_T6_T7_T9_mT8_P12ihipStream_tbDpT10_ENKUlT_T0_E_clISt17integral_constantIbLb1EES1A_EEDaS15_S16_EUlS15_E_NS1_11comp_targetILNS1_3genE8ELNS1_11target_archE1030ELNS1_3gpuE2ELNS1_3repE0EEENS1_30default_config_static_selectorELNS0_4arch9wavefront6targetE1EEEvT1_.num_agpr, 0
	.set _ZN7rocprim17ROCPRIM_400000_NS6detail17trampoline_kernelINS0_14default_configENS1_25partition_config_selectorILNS1_17partition_subalgoE8EjNS0_10empty_typeEbEEZZNS1_14partition_implILS5_8ELb0ES3_jN6thrust23THRUST_200600_302600_NS6detail15normal_iteratorINSA_10device_ptrIjEEEEPS6_PKS6_NS0_5tupleIJSF_S6_EEENSJ_IJSG_SG_EEENS0_18inequality_wrapperI22is_equal_div_10_uniqueIjEEEPmJS6_EEE10hipError_tPvRmT3_T4_T5_T6_T7_T9_mT8_P12ihipStream_tbDpT10_ENKUlT_T0_E_clISt17integral_constantIbLb1EES1A_EEDaS15_S16_EUlS15_E_NS1_11comp_targetILNS1_3genE8ELNS1_11target_archE1030ELNS1_3gpuE2ELNS1_3repE0EEENS1_30default_config_static_selectorELNS0_4arch9wavefront6targetE1EEEvT1_.numbered_sgpr, 0
	.set _ZN7rocprim17ROCPRIM_400000_NS6detail17trampoline_kernelINS0_14default_configENS1_25partition_config_selectorILNS1_17partition_subalgoE8EjNS0_10empty_typeEbEEZZNS1_14partition_implILS5_8ELb0ES3_jN6thrust23THRUST_200600_302600_NS6detail15normal_iteratorINSA_10device_ptrIjEEEEPS6_PKS6_NS0_5tupleIJSF_S6_EEENSJ_IJSG_SG_EEENS0_18inequality_wrapperI22is_equal_div_10_uniqueIjEEEPmJS6_EEE10hipError_tPvRmT3_T4_T5_T6_T7_T9_mT8_P12ihipStream_tbDpT10_ENKUlT_T0_E_clISt17integral_constantIbLb1EES1A_EEDaS15_S16_EUlS15_E_NS1_11comp_targetILNS1_3genE8ELNS1_11target_archE1030ELNS1_3gpuE2ELNS1_3repE0EEENS1_30default_config_static_selectorELNS0_4arch9wavefront6targetE1EEEvT1_.num_named_barrier, 0
	.set _ZN7rocprim17ROCPRIM_400000_NS6detail17trampoline_kernelINS0_14default_configENS1_25partition_config_selectorILNS1_17partition_subalgoE8EjNS0_10empty_typeEbEEZZNS1_14partition_implILS5_8ELb0ES3_jN6thrust23THRUST_200600_302600_NS6detail15normal_iteratorINSA_10device_ptrIjEEEEPS6_PKS6_NS0_5tupleIJSF_S6_EEENSJ_IJSG_SG_EEENS0_18inequality_wrapperI22is_equal_div_10_uniqueIjEEEPmJS6_EEE10hipError_tPvRmT3_T4_T5_T6_T7_T9_mT8_P12ihipStream_tbDpT10_ENKUlT_T0_E_clISt17integral_constantIbLb1EES1A_EEDaS15_S16_EUlS15_E_NS1_11comp_targetILNS1_3genE8ELNS1_11target_archE1030ELNS1_3gpuE2ELNS1_3repE0EEENS1_30default_config_static_selectorELNS0_4arch9wavefront6targetE1EEEvT1_.private_seg_size, 0
	.set _ZN7rocprim17ROCPRIM_400000_NS6detail17trampoline_kernelINS0_14default_configENS1_25partition_config_selectorILNS1_17partition_subalgoE8EjNS0_10empty_typeEbEEZZNS1_14partition_implILS5_8ELb0ES3_jN6thrust23THRUST_200600_302600_NS6detail15normal_iteratorINSA_10device_ptrIjEEEEPS6_PKS6_NS0_5tupleIJSF_S6_EEENSJ_IJSG_SG_EEENS0_18inequality_wrapperI22is_equal_div_10_uniqueIjEEEPmJS6_EEE10hipError_tPvRmT3_T4_T5_T6_T7_T9_mT8_P12ihipStream_tbDpT10_ENKUlT_T0_E_clISt17integral_constantIbLb1EES1A_EEDaS15_S16_EUlS15_E_NS1_11comp_targetILNS1_3genE8ELNS1_11target_archE1030ELNS1_3gpuE2ELNS1_3repE0EEENS1_30default_config_static_selectorELNS0_4arch9wavefront6targetE1EEEvT1_.uses_vcc, 0
	.set _ZN7rocprim17ROCPRIM_400000_NS6detail17trampoline_kernelINS0_14default_configENS1_25partition_config_selectorILNS1_17partition_subalgoE8EjNS0_10empty_typeEbEEZZNS1_14partition_implILS5_8ELb0ES3_jN6thrust23THRUST_200600_302600_NS6detail15normal_iteratorINSA_10device_ptrIjEEEEPS6_PKS6_NS0_5tupleIJSF_S6_EEENSJ_IJSG_SG_EEENS0_18inequality_wrapperI22is_equal_div_10_uniqueIjEEEPmJS6_EEE10hipError_tPvRmT3_T4_T5_T6_T7_T9_mT8_P12ihipStream_tbDpT10_ENKUlT_T0_E_clISt17integral_constantIbLb1EES1A_EEDaS15_S16_EUlS15_E_NS1_11comp_targetILNS1_3genE8ELNS1_11target_archE1030ELNS1_3gpuE2ELNS1_3repE0EEENS1_30default_config_static_selectorELNS0_4arch9wavefront6targetE1EEEvT1_.uses_flat_scratch, 0
	.set _ZN7rocprim17ROCPRIM_400000_NS6detail17trampoline_kernelINS0_14default_configENS1_25partition_config_selectorILNS1_17partition_subalgoE8EjNS0_10empty_typeEbEEZZNS1_14partition_implILS5_8ELb0ES3_jN6thrust23THRUST_200600_302600_NS6detail15normal_iteratorINSA_10device_ptrIjEEEEPS6_PKS6_NS0_5tupleIJSF_S6_EEENSJ_IJSG_SG_EEENS0_18inequality_wrapperI22is_equal_div_10_uniqueIjEEEPmJS6_EEE10hipError_tPvRmT3_T4_T5_T6_T7_T9_mT8_P12ihipStream_tbDpT10_ENKUlT_T0_E_clISt17integral_constantIbLb1EES1A_EEDaS15_S16_EUlS15_E_NS1_11comp_targetILNS1_3genE8ELNS1_11target_archE1030ELNS1_3gpuE2ELNS1_3repE0EEENS1_30default_config_static_selectorELNS0_4arch9wavefront6targetE1EEEvT1_.has_dyn_sized_stack, 0
	.set _ZN7rocprim17ROCPRIM_400000_NS6detail17trampoline_kernelINS0_14default_configENS1_25partition_config_selectorILNS1_17partition_subalgoE8EjNS0_10empty_typeEbEEZZNS1_14partition_implILS5_8ELb0ES3_jN6thrust23THRUST_200600_302600_NS6detail15normal_iteratorINSA_10device_ptrIjEEEEPS6_PKS6_NS0_5tupleIJSF_S6_EEENSJ_IJSG_SG_EEENS0_18inequality_wrapperI22is_equal_div_10_uniqueIjEEEPmJS6_EEE10hipError_tPvRmT3_T4_T5_T6_T7_T9_mT8_P12ihipStream_tbDpT10_ENKUlT_T0_E_clISt17integral_constantIbLb1EES1A_EEDaS15_S16_EUlS15_E_NS1_11comp_targetILNS1_3genE8ELNS1_11target_archE1030ELNS1_3gpuE2ELNS1_3repE0EEENS1_30default_config_static_selectorELNS0_4arch9wavefront6targetE1EEEvT1_.has_recursion, 0
	.set _ZN7rocprim17ROCPRIM_400000_NS6detail17trampoline_kernelINS0_14default_configENS1_25partition_config_selectorILNS1_17partition_subalgoE8EjNS0_10empty_typeEbEEZZNS1_14partition_implILS5_8ELb0ES3_jN6thrust23THRUST_200600_302600_NS6detail15normal_iteratorINSA_10device_ptrIjEEEEPS6_PKS6_NS0_5tupleIJSF_S6_EEENSJ_IJSG_SG_EEENS0_18inequality_wrapperI22is_equal_div_10_uniqueIjEEEPmJS6_EEE10hipError_tPvRmT3_T4_T5_T6_T7_T9_mT8_P12ihipStream_tbDpT10_ENKUlT_T0_E_clISt17integral_constantIbLb1EES1A_EEDaS15_S16_EUlS15_E_NS1_11comp_targetILNS1_3genE8ELNS1_11target_archE1030ELNS1_3gpuE2ELNS1_3repE0EEENS1_30default_config_static_selectorELNS0_4arch9wavefront6targetE1EEEvT1_.has_indirect_call, 0
	.section	.AMDGPU.csdata,"",@progbits
; Kernel info:
; codeLenInByte = 0
; TotalNumSgprs: 4
; NumVgprs: 0
; ScratchSize: 0
; MemoryBound: 0
; FloatMode: 240
; IeeeMode: 1
; LDSByteSize: 0 bytes/workgroup (compile time only)
; SGPRBlocks: 0
; VGPRBlocks: 0
; NumSGPRsForWavesPerEU: 4
; NumVGPRsForWavesPerEU: 1
; Occupancy: 10
; WaveLimiterHint : 0
; COMPUTE_PGM_RSRC2:SCRATCH_EN: 0
; COMPUTE_PGM_RSRC2:USER_SGPR: 6
; COMPUTE_PGM_RSRC2:TRAP_HANDLER: 0
; COMPUTE_PGM_RSRC2:TGID_X_EN: 1
; COMPUTE_PGM_RSRC2:TGID_Y_EN: 0
; COMPUTE_PGM_RSRC2:TGID_Z_EN: 0
; COMPUTE_PGM_RSRC2:TIDIG_COMP_CNT: 0
	.section	.text._ZN7rocprim17ROCPRIM_400000_NS6detail17trampoline_kernelINS0_14default_configENS1_25partition_config_selectorILNS1_17partition_subalgoE8EjNS0_10empty_typeEbEEZZNS1_14partition_implILS5_8ELb0ES3_jN6thrust23THRUST_200600_302600_NS6detail15normal_iteratorINSA_10device_ptrIjEEEEPS6_PKS6_NS0_5tupleIJSF_S6_EEENSJ_IJSG_SG_EEENS0_18inequality_wrapperI22is_equal_div_10_uniqueIjEEEPmJS6_EEE10hipError_tPvRmT3_T4_T5_T6_T7_T9_mT8_P12ihipStream_tbDpT10_ENKUlT_T0_E_clISt17integral_constantIbLb1EES19_IbLb0EEEEDaS15_S16_EUlS15_E_NS1_11comp_targetILNS1_3genE0ELNS1_11target_archE4294967295ELNS1_3gpuE0ELNS1_3repE0EEENS1_30default_config_static_selectorELNS0_4arch9wavefront6targetE1EEEvT1_,"axG",@progbits,_ZN7rocprim17ROCPRIM_400000_NS6detail17trampoline_kernelINS0_14default_configENS1_25partition_config_selectorILNS1_17partition_subalgoE8EjNS0_10empty_typeEbEEZZNS1_14partition_implILS5_8ELb0ES3_jN6thrust23THRUST_200600_302600_NS6detail15normal_iteratorINSA_10device_ptrIjEEEEPS6_PKS6_NS0_5tupleIJSF_S6_EEENSJ_IJSG_SG_EEENS0_18inequality_wrapperI22is_equal_div_10_uniqueIjEEEPmJS6_EEE10hipError_tPvRmT3_T4_T5_T6_T7_T9_mT8_P12ihipStream_tbDpT10_ENKUlT_T0_E_clISt17integral_constantIbLb1EES19_IbLb0EEEEDaS15_S16_EUlS15_E_NS1_11comp_targetILNS1_3genE0ELNS1_11target_archE4294967295ELNS1_3gpuE0ELNS1_3repE0EEENS1_30default_config_static_selectorELNS0_4arch9wavefront6targetE1EEEvT1_,comdat
	.protected	_ZN7rocprim17ROCPRIM_400000_NS6detail17trampoline_kernelINS0_14default_configENS1_25partition_config_selectorILNS1_17partition_subalgoE8EjNS0_10empty_typeEbEEZZNS1_14partition_implILS5_8ELb0ES3_jN6thrust23THRUST_200600_302600_NS6detail15normal_iteratorINSA_10device_ptrIjEEEEPS6_PKS6_NS0_5tupleIJSF_S6_EEENSJ_IJSG_SG_EEENS0_18inequality_wrapperI22is_equal_div_10_uniqueIjEEEPmJS6_EEE10hipError_tPvRmT3_T4_T5_T6_T7_T9_mT8_P12ihipStream_tbDpT10_ENKUlT_T0_E_clISt17integral_constantIbLb1EES19_IbLb0EEEEDaS15_S16_EUlS15_E_NS1_11comp_targetILNS1_3genE0ELNS1_11target_archE4294967295ELNS1_3gpuE0ELNS1_3repE0EEENS1_30default_config_static_selectorELNS0_4arch9wavefront6targetE1EEEvT1_ ; -- Begin function _ZN7rocprim17ROCPRIM_400000_NS6detail17trampoline_kernelINS0_14default_configENS1_25partition_config_selectorILNS1_17partition_subalgoE8EjNS0_10empty_typeEbEEZZNS1_14partition_implILS5_8ELb0ES3_jN6thrust23THRUST_200600_302600_NS6detail15normal_iteratorINSA_10device_ptrIjEEEEPS6_PKS6_NS0_5tupleIJSF_S6_EEENSJ_IJSG_SG_EEENS0_18inequality_wrapperI22is_equal_div_10_uniqueIjEEEPmJS6_EEE10hipError_tPvRmT3_T4_T5_T6_T7_T9_mT8_P12ihipStream_tbDpT10_ENKUlT_T0_E_clISt17integral_constantIbLb1EES19_IbLb0EEEEDaS15_S16_EUlS15_E_NS1_11comp_targetILNS1_3genE0ELNS1_11target_archE4294967295ELNS1_3gpuE0ELNS1_3repE0EEENS1_30default_config_static_selectorELNS0_4arch9wavefront6targetE1EEEvT1_
	.globl	_ZN7rocprim17ROCPRIM_400000_NS6detail17trampoline_kernelINS0_14default_configENS1_25partition_config_selectorILNS1_17partition_subalgoE8EjNS0_10empty_typeEbEEZZNS1_14partition_implILS5_8ELb0ES3_jN6thrust23THRUST_200600_302600_NS6detail15normal_iteratorINSA_10device_ptrIjEEEEPS6_PKS6_NS0_5tupleIJSF_S6_EEENSJ_IJSG_SG_EEENS0_18inequality_wrapperI22is_equal_div_10_uniqueIjEEEPmJS6_EEE10hipError_tPvRmT3_T4_T5_T6_T7_T9_mT8_P12ihipStream_tbDpT10_ENKUlT_T0_E_clISt17integral_constantIbLb1EES19_IbLb0EEEEDaS15_S16_EUlS15_E_NS1_11comp_targetILNS1_3genE0ELNS1_11target_archE4294967295ELNS1_3gpuE0ELNS1_3repE0EEENS1_30default_config_static_selectorELNS0_4arch9wavefront6targetE1EEEvT1_
	.p2align	8
	.type	_ZN7rocprim17ROCPRIM_400000_NS6detail17trampoline_kernelINS0_14default_configENS1_25partition_config_selectorILNS1_17partition_subalgoE8EjNS0_10empty_typeEbEEZZNS1_14partition_implILS5_8ELb0ES3_jN6thrust23THRUST_200600_302600_NS6detail15normal_iteratorINSA_10device_ptrIjEEEEPS6_PKS6_NS0_5tupleIJSF_S6_EEENSJ_IJSG_SG_EEENS0_18inequality_wrapperI22is_equal_div_10_uniqueIjEEEPmJS6_EEE10hipError_tPvRmT3_T4_T5_T6_T7_T9_mT8_P12ihipStream_tbDpT10_ENKUlT_T0_E_clISt17integral_constantIbLb1EES19_IbLb0EEEEDaS15_S16_EUlS15_E_NS1_11comp_targetILNS1_3genE0ELNS1_11target_archE4294967295ELNS1_3gpuE0ELNS1_3repE0EEENS1_30default_config_static_selectorELNS0_4arch9wavefront6targetE1EEEvT1_,@function
_ZN7rocprim17ROCPRIM_400000_NS6detail17trampoline_kernelINS0_14default_configENS1_25partition_config_selectorILNS1_17partition_subalgoE8EjNS0_10empty_typeEbEEZZNS1_14partition_implILS5_8ELb0ES3_jN6thrust23THRUST_200600_302600_NS6detail15normal_iteratorINSA_10device_ptrIjEEEEPS6_PKS6_NS0_5tupleIJSF_S6_EEENSJ_IJSG_SG_EEENS0_18inequality_wrapperI22is_equal_div_10_uniqueIjEEEPmJS6_EEE10hipError_tPvRmT3_T4_T5_T6_T7_T9_mT8_P12ihipStream_tbDpT10_ENKUlT_T0_E_clISt17integral_constantIbLb1EES19_IbLb0EEEEDaS15_S16_EUlS15_E_NS1_11comp_targetILNS1_3genE0ELNS1_11target_archE4294967295ELNS1_3gpuE0ELNS1_3repE0EEENS1_30default_config_static_selectorELNS0_4arch9wavefront6targetE1EEEvT1_: ; @_ZN7rocprim17ROCPRIM_400000_NS6detail17trampoline_kernelINS0_14default_configENS1_25partition_config_selectorILNS1_17partition_subalgoE8EjNS0_10empty_typeEbEEZZNS1_14partition_implILS5_8ELb0ES3_jN6thrust23THRUST_200600_302600_NS6detail15normal_iteratorINSA_10device_ptrIjEEEEPS6_PKS6_NS0_5tupleIJSF_S6_EEENSJ_IJSG_SG_EEENS0_18inequality_wrapperI22is_equal_div_10_uniqueIjEEEPmJS6_EEE10hipError_tPvRmT3_T4_T5_T6_T7_T9_mT8_P12ihipStream_tbDpT10_ENKUlT_T0_E_clISt17integral_constantIbLb1EES19_IbLb0EEEEDaS15_S16_EUlS15_E_NS1_11comp_targetILNS1_3genE0ELNS1_11target_archE4294967295ELNS1_3gpuE0ELNS1_3repE0EEENS1_30default_config_static_selectorELNS0_4arch9wavefront6targetE1EEEvT1_
; %bb.0:
	.section	.rodata,"a",@progbits
	.p2align	6, 0x0
	.amdhsa_kernel _ZN7rocprim17ROCPRIM_400000_NS6detail17trampoline_kernelINS0_14default_configENS1_25partition_config_selectorILNS1_17partition_subalgoE8EjNS0_10empty_typeEbEEZZNS1_14partition_implILS5_8ELb0ES3_jN6thrust23THRUST_200600_302600_NS6detail15normal_iteratorINSA_10device_ptrIjEEEEPS6_PKS6_NS0_5tupleIJSF_S6_EEENSJ_IJSG_SG_EEENS0_18inequality_wrapperI22is_equal_div_10_uniqueIjEEEPmJS6_EEE10hipError_tPvRmT3_T4_T5_T6_T7_T9_mT8_P12ihipStream_tbDpT10_ENKUlT_T0_E_clISt17integral_constantIbLb1EES19_IbLb0EEEEDaS15_S16_EUlS15_E_NS1_11comp_targetILNS1_3genE0ELNS1_11target_archE4294967295ELNS1_3gpuE0ELNS1_3repE0EEENS1_30default_config_static_selectorELNS0_4arch9wavefront6targetE1EEEvT1_
		.amdhsa_group_segment_fixed_size 0
		.amdhsa_private_segment_fixed_size 0
		.amdhsa_kernarg_size 112
		.amdhsa_user_sgpr_count 6
		.amdhsa_user_sgpr_private_segment_buffer 1
		.amdhsa_user_sgpr_dispatch_ptr 0
		.amdhsa_user_sgpr_queue_ptr 0
		.amdhsa_user_sgpr_kernarg_segment_ptr 1
		.amdhsa_user_sgpr_dispatch_id 0
		.amdhsa_user_sgpr_flat_scratch_init 0
		.amdhsa_user_sgpr_private_segment_size 0
		.amdhsa_uses_dynamic_stack 0
		.amdhsa_system_sgpr_private_segment_wavefront_offset 0
		.amdhsa_system_sgpr_workgroup_id_x 1
		.amdhsa_system_sgpr_workgroup_id_y 0
		.amdhsa_system_sgpr_workgroup_id_z 0
		.amdhsa_system_sgpr_workgroup_info 0
		.amdhsa_system_vgpr_workitem_id 0
		.amdhsa_next_free_vgpr 1
		.amdhsa_next_free_sgpr 0
		.amdhsa_reserve_vcc 0
		.amdhsa_reserve_flat_scratch 0
		.amdhsa_float_round_mode_32 0
		.amdhsa_float_round_mode_16_64 0
		.amdhsa_float_denorm_mode_32 3
		.amdhsa_float_denorm_mode_16_64 3
		.amdhsa_dx10_clamp 1
		.amdhsa_ieee_mode 1
		.amdhsa_fp16_overflow 0
		.amdhsa_exception_fp_ieee_invalid_op 0
		.amdhsa_exception_fp_denorm_src 0
		.amdhsa_exception_fp_ieee_div_zero 0
		.amdhsa_exception_fp_ieee_overflow 0
		.amdhsa_exception_fp_ieee_underflow 0
		.amdhsa_exception_fp_ieee_inexact 0
		.amdhsa_exception_int_div_zero 0
	.end_amdhsa_kernel
	.section	.text._ZN7rocprim17ROCPRIM_400000_NS6detail17trampoline_kernelINS0_14default_configENS1_25partition_config_selectorILNS1_17partition_subalgoE8EjNS0_10empty_typeEbEEZZNS1_14partition_implILS5_8ELb0ES3_jN6thrust23THRUST_200600_302600_NS6detail15normal_iteratorINSA_10device_ptrIjEEEEPS6_PKS6_NS0_5tupleIJSF_S6_EEENSJ_IJSG_SG_EEENS0_18inequality_wrapperI22is_equal_div_10_uniqueIjEEEPmJS6_EEE10hipError_tPvRmT3_T4_T5_T6_T7_T9_mT8_P12ihipStream_tbDpT10_ENKUlT_T0_E_clISt17integral_constantIbLb1EES19_IbLb0EEEEDaS15_S16_EUlS15_E_NS1_11comp_targetILNS1_3genE0ELNS1_11target_archE4294967295ELNS1_3gpuE0ELNS1_3repE0EEENS1_30default_config_static_selectorELNS0_4arch9wavefront6targetE1EEEvT1_,"axG",@progbits,_ZN7rocprim17ROCPRIM_400000_NS6detail17trampoline_kernelINS0_14default_configENS1_25partition_config_selectorILNS1_17partition_subalgoE8EjNS0_10empty_typeEbEEZZNS1_14partition_implILS5_8ELb0ES3_jN6thrust23THRUST_200600_302600_NS6detail15normal_iteratorINSA_10device_ptrIjEEEEPS6_PKS6_NS0_5tupleIJSF_S6_EEENSJ_IJSG_SG_EEENS0_18inequality_wrapperI22is_equal_div_10_uniqueIjEEEPmJS6_EEE10hipError_tPvRmT3_T4_T5_T6_T7_T9_mT8_P12ihipStream_tbDpT10_ENKUlT_T0_E_clISt17integral_constantIbLb1EES19_IbLb0EEEEDaS15_S16_EUlS15_E_NS1_11comp_targetILNS1_3genE0ELNS1_11target_archE4294967295ELNS1_3gpuE0ELNS1_3repE0EEENS1_30default_config_static_selectorELNS0_4arch9wavefront6targetE1EEEvT1_,comdat
.Lfunc_end258:
	.size	_ZN7rocprim17ROCPRIM_400000_NS6detail17trampoline_kernelINS0_14default_configENS1_25partition_config_selectorILNS1_17partition_subalgoE8EjNS0_10empty_typeEbEEZZNS1_14partition_implILS5_8ELb0ES3_jN6thrust23THRUST_200600_302600_NS6detail15normal_iteratorINSA_10device_ptrIjEEEEPS6_PKS6_NS0_5tupleIJSF_S6_EEENSJ_IJSG_SG_EEENS0_18inequality_wrapperI22is_equal_div_10_uniqueIjEEEPmJS6_EEE10hipError_tPvRmT3_T4_T5_T6_T7_T9_mT8_P12ihipStream_tbDpT10_ENKUlT_T0_E_clISt17integral_constantIbLb1EES19_IbLb0EEEEDaS15_S16_EUlS15_E_NS1_11comp_targetILNS1_3genE0ELNS1_11target_archE4294967295ELNS1_3gpuE0ELNS1_3repE0EEENS1_30default_config_static_selectorELNS0_4arch9wavefront6targetE1EEEvT1_, .Lfunc_end258-_ZN7rocprim17ROCPRIM_400000_NS6detail17trampoline_kernelINS0_14default_configENS1_25partition_config_selectorILNS1_17partition_subalgoE8EjNS0_10empty_typeEbEEZZNS1_14partition_implILS5_8ELb0ES3_jN6thrust23THRUST_200600_302600_NS6detail15normal_iteratorINSA_10device_ptrIjEEEEPS6_PKS6_NS0_5tupleIJSF_S6_EEENSJ_IJSG_SG_EEENS0_18inequality_wrapperI22is_equal_div_10_uniqueIjEEEPmJS6_EEE10hipError_tPvRmT3_T4_T5_T6_T7_T9_mT8_P12ihipStream_tbDpT10_ENKUlT_T0_E_clISt17integral_constantIbLb1EES19_IbLb0EEEEDaS15_S16_EUlS15_E_NS1_11comp_targetILNS1_3genE0ELNS1_11target_archE4294967295ELNS1_3gpuE0ELNS1_3repE0EEENS1_30default_config_static_selectorELNS0_4arch9wavefront6targetE1EEEvT1_
                                        ; -- End function
	.set _ZN7rocprim17ROCPRIM_400000_NS6detail17trampoline_kernelINS0_14default_configENS1_25partition_config_selectorILNS1_17partition_subalgoE8EjNS0_10empty_typeEbEEZZNS1_14partition_implILS5_8ELb0ES3_jN6thrust23THRUST_200600_302600_NS6detail15normal_iteratorINSA_10device_ptrIjEEEEPS6_PKS6_NS0_5tupleIJSF_S6_EEENSJ_IJSG_SG_EEENS0_18inequality_wrapperI22is_equal_div_10_uniqueIjEEEPmJS6_EEE10hipError_tPvRmT3_T4_T5_T6_T7_T9_mT8_P12ihipStream_tbDpT10_ENKUlT_T0_E_clISt17integral_constantIbLb1EES19_IbLb0EEEEDaS15_S16_EUlS15_E_NS1_11comp_targetILNS1_3genE0ELNS1_11target_archE4294967295ELNS1_3gpuE0ELNS1_3repE0EEENS1_30default_config_static_selectorELNS0_4arch9wavefront6targetE1EEEvT1_.num_vgpr, 0
	.set _ZN7rocprim17ROCPRIM_400000_NS6detail17trampoline_kernelINS0_14default_configENS1_25partition_config_selectorILNS1_17partition_subalgoE8EjNS0_10empty_typeEbEEZZNS1_14partition_implILS5_8ELb0ES3_jN6thrust23THRUST_200600_302600_NS6detail15normal_iteratorINSA_10device_ptrIjEEEEPS6_PKS6_NS0_5tupleIJSF_S6_EEENSJ_IJSG_SG_EEENS0_18inequality_wrapperI22is_equal_div_10_uniqueIjEEEPmJS6_EEE10hipError_tPvRmT3_T4_T5_T6_T7_T9_mT8_P12ihipStream_tbDpT10_ENKUlT_T0_E_clISt17integral_constantIbLb1EES19_IbLb0EEEEDaS15_S16_EUlS15_E_NS1_11comp_targetILNS1_3genE0ELNS1_11target_archE4294967295ELNS1_3gpuE0ELNS1_3repE0EEENS1_30default_config_static_selectorELNS0_4arch9wavefront6targetE1EEEvT1_.num_agpr, 0
	.set _ZN7rocprim17ROCPRIM_400000_NS6detail17trampoline_kernelINS0_14default_configENS1_25partition_config_selectorILNS1_17partition_subalgoE8EjNS0_10empty_typeEbEEZZNS1_14partition_implILS5_8ELb0ES3_jN6thrust23THRUST_200600_302600_NS6detail15normal_iteratorINSA_10device_ptrIjEEEEPS6_PKS6_NS0_5tupleIJSF_S6_EEENSJ_IJSG_SG_EEENS0_18inequality_wrapperI22is_equal_div_10_uniqueIjEEEPmJS6_EEE10hipError_tPvRmT3_T4_T5_T6_T7_T9_mT8_P12ihipStream_tbDpT10_ENKUlT_T0_E_clISt17integral_constantIbLb1EES19_IbLb0EEEEDaS15_S16_EUlS15_E_NS1_11comp_targetILNS1_3genE0ELNS1_11target_archE4294967295ELNS1_3gpuE0ELNS1_3repE0EEENS1_30default_config_static_selectorELNS0_4arch9wavefront6targetE1EEEvT1_.numbered_sgpr, 0
	.set _ZN7rocprim17ROCPRIM_400000_NS6detail17trampoline_kernelINS0_14default_configENS1_25partition_config_selectorILNS1_17partition_subalgoE8EjNS0_10empty_typeEbEEZZNS1_14partition_implILS5_8ELb0ES3_jN6thrust23THRUST_200600_302600_NS6detail15normal_iteratorINSA_10device_ptrIjEEEEPS6_PKS6_NS0_5tupleIJSF_S6_EEENSJ_IJSG_SG_EEENS0_18inequality_wrapperI22is_equal_div_10_uniqueIjEEEPmJS6_EEE10hipError_tPvRmT3_T4_T5_T6_T7_T9_mT8_P12ihipStream_tbDpT10_ENKUlT_T0_E_clISt17integral_constantIbLb1EES19_IbLb0EEEEDaS15_S16_EUlS15_E_NS1_11comp_targetILNS1_3genE0ELNS1_11target_archE4294967295ELNS1_3gpuE0ELNS1_3repE0EEENS1_30default_config_static_selectorELNS0_4arch9wavefront6targetE1EEEvT1_.num_named_barrier, 0
	.set _ZN7rocprim17ROCPRIM_400000_NS6detail17trampoline_kernelINS0_14default_configENS1_25partition_config_selectorILNS1_17partition_subalgoE8EjNS0_10empty_typeEbEEZZNS1_14partition_implILS5_8ELb0ES3_jN6thrust23THRUST_200600_302600_NS6detail15normal_iteratorINSA_10device_ptrIjEEEEPS6_PKS6_NS0_5tupleIJSF_S6_EEENSJ_IJSG_SG_EEENS0_18inequality_wrapperI22is_equal_div_10_uniqueIjEEEPmJS6_EEE10hipError_tPvRmT3_T4_T5_T6_T7_T9_mT8_P12ihipStream_tbDpT10_ENKUlT_T0_E_clISt17integral_constantIbLb1EES19_IbLb0EEEEDaS15_S16_EUlS15_E_NS1_11comp_targetILNS1_3genE0ELNS1_11target_archE4294967295ELNS1_3gpuE0ELNS1_3repE0EEENS1_30default_config_static_selectorELNS0_4arch9wavefront6targetE1EEEvT1_.private_seg_size, 0
	.set _ZN7rocprim17ROCPRIM_400000_NS6detail17trampoline_kernelINS0_14default_configENS1_25partition_config_selectorILNS1_17partition_subalgoE8EjNS0_10empty_typeEbEEZZNS1_14partition_implILS5_8ELb0ES3_jN6thrust23THRUST_200600_302600_NS6detail15normal_iteratorINSA_10device_ptrIjEEEEPS6_PKS6_NS0_5tupleIJSF_S6_EEENSJ_IJSG_SG_EEENS0_18inequality_wrapperI22is_equal_div_10_uniqueIjEEEPmJS6_EEE10hipError_tPvRmT3_T4_T5_T6_T7_T9_mT8_P12ihipStream_tbDpT10_ENKUlT_T0_E_clISt17integral_constantIbLb1EES19_IbLb0EEEEDaS15_S16_EUlS15_E_NS1_11comp_targetILNS1_3genE0ELNS1_11target_archE4294967295ELNS1_3gpuE0ELNS1_3repE0EEENS1_30default_config_static_selectorELNS0_4arch9wavefront6targetE1EEEvT1_.uses_vcc, 0
	.set _ZN7rocprim17ROCPRIM_400000_NS6detail17trampoline_kernelINS0_14default_configENS1_25partition_config_selectorILNS1_17partition_subalgoE8EjNS0_10empty_typeEbEEZZNS1_14partition_implILS5_8ELb0ES3_jN6thrust23THRUST_200600_302600_NS6detail15normal_iteratorINSA_10device_ptrIjEEEEPS6_PKS6_NS0_5tupleIJSF_S6_EEENSJ_IJSG_SG_EEENS0_18inequality_wrapperI22is_equal_div_10_uniqueIjEEEPmJS6_EEE10hipError_tPvRmT3_T4_T5_T6_T7_T9_mT8_P12ihipStream_tbDpT10_ENKUlT_T0_E_clISt17integral_constantIbLb1EES19_IbLb0EEEEDaS15_S16_EUlS15_E_NS1_11comp_targetILNS1_3genE0ELNS1_11target_archE4294967295ELNS1_3gpuE0ELNS1_3repE0EEENS1_30default_config_static_selectorELNS0_4arch9wavefront6targetE1EEEvT1_.uses_flat_scratch, 0
	.set _ZN7rocprim17ROCPRIM_400000_NS6detail17trampoline_kernelINS0_14default_configENS1_25partition_config_selectorILNS1_17partition_subalgoE8EjNS0_10empty_typeEbEEZZNS1_14partition_implILS5_8ELb0ES3_jN6thrust23THRUST_200600_302600_NS6detail15normal_iteratorINSA_10device_ptrIjEEEEPS6_PKS6_NS0_5tupleIJSF_S6_EEENSJ_IJSG_SG_EEENS0_18inequality_wrapperI22is_equal_div_10_uniqueIjEEEPmJS6_EEE10hipError_tPvRmT3_T4_T5_T6_T7_T9_mT8_P12ihipStream_tbDpT10_ENKUlT_T0_E_clISt17integral_constantIbLb1EES19_IbLb0EEEEDaS15_S16_EUlS15_E_NS1_11comp_targetILNS1_3genE0ELNS1_11target_archE4294967295ELNS1_3gpuE0ELNS1_3repE0EEENS1_30default_config_static_selectorELNS0_4arch9wavefront6targetE1EEEvT1_.has_dyn_sized_stack, 0
	.set _ZN7rocprim17ROCPRIM_400000_NS6detail17trampoline_kernelINS0_14default_configENS1_25partition_config_selectorILNS1_17partition_subalgoE8EjNS0_10empty_typeEbEEZZNS1_14partition_implILS5_8ELb0ES3_jN6thrust23THRUST_200600_302600_NS6detail15normal_iteratorINSA_10device_ptrIjEEEEPS6_PKS6_NS0_5tupleIJSF_S6_EEENSJ_IJSG_SG_EEENS0_18inequality_wrapperI22is_equal_div_10_uniqueIjEEEPmJS6_EEE10hipError_tPvRmT3_T4_T5_T6_T7_T9_mT8_P12ihipStream_tbDpT10_ENKUlT_T0_E_clISt17integral_constantIbLb1EES19_IbLb0EEEEDaS15_S16_EUlS15_E_NS1_11comp_targetILNS1_3genE0ELNS1_11target_archE4294967295ELNS1_3gpuE0ELNS1_3repE0EEENS1_30default_config_static_selectorELNS0_4arch9wavefront6targetE1EEEvT1_.has_recursion, 0
	.set _ZN7rocprim17ROCPRIM_400000_NS6detail17trampoline_kernelINS0_14default_configENS1_25partition_config_selectorILNS1_17partition_subalgoE8EjNS0_10empty_typeEbEEZZNS1_14partition_implILS5_8ELb0ES3_jN6thrust23THRUST_200600_302600_NS6detail15normal_iteratorINSA_10device_ptrIjEEEEPS6_PKS6_NS0_5tupleIJSF_S6_EEENSJ_IJSG_SG_EEENS0_18inequality_wrapperI22is_equal_div_10_uniqueIjEEEPmJS6_EEE10hipError_tPvRmT3_T4_T5_T6_T7_T9_mT8_P12ihipStream_tbDpT10_ENKUlT_T0_E_clISt17integral_constantIbLb1EES19_IbLb0EEEEDaS15_S16_EUlS15_E_NS1_11comp_targetILNS1_3genE0ELNS1_11target_archE4294967295ELNS1_3gpuE0ELNS1_3repE0EEENS1_30default_config_static_selectorELNS0_4arch9wavefront6targetE1EEEvT1_.has_indirect_call, 0
	.section	.AMDGPU.csdata,"",@progbits
; Kernel info:
; codeLenInByte = 0
; TotalNumSgprs: 4
; NumVgprs: 0
; ScratchSize: 0
; MemoryBound: 0
; FloatMode: 240
; IeeeMode: 1
; LDSByteSize: 0 bytes/workgroup (compile time only)
; SGPRBlocks: 0
; VGPRBlocks: 0
; NumSGPRsForWavesPerEU: 4
; NumVGPRsForWavesPerEU: 1
; Occupancy: 10
; WaveLimiterHint : 0
; COMPUTE_PGM_RSRC2:SCRATCH_EN: 0
; COMPUTE_PGM_RSRC2:USER_SGPR: 6
; COMPUTE_PGM_RSRC2:TRAP_HANDLER: 0
; COMPUTE_PGM_RSRC2:TGID_X_EN: 1
; COMPUTE_PGM_RSRC2:TGID_Y_EN: 0
; COMPUTE_PGM_RSRC2:TGID_Z_EN: 0
; COMPUTE_PGM_RSRC2:TIDIG_COMP_CNT: 0
	.section	.text._ZN7rocprim17ROCPRIM_400000_NS6detail17trampoline_kernelINS0_14default_configENS1_25partition_config_selectorILNS1_17partition_subalgoE8EjNS0_10empty_typeEbEEZZNS1_14partition_implILS5_8ELb0ES3_jN6thrust23THRUST_200600_302600_NS6detail15normal_iteratorINSA_10device_ptrIjEEEEPS6_PKS6_NS0_5tupleIJSF_S6_EEENSJ_IJSG_SG_EEENS0_18inequality_wrapperI22is_equal_div_10_uniqueIjEEEPmJS6_EEE10hipError_tPvRmT3_T4_T5_T6_T7_T9_mT8_P12ihipStream_tbDpT10_ENKUlT_T0_E_clISt17integral_constantIbLb1EES19_IbLb0EEEEDaS15_S16_EUlS15_E_NS1_11comp_targetILNS1_3genE5ELNS1_11target_archE942ELNS1_3gpuE9ELNS1_3repE0EEENS1_30default_config_static_selectorELNS0_4arch9wavefront6targetE1EEEvT1_,"axG",@progbits,_ZN7rocprim17ROCPRIM_400000_NS6detail17trampoline_kernelINS0_14default_configENS1_25partition_config_selectorILNS1_17partition_subalgoE8EjNS0_10empty_typeEbEEZZNS1_14partition_implILS5_8ELb0ES3_jN6thrust23THRUST_200600_302600_NS6detail15normal_iteratorINSA_10device_ptrIjEEEEPS6_PKS6_NS0_5tupleIJSF_S6_EEENSJ_IJSG_SG_EEENS0_18inequality_wrapperI22is_equal_div_10_uniqueIjEEEPmJS6_EEE10hipError_tPvRmT3_T4_T5_T6_T7_T9_mT8_P12ihipStream_tbDpT10_ENKUlT_T0_E_clISt17integral_constantIbLb1EES19_IbLb0EEEEDaS15_S16_EUlS15_E_NS1_11comp_targetILNS1_3genE5ELNS1_11target_archE942ELNS1_3gpuE9ELNS1_3repE0EEENS1_30default_config_static_selectorELNS0_4arch9wavefront6targetE1EEEvT1_,comdat
	.protected	_ZN7rocprim17ROCPRIM_400000_NS6detail17trampoline_kernelINS0_14default_configENS1_25partition_config_selectorILNS1_17partition_subalgoE8EjNS0_10empty_typeEbEEZZNS1_14partition_implILS5_8ELb0ES3_jN6thrust23THRUST_200600_302600_NS6detail15normal_iteratorINSA_10device_ptrIjEEEEPS6_PKS6_NS0_5tupleIJSF_S6_EEENSJ_IJSG_SG_EEENS0_18inequality_wrapperI22is_equal_div_10_uniqueIjEEEPmJS6_EEE10hipError_tPvRmT3_T4_T5_T6_T7_T9_mT8_P12ihipStream_tbDpT10_ENKUlT_T0_E_clISt17integral_constantIbLb1EES19_IbLb0EEEEDaS15_S16_EUlS15_E_NS1_11comp_targetILNS1_3genE5ELNS1_11target_archE942ELNS1_3gpuE9ELNS1_3repE0EEENS1_30default_config_static_selectorELNS0_4arch9wavefront6targetE1EEEvT1_ ; -- Begin function _ZN7rocprim17ROCPRIM_400000_NS6detail17trampoline_kernelINS0_14default_configENS1_25partition_config_selectorILNS1_17partition_subalgoE8EjNS0_10empty_typeEbEEZZNS1_14partition_implILS5_8ELb0ES3_jN6thrust23THRUST_200600_302600_NS6detail15normal_iteratorINSA_10device_ptrIjEEEEPS6_PKS6_NS0_5tupleIJSF_S6_EEENSJ_IJSG_SG_EEENS0_18inequality_wrapperI22is_equal_div_10_uniqueIjEEEPmJS6_EEE10hipError_tPvRmT3_T4_T5_T6_T7_T9_mT8_P12ihipStream_tbDpT10_ENKUlT_T0_E_clISt17integral_constantIbLb1EES19_IbLb0EEEEDaS15_S16_EUlS15_E_NS1_11comp_targetILNS1_3genE5ELNS1_11target_archE942ELNS1_3gpuE9ELNS1_3repE0EEENS1_30default_config_static_selectorELNS0_4arch9wavefront6targetE1EEEvT1_
	.globl	_ZN7rocprim17ROCPRIM_400000_NS6detail17trampoline_kernelINS0_14default_configENS1_25partition_config_selectorILNS1_17partition_subalgoE8EjNS0_10empty_typeEbEEZZNS1_14partition_implILS5_8ELb0ES3_jN6thrust23THRUST_200600_302600_NS6detail15normal_iteratorINSA_10device_ptrIjEEEEPS6_PKS6_NS0_5tupleIJSF_S6_EEENSJ_IJSG_SG_EEENS0_18inequality_wrapperI22is_equal_div_10_uniqueIjEEEPmJS6_EEE10hipError_tPvRmT3_T4_T5_T6_T7_T9_mT8_P12ihipStream_tbDpT10_ENKUlT_T0_E_clISt17integral_constantIbLb1EES19_IbLb0EEEEDaS15_S16_EUlS15_E_NS1_11comp_targetILNS1_3genE5ELNS1_11target_archE942ELNS1_3gpuE9ELNS1_3repE0EEENS1_30default_config_static_selectorELNS0_4arch9wavefront6targetE1EEEvT1_
	.p2align	8
	.type	_ZN7rocprim17ROCPRIM_400000_NS6detail17trampoline_kernelINS0_14default_configENS1_25partition_config_selectorILNS1_17partition_subalgoE8EjNS0_10empty_typeEbEEZZNS1_14partition_implILS5_8ELb0ES3_jN6thrust23THRUST_200600_302600_NS6detail15normal_iteratorINSA_10device_ptrIjEEEEPS6_PKS6_NS0_5tupleIJSF_S6_EEENSJ_IJSG_SG_EEENS0_18inequality_wrapperI22is_equal_div_10_uniqueIjEEEPmJS6_EEE10hipError_tPvRmT3_T4_T5_T6_T7_T9_mT8_P12ihipStream_tbDpT10_ENKUlT_T0_E_clISt17integral_constantIbLb1EES19_IbLb0EEEEDaS15_S16_EUlS15_E_NS1_11comp_targetILNS1_3genE5ELNS1_11target_archE942ELNS1_3gpuE9ELNS1_3repE0EEENS1_30default_config_static_selectorELNS0_4arch9wavefront6targetE1EEEvT1_,@function
_ZN7rocprim17ROCPRIM_400000_NS6detail17trampoline_kernelINS0_14default_configENS1_25partition_config_selectorILNS1_17partition_subalgoE8EjNS0_10empty_typeEbEEZZNS1_14partition_implILS5_8ELb0ES3_jN6thrust23THRUST_200600_302600_NS6detail15normal_iteratorINSA_10device_ptrIjEEEEPS6_PKS6_NS0_5tupleIJSF_S6_EEENSJ_IJSG_SG_EEENS0_18inequality_wrapperI22is_equal_div_10_uniqueIjEEEPmJS6_EEE10hipError_tPvRmT3_T4_T5_T6_T7_T9_mT8_P12ihipStream_tbDpT10_ENKUlT_T0_E_clISt17integral_constantIbLb1EES19_IbLb0EEEEDaS15_S16_EUlS15_E_NS1_11comp_targetILNS1_3genE5ELNS1_11target_archE942ELNS1_3gpuE9ELNS1_3repE0EEENS1_30default_config_static_selectorELNS0_4arch9wavefront6targetE1EEEvT1_: ; @_ZN7rocprim17ROCPRIM_400000_NS6detail17trampoline_kernelINS0_14default_configENS1_25partition_config_selectorILNS1_17partition_subalgoE8EjNS0_10empty_typeEbEEZZNS1_14partition_implILS5_8ELb0ES3_jN6thrust23THRUST_200600_302600_NS6detail15normal_iteratorINSA_10device_ptrIjEEEEPS6_PKS6_NS0_5tupleIJSF_S6_EEENSJ_IJSG_SG_EEENS0_18inequality_wrapperI22is_equal_div_10_uniqueIjEEEPmJS6_EEE10hipError_tPvRmT3_T4_T5_T6_T7_T9_mT8_P12ihipStream_tbDpT10_ENKUlT_T0_E_clISt17integral_constantIbLb1EES19_IbLb0EEEEDaS15_S16_EUlS15_E_NS1_11comp_targetILNS1_3genE5ELNS1_11target_archE942ELNS1_3gpuE9ELNS1_3repE0EEENS1_30default_config_static_selectorELNS0_4arch9wavefront6targetE1EEEvT1_
; %bb.0:
	.section	.rodata,"a",@progbits
	.p2align	6, 0x0
	.amdhsa_kernel _ZN7rocprim17ROCPRIM_400000_NS6detail17trampoline_kernelINS0_14default_configENS1_25partition_config_selectorILNS1_17partition_subalgoE8EjNS0_10empty_typeEbEEZZNS1_14partition_implILS5_8ELb0ES3_jN6thrust23THRUST_200600_302600_NS6detail15normal_iteratorINSA_10device_ptrIjEEEEPS6_PKS6_NS0_5tupleIJSF_S6_EEENSJ_IJSG_SG_EEENS0_18inequality_wrapperI22is_equal_div_10_uniqueIjEEEPmJS6_EEE10hipError_tPvRmT3_T4_T5_T6_T7_T9_mT8_P12ihipStream_tbDpT10_ENKUlT_T0_E_clISt17integral_constantIbLb1EES19_IbLb0EEEEDaS15_S16_EUlS15_E_NS1_11comp_targetILNS1_3genE5ELNS1_11target_archE942ELNS1_3gpuE9ELNS1_3repE0EEENS1_30default_config_static_selectorELNS0_4arch9wavefront6targetE1EEEvT1_
		.amdhsa_group_segment_fixed_size 0
		.amdhsa_private_segment_fixed_size 0
		.amdhsa_kernarg_size 112
		.amdhsa_user_sgpr_count 6
		.amdhsa_user_sgpr_private_segment_buffer 1
		.amdhsa_user_sgpr_dispatch_ptr 0
		.amdhsa_user_sgpr_queue_ptr 0
		.amdhsa_user_sgpr_kernarg_segment_ptr 1
		.amdhsa_user_sgpr_dispatch_id 0
		.amdhsa_user_sgpr_flat_scratch_init 0
		.amdhsa_user_sgpr_private_segment_size 0
		.amdhsa_uses_dynamic_stack 0
		.amdhsa_system_sgpr_private_segment_wavefront_offset 0
		.amdhsa_system_sgpr_workgroup_id_x 1
		.amdhsa_system_sgpr_workgroup_id_y 0
		.amdhsa_system_sgpr_workgroup_id_z 0
		.amdhsa_system_sgpr_workgroup_info 0
		.amdhsa_system_vgpr_workitem_id 0
		.amdhsa_next_free_vgpr 1
		.amdhsa_next_free_sgpr 0
		.amdhsa_reserve_vcc 0
		.amdhsa_reserve_flat_scratch 0
		.amdhsa_float_round_mode_32 0
		.amdhsa_float_round_mode_16_64 0
		.amdhsa_float_denorm_mode_32 3
		.amdhsa_float_denorm_mode_16_64 3
		.amdhsa_dx10_clamp 1
		.amdhsa_ieee_mode 1
		.amdhsa_fp16_overflow 0
		.amdhsa_exception_fp_ieee_invalid_op 0
		.amdhsa_exception_fp_denorm_src 0
		.amdhsa_exception_fp_ieee_div_zero 0
		.amdhsa_exception_fp_ieee_overflow 0
		.amdhsa_exception_fp_ieee_underflow 0
		.amdhsa_exception_fp_ieee_inexact 0
		.amdhsa_exception_int_div_zero 0
	.end_amdhsa_kernel
	.section	.text._ZN7rocprim17ROCPRIM_400000_NS6detail17trampoline_kernelINS0_14default_configENS1_25partition_config_selectorILNS1_17partition_subalgoE8EjNS0_10empty_typeEbEEZZNS1_14partition_implILS5_8ELb0ES3_jN6thrust23THRUST_200600_302600_NS6detail15normal_iteratorINSA_10device_ptrIjEEEEPS6_PKS6_NS0_5tupleIJSF_S6_EEENSJ_IJSG_SG_EEENS0_18inequality_wrapperI22is_equal_div_10_uniqueIjEEEPmJS6_EEE10hipError_tPvRmT3_T4_T5_T6_T7_T9_mT8_P12ihipStream_tbDpT10_ENKUlT_T0_E_clISt17integral_constantIbLb1EES19_IbLb0EEEEDaS15_S16_EUlS15_E_NS1_11comp_targetILNS1_3genE5ELNS1_11target_archE942ELNS1_3gpuE9ELNS1_3repE0EEENS1_30default_config_static_selectorELNS0_4arch9wavefront6targetE1EEEvT1_,"axG",@progbits,_ZN7rocprim17ROCPRIM_400000_NS6detail17trampoline_kernelINS0_14default_configENS1_25partition_config_selectorILNS1_17partition_subalgoE8EjNS0_10empty_typeEbEEZZNS1_14partition_implILS5_8ELb0ES3_jN6thrust23THRUST_200600_302600_NS6detail15normal_iteratorINSA_10device_ptrIjEEEEPS6_PKS6_NS0_5tupleIJSF_S6_EEENSJ_IJSG_SG_EEENS0_18inequality_wrapperI22is_equal_div_10_uniqueIjEEEPmJS6_EEE10hipError_tPvRmT3_T4_T5_T6_T7_T9_mT8_P12ihipStream_tbDpT10_ENKUlT_T0_E_clISt17integral_constantIbLb1EES19_IbLb0EEEEDaS15_S16_EUlS15_E_NS1_11comp_targetILNS1_3genE5ELNS1_11target_archE942ELNS1_3gpuE9ELNS1_3repE0EEENS1_30default_config_static_selectorELNS0_4arch9wavefront6targetE1EEEvT1_,comdat
.Lfunc_end259:
	.size	_ZN7rocprim17ROCPRIM_400000_NS6detail17trampoline_kernelINS0_14default_configENS1_25partition_config_selectorILNS1_17partition_subalgoE8EjNS0_10empty_typeEbEEZZNS1_14partition_implILS5_8ELb0ES3_jN6thrust23THRUST_200600_302600_NS6detail15normal_iteratorINSA_10device_ptrIjEEEEPS6_PKS6_NS0_5tupleIJSF_S6_EEENSJ_IJSG_SG_EEENS0_18inequality_wrapperI22is_equal_div_10_uniqueIjEEEPmJS6_EEE10hipError_tPvRmT3_T4_T5_T6_T7_T9_mT8_P12ihipStream_tbDpT10_ENKUlT_T0_E_clISt17integral_constantIbLb1EES19_IbLb0EEEEDaS15_S16_EUlS15_E_NS1_11comp_targetILNS1_3genE5ELNS1_11target_archE942ELNS1_3gpuE9ELNS1_3repE0EEENS1_30default_config_static_selectorELNS0_4arch9wavefront6targetE1EEEvT1_, .Lfunc_end259-_ZN7rocprim17ROCPRIM_400000_NS6detail17trampoline_kernelINS0_14default_configENS1_25partition_config_selectorILNS1_17partition_subalgoE8EjNS0_10empty_typeEbEEZZNS1_14partition_implILS5_8ELb0ES3_jN6thrust23THRUST_200600_302600_NS6detail15normal_iteratorINSA_10device_ptrIjEEEEPS6_PKS6_NS0_5tupleIJSF_S6_EEENSJ_IJSG_SG_EEENS0_18inequality_wrapperI22is_equal_div_10_uniqueIjEEEPmJS6_EEE10hipError_tPvRmT3_T4_T5_T6_T7_T9_mT8_P12ihipStream_tbDpT10_ENKUlT_T0_E_clISt17integral_constantIbLb1EES19_IbLb0EEEEDaS15_S16_EUlS15_E_NS1_11comp_targetILNS1_3genE5ELNS1_11target_archE942ELNS1_3gpuE9ELNS1_3repE0EEENS1_30default_config_static_selectorELNS0_4arch9wavefront6targetE1EEEvT1_
                                        ; -- End function
	.set _ZN7rocprim17ROCPRIM_400000_NS6detail17trampoline_kernelINS0_14default_configENS1_25partition_config_selectorILNS1_17partition_subalgoE8EjNS0_10empty_typeEbEEZZNS1_14partition_implILS5_8ELb0ES3_jN6thrust23THRUST_200600_302600_NS6detail15normal_iteratorINSA_10device_ptrIjEEEEPS6_PKS6_NS0_5tupleIJSF_S6_EEENSJ_IJSG_SG_EEENS0_18inequality_wrapperI22is_equal_div_10_uniqueIjEEEPmJS6_EEE10hipError_tPvRmT3_T4_T5_T6_T7_T9_mT8_P12ihipStream_tbDpT10_ENKUlT_T0_E_clISt17integral_constantIbLb1EES19_IbLb0EEEEDaS15_S16_EUlS15_E_NS1_11comp_targetILNS1_3genE5ELNS1_11target_archE942ELNS1_3gpuE9ELNS1_3repE0EEENS1_30default_config_static_selectorELNS0_4arch9wavefront6targetE1EEEvT1_.num_vgpr, 0
	.set _ZN7rocprim17ROCPRIM_400000_NS6detail17trampoline_kernelINS0_14default_configENS1_25partition_config_selectorILNS1_17partition_subalgoE8EjNS0_10empty_typeEbEEZZNS1_14partition_implILS5_8ELb0ES3_jN6thrust23THRUST_200600_302600_NS6detail15normal_iteratorINSA_10device_ptrIjEEEEPS6_PKS6_NS0_5tupleIJSF_S6_EEENSJ_IJSG_SG_EEENS0_18inequality_wrapperI22is_equal_div_10_uniqueIjEEEPmJS6_EEE10hipError_tPvRmT3_T4_T5_T6_T7_T9_mT8_P12ihipStream_tbDpT10_ENKUlT_T0_E_clISt17integral_constantIbLb1EES19_IbLb0EEEEDaS15_S16_EUlS15_E_NS1_11comp_targetILNS1_3genE5ELNS1_11target_archE942ELNS1_3gpuE9ELNS1_3repE0EEENS1_30default_config_static_selectorELNS0_4arch9wavefront6targetE1EEEvT1_.num_agpr, 0
	.set _ZN7rocprim17ROCPRIM_400000_NS6detail17trampoline_kernelINS0_14default_configENS1_25partition_config_selectorILNS1_17partition_subalgoE8EjNS0_10empty_typeEbEEZZNS1_14partition_implILS5_8ELb0ES3_jN6thrust23THRUST_200600_302600_NS6detail15normal_iteratorINSA_10device_ptrIjEEEEPS6_PKS6_NS0_5tupleIJSF_S6_EEENSJ_IJSG_SG_EEENS0_18inequality_wrapperI22is_equal_div_10_uniqueIjEEEPmJS6_EEE10hipError_tPvRmT3_T4_T5_T6_T7_T9_mT8_P12ihipStream_tbDpT10_ENKUlT_T0_E_clISt17integral_constantIbLb1EES19_IbLb0EEEEDaS15_S16_EUlS15_E_NS1_11comp_targetILNS1_3genE5ELNS1_11target_archE942ELNS1_3gpuE9ELNS1_3repE0EEENS1_30default_config_static_selectorELNS0_4arch9wavefront6targetE1EEEvT1_.numbered_sgpr, 0
	.set _ZN7rocprim17ROCPRIM_400000_NS6detail17trampoline_kernelINS0_14default_configENS1_25partition_config_selectorILNS1_17partition_subalgoE8EjNS0_10empty_typeEbEEZZNS1_14partition_implILS5_8ELb0ES3_jN6thrust23THRUST_200600_302600_NS6detail15normal_iteratorINSA_10device_ptrIjEEEEPS6_PKS6_NS0_5tupleIJSF_S6_EEENSJ_IJSG_SG_EEENS0_18inequality_wrapperI22is_equal_div_10_uniqueIjEEEPmJS6_EEE10hipError_tPvRmT3_T4_T5_T6_T7_T9_mT8_P12ihipStream_tbDpT10_ENKUlT_T0_E_clISt17integral_constantIbLb1EES19_IbLb0EEEEDaS15_S16_EUlS15_E_NS1_11comp_targetILNS1_3genE5ELNS1_11target_archE942ELNS1_3gpuE9ELNS1_3repE0EEENS1_30default_config_static_selectorELNS0_4arch9wavefront6targetE1EEEvT1_.num_named_barrier, 0
	.set _ZN7rocprim17ROCPRIM_400000_NS6detail17trampoline_kernelINS0_14default_configENS1_25partition_config_selectorILNS1_17partition_subalgoE8EjNS0_10empty_typeEbEEZZNS1_14partition_implILS5_8ELb0ES3_jN6thrust23THRUST_200600_302600_NS6detail15normal_iteratorINSA_10device_ptrIjEEEEPS6_PKS6_NS0_5tupleIJSF_S6_EEENSJ_IJSG_SG_EEENS0_18inequality_wrapperI22is_equal_div_10_uniqueIjEEEPmJS6_EEE10hipError_tPvRmT3_T4_T5_T6_T7_T9_mT8_P12ihipStream_tbDpT10_ENKUlT_T0_E_clISt17integral_constantIbLb1EES19_IbLb0EEEEDaS15_S16_EUlS15_E_NS1_11comp_targetILNS1_3genE5ELNS1_11target_archE942ELNS1_3gpuE9ELNS1_3repE0EEENS1_30default_config_static_selectorELNS0_4arch9wavefront6targetE1EEEvT1_.private_seg_size, 0
	.set _ZN7rocprim17ROCPRIM_400000_NS6detail17trampoline_kernelINS0_14default_configENS1_25partition_config_selectorILNS1_17partition_subalgoE8EjNS0_10empty_typeEbEEZZNS1_14partition_implILS5_8ELb0ES3_jN6thrust23THRUST_200600_302600_NS6detail15normal_iteratorINSA_10device_ptrIjEEEEPS6_PKS6_NS0_5tupleIJSF_S6_EEENSJ_IJSG_SG_EEENS0_18inequality_wrapperI22is_equal_div_10_uniqueIjEEEPmJS6_EEE10hipError_tPvRmT3_T4_T5_T6_T7_T9_mT8_P12ihipStream_tbDpT10_ENKUlT_T0_E_clISt17integral_constantIbLb1EES19_IbLb0EEEEDaS15_S16_EUlS15_E_NS1_11comp_targetILNS1_3genE5ELNS1_11target_archE942ELNS1_3gpuE9ELNS1_3repE0EEENS1_30default_config_static_selectorELNS0_4arch9wavefront6targetE1EEEvT1_.uses_vcc, 0
	.set _ZN7rocprim17ROCPRIM_400000_NS6detail17trampoline_kernelINS0_14default_configENS1_25partition_config_selectorILNS1_17partition_subalgoE8EjNS0_10empty_typeEbEEZZNS1_14partition_implILS5_8ELb0ES3_jN6thrust23THRUST_200600_302600_NS6detail15normal_iteratorINSA_10device_ptrIjEEEEPS6_PKS6_NS0_5tupleIJSF_S6_EEENSJ_IJSG_SG_EEENS0_18inequality_wrapperI22is_equal_div_10_uniqueIjEEEPmJS6_EEE10hipError_tPvRmT3_T4_T5_T6_T7_T9_mT8_P12ihipStream_tbDpT10_ENKUlT_T0_E_clISt17integral_constantIbLb1EES19_IbLb0EEEEDaS15_S16_EUlS15_E_NS1_11comp_targetILNS1_3genE5ELNS1_11target_archE942ELNS1_3gpuE9ELNS1_3repE0EEENS1_30default_config_static_selectorELNS0_4arch9wavefront6targetE1EEEvT1_.uses_flat_scratch, 0
	.set _ZN7rocprim17ROCPRIM_400000_NS6detail17trampoline_kernelINS0_14default_configENS1_25partition_config_selectorILNS1_17partition_subalgoE8EjNS0_10empty_typeEbEEZZNS1_14partition_implILS5_8ELb0ES3_jN6thrust23THRUST_200600_302600_NS6detail15normal_iteratorINSA_10device_ptrIjEEEEPS6_PKS6_NS0_5tupleIJSF_S6_EEENSJ_IJSG_SG_EEENS0_18inequality_wrapperI22is_equal_div_10_uniqueIjEEEPmJS6_EEE10hipError_tPvRmT3_T4_T5_T6_T7_T9_mT8_P12ihipStream_tbDpT10_ENKUlT_T0_E_clISt17integral_constantIbLb1EES19_IbLb0EEEEDaS15_S16_EUlS15_E_NS1_11comp_targetILNS1_3genE5ELNS1_11target_archE942ELNS1_3gpuE9ELNS1_3repE0EEENS1_30default_config_static_selectorELNS0_4arch9wavefront6targetE1EEEvT1_.has_dyn_sized_stack, 0
	.set _ZN7rocprim17ROCPRIM_400000_NS6detail17trampoline_kernelINS0_14default_configENS1_25partition_config_selectorILNS1_17partition_subalgoE8EjNS0_10empty_typeEbEEZZNS1_14partition_implILS5_8ELb0ES3_jN6thrust23THRUST_200600_302600_NS6detail15normal_iteratorINSA_10device_ptrIjEEEEPS6_PKS6_NS0_5tupleIJSF_S6_EEENSJ_IJSG_SG_EEENS0_18inequality_wrapperI22is_equal_div_10_uniqueIjEEEPmJS6_EEE10hipError_tPvRmT3_T4_T5_T6_T7_T9_mT8_P12ihipStream_tbDpT10_ENKUlT_T0_E_clISt17integral_constantIbLb1EES19_IbLb0EEEEDaS15_S16_EUlS15_E_NS1_11comp_targetILNS1_3genE5ELNS1_11target_archE942ELNS1_3gpuE9ELNS1_3repE0EEENS1_30default_config_static_selectorELNS0_4arch9wavefront6targetE1EEEvT1_.has_recursion, 0
	.set _ZN7rocprim17ROCPRIM_400000_NS6detail17trampoline_kernelINS0_14default_configENS1_25partition_config_selectorILNS1_17partition_subalgoE8EjNS0_10empty_typeEbEEZZNS1_14partition_implILS5_8ELb0ES3_jN6thrust23THRUST_200600_302600_NS6detail15normal_iteratorINSA_10device_ptrIjEEEEPS6_PKS6_NS0_5tupleIJSF_S6_EEENSJ_IJSG_SG_EEENS0_18inequality_wrapperI22is_equal_div_10_uniqueIjEEEPmJS6_EEE10hipError_tPvRmT3_T4_T5_T6_T7_T9_mT8_P12ihipStream_tbDpT10_ENKUlT_T0_E_clISt17integral_constantIbLb1EES19_IbLb0EEEEDaS15_S16_EUlS15_E_NS1_11comp_targetILNS1_3genE5ELNS1_11target_archE942ELNS1_3gpuE9ELNS1_3repE0EEENS1_30default_config_static_selectorELNS0_4arch9wavefront6targetE1EEEvT1_.has_indirect_call, 0
	.section	.AMDGPU.csdata,"",@progbits
; Kernel info:
; codeLenInByte = 0
; TotalNumSgprs: 4
; NumVgprs: 0
; ScratchSize: 0
; MemoryBound: 0
; FloatMode: 240
; IeeeMode: 1
; LDSByteSize: 0 bytes/workgroup (compile time only)
; SGPRBlocks: 0
; VGPRBlocks: 0
; NumSGPRsForWavesPerEU: 4
; NumVGPRsForWavesPerEU: 1
; Occupancy: 10
; WaveLimiterHint : 0
; COMPUTE_PGM_RSRC2:SCRATCH_EN: 0
; COMPUTE_PGM_RSRC2:USER_SGPR: 6
; COMPUTE_PGM_RSRC2:TRAP_HANDLER: 0
; COMPUTE_PGM_RSRC2:TGID_X_EN: 1
; COMPUTE_PGM_RSRC2:TGID_Y_EN: 0
; COMPUTE_PGM_RSRC2:TGID_Z_EN: 0
; COMPUTE_PGM_RSRC2:TIDIG_COMP_CNT: 0
	.section	.text._ZN7rocprim17ROCPRIM_400000_NS6detail17trampoline_kernelINS0_14default_configENS1_25partition_config_selectorILNS1_17partition_subalgoE8EjNS0_10empty_typeEbEEZZNS1_14partition_implILS5_8ELb0ES3_jN6thrust23THRUST_200600_302600_NS6detail15normal_iteratorINSA_10device_ptrIjEEEEPS6_PKS6_NS0_5tupleIJSF_S6_EEENSJ_IJSG_SG_EEENS0_18inequality_wrapperI22is_equal_div_10_uniqueIjEEEPmJS6_EEE10hipError_tPvRmT3_T4_T5_T6_T7_T9_mT8_P12ihipStream_tbDpT10_ENKUlT_T0_E_clISt17integral_constantIbLb1EES19_IbLb0EEEEDaS15_S16_EUlS15_E_NS1_11comp_targetILNS1_3genE4ELNS1_11target_archE910ELNS1_3gpuE8ELNS1_3repE0EEENS1_30default_config_static_selectorELNS0_4arch9wavefront6targetE1EEEvT1_,"axG",@progbits,_ZN7rocprim17ROCPRIM_400000_NS6detail17trampoline_kernelINS0_14default_configENS1_25partition_config_selectorILNS1_17partition_subalgoE8EjNS0_10empty_typeEbEEZZNS1_14partition_implILS5_8ELb0ES3_jN6thrust23THRUST_200600_302600_NS6detail15normal_iteratorINSA_10device_ptrIjEEEEPS6_PKS6_NS0_5tupleIJSF_S6_EEENSJ_IJSG_SG_EEENS0_18inequality_wrapperI22is_equal_div_10_uniqueIjEEEPmJS6_EEE10hipError_tPvRmT3_T4_T5_T6_T7_T9_mT8_P12ihipStream_tbDpT10_ENKUlT_T0_E_clISt17integral_constantIbLb1EES19_IbLb0EEEEDaS15_S16_EUlS15_E_NS1_11comp_targetILNS1_3genE4ELNS1_11target_archE910ELNS1_3gpuE8ELNS1_3repE0EEENS1_30default_config_static_selectorELNS0_4arch9wavefront6targetE1EEEvT1_,comdat
	.protected	_ZN7rocprim17ROCPRIM_400000_NS6detail17trampoline_kernelINS0_14default_configENS1_25partition_config_selectorILNS1_17partition_subalgoE8EjNS0_10empty_typeEbEEZZNS1_14partition_implILS5_8ELb0ES3_jN6thrust23THRUST_200600_302600_NS6detail15normal_iteratorINSA_10device_ptrIjEEEEPS6_PKS6_NS0_5tupleIJSF_S6_EEENSJ_IJSG_SG_EEENS0_18inequality_wrapperI22is_equal_div_10_uniqueIjEEEPmJS6_EEE10hipError_tPvRmT3_T4_T5_T6_T7_T9_mT8_P12ihipStream_tbDpT10_ENKUlT_T0_E_clISt17integral_constantIbLb1EES19_IbLb0EEEEDaS15_S16_EUlS15_E_NS1_11comp_targetILNS1_3genE4ELNS1_11target_archE910ELNS1_3gpuE8ELNS1_3repE0EEENS1_30default_config_static_selectorELNS0_4arch9wavefront6targetE1EEEvT1_ ; -- Begin function _ZN7rocprim17ROCPRIM_400000_NS6detail17trampoline_kernelINS0_14default_configENS1_25partition_config_selectorILNS1_17partition_subalgoE8EjNS0_10empty_typeEbEEZZNS1_14partition_implILS5_8ELb0ES3_jN6thrust23THRUST_200600_302600_NS6detail15normal_iteratorINSA_10device_ptrIjEEEEPS6_PKS6_NS0_5tupleIJSF_S6_EEENSJ_IJSG_SG_EEENS0_18inequality_wrapperI22is_equal_div_10_uniqueIjEEEPmJS6_EEE10hipError_tPvRmT3_T4_T5_T6_T7_T9_mT8_P12ihipStream_tbDpT10_ENKUlT_T0_E_clISt17integral_constantIbLb1EES19_IbLb0EEEEDaS15_S16_EUlS15_E_NS1_11comp_targetILNS1_3genE4ELNS1_11target_archE910ELNS1_3gpuE8ELNS1_3repE0EEENS1_30default_config_static_selectorELNS0_4arch9wavefront6targetE1EEEvT1_
	.globl	_ZN7rocprim17ROCPRIM_400000_NS6detail17trampoline_kernelINS0_14default_configENS1_25partition_config_selectorILNS1_17partition_subalgoE8EjNS0_10empty_typeEbEEZZNS1_14partition_implILS5_8ELb0ES3_jN6thrust23THRUST_200600_302600_NS6detail15normal_iteratorINSA_10device_ptrIjEEEEPS6_PKS6_NS0_5tupleIJSF_S6_EEENSJ_IJSG_SG_EEENS0_18inequality_wrapperI22is_equal_div_10_uniqueIjEEEPmJS6_EEE10hipError_tPvRmT3_T4_T5_T6_T7_T9_mT8_P12ihipStream_tbDpT10_ENKUlT_T0_E_clISt17integral_constantIbLb1EES19_IbLb0EEEEDaS15_S16_EUlS15_E_NS1_11comp_targetILNS1_3genE4ELNS1_11target_archE910ELNS1_3gpuE8ELNS1_3repE0EEENS1_30default_config_static_selectorELNS0_4arch9wavefront6targetE1EEEvT1_
	.p2align	8
	.type	_ZN7rocprim17ROCPRIM_400000_NS6detail17trampoline_kernelINS0_14default_configENS1_25partition_config_selectorILNS1_17partition_subalgoE8EjNS0_10empty_typeEbEEZZNS1_14partition_implILS5_8ELb0ES3_jN6thrust23THRUST_200600_302600_NS6detail15normal_iteratorINSA_10device_ptrIjEEEEPS6_PKS6_NS0_5tupleIJSF_S6_EEENSJ_IJSG_SG_EEENS0_18inequality_wrapperI22is_equal_div_10_uniqueIjEEEPmJS6_EEE10hipError_tPvRmT3_T4_T5_T6_T7_T9_mT8_P12ihipStream_tbDpT10_ENKUlT_T0_E_clISt17integral_constantIbLb1EES19_IbLb0EEEEDaS15_S16_EUlS15_E_NS1_11comp_targetILNS1_3genE4ELNS1_11target_archE910ELNS1_3gpuE8ELNS1_3repE0EEENS1_30default_config_static_selectorELNS0_4arch9wavefront6targetE1EEEvT1_,@function
_ZN7rocprim17ROCPRIM_400000_NS6detail17trampoline_kernelINS0_14default_configENS1_25partition_config_selectorILNS1_17partition_subalgoE8EjNS0_10empty_typeEbEEZZNS1_14partition_implILS5_8ELb0ES3_jN6thrust23THRUST_200600_302600_NS6detail15normal_iteratorINSA_10device_ptrIjEEEEPS6_PKS6_NS0_5tupleIJSF_S6_EEENSJ_IJSG_SG_EEENS0_18inequality_wrapperI22is_equal_div_10_uniqueIjEEEPmJS6_EEE10hipError_tPvRmT3_T4_T5_T6_T7_T9_mT8_P12ihipStream_tbDpT10_ENKUlT_T0_E_clISt17integral_constantIbLb1EES19_IbLb0EEEEDaS15_S16_EUlS15_E_NS1_11comp_targetILNS1_3genE4ELNS1_11target_archE910ELNS1_3gpuE8ELNS1_3repE0EEENS1_30default_config_static_selectorELNS0_4arch9wavefront6targetE1EEEvT1_: ; @_ZN7rocprim17ROCPRIM_400000_NS6detail17trampoline_kernelINS0_14default_configENS1_25partition_config_selectorILNS1_17partition_subalgoE8EjNS0_10empty_typeEbEEZZNS1_14partition_implILS5_8ELb0ES3_jN6thrust23THRUST_200600_302600_NS6detail15normal_iteratorINSA_10device_ptrIjEEEEPS6_PKS6_NS0_5tupleIJSF_S6_EEENSJ_IJSG_SG_EEENS0_18inequality_wrapperI22is_equal_div_10_uniqueIjEEEPmJS6_EEE10hipError_tPvRmT3_T4_T5_T6_T7_T9_mT8_P12ihipStream_tbDpT10_ENKUlT_T0_E_clISt17integral_constantIbLb1EES19_IbLb0EEEEDaS15_S16_EUlS15_E_NS1_11comp_targetILNS1_3genE4ELNS1_11target_archE910ELNS1_3gpuE8ELNS1_3repE0EEENS1_30default_config_static_selectorELNS0_4arch9wavefront6targetE1EEEvT1_
; %bb.0:
	.section	.rodata,"a",@progbits
	.p2align	6, 0x0
	.amdhsa_kernel _ZN7rocprim17ROCPRIM_400000_NS6detail17trampoline_kernelINS0_14default_configENS1_25partition_config_selectorILNS1_17partition_subalgoE8EjNS0_10empty_typeEbEEZZNS1_14partition_implILS5_8ELb0ES3_jN6thrust23THRUST_200600_302600_NS6detail15normal_iteratorINSA_10device_ptrIjEEEEPS6_PKS6_NS0_5tupleIJSF_S6_EEENSJ_IJSG_SG_EEENS0_18inequality_wrapperI22is_equal_div_10_uniqueIjEEEPmJS6_EEE10hipError_tPvRmT3_T4_T5_T6_T7_T9_mT8_P12ihipStream_tbDpT10_ENKUlT_T0_E_clISt17integral_constantIbLb1EES19_IbLb0EEEEDaS15_S16_EUlS15_E_NS1_11comp_targetILNS1_3genE4ELNS1_11target_archE910ELNS1_3gpuE8ELNS1_3repE0EEENS1_30default_config_static_selectorELNS0_4arch9wavefront6targetE1EEEvT1_
		.amdhsa_group_segment_fixed_size 0
		.amdhsa_private_segment_fixed_size 0
		.amdhsa_kernarg_size 112
		.amdhsa_user_sgpr_count 6
		.amdhsa_user_sgpr_private_segment_buffer 1
		.amdhsa_user_sgpr_dispatch_ptr 0
		.amdhsa_user_sgpr_queue_ptr 0
		.amdhsa_user_sgpr_kernarg_segment_ptr 1
		.amdhsa_user_sgpr_dispatch_id 0
		.amdhsa_user_sgpr_flat_scratch_init 0
		.amdhsa_user_sgpr_private_segment_size 0
		.amdhsa_uses_dynamic_stack 0
		.amdhsa_system_sgpr_private_segment_wavefront_offset 0
		.amdhsa_system_sgpr_workgroup_id_x 1
		.amdhsa_system_sgpr_workgroup_id_y 0
		.amdhsa_system_sgpr_workgroup_id_z 0
		.amdhsa_system_sgpr_workgroup_info 0
		.amdhsa_system_vgpr_workitem_id 0
		.amdhsa_next_free_vgpr 1
		.amdhsa_next_free_sgpr 0
		.amdhsa_reserve_vcc 0
		.amdhsa_reserve_flat_scratch 0
		.amdhsa_float_round_mode_32 0
		.amdhsa_float_round_mode_16_64 0
		.amdhsa_float_denorm_mode_32 3
		.amdhsa_float_denorm_mode_16_64 3
		.amdhsa_dx10_clamp 1
		.amdhsa_ieee_mode 1
		.amdhsa_fp16_overflow 0
		.amdhsa_exception_fp_ieee_invalid_op 0
		.amdhsa_exception_fp_denorm_src 0
		.amdhsa_exception_fp_ieee_div_zero 0
		.amdhsa_exception_fp_ieee_overflow 0
		.amdhsa_exception_fp_ieee_underflow 0
		.amdhsa_exception_fp_ieee_inexact 0
		.amdhsa_exception_int_div_zero 0
	.end_amdhsa_kernel
	.section	.text._ZN7rocprim17ROCPRIM_400000_NS6detail17trampoline_kernelINS0_14default_configENS1_25partition_config_selectorILNS1_17partition_subalgoE8EjNS0_10empty_typeEbEEZZNS1_14partition_implILS5_8ELb0ES3_jN6thrust23THRUST_200600_302600_NS6detail15normal_iteratorINSA_10device_ptrIjEEEEPS6_PKS6_NS0_5tupleIJSF_S6_EEENSJ_IJSG_SG_EEENS0_18inequality_wrapperI22is_equal_div_10_uniqueIjEEEPmJS6_EEE10hipError_tPvRmT3_T4_T5_T6_T7_T9_mT8_P12ihipStream_tbDpT10_ENKUlT_T0_E_clISt17integral_constantIbLb1EES19_IbLb0EEEEDaS15_S16_EUlS15_E_NS1_11comp_targetILNS1_3genE4ELNS1_11target_archE910ELNS1_3gpuE8ELNS1_3repE0EEENS1_30default_config_static_selectorELNS0_4arch9wavefront6targetE1EEEvT1_,"axG",@progbits,_ZN7rocprim17ROCPRIM_400000_NS6detail17trampoline_kernelINS0_14default_configENS1_25partition_config_selectorILNS1_17partition_subalgoE8EjNS0_10empty_typeEbEEZZNS1_14partition_implILS5_8ELb0ES3_jN6thrust23THRUST_200600_302600_NS6detail15normal_iteratorINSA_10device_ptrIjEEEEPS6_PKS6_NS0_5tupleIJSF_S6_EEENSJ_IJSG_SG_EEENS0_18inequality_wrapperI22is_equal_div_10_uniqueIjEEEPmJS6_EEE10hipError_tPvRmT3_T4_T5_T6_T7_T9_mT8_P12ihipStream_tbDpT10_ENKUlT_T0_E_clISt17integral_constantIbLb1EES19_IbLb0EEEEDaS15_S16_EUlS15_E_NS1_11comp_targetILNS1_3genE4ELNS1_11target_archE910ELNS1_3gpuE8ELNS1_3repE0EEENS1_30default_config_static_selectorELNS0_4arch9wavefront6targetE1EEEvT1_,comdat
.Lfunc_end260:
	.size	_ZN7rocprim17ROCPRIM_400000_NS6detail17trampoline_kernelINS0_14default_configENS1_25partition_config_selectorILNS1_17partition_subalgoE8EjNS0_10empty_typeEbEEZZNS1_14partition_implILS5_8ELb0ES3_jN6thrust23THRUST_200600_302600_NS6detail15normal_iteratorINSA_10device_ptrIjEEEEPS6_PKS6_NS0_5tupleIJSF_S6_EEENSJ_IJSG_SG_EEENS0_18inequality_wrapperI22is_equal_div_10_uniqueIjEEEPmJS6_EEE10hipError_tPvRmT3_T4_T5_T6_T7_T9_mT8_P12ihipStream_tbDpT10_ENKUlT_T0_E_clISt17integral_constantIbLb1EES19_IbLb0EEEEDaS15_S16_EUlS15_E_NS1_11comp_targetILNS1_3genE4ELNS1_11target_archE910ELNS1_3gpuE8ELNS1_3repE0EEENS1_30default_config_static_selectorELNS0_4arch9wavefront6targetE1EEEvT1_, .Lfunc_end260-_ZN7rocprim17ROCPRIM_400000_NS6detail17trampoline_kernelINS0_14default_configENS1_25partition_config_selectorILNS1_17partition_subalgoE8EjNS0_10empty_typeEbEEZZNS1_14partition_implILS5_8ELb0ES3_jN6thrust23THRUST_200600_302600_NS6detail15normal_iteratorINSA_10device_ptrIjEEEEPS6_PKS6_NS0_5tupleIJSF_S6_EEENSJ_IJSG_SG_EEENS0_18inequality_wrapperI22is_equal_div_10_uniqueIjEEEPmJS6_EEE10hipError_tPvRmT3_T4_T5_T6_T7_T9_mT8_P12ihipStream_tbDpT10_ENKUlT_T0_E_clISt17integral_constantIbLb1EES19_IbLb0EEEEDaS15_S16_EUlS15_E_NS1_11comp_targetILNS1_3genE4ELNS1_11target_archE910ELNS1_3gpuE8ELNS1_3repE0EEENS1_30default_config_static_selectorELNS0_4arch9wavefront6targetE1EEEvT1_
                                        ; -- End function
	.set _ZN7rocprim17ROCPRIM_400000_NS6detail17trampoline_kernelINS0_14default_configENS1_25partition_config_selectorILNS1_17partition_subalgoE8EjNS0_10empty_typeEbEEZZNS1_14partition_implILS5_8ELb0ES3_jN6thrust23THRUST_200600_302600_NS6detail15normal_iteratorINSA_10device_ptrIjEEEEPS6_PKS6_NS0_5tupleIJSF_S6_EEENSJ_IJSG_SG_EEENS0_18inequality_wrapperI22is_equal_div_10_uniqueIjEEEPmJS6_EEE10hipError_tPvRmT3_T4_T5_T6_T7_T9_mT8_P12ihipStream_tbDpT10_ENKUlT_T0_E_clISt17integral_constantIbLb1EES19_IbLb0EEEEDaS15_S16_EUlS15_E_NS1_11comp_targetILNS1_3genE4ELNS1_11target_archE910ELNS1_3gpuE8ELNS1_3repE0EEENS1_30default_config_static_selectorELNS0_4arch9wavefront6targetE1EEEvT1_.num_vgpr, 0
	.set _ZN7rocprim17ROCPRIM_400000_NS6detail17trampoline_kernelINS0_14default_configENS1_25partition_config_selectorILNS1_17partition_subalgoE8EjNS0_10empty_typeEbEEZZNS1_14partition_implILS5_8ELb0ES3_jN6thrust23THRUST_200600_302600_NS6detail15normal_iteratorINSA_10device_ptrIjEEEEPS6_PKS6_NS0_5tupleIJSF_S6_EEENSJ_IJSG_SG_EEENS0_18inequality_wrapperI22is_equal_div_10_uniqueIjEEEPmJS6_EEE10hipError_tPvRmT3_T4_T5_T6_T7_T9_mT8_P12ihipStream_tbDpT10_ENKUlT_T0_E_clISt17integral_constantIbLb1EES19_IbLb0EEEEDaS15_S16_EUlS15_E_NS1_11comp_targetILNS1_3genE4ELNS1_11target_archE910ELNS1_3gpuE8ELNS1_3repE0EEENS1_30default_config_static_selectorELNS0_4arch9wavefront6targetE1EEEvT1_.num_agpr, 0
	.set _ZN7rocprim17ROCPRIM_400000_NS6detail17trampoline_kernelINS0_14default_configENS1_25partition_config_selectorILNS1_17partition_subalgoE8EjNS0_10empty_typeEbEEZZNS1_14partition_implILS5_8ELb0ES3_jN6thrust23THRUST_200600_302600_NS6detail15normal_iteratorINSA_10device_ptrIjEEEEPS6_PKS6_NS0_5tupleIJSF_S6_EEENSJ_IJSG_SG_EEENS0_18inequality_wrapperI22is_equal_div_10_uniqueIjEEEPmJS6_EEE10hipError_tPvRmT3_T4_T5_T6_T7_T9_mT8_P12ihipStream_tbDpT10_ENKUlT_T0_E_clISt17integral_constantIbLb1EES19_IbLb0EEEEDaS15_S16_EUlS15_E_NS1_11comp_targetILNS1_3genE4ELNS1_11target_archE910ELNS1_3gpuE8ELNS1_3repE0EEENS1_30default_config_static_selectorELNS0_4arch9wavefront6targetE1EEEvT1_.numbered_sgpr, 0
	.set _ZN7rocprim17ROCPRIM_400000_NS6detail17trampoline_kernelINS0_14default_configENS1_25partition_config_selectorILNS1_17partition_subalgoE8EjNS0_10empty_typeEbEEZZNS1_14partition_implILS5_8ELb0ES3_jN6thrust23THRUST_200600_302600_NS6detail15normal_iteratorINSA_10device_ptrIjEEEEPS6_PKS6_NS0_5tupleIJSF_S6_EEENSJ_IJSG_SG_EEENS0_18inequality_wrapperI22is_equal_div_10_uniqueIjEEEPmJS6_EEE10hipError_tPvRmT3_T4_T5_T6_T7_T9_mT8_P12ihipStream_tbDpT10_ENKUlT_T0_E_clISt17integral_constantIbLb1EES19_IbLb0EEEEDaS15_S16_EUlS15_E_NS1_11comp_targetILNS1_3genE4ELNS1_11target_archE910ELNS1_3gpuE8ELNS1_3repE0EEENS1_30default_config_static_selectorELNS0_4arch9wavefront6targetE1EEEvT1_.num_named_barrier, 0
	.set _ZN7rocprim17ROCPRIM_400000_NS6detail17trampoline_kernelINS0_14default_configENS1_25partition_config_selectorILNS1_17partition_subalgoE8EjNS0_10empty_typeEbEEZZNS1_14partition_implILS5_8ELb0ES3_jN6thrust23THRUST_200600_302600_NS6detail15normal_iteratorINSA_10device_ptrIjEEEEPS6_PKS6_NS0_5tupleIJSF_S6_EEENSJ_IJSG_SG_EEENS0_18inequality_wrapperI22is_equal_div_10_uniqueIjEEEPmJS6_EEE10hipError_tPvRmT3_T4_T5_T6_T7_T9_mT8_P12ihipStream_tbDpT10_ENKUlT_T0_E_clISt17integral_constantIbLb1EES19_IbLb0EEEEDaS15_S16_EUlS15_E_NS1_11comp_targetILNS1_3genE4ELNS1_11target_archE910ELNS1_3gpuE8ELNS1_3repE0EEENS1_30default_config_static_selectorELNS0_4arch9wavefront6targetE1EEEvT1_.private_seg_size, 0
	.set _ZN7rocprim17ROCPRIM_400000_NS6detail17trampoline_kernelINS0_14default_configENS1_25partition_config_selectorILNS1_17partition_subalgoE8EjNS0_10empty_typeEbEEZZNS1_14partition_implILS5_8ELb0ES3_jN6thrust23THRUST_200600_302600_NS6detail15normal_iteratorINSA_10device_ptrIjEEEEPS6_PKS6_NS0_5tupleIJSF_S6_EEENSJ_IJSG_SG_EEENS0_18inequality_wrapperI22is_equal_div_10_uniqueIjEEEPmJS6_EEE10hipError_tPvRmT3_T4_T5_T6_T7_T9_mT8_P12ihipStream_tbDpT10_ENKUlT_T0_E_clISt17integral_constantIbLb1EES19_IbLb0EEEEDaS15_S16_EUlS15_E_NS1_11comp_targetILNS1_3genE4ELNS1_11target_archE910ELNS1_3gpuE8ELNS1_3repE0EEENS1_30default_config_static_selectorELNS0_4arch9wavefront6targetE1EEEvT1_.uses_vcc, 0
	.set _ZN7rocprim17ROCPRIM_400000_NS6detail17trampoline_kernelINS0_14default_configENS1_25partition_config_selectorILNS1_17partition_subalgoE8EjNS0_10empty_typeEbEEZZNS1_14partition_implILS5_8ELb0ES3_jN6thrust23THRUST_200600_302600_NS6detail15normal_iteratorINSA_10device_ptrIjEEEEPS6_PKS6_NS0_5tupleIJSF_S6_EEENSJ_IJSG_SG_EEENS0_18inequality_wrapperI22is_equal_div_10_uniqueIjEEEPmJS6_EEE10hipError_tPvRmT3_T4_T5_T6_T7_T9_mT8_P12ihipStream_tbDpT10_ENKUlT_T0_E_clISt17integral_constantIbLb1EES19_IbLb0EEEEDaS15_S16_EUlS15_E_NS1_11comp_targetILNS1_3genE4ELNS1_11target_archE910ELNS1_3gpuE8ELNS1_3repE0EEENS1_30default_config_static_selectorELNS0_4arch9wavefront6targetE1EEEvT1_.uses_flat_scratch, 0
	.set _ZN7rocprim17ROCPRIM_400000_NS6detail17trampoline_kernelINS0_14default_configENS1_25partition_config_selectorILNS1_17partition_subalgoE8EjNS0_10empty_typeEbEEZZNS1_14partition_implILS5_8ELb0ES3_jN6thrust23THRUST_200600_302600_NS6detail15normal_iteratorINSA_10device_ptrIjEEEEPS6_PKS6_NS0_5tupleIJSF_S6_EEENSJ_IJSG_SG_EEENS0_18inequality_wrapperI22is_equal_div_10_uniqueIjEEEPmJS6_EEE10hipError_tPvRmT3_T4_T5_T6_T7_T9_mT8_P12ihipStream_tbDpT10_ENKUlT_T0_E_clISt17integral_constantIbLb1EES19_IbLb0EEEEDaS15_S16_EUlS15_E_NS1_11comp_targetILNS1_3genE4ELNS1_11target_archE910ELNS1_3gpuE8ELNS1_3repE0EEENS1_30default_config_static_selectorELNS0_4arch9wavefront6targetE1EEEvT1_.has_dyn_sized_stack, 0
	.set _ZN7rocprim17ROCPRIM_400000_NS6detail17trampoline_kernelINS0_14default_configENS1_25partition_config_selectorILNS1_17partition_subalgoE8EjNS0_10empty_typeEbEEZZNS1_14partition_implILS5_8ELb0ES3_jN6thrust23THRUST_200600_302600_NS6detail15normal_iteratorINSA_10device_ptrIjEEEEPS6_PKS6_NS0_5tupleIJSF_S6_EEENSJ_IJSG_SG_EEENS0_18inequality_wrapperI22is_equal_div_10_uniqueIjEEEPmJS6_EEE10hipError_tPvRmT3_T4_T5_T6_T7_T9_mT8_P12ihipStream_tbDpT10_ENKUlT_T0_E_clISt17integral_constantIbLb1EES19_IbLb0EEEEDaS15_S16_EUlS15_E_NS1_11comp_targetILNS1_3genE4ELNS1_11target_archE910ELNS1_3gpuE8ELNS1_3repE0EEENS1_30default_config_static_selectorELNS0_4arch9wavefront6targetE1EEEvT1_.has_recursion, 0
	.set _ZN7rocprim17ROCPRIM_400000_NS6detail17trampoline_kernelINS0_14default_configENS1_25partition_config_selectorILNS1_17partition_subalgoE8EjNS0_10empty_typeEbEEZZNS1_14partition_implILS5_8ELb0ES3_jN6thrust23THRUST_200600_302600_NS6detail15normal_iteratorINSA_10device_ptrIjEEEEPS6_PKS6_NS0_5tupleIJSF_S6_EEENSJ_IJSG_SG_EEENS0_18inequality_wrapperI22is_equal_div_10_uniqueIjEEEPmJS6_EEE10hipError_tPvRmT3_T4_T5_T6_T7_T9_mT8_P12ihipStream_tbDpT10_ENKUlT_T0_E_clISt17integral_constantIbLb1EES19_IbLb0EEEEDaS15_S16_EUlS15_E_NS1_11comp_targetILNS1_3genE4ELNS1_11target_archE910ELNS1_3gpuE8ELNS1_3repE0EEENS1_30default_config_static_selectorELNS0_4arch9wavefront6targetE1EEEvT1_.has_indirect_call, 0
	.section	.AMDGPU.csdata,"",@progbits
; Kernel info:
; codeLenInByte = 0
; TotalNumSgprs: 4
; NumVgprs: 0
; ScratchSize: 0
; MemoryBound: 0
; FloatMode: 240
; IeeeMode: 1
; LDSByteSize: 0 bytes/workgroup (compile time only)
; SGPRBlocks: 0
; VGPRBlocks: 0
; NumSGPRsForWavesPerEU: 4
; NumVGPRsForWavesPerEU: 1
; Occupancy: 10
; WaveLimiterHint : 0
; COMPUTE_PGM_RSRC2:SCRATCH_EN: 0
; COMPUTE_PGM_RSRC2:USER_SGPR: 6
; COMPUTE_PGM_RSRC2:TRAP_HANDLER: 0
; COMPUTE_PGM_RSRC2:TGID_X_EN: 1
; COMPUTE_PGM_RSRC2:TGID_Y_EN: 0
; COMPUTE_PGM_RSRC2:TGID_Z_EN: 0
; COMPUTE_PGM_RSRC2:TIDIG_COMP_CNT: 0
	.section	.text._ZN7rocprim17ROCPRIM_400000_NS6detail17trampoline_kernelINS0_14default_configENS1_25partition_config_selectorILNS1_17partition_subalgoE8EjNS0_10empty_typeEbEEZZNS1_14partition_implILS5_8ELb0ES3_jN6thrust23THRUST_200600_302600_NS6detail15normal_iteratorINSA_10device_ptrIjEEEEPS6_PKS6_NS0_5tupleIJSF_S6_EEENSJ_IJSG_SG_EEENS0_18inequality_wrapperI22is_equal_div_10_uniqueIjEEEPmJS6_EEE10hipError_tPvRmT3_T4_T5_T6_T7_T9_mT8_P12ihipStream_tbDpT10_ENKUlT_T0_E_clISt17integral_constantIbLb1EES19_IbLb0EEEEDaS15_S16_EUlS15_E_NS1_11comp_targetILNS1_3genE3ELNS1_11target_archE908ELNS1_3gpuE7ELNS1_3repE0EEENS1_30default_config_static_selectorELNS0_4arch9wavefront6targetE1EEEvT1_,"axG",@progbits,_ZN7rocprim17ROCPRIM_400000_NS6detail17trampoline_kernelINS0_14default_configENS1_25partition_config_selectorILNS1_17partition_subalgoE8EjNS0_10empty_typeEbEEZZNS1_14partition_implILS5_8ELb0ES3_jN6thrust23THRUST_200600_302600_NS6detail15normal_iteratorINSA_10device_ptrIjEEEEPS6_PKS6_NS0_5tupleIJSF_S6_EEENSJ_IJSG_SG_EEENS0_18inequality_wrapperI22is_equal_div_10_uniqueIjEEEPmJS6_EEE10hipError_tPvRmT3_T4_T5_T6_T7_T9_mT8_P12ihipStream_tbDpT10_ENKUlT_T0_E_clISt17integral_constantIbLb1EES19_IbLb0EEEEDaS15_S16_EUlS15_E_NS1_11comp_targetILNS1_3genE3ELNS1_11target_archE908ELNS1_3gpuE7ELNS1_3repE0EEENS1_30default_config_static_selectorELNS0_4arch9wavefront6targetE1EEEvT1_,comdat
	.protected	_ZN7rocprim17ROCPRIM_400000_NS6detail17trampoline_kernelINS0_14default_configENS1_25partition_config_selectorILNS1_17partition_subalgoE8EjNS0_10empty_typeEbEEZZNS1_14partition_implILS5_8ELb0ES3_jN6thrust23THRUST_200600_302600_NS6detail15normal_iteratorINSA_10device_ptrIjEEEEPS6_PKS6_NS0_5tupleIJSF_S6_EEENSJ_IJSG_SG_EEENS0_18inequality_wrapperI22is_equal_div_10_uniqueIjEEEPmJS6_EEE10hipError_tPvRmT3_T4_T5_T6_T7_T9_mT8_P12ihipStream_tbDpT10_ENKUlT_T0_E_clISt17integral_constantIbLb1EES19_IbLb0EEEEDaS15_S16_EUlS15_E_NS1_11comp_targetILNS1_3genE3ELNS1_11target_archE908ELNS1_3gpuE7ELNS1_3repE0EEENS1_30default_config_static_selectorELNS0_4arch9wavefront6targetE1EEEvT1_ ; -- Begin function _ZN7rocprim17ROCPRIM_400000_NS6detail17trampoline_kernelINS0_14default_configENS1_25partition_config_selectorILNS1_17partition_subalgoE8EjNS0_10empty_typeEbEEZZNS1_14partition_implILS5_8ELb0ES3_jN6thrust23THRUST_200600_302600_NS6detail15normal_iteratorINSA_10device_ptrIjEEEEPS6_PKS6_NS0_5tupleIJSF_S6_EEENSJ_IJSG_SG_EEENS0_18inequality_wrapperI22is_equal_div_10_uniqueIjEEEPmJS6_EEE10hipError_tPvRmT3_T4_T5_T6_T7_T9_mT8_P12ihipStream_tbDpT10_ENKUlT_T0_E_clISt17integral_constantIbLb1EES19_IbLb0EEEEDaS15_S16_EUlS15_E_NS1_11comp_targetILNS1_3genE3ELNS1_11target_archE908ELNS1_3gpuE7ELNS1_3repE0EEENS1_30default_config_static_selectorELNS0_4arch9wavefront6targetE1EEEvT1_
	.globl	_ZN7rocprim17ROCPRIM_400000_NS6detail17trampoline_kernelINS0_14default_configENS1_25partition_config_selectorILNS1_17partition_subalgoE8EjNS0_10empty_typeEbEEZZNS1_14partition_implILS5_8ELb0ES3_jN6thrust23THRUST_200600_302600_NS6detail15normal_iteratorINSA_10device_ptrIjEEEEPS6_PKS6_NS0_5tupleIJSF_S6_EEENSJ_IJSG_SG_EEENS0_18inequality_wrapperI22is_equal_div_10_uniqueIjEEEPmJS6_EEE10hipError_tPvRmT3_T4_T5_T6_T7_T9_mT8_P12ihipStream_tbDpT10_ENKUlT_T0_E_clISt17integral_constantIbLb1EES19_IbLb0EEEEDaS15_S16_EUlS15_E_NS1_11comp_targetILNS1_3genE3ELNS1_11target_archE908ELNS1_3gpuE7ELNS1_3repE0EEENS1_30default_config_static_selectorELNS0_4arch9wavefront6targetE1EEEvT1_
	.p2align	8
	.type	_ZN7rocprim17ROCPRIM_400000_NS6detail17trampoline_kernelINS0_14default_configENS1_25partition_config_selectorILNS1_17partition_subalgoE8EjNS0_10empty_typeEbEEZZNS1_14partition_implILS5_8ELb0ES3_jN6thrust23THRUST_200600_302600_NS6detail15normal_iteratorINSA_10device_ptrIjEEEEPS6_PKS6_NS0_5tupleIJSF_S6_EEENSJ_IJSG_SG_EEENS0_18inequality_wrapperI22is_equal_div_10_uniqueIjEEEPmJS6_EEE10hipError_tPvRmT3_T4_T5_T6_T7_T9_mT8_P12ihipStream_tbDpT10_ENKUlT_T0_E_clISt17integral_constantIbLb1EES19_IbLb0EEEEDaS15_S16_EUlS15_E_NS1_11comp_targetILNS1_3genE3ELNS1_11target_archE908ELNS1_3gpuE7ELNS1_3repE0EEENS1_30default_config_static_selectorELNS0_4arch9wavefront6targetE1EEEvT1_,@function
_ZN7rocprim17ROCPRIM_400000_NS6detail17trampoline_kernelINS0_14default_configENS1_25partition_config_selectorILNS1_17partition_subalgoE8EjNS0_10empty_typeEbEEZZNS1_14partition_implILS5_8ELb0ES3_jN6thrust23THRUST_200600_302600_NS6detail15normal_iteratorINSA_10device_ptrIjEEEEPS6_PKS6_NS0_5tupleIJSF_S6_EEENSJ_IJSG_SG_EEENS0_18inequality_wrapperI22is_equal_div_10_uniqueIjEEEPmJS6_EEE10hipError_tPvRmT3_T4_T5_T6_T7_T9_mT8_P12ihipStream_tbDpT10_ENKUlT_T0_E_clISt17integral_constantIbLb1EES19_IbLb0EEEEDaS15_S16_EUlS15_E_NS1_11comp_targetILNS1_3genE3ELNS1_11target_archE908ELNS1_3gpuE7ELNS1_3repE0EEENS1_30default_config_static_selectorELNS0_4arch9wavefront6targetE1EEEvT1_: ; @_ZN7rocprim17ROCPRIM_400000_NS6detail17trampoline_kernelINS0_14default_configENS1_25partition_config_selectorILNS1_17partition_subalgoE8EjNS0_10empty_typeEbEEZZNS1_14partition_implILS5_8ELb0ES3_jN6thrust23THRUST_200600_302600_NS6detail15normal_iteratorINSA_10device_ptrIjEEEEPS6_PKS6_NS0_5tupleIJSF_S6_EEENSJ_IJSG_SG_EEENS0_18inequality_wrapperI22is_equal_div_10_uniqueIjEEEPmJS6_EEE10hipError_tPvRmT3_T4_T5_T6_T7_T9_mT8_P12ihipStream_tbDpT10_ENKUlT_T0_E_clISt17integral_constantIbLb1EES19_IbLb0EEEEDaS15_S16_EUlS15_E_NS1_11comp_targetILNS1_3genE3ELNS1_11target_archE908ELNS1_3gpuE7ELNS1_3repE0EEENS1_30default_config_static_selectorELNS0_4arch9wavefront6targetE1EEEvT1_
; %bb.0:
	.section	.rodata,"a",@progbits
	.p2align	6, 0x0
	.amdhsa_kernel _ZN7rocprim17ROCPRIM_400000_NS6detail17trampoline_kernelINS0_14default_configENS1_25partition_config_selectorILNS1_17partition_subalgoE8EjNS0_10empty_typeEbEEZZNS1_14partition_implILS5_8ELb0ES3_jN6thrust23THRUST_200600_302600_NS6detail15normal_iteratorINSA_10device_ptrIjEEEEPS6_PKS6_NS0_5tupleIJSF_S6_EEENSJ_IJSG_SG_EEENS0_18inequality_wrapperI22is_equal_div_10_uniqueIjEEEPmJS6_EEE10hipError_tPvRmT3_T4_T5_T6_T7_T9_mT8_P12ihipStream_tbDpT10_ENKUlT_T0_E_clISt17integral_constantIbLb1EES19_IbLb0EEEEDaS15_S16_EUlS15_E_NS1_11comp_targetILNS1_3genE3ELNS1_11target_archE908ELNS1_3gpuE7ELNS1_3repE0EEENS1_30default_config_static_selectorELNS0_4arch9wavefront6targetE1EEEvT1_
		.amdhsa_group_segment_fixed_size 0
		.amdhsa_private_segment_fixed_size 0
		.amdhsa_kernarg_size 112
		.amdhsa_user_sgpr_count 6
		.amdhsa_user_sgpr_private_segment_buffer 1
		.amdhsa_user_sgpr_dispatch_ptr 0
		.amdhsa_user_sgpr_queue_ptr 0
		.amdhsa_user_sgpr_kernarg_segment_ptr 1
		.amdhsa_user_sgpr_dispatch_id 0
		.amdhsa_user_sgpr_flat_scratch_init 0
		.amdhsa_user_sgpr_private_segment_size 0
		.amdhsa_uses_dynamic_stack 0
		.amdhsa_system_sgpr_private_segment_wavefront_offset 0
		.amdhsa_system_sgpr_workgroup_id_x 1
		.amdhsa_system_sgpr_workgroup_id_y 0
		.amdhsa_system_sgpr_workgroup_id_z 0
		.amdhsa_system_sgpr_workgroup_info 0
		.amdhsa_system_vgpr_workitem_id 0
		.amdhsa_next_free_vgpr 1
		.amdhsa_next_free_sgpr 0
		.amdhsa_reserve_vcc 0
		.amdhsa_reserve_flat_scratch 0
		.amdhsa_float_round_mode_32 0
		.amdhsa_float_round_mode_16_64 0
		.amdhsa_float_denorm_mode_32 3
		.amdhsa_float_denorm_mode_16_64 3
		.amdhsa_dx10_clamp 1
		.amdhsa_ieee_mode 1
		.amdhsa_fp16_overflow 0
		.amdhsa_exception_fp_ieee_invalid_op 0
		.amdhsa_exception_fp_denorm_src 0
		.amdhsa_exception_fp_ieee_div_zero 0
		.amdhsa_exception_fp_ieee_overflow 0
		.amdhsa_exception_fp_ieee_underflow 0
		.amdhsa_exception_fp_ieee_inexact 0
		.amdhsa_exception_int_div_zero 0
	.end_amdhsa_kernel
	.section	.text._ZN7rocprim17ROCPRIM_400000_NS6detail17trampoline_kernelINS0_14default_configENS1_25partition_config_selectorILNS1_17partition_subalgoE8EjNS0_10empty_typeEbEEZZNS1_14partition_implILS5_8ELb0ES3_jN6thrust23THRUST_200600_302600_NS6detail15normal_iteratorINSA_10device_ptrIjEEEEPS6_PKS6_NS0_5tupleIJSF_S6_EEENSJ_IJSG_SG_EEENS0_18inequality_wrapperI22is_equal_div_10_uniqueIjEEEPmJS6_EEE10hipError_tPvRmT3_T4_T5_T6_T7_T9_mT8_P12ihipStream_tbDpT10_ENKUlT_T0_E_clISt17integral_constantIbLb1EES19_IbLb0EEEEDaS15_S16_EUlS15_E_NS1_11comp_targetILNS1_3genE3ELNS1_11target_archE908ELNS1_3gpuE7ELNS1_3repE0EEENS1_30default_config_static_selectorELNS0_4arch9wavefront6targetE1EEEvT1_,"axG",@progbits,_ZN7rocprim17ROCPRIM_400000_NS6detail17trampoline_kernelINS0_14default_configENS1_25partition_config_selectorILNS1_17partition_subalgoE8EjNS0_10empty_typeEbEEZZNS1_14partition_implILS5_8ELb0ES3_jN6thrust23THRUST_200600_302600_NS6detail15normal_iteratorINSA_10device_ptrIjEEEEPS6_PKS6_NS0_5tupleIJSF_S6_EEENSJ_IJSG_SG_EEENS0_18inequality_wrapperI22is_equal_div_10_uniqueIjEEEPmJS6_EEE10hipError_tPvRmT3_T4_T5_T6_T7_T9_mT8_P12ihipStream_tbDpT10_ENKUlT_T0_E_clISt17integral_constantIbLb1EES19_IbLb0EEEEDaS15_S16_EUlS15_E_NS1_11comp_targetILNS1_3genE3ELNS1_11target_archE908ELNS1_3gpuE7ELNS1_3repE0EEENS1_30default_config_static_selectorELNS0_4arch9wavefront6targetE1EEEvT1_,comdat
.Lfunc_end261:
	.size	_ZN7rocprim17ROCPRIM_400000_NS6detail17trampoline_kernelINS0_14default_configENS1_25partition_config_selectorILNS1_17partition_subalgoE8EjNS0_10empty_typeEbEEZZNS1_14partition_implILS5_8ELb0ES3_jN6thrust23THRUST_200600_302600_NS6detail15normal_iteratorINSA_10device_ptrIjEEEEPS6_PKS6_NS0_5tupleIJSF_S6_EEENSJ_IJSG_SG_EEENS0_18inequality_wrapperI22is_equal_div_10_uniqueIjEEEPmJS6_EEE10hipError_tPvRmT3_T4_T5_T6_T7_T9_mT8_P12ihipStream_tbDpT10_ENKUlT_T0_E_clISt17integral_constantIbLb1EES19_IbLb0EEEEDaS15_S16_EUlS15_E_NS1_11comp_targetILNS1_3genE3ELNS1_11target_archE908ELNS1_3gpuE7ELNS1_3repE0EEENS1_30default_config_static_selectorELNS0_4arch9wavefront6targetE1EEEvT1_, .Lfunc_end261-_ZN7rocprim17ROCPRIM_400000_NS6detail17trampoline_kernelINS0_14default_configENS1_25partition_config_selectorILNS1_17partition_subalgoE8EjNS0_10empty_typeEbEEZZNS1_14partition_implILS5_8ELb0ES3_jN6thrust23THRUST_200600_302600_NS6detail15normal_iteratorINSA_10device_ptrIjEEEEPS6_PKS6_NS0_5tupleIJSF_S6_EEENSJ_IJSG_SG_EEENS0_18inequality_wrapperI22is_equal_div_10_uniqueIjEEEPmJS6_EEE10hipError_tPvRmT3_T4_T5_T6_T7_T9_mT8_P12ihipStream_tbDpT10_ENKUlT_T0_E_clISt17integral_constantIbLb1EES19_IbLb0EEEEDaS15_S16_EUlS15_E_NS1_11comp_targetILNS1_3genE3ELNS1_11target_archE908ELNS1_3gpuE7ELNS1_3repE0EEENS1_30default_config_static_selectorELNS0_4arch9wavefront6targetE1EEEvT1_
                                        ; -- End function
	.set _ZN7rocprim17ROCPRIM_400000_NS6detail17trampoline_kernelINS0_14default_configENS1_25partition_config_selectorILNS1_17partition_subalgoE8EjNS0_10empty_typeEbEEZZNS1_14partition_implILS5_8ELb0ES3_jN6thrust23THRUST_200600_302600_NS6detail15normal_iteratorINSA_10device_ptrIjEEEEPS6_PKS6_NS0_5tupleIJSF_S6_EEENSJ_IJSG_SG_EEENS0_18inequality_wrapperI22is_equal_div_10_uniqueIjEEEPmJS6_EEE10hipError_tPvRmT3_T4_T5_T6_T7_T9_mT8_P12ihipStream_tbDpT10_ENKUlT_T0_E_clISt17integral_constantIbLb1EES19_IbLb0EEEEDaS15_S16_EUlS15_E_NS1_11comp_targetILNS1_3genE3ELNS1_11target_archE908ELNS1_3gpuE7ELNS1_3repE0EEENS1_30default_config_static_selectorELNS0_4arch9wavefront6targetE1EEEvT1_.num_vgpr, 0
	.set _ZN7rocprim17ROCPRIM_400000_NS6detail17trampoline_kernelINS0_14default_configENS1_25partition_config_selectorILNS1_17partition_subalgoE8EjNS0_10empty_typeEbEEZZNS1_14partition_implILS5_8ELb0ES3_jN6thrust23THRUST_200600_302600_NS6detail15normal_iteratorINSA_10device_ptrIjEEEEPS6_PKS6_NS0_5tupleIJSF_S6_EEENSJ_IJSG_SG_EEENS0_18inequality_wrapperI22is_equal_div_10_uniqueIjEEEPmJS6_EEE10hipError_tPvRmT3_T4_T5_T6_T7_T9_mT8_P12ihipStream_tbDpT10_ENKUlT_T0_E_clISt17integral_constantIbLb1EES19_IbLb0EEEEDaS15_S16_EUlS15_E_NS1_11comp_targetILNS1_3genE3ELNS1_11target_archE908ELNS1_3gpuE7ELNS1_3repE0EEENS1_30default_config_static_selectorELNS0_4arch9wavefront6targetE1EEEvT1_.num_agpr, 0
	.set _ZN7rocprim17ROCPRIM_400000_NS6detail17trampoline_kernelINS0_14default_configENS1_25partition_config_selectorILNS1_17partition_subalgoE8EjNS0_10empty_typeEbEEZZNS1_14partition_implILS5_8ELb0ES3_jN6thrust23THRUST_200600_302600_NS6detail15normal_iteratorINSA_10device_ptrIjEEEEPS6_PKS6_NS0_5tupleIJSF_S6_EEENSJ_IJSG_SG_EEENS0_18inequality_wrapperI22is_equal_div_10_uniqueIjEEEPmJS6_EEE10hipError_tPvRmT3_T4_T5_T6_T7_T9_mT8_P12ihipStream_tbDpT10_ENKUlT_T0_E_clISt17integral_constantIbLb1EES19_IbLb0EEEEDaS15_S16_EUlS15_E_NS1_11comp_targetILNS1_3genE3ELNS1_11target_archE908ELNS1_3gpuE7ELNS1_3repE0EEENS1_30default_config_static_selectorELNS0_4arch9wavefront6targetE1EEEvT1_.numbered_sgpr, 0
	.set _ZN7rocprim17ROCPRIM_400000_NS6detail17trampoline_kernelINS0_14default_configENS1_25partition_config_selectorILNS1_17partition_subalgoE8EjNS0_10empty_typeEbEEZZNS1_14partition_implILS5_8ELb0ES3_jN6thrust23THRUST_200600_302600_NS6detail15normal_iteratorINSA_10device_ptrIjEEEEPS6_PKS6_NS0_5tupleIJSF_S6_EEENSJ_IJSG_SG_EEENS0_18inequality_wrapperI22is_equal_div_10_uniqueIjEEEPmJS6_EEE10hipError_tPvRmT3_T4_T5_T6_T7_T9_mT8_P12ihipStream_tbDpT10_ENKUlT_T0_E_clISt17integral_constantIbLb1EES19_IbLb0EEEEDaS15_S16_EUlS15_E_NS1_11comp_targetILNS1_3genE3ELNS1_11target_archE908ELNS1_3gpuE7ELNS1_3repE0EEENS1_30default_config_static_selectorELNS0_4arch9wavefront6targetE1EEEvT1_.num_named_barrier, 0
	.set _ZN7rocprim17ROCPRIM_400000_NS6detail17trampoline_kernelINS0_14default_configENS1_25partition_config_selectorILNS1_17partition_subalgoE8EjNS0_10empty_typeEbEEZZNS1_14partition_implILS5_8ELb0ES3_jN6thrust23THRUST_200600_302600_NS6detail15normal_iteratorINSA_10device_ptrIjEEEEPS6_PKS6_NS0_5tupleIJSF_S6_EEENSJ_IJSG_SG_EEENS0_18inequality_wrapperI22is_equal_div_10_uniqueIjEEEPmJS6_EEE10hipError_tPvRmT3_T4_T5_T6_T7_T9_mT8_P12ihipStream_tbDpT10_ENKUlT_T0_E_clISt17integral_constantIbLb1EES19_IbLb0EEEEDaS15_S16_EUlS15_E_NS1_11comp_targetILNS1_3genE3ELNS1_11target_archE908ELNS1_3gpuE7ELNS1_3repE0EEENS1_30default_config_static_selectorELNS0_4arch9wavefront6targetE1EEEvT1_.private_seg_size, 0
	.set _ZN7rocprim17ROCPRIM_400000_NS6detail17trampoline_kernelINS0_14default_configENS1_25partition_config_selectorILNS1_17partition_subalgoE8EjNS0_10empty_typeEbEEZZNS1_14partition_implILS5_8ELb0ES3_jN6thrust23THRUST_200600_302600_NS6detail15normal_iteratorINSA_10device_ptrIjEEEEPS6_PKS6_NS0_5tupleIJSF_S6_EEENSJ_IJSG_SG_EEENS0_18inequality_wrapperI22is_equal_div_10_uniqueIjEEEPmJS6_EEE10hipError_tPvRmT3_T4_T5_T6_T7_T9_mT8_P12ihipStream_tbDpT10_ENKUlT_T0_E_clISt17integral_constantIbLb1EES19_IbLb0EEEEDaS15_S16_EUlS15_E_NS1_11comp_targetILNS1_3genE3ELNS1_11target_archE908ELNS1_3gpuE7ELNS1_3repE0EEENS1_30default_config_static_selectorELNS0_4arch9wavefront6targetE1EEEvT1_.uses_vcc, 0
	.set _ZN7rocprim17ROCPRIM_400000_NS6detail17trampoline_kernelINS0_14default_configENS1_25partition_config_selectorILNS1_17partition_subalgoE8EjNS0_10empty_typeEbEEZZNS1_14partition_implILS5_8ELb0ES3_jN6thrust23THRUST_200600_302600_NS6detail15normal_iteratorINSA_10device_ptrIjEEEEPS6_PKS6_NS0_5tupleIJSF_S6_EEENSJ_IJSG_SG_EEENS0_18inequality_wrapperI22is_equal_div_10_uniqueIjEEEPmJS6_EEE10hipError_tPvRmT3_T4_T5_T6_T7_T9_mT8_P12ihipStream_tbDpT10_ENKUlT_T0_E_clISt17integral_constantIbLb1EES19_IbLb0EEEEDaS15_S16_EUlS15_E_NS1_11comp_targetILNS1_3genE3ELNS1_11target_archE908ELNS1_3gpuE7ELNS1_3repE0EEENS1_30default_config_static_selectorELNS0_4arch9wavefront6targetE1EEEvT1_.uses_flat_scratch, 0
	.set _ZN7rocprim17ROCPRIM_400000_NS6detail17trampoline_kernelINS0_14default_configENS1_25partition_config_selectorILNS1_17partition_subalgoE8EjNS0_10empty_typeEbEEZZNS1_14partition_implILS5_8ELb0ES3_jN6thrust23THRUST_200600_302600_NS6detail15normal_iteratorINSA_10device_ptrIjEEEEPS6_PKS6_NS0_5tupleIJSF_S6_EEENSJ_IJSG_SG_EEENS0_18inequality_wrapperI22is_equal_div_10_uniqueIjEEEPmJS6_EEE10hipError_tPvRmT3_T4_T5_T6_T7_T9_mT8_P12ihipStream_tbDpT10_ENKUlT_T0_E_clISt17integral_constantIbLb1EES19_IbLb0EEEEDaS15_S16_EUlS15_E_NS1_11comp_targetILNS1_3genE3ELNS1_11target_archE908ELNS1_3gpuE7ELNS1_3repE0EEENS1_30default_config_static_selectorELNS0_4arch9wavefront6targetE1EEEvT1_.has_dyn_sized_stack, 0
	.set _ZN7rocprim17ROCPRIM_400000_NS6detail17trampoline_kernelINS0_14default_configENS1_25partition_config_selectorILNS1_17partition_subalgoE8EjNS0_10empty_typeEbEEZZNS1_14partition_implILS5_8ELb0ES3_jN6thrust23THRUST_200600_302600_NS6detail15normal_iteratorINSA_10device_ptrIjEEEEPS6_PKS6_NS0_5tupleIJSF_S6_EEENSJ_IJSG_SG_EEENS0_18inequality_wrapperI22is_equal_div_10_uniqueIjEEEPmJS6_EEE10hipError_tPvRmT3_T4_T5_T6_T7_T9_mT8_P12ihipStream_tbDpT10_ENKUlT_T0_E_clISt17integral_constantIbLb1EES19_IbLb0EEEEDaS15_S16_EUlS15_E_NS1_11comp_targetILNS1_3genE3ELNS1_11target_archE908ELNS1_3gpuE7ELNS1_3repE0EEENS1_30default_config_static_selectorELNS0_4arch9wavefront6targetE1EEEvT1_.has_recursion, 0
	.set _ZN7rocprim17ROCPRIM_400000_NS6detail17trampoline_kernelINS0_14default_configENS1_25partition_config_selectorILNS1_17partition_subalgoE8EjNS0_10empty_typeEbEEZZNS1_14partition_implILS5_8ELb0ES3_jN6thrust23THRUST_200600_302600_NS6detail15normal_iteratorINSA_10device_ptrIjEEEEPS6_PKS6_NS0_5tupleIJSF_S6_EEENSJ_IJSG_SG_EEENS0_18inequality_wrapperI22is_equal_div_10_uniqueIjEEEPmJS6_EEE10hipError_tPvRmT3_T4_T5_T6_T7_T9_mT8_P12ihipStream_tbDpT10_ENKUlT_T0_E_clISt17integral_constantIbLb1EES19_IbLb0EEEEDaS15_S16_EUlS15_E_NS1_11comp_targetILNS1_3genE3ELNS1_11target_archE908ELNS1_3gpuE7ELNS1_3repE0EEENS1_30default_config_static_selectorELNS0_4arch9wavefront6targetE1EEEvT1_.has_indirect_call, 0
	.section	.AMDGPU.csdata,"",@progbits
; Kernel info:
; codeLenInByte = 0
; TotalNumSgprs: 4
; NumVgprs: 0
; ScratchSize: 0
; MemoryBound: 0
; FloatMode: 240
; IeeeMode: 1
; LDSByteSize: 0 bytes/workgroup (compile time only)
; SGPRBlocks: 0
; VGPRBlocks: 0
; NumSGPRsForWavesPerEU: 4
; NumVGPRsForWavesPerEU: 1
; Occupancy: 10
; WaveLimiterHint : 0
; COMPUTE_PGM_RSRC2:SCRATCH_EN: 0
; COMPUTE_PGM_RSRC2:USER_SGPR: 6
; COMPUTE_PGM_RSRC2:TRAP_HANDLER: 0
; COMPUTE_PGM_RSRC2:TGID_X_EN: 1
; COMPUTE_PGM_RSRC2:TGID_Y_EN: 0
; COMPUTE_PGM_RSRC2:TGID_Z_EN: 0
; COMPUTE_PGM_RSRC2:TIDIG_COMP_CNT: 0
	.section	.text._ZN7rocprim17ROCPRIM_400000_NS6detail17trampoline_kernelINS0_14default_configENS1_25partition_config_selectorILNS1_17partition_subalgoE8EjNS0_10empty_typeEbEEZZNS1_14partition_implILS5_8ELb0ES3_jN6thrust23THRUST_200600_302600_NS6detail15normal_iteratorINSA_10device_ptrIjEEEEPS6_PKS6_NS0_5tupleIJSF_S6_EEENSJ_IJSG_SG_EEENS0_18inequality_wrapperI22is_equal_div_10_uniqueIjEEEPmJS6_EEE10hipError_tPvRmT3_T4_T5_T6_T7_T9_mT8_P12ihipStream_tbDpT10_ENKUlT_T0_E_clISt17integral_constantIbLb1EES19_IbLb0EEEEDaS15_S16_EUlS15_E_NS1_11comp_targetILNS1_3genE2ELNS1_11target_archE906ELNS1_3gpuE6ELNS1_3repE0EEENS1_30default_config_static_selectorELNS0_4arch9wavefront6targetE1EEEvT1_,"axG",@progbits,_ZN7rocprim17ROCPRIM_400000_NS6detail17trampoline_kernelINS0_14default_configENS1_25partition_config_selectorILNS1_17partition_subalgoE8EjNS0_10empty_typeEbEEZZNS1_14partition_implILS5_8ELb0ES3_jN6thrust23THRUST_200600_302600_NS6detail15normal_iteratorINSA_10device_ptrIjEEEEPS6_PKS6_NS0_5tupleIJSF_S6_EEENSJ_IJSG_SG_EEENS0_18inequality_wrapperI22is_equal_div_10_uniqueIjEEEPmJS6_EEE10hipError_tPvRmT3_T4_T5_T6_T7_T9_mT8_P12ihipStream_tbDpT10_ENKUlT_T0_E_clISt17integral_constantIbLb1EES19_IbLb0EEEEDaS15_S16_EUlS15_E_NS1_11comp_targetILNS1_3genE2ELNS1_11target_archE906ELNS1_3gpuE6ELNS1_3repE0EEENS1_30default_config_static_selectorELNS0_4arch9wavefront6targetE1EEEvT1_,comdat
	.protected	_ZN7rocprim17ROCPRIM_400000_NS6detail17trampoline_kernelINS0_14default_configENS1_25partition_config_selectorILNS1_17partition_subalgoE8EjNS0_10empty_typeEbEEZZNS1_14partition_implILS5_8ELb0ES3_jN6thrust23THRUST_200600_302600_NS6detail15normal_iteratorINSA_10device_ptrIjEEEEPS6_PKS6_NS0_5tupleIJSF_S6_EEENSJ_IJSG_SG_EEENS0_18inequality_wrapperI22is_equal_div_10_uniqueIjEEEPmJS6_EEE10hipError_tPvRmT3_T4_T5_T6_T7_T9_mT8_P12ihipStream_tbDpT10_ENKUlT_T0_E_clISt17integral_constantIbLb1EES19_IbLb0EEEEDaS15_S16_EUlS15_E_NS1_11comp_targetILNS1_3genE2ELNS1_11target_archE906ELNS1_3gpuE6ELNS1_3repE0EEENS1_30default_config_static_selectorELNS0_4arch9wavefront6targetE1EEEvT1_ ; -- Begin function _ZN7rocprim17ROCPRIM_400000_NS6detail17trampoline_kernelINS0_14default_configENS1_25partition_config_selectorILNS1_17partition_subalgoE8EjNS0_10empty_typeEbEEZZNS1_14partition_implILS5_8ELb0ES3_jN6thrust23THRUST_200600_302600_NS6detail15normal_iteratorINSA_10device_ptrIjEEEEPS6_PKS6_NS0_5tupleIJSF_S6_EEENSJ_IJSG_SG_EEENS0_18inequality_wrapperI22is_equal_div_10_uniqueIjEEEPmJS6_EEE10hipError_tPvRmT3_T4_T5_T6_T7_T9_mT8_P12ihipStream_tbDpT10_ENKUlT_T0_E_clISt17integral_constantIbLb1EES19_IbLb0EEEEDaS15_S16_EUlS15_E_NS1_11comp_targetILNS1_3genE2ELNS1_11target_archE906ELNS1_3gpuE6ELNS1_3repE0EEENS1_30default_config_static_selectorELNS0_4arch9wavefront6targetE1EEEvT1_
	.globl	_ZN7rocprim17ROCPRIM_400000_NS6detail17trampoline_kernelINS0_14default_configENS1_25partition_config_selectorILNS1_17partition_subalgoE8EjNS0_10empty_typeEbEEZZNS1_14partition_implILS5_8ELb0ES3_jN6thrust23THRUST_200600_302600_NS6detail15normal_iteratorINSA_10device_ptrIjEEEEPS6_PKS6_NS0_5tupleIJSF_S6_EEENSJ_IJSG_SG_EEENS0_18inequality_wrapperI22is_equal_div_10_uniqueIjEEEPmJS6_EEE10hipError_tPvRmT3_T4_T5_T6_T7_T9_mT8_P12ihipStream_tbDpT10_ENKUlT_T0_E_clISt17integral_constantIbLb1EES19_IbLb0EEEEDaS15_S16_EUlS15_E_NS1_11comp_targetILNS1_3genE2ELNS1_11target_archE906ELNS1_3gpuE6ELNS1_3repE0EEENS1_30default_config_static_selectorELNS0_4arch9wavefront6targetE1EEEvT1_
	.p2align	8
	.type	_ZN7rocprim17ROCPRIM_400000_NS6detail17trampoline_kernelINS0_14default_configENS1_25partition_config_selectorILNS1_17partition_subalgoE8EjNS0_10empty_typeEbEEZZNS1_14partition_implILS5_8ELb0ES3_jN6thrust23THRUST_200600_302600_NS6detail15normal_iteratorINSA_10device_ptrIjEEEEPS6_PKS6_NS0_5tupleIJSF_S6_EEENSJ_IJSG_SG_EEENS0_18inequality_wrapperI22is_equal_div_10_uniqueIjEEEPmJS6_EEE10hipError_tPvRmT3_T4_T5_T6_T7_T9_mT8_P12ihipStream_tbDpT10_ENKUlT_T0_E_clISt17integral_constantIbLb1EES19_IbLb0EEEEDaS15_S16_EUlS15_E_NS1_11comp_targetILNS1_3genE2ELNS1_11target_archE906ELNS1_3gpuE6ELNS1_3repE0EEENS1_30default_config_static_selectorELNS0_4arch9wavefront6targetE1EEEvT1_,@function
_ZN7rocprim17ROCPRIM_400000_NS6detail17trampoline_kernelINS0_14default_configENS1_25partition_config_selectorILNS1_17partition_subalgoE8EjNS0_10empty_typeEbEEZZNS1_14partition_implILS5_8ELb0ES3_jN6thrust23THRUST_200600_302600_NS6detail15normal_iteratorINSA_10device_ptrIjEEEEPS6_PKS6_NS0_5tupleIJSF_S6_EEENSJ_IJSG_SG_EEENS0_18inequality_wrapperI22is_equal_div_10_uniqueIjEEEPmJS6_EEE10hipError_tPvRmT3_T4_T5_T6_T7_T9_mT8_P12ihipStream_tbDpT10_ENKUlT_T0_E_clISt17integral_constantIbLb1EES19_IbLb0EEEEDaS15_S16_EUlS15_E_NS1_11comp_targetILNS1_3genE2ELNS1_11target_archE906ELNS1_3gpuE6ELNS1_3repE0EEENS1_30default_config_static_selectorELNS0_4arch9wavefront6targetE1EEEvT1_: ; @_ZN7rocprim17ROCPRIM_400000_NS6detail17trampoline_kernelINS0_14default_configENS1_25partition_config_selectorILNS1_17partition_subalgoE8EjNS0_10empty_typeEbEEZZNS1_14partition_implILS5_8ELb0ES3_jN6thrust23THRUST_200600_302600_NS6detail15normal_iteratorINSA_10device_ptrIjEEEEPS6_PKS6_NS0_5tupleIJSF_S6_EEENSJ_IJSG_SG_EEENS0_18inequality_wrapperI22is_equal_div_10_uniqueIjEEEPmJS6_EEE10hipError_tPvRmT3_T4_T5_T6_T7_T9_mT8_P12ihipStream_tbDpT10_ENKUlT_T0_E_clISt17integral_constantIbLb1EES19_IbLb0EEEEDaS15_S16_EUlS15_E_NS1_11comp_targetILNS1_3genE2ELNS1_11target_archE906ELNS1_3gpuE6ELNS1_3repE0EEENS1_30default_config_static_selectorELNS0_4arch9wavefront6targetE1EEEvT1_
; %bb.0:
	s_endpgm
	.section	.rodata,"a",@progbits
	.p2align	6, 0x0
	.amdhsa_kernel _ZN7rocprim17ROCPRIM_400000_NS6detail17trampoline_kernelINS0_14default_configENS1_25partition_config_selectorILNS1_17partition_subalgoE8EjNS0_10empty_typeEbEEZZNS1_14partition_implILS5_8ELb0ES3_jN6thrust23THRUST_200600_302600_NS6detail15normal_iteratorINSA_10device_ptrIjEEEEPS6_PKS6_NS0_5tupleIJSF_S6_EEENSJ_IJSG_SG_EEENS0_18inequality_wrapperI22is_equal_div_10_uniqueIjEEEPmJS6_EEE10hipError_tPvRmT3_T4_T5_T6_T7_T9_mT8_P12ihipStream_tbDpT10_ENKUlT_T0_E_clISt17integral_constantIbLb1EES19_IbLb0EEEEDaS15_S16_EUlS15_E_NS1_11comp_targetILNS1_3genE2ELNS1_11target_archE906ELNS1_3gpuE6ELNS1_3repE0EEENS1_30default_config_static_selectorELNS0_4arch9wavefront6targetE1EEEvT1_
		.amdhsa_group_segment_fixed_size 0
		.amdhsa_private_segment_fixed_size 0
		.amdhsa_kernarg_size 112
		.amdhsa_user_sgpr_count 6
		.amdhsa_user_sgpr_private_segment_buffer 1
		.amdhsa_user_sgpr_dispatch_ptr 0
		.amdhsa_user_sgpr_queue_ptr 0
		.amdhsa_user_sgpr_kernarg_segment_ptr 1
		.amdhsa_user_sgpr_dispatch_id 0
		.amdhsa_user_sgpr_flat_scratch_init 0
		.amdhsa_user_sgpr_private_segment_size 0
		.amdhsa_uses_dynamic_stack 0
		.amdhsa_system_sgpr_private_segment_wavefront_offset 0
		.amdhsa_system_sgpr_workgroup_id_x 1
		.amdhsa_system_sgpr_workgroup_id_y 0
		.amdhsa_system_sgpr_workgroup_id_z 0
		.amdhsa_system_sgpr_workgroup_info 0
		.amdhsa_system_vgpr_workitem_id 0
		.amdhsa_next_free_vgpr 1
		.amdhsa_next_free_sgpr 0
		.amdhsa_reserve_vcc 0
		.amdhsa_reserve_flat_scratch 0
		.amdhsa_float_round_mode_32 0
		.amdhsa_float_round_mode_16_64 0
		.amdhsa_float_denorm_mode_32 3
		.amdhsa_float_denorm_mode_16_64 3
		.amdhsa_dx10_clamp 1
		.amdhsa_ieee_mode 1
		.amdhsa_fp16_overflow 0
		.amdhsa_exception_fp_ieee_invalid_op 0
		.amdhsa_exception_fp_denorm_src 0
		.amdhsa_exception_fp_ieee_div_zero 0
		.amdhsa_exception_fp_ieee_overflow 0
		.amdhsa_exception_fp_ieee_underflow 0
		.amdhsa_exception_fp_ieee_inexact 0
		.amdhsa_exception_int_div_zero 0
	.end_amdhsa_kernel
	.section	.text._ZN7rocprim17ROCPRIM_400000_NS6detail17trampoline_kernelINS0_14default_configENS1_25partition_config_selectorILNS1_17partition_subalgoE8EjNS0_10empty_typeEbEEZZNS1_14partition_implILS5_8ELb0ES3_jN6thrust23THRUST_200600_302600_NS6detail15normal_iteratorINSA_10device_ptrIjEEEEPS6_PKS6_NS0_5tupleIJSF_S6_EEENSJ_IJSG_SG_EEENS0_18inequality_wrapperI22is_equal_div_10_uniqueIjEEEPmJS6_EEE10hipError_tPvRmT3_T4_T5_T6_T7_T9_mT8_P12ihipStream_tbDpT10_ENKUlT_T0_E_clISt17integral_constantIbLb1EES19_IbLb0EEEEDaS15_S16_EUlS15_E_NS1_11comp_targetILNS1_3genE2ELNS1_11target_archE906ELNS1_3gpuE6ELNS1_3repE0EEENS1_30default_config_static_selectorELNS0_4arch9wavefront6targetE1EEEvT1_,"axG",@progbits,_ZN7rocprim17ROCPRIM_400000_NS6detail17trampoline_kernelINS0_14default_configENS1_25partition_config_selectorILNS1_17partition_subalgoE8EjNS0_10empty_typeEbEEZZNS1_14partition_implILS5_8ELb0ES3_jN6thrust23THRUST_200600_302600_NS6detail15normal_iteratorINSA_10device_ptrIjEEEEPS6_PKS6_NS0_5tupleIJSF_S6_EEENSJ_IJSG_SG_EEENS0_18inequality_wrapperI22is_equal_div_10_uniqueIjEEEPmJS6_EEE10hipError_tPvRmT3_T4_T5_T6_T7_T9_mT8_P12ihipStream_tbDpT10_ENKUlT_T0_E_clISt17integral_constantIbLb1EES19_IbLb0EEEEDaS15_S16_EUlS15_E_NS1_11comp_targetILNS1_3genE2ELNS1_11target_archE906ELNS1_3gpuE6ELNS1_3repE0EEENS1_30default_config_static_selectorELNS0_4arch9wavefront6targetE1EEEvT1_,comdat
.Lfunc_end262:
	.size	_ZN7rocprim17ROCPRIM_400000_NS6detail17trampoline_kernelINS0_14default_configENS1_25partition_config_selectorILNS1_17partition_subalgoE8EjNS0_10empty_typeEbEEZZNS1_14partition_implILS5_8ELb0ES3_jN6thrust23THRUST_200600_302600_NS6detail15normal_iteratorINSA_10device_ptrIjEEEEPS6_PKS6_NS0_5tupleIJSF_S6_EEENSJ_IJSG_SG_EEENS0_18inequality_wrapperI22is_equal_div_10_uniqueIjEEEPmJS6_EEE10hipError_tPvRmT3_T4_T5_T6_T7_T9_mT8_P12ihipStream_tbDpT10_ENKUlT_T0_E_clISt17integral_constantIbLb1EES19_IbLb0EEEEDaS15_S16_EUlS15_E_NS1_11comp_targetILNS1_3genE2ELNS1_11target_archE906ELNS1_3gpuE6ELNS1_3repE0EEENS1_30default_config_static_selectorELNS0_4arch9wavefront6targetE1EEEvT1_, .Lfunc_end262-_ZN7rocprim17ROCPRIM_400000_NS6detail17trampoline_kernelINS0_14default_configENS1_25partition_config_selectorILNS1_17partition_subalgoE8EjNS0_10empty_typeEbEEZZNS1_14partition_implILS5_8ELb0ES3_jN6thrust23THRUST_200600_302600_NS6detail15normal_iteratorINSA_10device_ptrIjEEEEPS6_PKS6_NS0_5tupleIJSF_S6_EEENSJ_IJSG_SG_EEENS0_18inequality_wrapperI22is_equal_div_10_uniqueIjEEEPmJS6_EEE10hipError_tPvRmT3_T4_T5_T6_T7_T9_mT8_P12ihipStream_tbDpT10_ENKUlT_T0_E_clISt17integral_constantIbLb1EES19_IbLb0EEEEDaS15_S16_EUlS15_E_NS1_11comp_targetILNS1_3genE2ELNS1_11target_archE906ELNS1_3gpuE6ELNS1_3repE0EEENS1_30default_config_static_selectorELNS0_4arch9wavefront6targetE1EEEvT1_
                                        ; -- End function
	.set _ZN7rocprim17ROCPRIM_400000_NS6detail17trampoline_kernelINS0_14default_configENS1_25partition_config_selectorILNS1_17partition_subalgoE8EjNS0_10empty_typeEbEEZZNS1_14partition_implILS5_8ELb0ES3_jN6thrust23THRUST_200600_302600_NS6detail15normal_iteratorINSA_10device_ptrIjEEEEPS6_PKS6_NS0_5tupleIJSF_S6_EEENSJ_IJSG_SG_EEENS0_18inequality_wrapperI22is_equal_div_10_uniqueIjEEEPmJS6_EEE10hipError_tPvRmT3_T4_T5_T6_T7_T9_mT8_P12ihipStream_tbDpT10_ENKUlT_T0_E_clISt17integral_constantIbLb1EES19_IbLb0EEEEDaS15_S16_EUlS15_E_NS1_11comp_targetILNS1_3genE2ELNS1_11target_archE906ELNS1_3gpuE6ELNS1_3repE0EEENS1_30default_config_static_selectorELNS0_4arch9wavefront6targetE1EEEvT1_.num_vgpr, 0
	.set _ZN7rocprim17ROCPRIM_400000_NS6detail17trampoline_kernelINS0_14default_configENS1_25partition_config_selectorILNS1_17partition_subalgoE8EjNS0_10empty_typeEbEEZZNS1_14partition_implILS5_8ELb0ES3_jN6thrust23THRUST_200600_302600_NS6detail15normal_iteratorINSA_10device_ptrIjEEEEPS6_PKS6_NS0_5tupleIJSF_S6_EEENSJ_IJSG_SG_EEENS0_18inequality_wrapperI22is_equal_div_10_uniqueIjEEEPmJS6_EEE10hipError_tPvRmT3_T4_T5_T6_T7_T9_mT8_P12ihipStream_tbDpT10_ENKUlT_T0_E_clISt17integral_constantIbLb1EES19_IbLb0EEEEDaS15_S16_EUlS15_E_NS1_11comp_targetILNS1_3genE2ELNS1_11target_archE906ELNS1_3gpuE6ELNS1_3repE0EEENS1_30default_config_static_selectorELNS0_4arch9wavefront6targetE1EEEvT1_.num_agpr, 0
	.set _ZN7rocprim17ROCPRIM_400000_NS6detail17trampoline_kernelINS0_14default_configENS1_25partition_config_selectorILNS1_17partition_subalgoE8EjNS0_10empty_typeEbEEZZNS1_14partition_implILS5_8ELb0ES3_jN6thrust23THRUST_200600_302600_NS6detail15normal_iteratorINSA_10device_ptrIjEEEEPS6_PKS6_NS0_5tupleIJSF_S6_EEENSJ_IJSG_SG_EEENS0_18inequality_wrapperI22is_equal_div_10_uniqueIjEEEPmJS6_EEE10hipError_tPvRmT3_T4_T5_T6_T7_T9_mT8_P12ihipStream_tbDpT10_ENKUlT_T0_E_clISt17integral_constantIbLb1EES19_IbLb0EEEEDaS15_S16_EUlS15_E_NS1_11comp_targetILNS1_3genE2ELNS1_11target_archE906ELNS1_3gpuE6ELNS1_3repE0EEENS1_30default_config_static_selectorELNS0_4arch9wavefront6targetE1EEEvT1_.numbered_sgpr, 0
	.set _ZN7rocprim17ROCPRIM_400000_NS6detail17trampoline_kernelINS0_14default_configENS1_25partition_config_selectorILNS1_17partition_subalgoE8EjNS0_10empty_typeEbEEZZNS1_14partition_implILS5_8ELb0ES3_jN6thrust23THRUST_200600_302600_NS6detail15normal_iteratorINSA_10device_ptrIjEEEEPS6_PKS6_NS0_5tupleIJSF_S6_EEENSJ_IJSG_SG_EEENS0_18inequality_wrapperI22is_equal_div_10_uniqueIjEEEPmJS6_EEE10hipError_tPvRmT3_T4_T5_T6_T7_T9_mT8_P12ihipStream_tbDpT10_ENKUlT_T0_E_clISt17integral_constantIbLb1EES19_IbLb0EEEEDaS15_S16_EUlS15_E_NS1_11comp_targetILNS1_3genE2ELNS1_11target_archE906ELNS1_3gpuE6ELNS1_3repE0EEENS1_30default_config_static_selectorELNS0_4arch9wavefront6targetE1EEEvT1_.num_named_barrier, 0
	.set _ZN7rocprim17ROCPRIM_400000_NS6detail17trampoline_kernelINS0_14default_configENS1_25partition_config_selectorILNS1_17partition_subalgoE8EjNS0_10empty_typeEbEEZZNS1_14partition_implILS5_8ELb0ES3_jN6thrust23THRUST_200600_302600_NS6detail15normal_iteratorINSA_10device_ptrIjEEEEPS6_PKS6_NS0_5tupleIJSF_S6_EEENSJ_IJSG_SG_EEENS0_18inequality_wrapperI22is_equal_div_10_uniqueIjEEEPmJS6_EEE10hipError_tPvRmT3_T4_T5_T6_T7_T9_mT8_P12ihipStream_tbDpT10_ENKUlT_T0_E_clISt17integral_constantIbLb1EES19_IbLb0EEEEDaS15_S16_EUlS15_E_NS1_11comp_targetILNS1_3genE2ELNS1_11target_archE906ELNS1_3gpuE6ELNS1_3repE0EEENS1_30default_config_static_selectorELNS0_4arch9wavefront6targetE1EEEvT1_.private_seg_size, 0
	.set _ZN7rocprim17ROCPRIM_400000_NS6detail17trampoline_kernelINS0_14default_configENS1_25partition_config_selectorILNS1_17partition_subalgoE8EjNS0_10empty_typeEbEEZZNS1_14partition_implILS5_8ELb0ES3_jN6thrust23THRUST_200600_302600_NS6detail15normal_iteratorINSA_10device_ptrIjEEEEPS6_PKS6_NS0_5tupleIJSF_S6_EEENSJ_IJSG_SG_EEENS0_18inequality_wrapperI22is_equal_div_10_uniqueIjEEEPmJS6_EEE10hipError_tPvRmT3_T4_T5_T6_T7_T9_mT8_P12ihipStream_tbDpT10_ENKUlT_T0_E_clISt17integral_constantIbLb1EES19_IbLb0EEEEDaS15_S16_EUlS15_E_NS1_11comp_targetILNS1_3genE2ELNS1_11target_archE906ELNS1_3gpuE6ELNS1_3repE0EEENS1_30default_config_static_selectorELNS0_4arch9wavefront6targetE1EEEvT1_.uses_vcc, 0
	.set _ZN7rocprim17ROCPRIM_400000_NS6detail17trampoline_kernelINS0_14default_configENS1_25partition_config_selectorILNS1_17partition_subalgoE8EjNS0_10empty_typeEbEEZZNS1_14partition_implILS5_8ELb0ES3_jN6thrust23THRUST_200600_302600_NS6detail15normal_iteratorINSA_10device_ptrIjEEEEPS6_PKS6_NS0_5tupleIJSF_S6_EEENSJ_IJSG_SG_EEENS0_18inequality_wrapperI22is_equal_div_10_uniqueIjEEEPmJS6_EEE10hipError_tPvRmT3_T4_T5_T6_T7_T9_mT8_P12ihipStream_tbDpT10_ENKUlT_T0_E_clISt17integral_constantIbLb1EES19_IbLb0EEEEDaS15_S16_EUlS15_E_NS1_11comp_targetILNS1_3genE2ELNS1_11target_archE906ELNS1_3gpuE6ELNS1_3repE0EEENS1_30default_config_static_selectorELNS0_4arch9wavefront6targetE1EEEvT1_.uses_flat_scratch, 0
	.set _ZN7rocprim17ROCPRIM_400000_NS6detail17trampoline_kernelINS0_14default_configENS1_25partition_config_selectorILNS1_17partition_subalgoE8EjNS0_10empty_typeEbEEZZNS1_14partition_implILS5_8ELb0ES3_jN6thrust23THRUST_200600_302600_NS6detail15normal_iteratorINSA_10device_ptrIjEEEEPS6_PKS6_NS0_5tupleIJSF_S6_EEENSJ_IJSG_SG_EEENS0_18inequality_wrapperI22is_equal_div_10_uniqueIjEEEPmJS6_EEE10hipError_tPvRmT3_T4_T5_T6_T7_T9_mT8_P12ihipStream_tbDpT10_ENKUlT_T0_E_clISt17integral_constantIbLb1EES19_IbLb0EEEEDaS15_S16_EUlS15_E_NS1_11comp_targetILNS1_3genE2ELNS1_11target_archE906ELNS1_3gpuE6ELNS1_3repE0EEENS1_30default_config_static_selectorELNS0_4arch9wavefront6targetE1EEEvT1_.has_dyn_sized_stack, 0
	.set _ZN7rocprim17ROCPRIM_400000_NS6detail17trampoline_kernelINS0_14default_configENS1_25partition_config_selectorILNS1_17partition_subalgoE8EjNS0_10empty_typeEbEEZZNS1_14partition_implILS5_8ELb0ES3_jN6thrust23THRUST_200600_302600_NS6detail15normal_iteratorINSA_10device_ptrIjEEEEPS6_PKS6_NS0_5tupleIJSF_S6_EEENSJ_IJSG_SG_EEENS0_18inequality_wrapperI22is_equal_div_10_uniqueIjEEEPmJS6_EEE10hipError_tPvRmT3_T4_T5_T6_T7_T9_mT8_P12ihipStream_tbDpT10_ENKUlT_T0_E_clISt17integral_constantIbLb1EES19_IbLb0EEEEDaS15_S16_EUlS15_E_NS1_11comp_targetILNS1_3genE2ELNS1_11target_archE906ELNS1_3gpuE6ELNS1_3repE0EEENS1_30default_config_static_selectorELNS0_4arch9wavefront6targetE1EEEvT1_.has_recursion, 0
	.set _ZN7rocprim17ROCPRIM_400000_NS6detail17trampoline_kernelINS0_14default_configENS1_25partition_config_selectorILNS1_17partition_subalgoE8EjNS0_10empty_typeEbEEZZNS1_14partition_implILS5_8ELb0ES3_jN6thrust23THRUST_200600_302600_NS6detail15normal_iteratorINSA_10device_ptrIjEEEEPS6_PKS6_NS0_5tupleIJSF_S6_EEENSJ_IJSG_SG_EEENS0_18inequality_wrapperI22is_equal_div_10_uniqueIjEEEPmJS6_EEE10hipError_tPvRmT3_T4_T5_T6_T7_T9_mT8_P12ihipStream_tbDpT10_ENKUlT_T0_E_clISt17integral_constantIbLb1EES19_IbLb0EEEEDaS15_S16_EUlS15_E_NS1_11comp_targetILNS1_3genE2ELNS1_11target_archE906ELNS1_3gpuE6ELNS1_3repE0EEENS1_30default_config_static_selectorELNS0_4arch9wavefront6targetE1EEEvT1_.has_indirect_call, 0
	.section	.AMDGPU.csdata,"",@progbits
; Kernel info:
; codeLenInByte = 4
; TotalNumSgprs: 4
; NumVgprs: 0
; ScratchSize: 0
; MemoryBound: 0
; FloatMode: 240
; IeeeMode: 1
; LDSByteSize: 0 bytes/workgroup (compile time only)
; SGPRBlocks: 0
; VGPRBlocks: 0
; NumSGPRsForWavesPerEU: 4
; NumVGPRsForWavesPerEU: 1
; Occupancy: 10
; WaveLimiterHint : 0
; COMPUTE_PGM_RSRC2:SCRATCH_EN: 0
; COMPUTE_PGM_RSRC2:USER_SGPR: 6
; COMPUTE_PGM_RSRC2:TRAP_HANDLER: 0
; COMPUTE_PGM_RSRC2:TGID_X_EN: 1
; COMPUTE_PGM_RSRC2:TGID_Y_EN: 0
; COMPUTE_PGM_RSRC2:TGID_Z_EN: 0
; COMPUTE_PGM_RSRC2:TIDIG_COMP_CNT: 0
	.section	.text._ZN7rocprim17ROCPRIM_400000_NS6detail17trampoline_kernelINS0_14default_configENS1_25partition_config_selectorILNS1_17partition_subalgoE8EjNS0_10empty_typeEbEEZZNS1_14partition_implILS5_8ELb0ES3_jN6thrust23THRUST_200600_302600_NS6detail15normal_iteratorINSA_10device_ptrIjEEEEPS6_PKS6_NS0_5tupleIJSF_S6_EEENSJ_IJSG_SG_EEENS0_18inequality_wrapperI22is_equal_div_10_uniqueIjEEEPmJS6_EEE10hipError_tPvRmT3_T4_T5_T6_T7_T9_mT8_P12ihipStream_tbDpT10_ENKUlT_T0_E_clISt17integral_constantIbLb1EES19_IbLb0EEEEDaS15_S16_EUlS15_E_NS1_11comp_targetILNS1_3genE10ELNS1_11target_archE1200ELNS1_3gpuE4ELNS1_3repE0EEENS1_30default_config_static_selectorELNS0_4arch9wavefront6targetE1EEEvT1_,"axG",@progbits,_ZN7rocprim17ROCPRIM_400000_NS6detail17trampoline_kernelINS0_14default_configENS1_25partition_config_selectorILNS1_17partition_subalgoE8EjNS0_10empty_typeEbEEZZNS1_14partition_implILS5_8ELb0ES3_jN6thrust23THRUST_200600_302600_NS6detail15normal_iteratorINSA_10device_ptrIjEEEEPS6_PKS6_NS0_5tupleIJSF_S6_EEENSJ_IJSG_SG_EEENS0_18inequality_wrapperI22is_equal_div_10_uniqueIjEEEPmJS6_EEE10hipError_tPvRmT3_T4_T5_T6_T7_T9_mT8_P12ihipStream_tbDpT10_ENKUlT_T0_E_clISt17integral_constantIbLb1EES19_IbLb0EEEEDaS15_S16_EUlS15_E_NS1_11comp_targetILNS1_3genE10ELNS1_11target_archE1200ELNS1_3gpuE4ELNS1_3repE0EEENS1_30default_config_static_selectorELNS0_4arch9wavefront6targetE1EEEvT1_,comdat
	.protected	_ZN7rocprim17ROCPRIM_400000_NS6detail17trampoline_kernelINS0_14default_configENS1_25partition_config_selectorILNS1_17partition_subalgoE8EjNS0_10empty_typeEbEEZZNS1_14partition_implILS5_8ELb0ES3_jN6thrust23THRUST_200600_302600_NS6detail15normal_iteratorINSA_10device_ptrIjEEEEPS6_PKS6_NS0_5tupleIJSF_S6_EEENSJ_IJSG_SG_EEENS0_18inequality_wrapperI22is_equal_div_10_uniqueIjEEEPmJS6_EEE10hipError_tPvRmT3_T4_T5_T6_T7_T9_mT8_P12ihipStream_tbDpT10_ENKUlT_T0_E_clISt17integral_constantIbLb1EES19_IbLb0EEEEDaS15_S16_EUlS15_E_NS1_11comp_targetILNS1_3genE10ELNS1_11target_archE1200ELNS1_3gpuE4ELNS1_3repE0EEENS1_30default_config_static_selectorELNS0_4arch9wavefront6targetE1EEEvT1_ ; -- Begin function _ZN7rocprim17ROCPRIM_400000_NS6detail17trampoline_kernelINS0_14default_configENS1_25partition_config_selectorILNS1_17partition_subalgoE8EjNS0_10empty_typeEbEEZZNS1_14partition_implILS5_8ELb0ES3_jN6thrust23THRUST_200600_302600_NS6detail15normal_iteratorINSA_10device_ptrIjEEEEPS6_PKS6_NS0_5tupleIJSF_S6_EEENSJ_IJSG_SG_EEENS0_18inequality_wrapperI22is_equal_div_10_uniqueIjEEEPmJS6_EEE10hipError_tPvRmT3_T4_T5_T6_T7_T9_mT8_P12ihipStream_tbDpT10_ENKUlT_T0_E_clISt17integral_constantIbLb1EES19_IbLb0EEEEDaS15_S16_EUlS15_E_NS1_11comp_targetILNS1_3genE10ELNS1_11target_archE1200ELNS1_3gpuE4ELNS1_3repE0EEENS1_30default_config_static_selectorELNS0_4arch9wavefront6targetE1EEEvT1_
	.globl	_ZN7rocprim17ROCPRIM_400000_NS6detail17trampoline_kernelINS0_14default_configENS1_25partition_config_selectorILNS1_17partition_subalgoE8EjNS0_10empty_typeEbEEZZNS1_14partition_implILS5_8ELb0ES3_jN6thrust23THRUST_200600_302600_NS6detail15normal_iteratorINSA_10device_ptrIjEEEEPS6_PKS6_NS0_5tupleIJSF_S6_EEENSJ_IJSG_SG_EEENS0_18inequality_wrapperI22is_equal_div_10_uniqueIjEEEPmJS6_EEE10hipError_tPvRmT3_T4_T5_T6_T7_T9_mT8_P12ihipStream_tbDpT10_ENKUlT_T0_E_clISt17integral_constantIbLb1EES19_IbLb0EEEEDaS15_S16_EUlS15_E_NS1_11comp_targetILNS1_3genE10ELNS1_11target_archE1200ELNS1_3gpuE4ELNS1_3repE0EEENS1_30default_config_static_selectorELNS0_4arch9wavefront6targetE1EEEvT1_
	.p2align	8
	.type	_ZN7rocprim17ROCPRIM_400000_NS6detail17trampoline_kernelINS0_14default_configENS1_25partition_config_selectorILNS1_17partition_subalgoE8EjNS0_10empty_typeEbEEZZNS1_14partition_implILS5_8ELb0ES3_jN6thrust23THRUST_200600_302600_NS6detail15normal_iteratorINSA_10device_ptrIjEEEEPS6_PKS6_NS0_5tupleIJSF_S6_EEENSJ_IJSG_SG_EEENS0_18inequality_wrapperI22is_equal_div_10_uniqueIjEEEPmJS6_EEE10hipError_tPvRmT3_T4_T5_T6_T7_T9_mT8_P12ihipStream_tbDpT10_ENKUlT_T0_E_clISt17integral_constantIbLb1EES19_IbLb0EEEEDaS15_S16_EUlS15_E_NS1_11comp_targetILNS1_3genE10ELNS1_11target_archE1200ELNS1_3gpuE4ELNS1_3repE0EEENS1_30default_config_static_selectorELNS0_4arch9wavefront6targetE1EEEvT1_,@function
_ZN7rocprim17ROCPRIM_400000_NS6detail17trampoline_kernelINS0_14default_configENS1_25partition_config_selectorILNS1_17partition_subalgoE8EjNS0_10empty_typeEbEEZZNS1_14partition_implILS5_8ELb0ES3_jN6thrust23THRUST_200600_302600_NS6detail15normal_iteratorINSA_10device_ptrIjEEEEPS6_PKS6_NS0_5tupleIJSF_S6_EEENSJ_IJSG_SG_EEENS0_18inequality_wrapperI22is_equal_div_10_uniqueIjEEEPmJS6_EEE10hipError_tPvRmT3_T4_T5_T6_T7_T9_mT8_P12ihipStream_tbDpT10_ENKUlT_T0_E_clISt17integral_constantIbLb1EES19_IbLb0EEEEDaS15_S16_EUlS15_E_NS1_11comp_targetILNS1_3genE10ELNS1_11target_archE1200ELNS1_3gpuE4ELNS1_3repE0EEENS1_30default_config_static_selectorELNS0_4arch9wavefront6targetE1EEEvT1_: ; @_ZN7rocprim17ROCPRIM_400000_NS6detail17trampoline_kernelINS0_14default_configENS1_25partition_config_selectorILNS1_17partition_subalgoE8EjNS0_10empty_typeEbEEZZNS1_14partition_implILS5_8ELb0ES3_jN6thrust23THRUST_200600_302600_NS6detail15normal_iteratorINSA_10device_ptrIjEEEEPS6_PKS6_NS0_5tupleIJSF_S6_EEENSJ_IJSG_SG_EEENS0_18inequality_wrapperI22is_equal_div_10_uniqueIjEEEPmJS6_EEE10hipError_tPvRmT3_T4_T5_T6_T7_T9_mT8_P12ihipStream_tbDpT10_ENKUlT_T0_E_clISt17integral_constantIbLb1EES19_IbLb0EEEEDaS15_S16_EUlS15_E_NS1_11comp_targetILNS1_3genE10ELNS1_11target_archE1200ELNS1_3gpuE4ELNS1_3repE0EEENS1_30default_config_static_selectorELNS0_4arch9wavefront6targetE1EEEvT1_
; %bb.0:
	.section	.rodata,"a",@progbits
	.p2align	6, 0x0
	.amdhsa_kernel _ZN7rocprim17ROCPRIM_400000_NS6detail17trampoline_kernelINS0_14default_configENS1_25partition_config_selectorILNS1_17partition_subalgoE8EjNS0_10empty_typeEbEEZZNS1_14partition_implILS5_8ELb0ES3_jN6thrust23THRUST_200600_302600_NS6detail15normal_iteratorINSA_10device_ptrIjEEEEPS6_PKS6_NS0_5tupleIJSF_S6_EEENSJ_IJSG_SG_EEENS0_18inequality_wrapperI22is_equal_div_10_uniqueIjEEEPmJS6_EEE10hipError_tPvRmT3_T4_T5_T6_T7_T9_mT8_P12ihipStream_tbDpT10_ENKUlT_T0_E_clISt17integral_constantIbLb1EES19_IbLb0EEEEDaS15_S16_EUlS15_E_NS1_11comp_targetILNS1_3genE10ELNS1_11target_archE1200ELNS1_3gpuE4ELNS1_3repE0EEENS1_30default_config_static_selectorELNS0_4arch9wavefront6targetE1EEEvT1_
		.amdhsa_group_segment_fixed_size 0
		.amdhsa_private_segment_fixed_size 0
		.amdhsa_kernarg_size 112
		.amdhsa_user_sgpr_count 6
		.amdhsa_user_sgpr_private_segment_buffer 1
		.amdhsa_user_sgpr_dispatch_ptr 0
		.amdhsa_user_sgpr_queue_ptr 0
		.amdhsa_user_sgpr_kernarg_segment_ptr 1
		.amdhsa_user_sgpr_dispatch_id 0
		.amdhsa_user_sgpr_flat_scratch_init 0
		.amdhsa_user_sgpr_private_segment_size 0
		.amdhsa_uses_dynamic_stack 0
		.amdhsa_system_sgpr_private_segment_wavefront_offset 0
		.amdhsa_system_sgpr_workgroup_id_x 1
		.amdhsa_system_sgpr_workgroup_id_y 0
		.amdhsa_system_sgpr_workgroup_id_z 0
		.amdhsa_system_sgpr_workgroup_info 0
		.amdhsa_system_vgpr_workitem_id 0
		.amdhsa_next_free_vgpr 1
		.amdhsa_next_free_sgpr 0
		.amdhsa_reserve_vcc 0
		.amdhsa_reserve_flat_scratch 0
		.amdhsa_float_round_mode_32 0
		.amdhsa_float_round_mode_16_64 0
		.amdhsa_float_denorm_mode_32 3
		.amdhsa_float_denorm_mode_16_64 3
		.amdhsa_dx10_clamp 1
		.amdhsa_ieee_mode 1
		.amdhsa_fp16_overflow 0
		.amdhsa_exception_fp_ieee_invalid_op 0
		.amdhsa_exception_fp_denorm_src 0
		.amdhsa_exception_fp_ieee_div_zero 0
		.amdhsa_exception_fp_ieee_overflow 0
		.amdhsa_exception_fp_ieee_underflow 0
		.amdhsa_exception_fp_ieee_inexact 0
		.amdhsa_exception_int_div_zero 0
	.end_amdhsa_kernel
	.section	.text._ZN7rocprim17ROCPRIM_400000_NS6detail17trampoline_kernelINS0_14default_configENS1_25partition_config_selectorILNS1_17partition_subalgoE8EjNS0_10empty_typeEbEEZZNS1_14partition_implILS5_8ELb0ES3_jN6thrust23THRUST_200600_302600_NS6detail15normal_iteratorINSA_10device_ptrIjEEEEPS6_PKS6_NS0_5tupleIJSF_S6_EEENSJ_IJSG_SG_EEENS0_18inequality_wrapperI22is_equal_div_10_uniqueIjEEEPmJS6_EEE10hipError_tPvRmT3_T4_T5_T6_T7_T9_mT8_P12ihipStream_tbDpT10_ENKUlT_T0_E_clISt17integral_constantIbLb1EES19_IbLb0EEEEDaS15_S16_EUlS15_E_NS1_11comp_targetILNS1_3genE10ELNS1_11target_archE1200ELNS1_3gpuE4ELNS1_3repE0EEENS1_30default_config_static_selectorELNS0_4arch9wavefront6targetE1EEEvT1_,"axG",@progbits,_ZN7rocprim17ROCPRIM_400000_NS6detail17trampoline_kernelINS0_14default_configENS1_25partition_config_selectorILNS1_17partition_subalgoE8EjNS0_10empty_typeEbEEZZNS1_14partition_implILS5_8ELb0ES3_jN6thrust23THRUST_200600_302600_NS6detail15normal_iteratorINSA_10device_ptrIjEEEEPS6_PKS6_NS0_5tupleIJSF_S6_EEENSJ_IJSG_SG_EEENS0_18inequality_wrapperI22is_equal_div_10_uniqueIjEEEPmJS6_EEE10hipError_tPvRmT3_T4_T5_T6_T7_T9_mT8_P12ihipStream_tbDpT10_ENKUlT_T0_E_clISt17integral_constantIbLb1EES19_IbLb0EEEEDaS15_S16_EUlS15_E_NS1_11comp_targetILNS1_3genE10ELNS1_11target_archE1200ELNS1_3gpuE4ELNS1_3repE0EEENS1_30default_config_static_selectorELNS0_4arch9wavefront6targetE1EEEvT1_,comdat
.Lfunc_end263:
	.size	_ZN7rocprim17ROCPRIM_400000_NS6detail17trampoline_kernelINS0_14default_configENS1_25partition_config_selectorILNS1_17partition_subalgoE8EjNS0_10empty_typeEbEEZZNS1_14partition_implILS5_8ELb0ES3_jN6thrust23THRUST_200600_302600_NS6detail15normal_iteratorINSA_10device_ptrIjEEEEPS6_PKS6_NS0_5tupleIJSF_S6_EEENSJ_IJSG_SG_EEENS0_18inequality_wrapperI22is_equal_div_10_uniqueIjEEEPmJS6_EEE10hipError_tPvRmT3_T4_T5_T6_T7_T9_mT8_P12ihipStream_tbDpT10_ENKUlT_T0_E_clISt17integral_constantIbLb1EES19_IbLb0EEEEDaS15_S16_EUlS15_E_NS1_11comp_targetILNS1_3genE10ELNS1_11target_archE1200ELNS1_3gpuE4ELNS1_3repE0EEENS1_30default_config_static_selectorELNS0_4arch9wavefront6targetE1EEEvT1_, .Lfunc_end263-_ZN7rocprim17ROCPRIM_400000_NS6detail17trampoline_kernelINS0_14default_configENS1_25partition_config_selectorILNS1_17partition_subalgoE8EjNS0_10empty_typeEbEEZZNS1_14partition_implILS5_8ELb0ES3_jN6thrust23THRUST_200600_302600_NS6detail15normal_iteratorINSA_10device_ptrIjEEEEPS6_PKS6_NS0_5tupleIJSF_S6_EEENSJ_IJSG_SG_EEENS0_18inequality_wrapperI22is_equal_div_10_uniqueIjEEEPmJS6_EEE10hipError_tPvRmT3_T4_T5_T6_T7_T9_mT8_P12ihipStream_tbDpT10_ENKUlT_T0_E_clISt17integral_constantIbLb1EES19_IbLb0EEEEDaS15_S16_EUlS15_E_NS1_11comp_targetILNS1_3genE10ELNS1_11target_archE1200ELNS1_3gpuE4ELNS1_3repE0EEENS1_30default_config_static_selectorELNS0_4arch9wavefront6targetE1EEEvT1_
                                        ; -- End function
	.set _ZN7rocprim17ROCPRIM_400000_NS6detail17trampoline_kernelINS0_14default_configENS1_25partition_config_selectorILNS1_17partition_subalgoE8EjNS0_10empty_typeEbEEZZNS1_14partition_implILS5_8ELb0ES3_jN6thrust23THRUST_200600_302600_NS6detail15normal_iteratorINSA_10device_ptrIjEEEEPS6_PKS6_NS0_5tupleIJSF_S6_EEENSJ_IJSG_SG_EEENS0_18inequality_wrapperI22is_equal_div_10_uniqueIjEEEPmJS6_EEE10hipError_tPvRmT3_T4_T5_T6_T7_T9_mT8_P12ihipStream_tbDpT10_ENKUlT_T0_E_clISt17integral_constantIbLb1EES19_IbLb0EEEEDaS15_S16_EUlS15_E_NS1_11comp_targetILNS1_3genE10ELNS1_11target_archE1200ELNS1_3gpuE4ELNS1_3repE0EEENS1_30default_config_static_selectorELNS0_4arch9wavefront6targetE1EEEvT1_.num_vgpr, 0
	.set _ZN7rocprim17ROCPRIM_400000_NS6detail17trampoline_kernelINS0_14default_configENS1_25partition_config_selectorILNS1_17partition_subalgoE8EjNS0_10empty_typeEbEEZZNS1_14partition_implILS5_8ELb0ES3_jN6thrust23THRUST_200600_302600_NS6detail15normal_iteratorINSA_10device_ptrIjEEEEPS6_PKS6_NS0_5tupleIJSF_S6_EEENSJ_IJSG_SG_EEENS0_18inequality_wrapperI22is_equal_div_10_uniqueIjEEEPmJS6_EEE10hipError_tPvRmT3_T4_T5_T6_T7_T9_mT8_P12ihipStream_tbDpT10_ENKUlT_T0_E_clISt17integral_constantIbLb1EES19_IbLb0EEEEDaS15_S16_EUlS15_E_NS1_11comp_targetILNS1_3genE10ELNS1_11target_archE1200ELNS1_3gpuE4ELNS1_3repE0EEENS1_30default_config_static_selectorELNS0_4arch9wavefront6targetE1EEEvT1_.num_agpr, 0
	.set _ZN7rocprim17ROCPRIM_400000_NS6detail17trampoline_kernelINS0_14default_configENS1_25partition_config_selectorILNS1_17partition_subalgoE8EjNS0_10empty_typeEbEEZZNS1_14partition_implILS5_8ELb0ES3_jN6thrust23THRUST_200600_302600_NS6detail15normal_iteratorINSA_10device_ptrIjEEEEPS6_PKS6_NS0_5tupleIJSF_S6_EEENSJ_IJSG_SG_EEENS0_18inequality_wrapperI22is_equal_div_10_uniqueIjEEEPmJS6_EEE10hipError_tPvRmT3_T4_T5_T6_T7_T9_mT8_P12ihipStream_tbDpT10_ENKUlT_T0_E_clISt17integral_constantIbLb1EES19_IbLb0EEEEDaS15_S16_EUlS15_E_NS1_11comp_targetILNS1_3genE10ELNS1_11target_archE1200ELNS1_3gpuE4ELNS1_3repE0EEENS1_30default_config_static_selectorELNS0_4arch9wavefront6targetE1EEEvT1_.numbered_sgpr, 0
	.set _ZN7rocprim17ROCPRIM_400000_NS6detail17trampoline_kernelINS0_14default_configENS1_25partition_config_selectorILNS1_17partition_subalgoE8EjNS0_10empty_typeEbEEZZNS1_14partition_implILS5_8ELb0ES3_jN6thrust23THRUST_200600_302600_NS6detail15normal_iteratorINSA_10device_ptrIjEEEEPS6_PKS6_NS0_5tupleIJSF_S6_EEENSJ_IJSG_SG_EEENS0_18inequality_wrapperI22is_equal_div_10_uniqueIjEEEPmJS6_EEE10hipError_tPvRmT3_T4_T5_T6_T7_T9_mT8_P12ihipStream_tbDpT10_ENKUlT_T0_E_clISt17integral_constantIbLb1EES19_IbLb0EEEEDaS15_S16_EUlS15_E_NS1_11comp_targetILNS1_3genE10ELNS1_11target_archE1200ELNS1_3gpuE4ELNS1_3repE0EEENS1_30default_config_static_selectorELNS0_4arch9wavefront6targetE1EEEvT1_.num_named_barrier, 0
	.set _ZN7rocprim17ROCPRIM_400000_NS6detail17trampoline_kernelINS0_14default_configENS1_25partition_config_selectorILNS1_17partition_subalgoE8EjNS0_10empty_typeEbEEZZNS1_14partition_implILS5_8ELb0ES3_jN6thrust23THRUST_200600_302600_NS6detail15normal_iteratorINSA_10device_ptrIjEEEEPS6_PKS6_NS0_5tupleIJSF_S6_EEENSJ_IJSG_SG_EEENS0_18inequality_wrapperI22is_equal_div_10_uniqueIjEEEPmJS6_EEE10hipError_tPvRmT3_T4_T5_T6_T7_T9_mT8_P12ihipStream_tbDpT10_ENKUlT_T0_E_clISt17integral_constantIbLb1EES19_IbLb0EEEEDaS15_S16_EUlS15_E_NS1_11comp_targetILNS1_3genE10ELNS1_11target_archE1200ELNS1_3gpuE4ELNS1_3repE0EEENS1_30default_config_static_selectorELNS0_4arch9wavefront6targetE1EEEvT1_.private_seg_size, 0
	.set _ZN7rocprim17ROCPRIM_400000_NS6detail17trampoline_kernelINS0_14default_configENS1_25partition_config_selectorILNS1_17partition_subalgoE8EjNS0_10empty_typeEbEEZZNS1_14partition_implILS5_8ELb0ES3_jN6thrust23THRUST_200600_302600_NS6detail15normal_iteratorINSA_10device_ptrIjEEEEPS6_PKS6_NS0_5tupleIJSF_S6_EEENSJ_IJSG_SG_EEENS0_18inequality_wrapperI22is_equal_div_10_uniqueIjEEEPmJS6_EEE10hipError_tPvRmT3_T4_T5_T6_T7_T9_mT8_P12ihipStream_tbDpT10_ENKUlT_T0_E_clISt17integral_constantIbLb1EES19_IbLb0EEEEDaS15_S16_EUlS15_E_NS1_11comp_targetILNS1_3genE10ELNS1_11target_archE1200ELNS1_3gpuE4ELNS1_3repE0EEENS1_30default_config_static_selectorELNS0_4arch9wavefront6targetE1EEEvT1_.uses_vcc, 0
	.set _ZN7rocprim17ROCPRIM_400000_NS6detail17trampoline_kernelINS0_14default_configENS1_25partition_config_selectorILNS1_17partition_subalgoE8EjNS0_10empty_typeEbEEZZNS1_14partition_implILS5_8ELb0ES3_jN6thrust23THRUST_200600_302600_NS6detail15normal_iteratorINSA_10device_ptrIjEEEEPS6_PKS6_NS0_5tupleIJSF_S6_EEENSJ_IJSG_SG_EEENS0_18inequality_wrapperI22is_equal_div_10_uniqueIjEEEPmJS6_EEE10hipError_tPvRmT3_T4_T5_T6_T7_T9_mT8_P12ihipStream_tbDpT10_ENKUlT_T0_E_clISt17integral_constantIbLb1EES19_IbLb0EEEEDaS15_S16_EUlS15_E_NS1_11comp_targetILNS1_3genE10ELNS1_11target_archE1200ELNS1_3gpuE4ELNS1_3repE0EEENS1_30default_config_static_selectorELNS0_4arch9wavefront6targetE1EEEvT1_.uses_flat_scratch, 0
	.set _ZN7rocprim17ROCPRIM_400000_NS6detail17trampoline_kernelINS0_14default_configENS1_25partition_config_selectorILNS1_17partition_subalgoE8EjNS0_10empty_typeEbEEZZNS1_14partition_implILS5_8ELb0ES3_jN6thrust23THRUST_200600_302600_NS6detail15normal_iteratorINSA_10device_ptrIjEEEEPS6_PKS6_NS0_5tupleIJSF_S6_EEENSJ_IJSG_SG_EEENS0_18inequality_wrapperI22is_equal_div_10_uniqueIjEEEPmJS6_EEE10hipError_tPvRmT3_T4_T5_T6_T7_T9_mT8_P12ihipStream_tbDpT10_ENKUlT_T0_E_clISt17integral_constantIbLb1EES19_IbLb0EEEEDaS15_S16_EUlS15_E_NS1_11comp_targetILNS1_3genE10ELNS1_11target_archE1200ELNS1_3gpuE4ELNS1_3repE0EEENS1_30default_config_static_selectorELNS0_4arch9wavefront6targetE1EEEvT1_.has_dyn_sized_stack, 0
	.set _ZN7rocprim17ROCPRIM_400000_NS6detail17trampoline_kernelINS0_14default_configENS1_25partition_config_selectorILNS1_17partition_subalgoE8EjNS0_10empty_typeEbEEZZNS1_14partition_implILS5_8ELb0ES3_jN6thrust23THRUST_200600_302600_NS6detail15normal_iteratorINSA_10device_ptrIjEEEEPS6_PKS6_NS0_5tupleIJSF_S6_EEENSJ_IJSG_SG_EEENS0_18inequality_wrapperI22is_equal_div_10_uniqueIjEEEPmJS6_EEE10hipError_tPvRmT3_T4_T5_T6_T7_T9_mT8_P12ihipStream_tbDpT10_ENKUlT_T0_E_clISt17integral_constantIbLb1EES19_IbLb0EEEEDaS15_S16_EUlS15_E_NS1_11comp_targetILNS1_3genE10ELNS1_11target_archE1200ELNS1_3gpuE4ELNS1_3repE0EEENS1_30default_config_static_selectorELNS0_4arch9wavefront6targetE1EEEvT1_.has_recursion, 0
	.set _ZN7rocprim17ROCPRIM_400000_NS6detail17trampoline_kernelINS0_14default_configENS1_25partition_config_selectorILNS1_17partition_subalgoE8EjNS0_10empty_typeEbEEZZNS1_14partition_implILS5_8ELb0ES3_jN6thrust23THRUST_200600_302600_NS6detail15normal_iteratorINSA_10device_ptrIjEEEEPS6_PKS6_NS0_5tupleIJSF_S6_EEENSJ_IJSG_SG_EEENS0_18inequality_wrapperI22is_equal_div_10_uniqueIjEEEPmJS6_EEE10hipError_tPvRmT3_T4_T5_T6_T7_T9_mT8_P12ihipStream_tbDpT10_ENKUlT_T0_E_clISt17integral_constantIbLb1EES19_IbLb0EEEEDaS15_S16_EUlS15_E_NS1_11comp_targetILNS1_3genE10ELNS1_11target_archE1200ELNS1_3gpuE4ELNS1_3repE0EEENS1_30default_config_static_selectorELNS0_4arch9wavefront6targetE1EEEvT1_.has_indirect_call, 0
	.section	.AMDGPU.csdata,"",@progbits
; Kernel info:
; codeLenInByte = 0
; TotalNumSgprs: 4
; NumVgprs: 0
; ScratchSize: 0
; MemoryBound: 0
; FloatMode: 240
; IeeeMode: 1
; LDSByteSize: 0 bytes/workgroup (compile time only)
; SGPRBlocks: 0
; VGPRBlocks: 0
; NumSGPRsForWavesPerEU: 4
; NumVGPRsForWavesPerEU: 1
; Occupancy: 10
; WaveLimiterHint : 0
; COMPUTE_PGM_RSRC2:SCRATCH_EN: 0
; COMPUTE_PGM_RSRC2:USER_SGPR: 6
; COMPUTE_PGM_RSRC2:TRAP_HANDLER: 0
; COMPUTE_PGM_RSRC2:TGID_X_EN: 1
; COMPUTE_PGM_RSRC2:TGID_Y_EN: 0
; COMPUTE_PGM_RSRC2:TGID_Z_EN: 0
; COMPUTE_PGM_RSRC2:TIDIG_COMP_CNT: 0
	.section	.text._ZN7rocprim17ROCPRIM_400000_NS6detail17trampoline_kernelINS0_14default_configENS1_25partition_config_selectorILNS1_17partition_subalgoE8EjNS0_10empty_typeEbEEZZNS1_14partition_implILS5_8ELb0ES3_jN6thrust23THRUST_200600_302600_NS6detail15normal_iteratorINSA_10device_ptrIjEEEEPS6_PKS6_NS0_5tupleIJSF_S6_EEENSJ_IJSG_SG_EEENS0_18inequality_wrapperI22is_equal_div_10_uniqueIjEEEPmJS6_EEE10hipError_tPvRmT3_T4_T5_T6_T7_T9_mT8_P12ihipStream_tbDpT10_ENKUlT_T0_E_clISt17integral_constantIbLb1EES19_IbLb0EEEEDaS15_S16_EUlS15_E_NS1_11comp_targetILNS1_3genE9ELNS1_11target_archE1100ELNS1_3gpuE3ELNS1_3repE0EEENS1_30default_config_static_selectorELNS0_4arch9wavefront6targetE1EEEvT1_,"axG",@progbits,_ZN7rocprim17ROCPRIM_400000_NS6detail17trampoline_kernelINS0_14default_configENS1_25partition_config_selectorILNS1_17partition_subalgoE8EjNS0_10empty_typeEbEEZZNS1_14partition_implILS5_8ELb0ES3_jN6thrust23THRUST_200600_302600_NS6detail15normal_iteratorINSA_10device_ptrIjEEEEPS6_PKS6_NS0_5tupleIJSF_S6_EEENSJ_IJSG_SG_EEENS0_18inequality_wrapperI22is_equal_div_10_uniqueIjEEEPmJS6_EEE10hipError_tPvRmT3_T4_T5_T6_T7_T9_mT8_P12ihipStream_tbDpT10_ENKUlT_T0_E_clISt17integral_constantIbLb1EES19_IbLb0EEEEDaS15_S16_EUlS15_E_NS1_11comp_targetILNS1_3genE9ELNS1_11target_archE1100ELNS1_3gpuE3ELNS1_3repE0EEENS1_30default_config_static_selectorELNS0_4arch9wavefront6targetE1EEEvT1_,comdat
	.protected	_ZN7rocprim17ROCPRIM_400000_NS6detail17trampoline_kernelINS0_14default_configENS1_25partition_config_selectorILNS1_17partition_subalgoE8EjNS0_10empty_typeEbEEZZNS1_14partition_implILS5_8ELb0ES3_jN6thrust23THRUST_200600_302600_NS6detail15normal_iteratorINSA_10device_ptrIjEEEEPS6_PKS6_NS0_5tupleIJSF_S6_EEENSJ_IJSG_SG_EEENS0_18inequality_wrapperI22is_equal_div_10_uniqueIjEEEPmJS6_EEE10hipError_tPvRmT3_T4_T5_T6_T7_T9_mT8_P12ihipStream_tbDpT10_ENKUlT_T0_E_clISt17integral_constantIbLb1EES19_IbLb0EEEEDaS15_S16_EUlS15_E_NS1_11comp_targetILNS1_3genE9ELNS1_11target_archE1100ELNS1_3gpuE3ELNS1_3repE0EEENS1_30default_config_static_selectorELNS0_4arch9wavefront6targetE1EEEvT1_ ; -- Begin function _ZN7rocprim17ROCPRIM_400000_NS6detail17trampoline_kernelINS0_14default_configENS1_25partition_config_selectorILNS1_17partition_subalgoE8EjNS0_10empty_typeEbEEZZNS1_14partition_implILS5_8ELb0ES3_jN6thrust23THRUST_200600_302600_NS6detail15normal_iteratorINSA_10device_ptrIjEEEEPS6_PKS6_NS0_5tupleIJSF_S6_EEENSJ_IJSG_SG_EEENS0_18inequality_wrapperI22is_equal_div_10_uniqueIjEEEPmJS6_EEE10hipError_tPvRmT3_T4_T5_T6_T7_T9_mT8_P12ihipStream_tbDpT10_ENKUlT_T0_E_clISt17integral_constantIbLb1EES19_IbLb0EEEEDaS15_S16_EUlS15_E_NS1_11comp_targetILNS1_3genE9ELNS1_11target_archE1100ELNS1_3gpuE3ELNS1_3repE0EEENS1_30default_config_static_selectorELNS0_4arch9wavefront6targetE1EEEvT1_
	.globl	_ZN7rocprim17ROCPRIM_400000_NS6detail17trampoline_kernelINS0_14default_configENS1_25partition_config_selectorILNS1_17partition_subalgoE8EjNS0_10empty_typeEbEEZZNS1_14partition_implILS5_8ELb0ES3_jN6thrust23THRUST_200600_302600_NS6detail15normal_iteratorINSA_10device_ptrIjEEEEPS6_PKS6_NS0_5tupleIJSF_S6_EEENSJ_IJSG_SG_EEENS0_18inequality_wrapperI22is_equal_div_10_uniqueIjEEEPmJS6_EEE10hipError_tPvRmT3_T4_T5_T6_T7_T9_mT8_P12ihipStream_tbDpT10_ENKUlT_T0_E_clISt17integral_constantIbLb1EES19_IbLb0EEEEDaS15_S16_EUlS15_E_NS1_11comp_targetILNS1_3genE9ELNS1_11target_archE1100ELNS1_3gpuE3ELNS1_3repE0EEENS1_30default_config_static_selectorELNS0_4arch9wavefront6targetE1EEEvT1_
	.p2align	8
	.type	_ZN7rocprim17ROCPRIM_400000_NS6detail17trampoline_kernelINS0_14default_configENS1_25partition_config_selectorILNS1_17partition_subalgoE8EjNS0_10empty_typeEbEEZZNS1_14partition_implILS5_8ELb0ES3_jN6thrust23THRUST_200600_302600_NS6detail15normal_iteratorINSA_10device_ptrIjEEEEPS6_PKS6_NS0_5tupleIJSF_S6_EEENSJ_IJSG_SG_EEENS0_18inequality_wrapperI22is_equal_div_10_uniqueIjEEEPmJS6_EEE10hipError_tPvRmT3_T4_T5_T6_T7_T9_mT8_P12ihipStream_tbDpT10_ENKUlT_T0_E_clISt17integral_constantIbLb1EES19_IbLb0EEEEDaS15_S16_EUlS15_E_NS1_11comp_targetILNS1_3genE9ELNS1_11target_archE1100ELNS1_3gpuE3ELNS1_3repE0EEENS1_30default_config_static_selectorELNS0_4arch9wavefront6targetE1EEEvT1_,@function
_ZN7rocprim17ROCPRIM_400000_NS6detail17trampoline_kernelINS0_14default_configENS1_25partition_config_selectorILNS1_17partition_subalgoE8EjNS0_10empty_typeEbEEZZNS1_14partition_implILS5_8ELb0ES3_jN6thrust23THRUST_200600_302600_NS6detail15normal_iteratorINSA_10device_ptrIjEEEEPS6_PKS6_NS0_5tupleIJSF_S6_EEENSJ_IJSG_SG_EEENS0_18inequality_wrapperI22is_equal_div_10_uniqueIjEEEPmJS6_EEE10hipError_tPvRmT3_T4_T5_T6_T7_T9_mT8_P12ihipStream_tbDpT10_ENKUlT_T0_E_clISt17integral_constantIbLb1EES19_IbLb0EEEEDaS15_S16_EUlS15_E_NS1_11comp_targetILNS1_3genE9ELNS1_11target_archE1100ELNS1_3gpuE3ELNS1_3repE0EEENS1_30default_config_static_selectorELNS0_4arch9wavefront6targetE1EEEvT1_: ; @_ZN7rocprim17ROCPRIM_400000_NS6detail17trampoline_kernelINS0_14default_configENS1_25partition_config_selectorILNS1_17partition_subalgoE8EjNS0_10empty_typeEbEEZZNS1_14partition_implILS5_8ELb0ES3_jN6thrust23THRUST_200600_302600_NS6detail15normal_iteratorINSA_10device_ptrIjEEEEPS6_PKS6_NS0_5tupleIJSF_S6_EEENSJ_IJSG_SG_EEENS0_18inequality_wrapperI22is_equal_div_10_uniqueIjEEEPmJS6_EEE10hipError_tPvRmT3_T4_T5_T6_T7_T9_mT8_P12ihipStream_tbDpT10_ENKUlT_T0_E_clISt17integral_constantIbLb1EES19_IbLb0EEEEDaS15_S16_EUlS15_E_NS1_11comp_targetILNS1_3genE9ELNS1_11target_archE1100ELNS1_3gpuE3ELNS1_3repE0EEENS1_30default_config_static_selectorELNS0_4arch9wavefront6targetE1EEEvT1_
; %bb.0:
	.section	.rodata,"a",@progbits
	.p2align	6, 0x0
	.amdhsa_kernel _ZN7rocprim17ROCPRIM_400000_NS6detail17trampoline_kernelINS0_14default_configENS1_25partition_config_selectorILNS1_17partition_subalgoE8EjNS0_10empty_typeEbEEZZNS1_14partition_implILS5_8ELb0ES3_jN6thrust23THRUST_200600_302600_NS6detail15normal_iteratorINSA_10device_ptrIjEEEEPS6_PKS6_NS0_5tupleIJSF_S6_EEENSJ_IJSG_SG_EEENS0_18inequality_wrapperI22is_equal_div_10_uniqueIjEEEPmJS6_EEE10hipError_tPvRmT3_T4_T5_T6_T7_T9_mT8_P12ihipStream_tbDpT10_ENKUlT_T0_E_clISt17integral_constantIbLb1EES19_IbLb0EEEEDaS15_S16_EUlS15_E_NS1_11comp_targetILNS1_3genE9ELNS1_11target_archE1100ELNS1_3gpuE3ELNS1_3repE0EEENS1_30default_config_static_selectorELNS0_4arch9wavefront6targetE1EEEvT1_
		.amdhsa_group_segment_fixed_size 0
		.amdhsa_private_segment_fixed_size 0
		.amdhsa_kernarg_size 112
		.amdhsa_user_sgpr_count 6
		.amdhsa_user_sgpr_private_segment_buffer 1
		.amdhsa_user_sgpr_dispatch_ptr 0
		.amdhsa_user_sgpr_queue_ptr 0
		.amdhsa_user_sgpr_kernarg_segment_ptr 1
		.amdhsa_user_sgpr_dispatch_id 0
		.amdhsa_user_sgpr_flat_scratch_init 0
		.amdhsa_user_sgpr_private_segment_size 0
		.amdhsa_uses_dynamic_stack 0
		.amdhsa_system_sgpr_private_segment_wavefront_offset 0
		.amdhsa_system_sgpr_workgroup_id_x 1
		.amdhsa_system_sgpr_workgroup_id_y 0
		.amdhsa_system_sgpr_workgroup_id_z 0
		.amdhsa_system_sgpr_workgroup_info 0
		.amdhsa_system_vgpr_workitem_id 0
		.amdhsa_next_free_vgpr 1
		.amdhsa_next_free_sgpr 0
		.amdhsa_reserve_vcc 0
		.amdhsa_reserve_flat_scratch 0
		.amdhsa_float_round_mode_32 0
		.amdhsa_float_round_mode_16_64 0
		.amdhsa_float_denorm_mode_32 3
		.amdhsa_float_denorm_mode_16_64 3
		.amdhsa_dx10_clamp 1
		.amdhsa_ieee_mode 1
		.amdhsa_fp16_overflow 0
		.amdhsa_exception_fp_ieee_invalid_op 0
		.amdhsa_exception_fp_denorm_src 0
		.amdhsa_exception_fp_ieee_div_zero 0
		.amdhsa_exception_fp_ieee_overflow 0
		.amdhsa_exception_fp_ieee_underflow 0
		.amdhsa_exception_fp_ieee_inexact 0
		.amdhsa_exception_int_div_zero 0
	.end_amdhsa_kernel
	.section	.text._ZN7rocprim17ROCPRIM_400000_NS6detail17trampoline_kernelINS0_14default_configENS1_25partition_config_selectorILNS1_17partition_subalgoE8EjNS0_10empty_typeEbEEZZNS1_14partition_implILS5_8ELb0ES3_jN6thrust23THRUST_200600_302600_NS6detail15normal_iteratorINSA_10device_ptrIjEEEEPS6_PKS6_NS0_5tupleIJSF_S6_EEENSJ_IJSG_SG_EEENS0_18inequality_wrapperI22is_equal_div_10_uniqueIjEEEPmJS6_EEE10hipError_tPvRmT3_T4_T5_T6_T7_T9_mT8_P12ihipStream_tbDpT10_ENKUlT_T0_E_clISt17integral_constantIbLb1EES19_IbLb0EEEEDaS15_S16_EUlS15_E_NS1_11comp_targetILNS1_3genE9ELNS1_11target_archE1100ELNS1_3gpuE3ELNS1_3repE0EEENS1_30default_config_static_selectorELNS0_4arch9wavefront6targetE1EEEvT1_,"axG",@progbits,_ZN7rocprim17ROCPRIM_400000_NS6detail17trampoline_kernelINS0_14default_configENS1_25partition_config_selectorILNS1_17partition_subalgoE8EjNS0_10empty_typeEbEEZZNS1_14partition_implILS5_8ELb0ES3_jN6thrust23THRUST_200600_302600_NS6detail15normal_iteratorINSA_10device_ptrIjEEEEPS6_PKS6_NS0_5tupleIJSF_S6_EEENSJ_IJSG_SG_EEENS0_18inequality_wrapperI22is_equal_div_10_uniqueIjEEEPmJS6_EEE10hipError_tPvRmT3_T4_T5_T6_T7_T9_mT8_P12ihipStream_tbDpT10_ENKUlT_T0_E_clISt17integral_constantIbLb1EES19_IbLb0EEEEDaS15_S16_EUlS15_E_NS1_11comp_targetILNS1_3genE9ELNS1_11target_archE1100ELNS1_3gpuE3ELNS1_3repE0EEENS1_30default_config_static_selectorELNS0_4arch9wavefront6targetE1EEEvT1_,comdat
.Lfunc_end264:
	.size	_ZN7rocprim17ROCPRIM_400000_NS6detail17trampoline_kernelINS0_14default_configENS1_25partition_config_selectorILNS1_17partition_subalgoE8EjNS0_10empty_typeEbEEZZNS1_14partition_implILS5_8ELb0ES3_jN6thrust23THRUST_200600_302600_NS6detail15normal_iteratorINSA_10device_ptrIjEEEEPS6_PKS6_NS0_5tupleIJSF_S6_EEENSJ_IJSG_SG_EEENS0_18inequality_wrapperI22is_equal_div_10_uniqueIjEEEPmJS6_EEE10hipError_tPvRmT3_T4_T5_T6_T7_T9_mT8_P12ihipStream_tbDpT10_ENKUlT_T0_E_clISt17integral_constantIbLb1EES19_IbLb0EEEEDaS15_S16_EUlS15_E_NS1_11comp_targetILNS1_3genE9ELNS1_11target_archE1100ELNS1_3gpuE3ELNS1_3repE0EEENS1_30default_config_static_selectorELNS0_4arch9wavefront6targetE1EEEvT1_, .Lfunc_end264-_ZN7rocprim17ROCPRIM_400000_NS6detail17trampoline_kernelINS0_14default_configENS1_25partition_config_selectorILNS1_17partition_subalgoE8EjNS0_10empty_typeEbEEZZNS1_14partition_implILS5_8ELb0ES3_jN6thrust23THRUST_200600_302600_NS6detail15normal_iteratorINSA_10device_ptrIjEEEEPS6_PKS6_NS0_5tupleIJSF_S6_EEENSJ_IJSG_SG_EEENS0_18inequality_wrapperI22is_equal_div_10_uniqueIjEEEPmJS6_EEE10hipError_tPvRmT3_T4_T5_T6_T7_T9_mT8_P12ihipStream_tbDpT10_ENKUlT_T0_E_clISt17integral_constantIbLb1EES19_IbLb0EEEEDaS15_S16_EUlS15_E_NS1_11comp_targetILNS1_3genE9ELNS1_11target_archE1100ELNS1_3gpuE3ELNS1_3repE0EEENS1_30default_config_static_selectorELNS0_4arch9wavefront6targetE1EEEvT1_
                                        ; -- End function
	.set _ZN7rocprim17ROCPRIM_400000_NS6detail17trampoline_kernelINS0_14default_configENS1_25partition_config_selectorILNS1_17partition_subalgoE8EjNS0_10empty_typeEbEEZZNS1_14partition_implILS5_8ELb0ES3_jN6thrust23THRUST_200600_302600_NS6detail15normal_iteratorINSA_10device_ptrIjEEEEPS6_PKS6_NS0_5tupleIJSF_S6_EEENSJ_IJSG_SG_EEENS0_18inequality_wrapperI22is_equal_div_10_uniqueIjEEEPmJS6_EEE10hipError_tPvRmT3_T4_T5_T6_T7_T9_mT8_P12ihipStream_tbDpT10_ENKUlT_T0_E_clISt17integral_constantIbLb1EES19_IbLb0EEEEDaS15_S16_EUlS15_E_NS1_11comp_targetILNS1_3genE9ELNS1_11target_archE1100ELNS1_3gpuE3ELNS1_3repE0EEENS1_30default_config_static_selectorELNS0_4arch9wavefront6targetE1EEEvT1_.num_vgpr, 0
	.set _ZN7rocprim17ROCPRIM_400000_NS6detail17trampoline_kernelINS0_14default_configENS1_25partition_config_selectorILNS1_17partition_subalgoE8EjNS0_10empty_typeEbEEZZNS1_14partition_implILS5_8ELb0ES3_jN6thrust23THRUST_200600_302600_NS6detail15normal_iteratorINSA_10device_ptrIjEEEEPS6_PKS6_NS0_5tupleIJSF_S6_EEENSJ_IJSG_SG_EEENS0_18inequality_wrapperI22is_equal_div_10_uniqueIjEEEPmJS6_EEE10hipError_tPvRmT3_T4_T5_T6_T7_T9_mT8_P12ihipStream_tbDpT10_ENKUlT_T0_E_clISt17integral_constantIbLb1EES19_IbLb0EEEEDaS15_S16_EUlS15_E_NS1_11comp_targetILNS1_3genE9ELNS1_11target_archE1100ELNS1_3gpuE3ELNS1_3repE0EEENS1_30default_config_static_selectorELNS0_4arch9wavefront6targetE1EEEvT1_.num_agpr, 0
	.set _ZN7rocprim17ROCPRIM_400000_NS6detail17trampoline_kernelINS0_14default_configENS1_25partition_config_selectorILNS1_17partition_subalgoE8EjNS0_10empty_typeEbEEZZNS1_14partition_implILS5_8ELb0ES3_jN6thrust23THRUST_200600_302600_NS6detail15normal_iteratorINSA_10device_ptrIjEEEEPS6_PKS6_NS0_5tupleIJSF_S6_EEENSJ_IJSG_SG_EEENS0_18inequality_wrapperI22is_equal_div_10_uniqueIjEEEPmJS6_EEE10hipError_tPvRmT3_T4_T5_T6_T7_T9_mT8_P12ihipStream_tbDpT10_ENKUlT_T0_E_clISt17integral_constantIbLb1EES19_IbLb0EEEEDaS15_S16_EUlS15_E_NS1_11comp_targetILNS1_3genE9ELNS1_11target_archE1100ELNS1_3gpuE3ELNS1_3repE0EEENS1_30default_config_static_selectorELNS0_4arch9wavefront6targetE1EEEvT1_.numbered_sgpr, 0
	.set _ZN7rocprim17ROCPRIM_400000_NS6detail17trampoline_kernelINS0_14default_configENS1_25partition_config_selectorILNS1_17partition_subalgoE8EjNS0_10empty_typeEbEEZZNS1_14partition_implILS5_8ELb0ES3_jN6thrust23THRUST_200600_302600_NS6detail15normal_iteratorINSA_10device_ptrIjEEEEPS6_PKS6_NS0_5tupleIJSF_S6_EEENSJ_IJSG_SG_EEENS0_18inequality_wrapperI22is_equal_div_10_uniqueIjEEEPmJS6_EEE10hipError_tPvRmT3_T4_T5_T6_T7_T9_mT8_P12ihipStream_tbDpT10_ENKUlT_T0_E_clISt17integral_constantIbLb1EES19_IbLb0EEEEDaS15_S16_EUlS15_E_NS1_11comp_targetILNS1_3genE9ELNS1_11target_archE1100ELNS1_3gpuE3ELNS1_3repE0EEENS1_30default_config_static_selectorELNS0_4arch9wavefront6targetE1EEEvT1_.num_named_barrier, 0
	.set _ZN7rocprim17ROCPRIM_400000_NS6detail17trampoline_kernelINS0_14default_configENS1_25partition_config_selectorILNS1_17partition_subalgoE8EjNS0_10empty_typeEbEEZZNS1_14partition_implILS5_8ELb0ES3_jN6thrust23THRUST_200600_302600_NS6detail15normal_iteratorINSA_10device_ptrIjEEEEPS6_PKS6_NS0_5tupleIJSF_S6_EEENSJ_IJSG_SG_EEENS0_18inequality_wrapperI22is_equal_div_10_uniqueIjEEEPmJS6_EEE10hipError_tPvRmT3_T4_T5_T6_T7_T9_mT8_P12ihipStream_tbDpT10_ENKUlT_T0_E_clISt17integral_constantIbLb1EES19_IbLb0EEEEDaS15_S16_EUlS15_E_NS1_11comp_targetILNS1_3genE9ELNS1_11target_archE1100ELNS1_3gpuE3ELNS1_3repE0EEENS1_30default_config_static_selectorELNS0_4arch9wavefront6targetE1EEEvT1_.private_seg_size, 0
	.set _ZN7rocprim17ROCPRIM_400000_NS6detail17trampoline_kernelINS0_14default_configENS1_25partition_config_selectorILNS1_17partition_subalgoE8EjNS0_10empty_typeEbEEZZNS1_14partition_implILS5_8ELb0ES3_jN6thrust23THRUST_200600_302600_NS6detail15normal_iteratorINSA_10device_ptrIjEEEEPS6_PKS6_NS0_5tupleIJSF_S6_EEENSJ_IJSG_SG_EEENS0_18inequality_wrapperI22is_equal_div_10_uniqueIjEEEPmJS6_EEE10hipError_tPvRmT3_T4_T5_T6_T7_T9_mT8_P12ihipStream_tbDpT10_ENKUlT_T0_E_clISt17integral_constantIbLb1EES19_IbLb0EEEEDaS15_S16_EUlS15_E_NS1_11comp_targetILNS1_3genE9ELNS1_11target_archE1100ELNS1_3gpuE3ELNS1_3repE0EEENS1_30default_config_static_selectorELNS0_4arch9wavefront6targetE1EEEvT1_.uses_vcc, 0
	.set _ZN7rocprim17ROCPRIM_400000_NS6detail17trampoline_kernelINS0_14default_configENS1_25partition_config_selectorILNS1_17partition_subalgoE8EjNS0_10empty_typeEbEEZZNS1_14partition_implILS5_8ELb0ES3_jN6thrust23THRUST_200600_302600_NS6detail15normal_iteratorINSA_10device_ptrIjEEEEPS6_PKS6_NS0_5tupleIJSF_S6_EEENSJ_IJSG_SG_EEENS0_18inequality_wrapperI22is_equal_div_10_uniqueIjEEEPmJS6_EEE10hipError_tPvRmT3_T4_T5_T6_T7_T9_mT8_P12ihipStream_tbDpT10_ENKUlT_T0_E_clISt17integral_constantIbLb1EES19_IbLb0EEEEDaS15_S16_EUlS15_E_NS1_11comp_targetILNS1_3genE9ELNS1_11target_archE1100ELNS1_3gpuE3ELNS1_3repE0EEENS1_30default_config_static_selectorELNS0_4arch9wavefront6targetE1EEEvT1_.uses_flat_scratch, 0
	.set _ZN7rocprim17ROCPRIM_400000_NS6detail17trampoline_kernelINS0_14default_configENS1_25partition_config_selectorILNS1_17partition_subalgoE8EjNS0_10empty_typeEbEEZZNS1_14partition_implILS5_8ELb0ES3_jN6thrust23THRUST_200600_302600_NS6detail15normal_iteratorINSA_10device_ptrIjEEEEPS6_PKS6_NS0_5tupleIJSF_S6_EEENSJ_IJSG_SG_EEENS0_18inequality_wrapperI22is_equal_div_10_uniqueIjEEEPmJS6_EEE10hipError_tPvRmT3_T4_T5_T6_T7_T9_mT8_P12ihipStream_tbDpT10_ENKUlT_T0_E_clISt17integral_constantIbLb1EES19_IbLb0EEEEDaS15_S16_EUlS15_E_NS1_11comp_targetILNS1_3genE9ELNS1_11target_archE1100ELNS1_3gpuE3ELNS1_3repE0EEENS1_30default_config_static_selectorELNS0_4arch9wavefront6targetE1EEEvT1_.has_dyn_sized_stack, 0
	.set _ZN7rocprim17ROCPRIM_400000_NS6detail17trampoline_kernelINS0_14default_configENS1_25partition_config_selectorILNS1_17partition_subalgoE8EjNS0_10empty_typeEbEEZZNS1_14partition_implILS5_8ELb0ES3_jN6thrust23THRUST_200600_302600_NS6detail15normal_iteratorINSA_10device_ptrIjEEEEPS6_PKS6_NS0_5tupleIJSF_S6_EEENSJ_IJSG_SG_EEENS0_18inequality_wrapperI22is_equal_div_10_uniqueIjEEEPmJS6_EEE10hipError_tPvRmT3_T4_T5_T6_T7_T9_mT8_P12ihipStream_tbDpT10_ENKUlT_T0_E_clISt17integral_constantIbLb1EES19_IbLb0EEEEDaS15_S16_EUlS15_E_NS1_11comp_targetILNS1_3genE9ELNS1_11target_archE1100ELNS1_3gpuE3ELNS1_3repE0EEENS1_30default_config_static_selectorELNS0_4arch9wavefront6targetE1EEEvT1_.has_recursion, 0
	.set _ZN7rocprim17ROCPRIM_400000_NS6detail17trampoline_kernelINS0_14default_configENS1_25partition_config_selectorILNS1_17partition_subalgoE8EjNS0_10empty_typeEbEEZZNS1_14partition_implILS5_8ELb0ES3_jN6thrust23THRUST_200600_302600_NS6detail15normal_iteratorINSA_10device_ptrIjEEEEPS6_PKS6_NS0_5tupleIJSF_S6_EEENSJ_IJSG_SG_EEENS0_18inequality_wrapperI22is_equal_div_10_uniqueIjEEEPmJS6_EEE10hipError_tPvRmT3_T4_T5_T6_T7_T9_mT8_P12ihipStream_tbDpT10_ENKUlT_T0_E_clISt17integral_constantIbLb1EES19_IbLb0EEEEDaS15_S16_EUlS15_E_NS1_11comp_targetILNS1_3genE9ELNS1_11target_archE1100ELNS1_3gpuE3ELNS1_3repE0EEENS1_30default_config_static_selectorELNS0_4arch9wavefront6targetE1EEEvT1_.has_indirect_call, 0
	.section	.AMDGPU.csdata,"",@progbits
; Kernel info:
; codeLenInByte = 0
; TotalNumSgprs: 4
; NumVgprs: 0
; ScratchSize: 0
; MemoryBound: 0
; FloatMode: 240
; IeeeMode: 1
; LDSByteSize: 0 bytes/workgroup (compile time only)
; SGPRBlocks: 0
; VGPRBlocks: 0
; NumSGPRsForWavesPerEU: 4
; NumVGPRsForWavesPerEU: 1
; Occupancy: 10
; WaveLimiterHint : 0
; COMPUTE_PGM_RSRC2:SCRATCH_EN: 0
; COMPUTE_PGM_RSRC2:USER_SGPR: 6
; COMPUTE_PGM_RSRC2:TRAP_HANDLER: 0
; COMPUTE_PGM_RSRC2:TGID_X_EN: 1
; COMPUTE_PGM_RSRC2:TGID_Y_EN: 0
; COMPUTE_PGM_RSRC2:TGID_Z_EN: 0
; COMPUTE_PGM_RSRC2:TIDIG_COMP_CNT: 0
	.section	.text._ZN7rocprim17ROCPRIM_400000_NS6detail17trampoline_kernelINS0_14default_configENS1_25partition_config_selectorILNS1_17partition_subalgoE8EjNS0_10empty_typeEbEEZZNS1_14partition_implILS5_8ELb0ES3_jN6thrust23THRUST_200600_302600_NS6detail15normal_iteratorINSA_10device_ptrIjEEEEPS6_PKS6_NS0_5tupleIJSF_S6_EEENSJ_IJSG_SG_EEENS0_18inequality_wrapperI22is_equal_div_10_uniqueIjEEEPmJS6_EEE10hipError_tPvRmT3_T4_T5_T6_T7_T9_mT8_P12ihipStream_tbDpT10_ENKUlT_T0_E_clISt17integral_constantIbLb1EES19_IbLb0EEEEDaS15_S16_EUlS15_E_NS1_11comp_targetILNS1_3genE8ELNS1_11target_archE1030ELNS1_3gpuE2ELNS1_3repE0EEENS1_30default_config_static_selectorELNS0_4arch9wavefront6targetE1EEEvT1_,"axG",@progbits,_ZN7rocprim17ROCPRIM_400000_NS6detail17trampoline_kernelINS0_14default_configENS1_25partition_config_selectorILNS1_17partition_subalgoE8EjNS0_10empty_typeEbEEZZNS1_14partition_implILS5_8ELb0ES3_jN6thrust23THRUST_200600_302600_NS6detail15normal_iteratorINSA_10device_ptrIjEEEEPS6_PKS6_NS0_5tupleIJSF_S6_EEENSJ_IJSG_SG_EEENS0_18inequality_wrapperI22is_equal_div_10_uniqueIjEEEPmJS6_EEE10hipError_tPvRmT3_T4_T5_T6_T7_T9_mT8_P12ihipStream_tbDpT10_ENKUlT_T0_E_clISt17integral_constantIbLb1EES19_IbLb0EEEEDaS15_S16_EUlS15_E_NS1_11comp_targetILNS1_3genE8ELNS1_11target_archE1030ELNS1_3gpuE2ELNS1_3repE0EEENS1_30default_config_static_selectorELNS0_4arch9wavefront6targetE1EEEvT1_,comdat
	.protected	_ZN7rocprim17ROCPRIM_400000_NS6detail17trampoline_kernelINS0_14default_configENS1_25partition_config_selectorILNS1_17partition_subalgoE8EjNS0_10empty_typeEbEEZZNS1_14partition_implILS5_8ELb0ES3_jN6thrust23THRUST_200600_302600_NS6detail15normal_iteratorINSA_10device_ptrIjEEEEPS6_PKS6_NS0_5tupleIJSF_S6_EEENSJ_IJSG_SG_EEENS0_18inequality_wrapperI22is_equal_div_10_uniqueIjEEEPmJS6_EEE10hipError_tPvRmT3_T4_T5_T6_T7_T9_mT8_P12ihipStream_tbDpT10_ENKUlT_T0_E_clISt17integral_constantIbLb1EES19_IbLb0EEEEDaS15_S16_EUlS15_E_NS1_11comp_targetILNS1_3genE8ELNS1_11target_archE1030ELNS1_3gpuE2ELNS1_3repE0EEENS1_30default_config_static_selectorELNS0_4arch9wavefront6targetE1EEEvT1_ ; -- Begin function _ZN7rocprim17ROCPRIM_400000_NS6detail17trampoline_kernelINS0_14default_configENS1_25partition_config_selectorILNS1_17partition_subalgoE8EjNS0_10empty_typeEbEEZZNS1_14partition_implILS5_8ELb0ES3_jN6thrust23THRUST_200600_302600_NS6detail15normal_iteratorINSA_10device_ptrIjEEEEPS6_PKS6_NS0_5tupleIJSF_S6_EEENSJ_IJSG_SG_EEENS0_18inequality_wrapperI22is_equal_div_10_uniqueIjEEEPmJS6_EEE10hipError_tPvRmT3_T4_T5_T6_T7_T9_mT8_P12ihipStream_tbDpT10_ENKUlT_T0_E_clISt17integral_constantIbLb1EES19_IbLb0EEEEDaS15_S16_EUlS15_E_NS1_11comp_targetILNS1_3genE8ELNS1_11target_archE1030ELNS1_3gpuE2ELNS1_3repE0EEENS1_30default_config_static_selectorELNS0_4arch9wavefront6targetE1EEEvT1_
	.globl	_ZN7rocprim17ROCPRIM_400000_NS6detail17trampoline_kernelINS0_14default_configENS1_25partition_config_selectorILNS1_17partition_subalgoE8EjNS0_10empty_typeEbEEZZNS1_14partition_implILS5_8ELb0ES3_jN6thrust23THRUST_200600_302600_NS6detail15normal_iteratorINSA_10device_ptrIjEEEEPS6_PKS6_NS0_5tupleIJSF_S6_EEENSJ_IJSG_SG_EEENS0_18inequality_wrapperI22is_equal_div_10_uniqueIjEEEPmJS6_EEE10hipError_tPvRmT3_T4_T5_T6_T7_T9_mT8_P12ihipStream_tbDpT10_ENKUlT_T0_E_clISt17integral_constantIbLb1EES19_IbLb0EEEEDaS15_S16_EUlS15_E_NS1_11comp_targetILNS1_3genE8ELNS1_11target_archE1030ELNS1_3gpuE2ELNS1_3repE0EEENS1_30default_config_static_selectorELNS0_4arch9wavefront6targetE1EEEvT1_
	.p2align	8
	.type	_ZN7rocprim17ROCPRIM_400000_NS6detail17trampoline_kernelINS0_14default_configENS1_25partition_config_selectorILNS1_17partition_subalgoE8EjNS0_10empty_typeEbEEZZNS1_14partition_implILS5_8ELb0ES3_jN6thrust23THRUST_200600_302600_NS6detail15normal_iteratorINSA_10device_ptrIjEEEEPS6_PKS6_NS0_5tupleIJSF_S6_EEENSJ_IJSG_SG_EEENS0_18inequality_wrapperI22is_equal_div_10_uniqueIjEEEPmJS6_EEE10hipError_tPvRmT3_T4_T5_T6_T7_T9_mT8_P12ihipStream_tbDpT10_ENKUlT_T0_E_clISt17integral_constantIbLb1EES19_IbLb0EEEEDaS15_S16_EUlS15_E_NS1_11comp_targetILNS1_3genE8ELNS1_11target_archE1030ELNS1_3gpuE2ELNS1_3repE0EEENS1_30default_config_static_selectorELNS0_4arch9wavefront6targetE1EEEvT1_,@function
_ZN7rocprim17ROCPRIM_400000_NS6detail17trampoline_kernelINS0_14default_configENS1_25partition_config_selectorILNS1_17partition_subalgoE8EjNS0_10empty_typeEbEEZZNS1_14partition_implILS5_8ELb0ES3_jN6thrust23THRUST_200600_302600_NS6detail15normal_iteratorINSA_10device_ptrIjEEEEPS6_PKS6_NS0_5tupleIJSF_S6_EEENSJ_IJSG_SG_EEENS0_18inequality_wrapperI22is_equal_div_10_uniqueIjEEEPmJS6_EEE10hipError_tPvRmT3_T4_T5_T6_T7_T9_mT8_P12ihipStream_tbDpT10_ENKUlT_T0_E_clISt17integral_constantIbLb1EES19_IbLb0EEEEDaS15_S16_EUlS15_E_NS1_11comp_targetILNS1_3genE8ELNS1_11target_archE1030ELNS1_3gpuE2ELNS1_3repE0EEENS1_30default_config_static_selectorELNS0_4arch9wavefront6targetE1EEEvT1_: ; @_ZN7rocprim17ROCPRIM_400000_NS6detail17trampoline_kernelINS0_14default_configENS1_25partition_config_selectorILNS1_17partition_subalgoE8EjNS0_10empty_typeEbEEZZNS1_14partition_implILS5_8ELb0ES3_jN6thrust23THRUST_200600_302600_NS6detail15normal_iteratorINSA_10device_ptrIjEEEEPS6_PKS6_NS0_5tupleIJSF_S6_EEENSJ_IJSG_SG_EEENS0_18inequality_wrapperI22is_equal_div_10_uniqueIjEEEPmJS6_EEE10hipError_tPvRmT3_T4_T5_T6_T7_T9_mT8_P12ihipStream_tbDpT10_ENKUlT_T0_E_clISt17integral_constantIbLb1EES19_IbLb0EEEEDaS15_S16_EUlS15_E_NS1_11comp_targetILNS1_3genE8ELNS1_11target_archE1030ELNS1_3gpuE2ELNS1_3repE0EEENS1_30default_config_static_selectorELNS0_4arch9wavefront6targetE1EEEvT1_
; %bb.0:
	.section	.rodata,"a",@progbits
	.p2align	6, 0x0
	.amdhsa_kernel _ZN7rocprim17ROCPRIM_400000_NS6detail17trampoline_kernelINS0_14default_configENS1_25partition_config_selectorILNS1_17partition_subalgoE8EjNS0_10empty_typeEbEEZZNS1_14partition_implILS5_8ELb0ES3_jN6thrust23THRUST_200600_302600_NS6detail15normal_iteratorINSA_10device_ptrIjEEEEPS6_PKS6_NS0_5tupleIJSF_S6_EEENSJ_IJSG_SG_EEENS0_18inequality_wrapperI22is_equal_div_10_uniqueIjEEEPmJS6_EEE10hipError_tPvRmT3_T4_T5_T6_T7_T9_mT8_P12ihipStream_tbDpT10_ENKUlT_T0_E_clISt17integral_constantIbLb1EES19_IbLb0EEEEDaS15_S16_EUlS15_E_NS1_11comp_targetILNS1_3genE8ELNS1_11target_archE1030ELNS1_3gpuE2ELNS1_3repE0EEENS1_30default_config_static_selectorELNS0_4arch9wavefront6targetE1EEEvT1_
		.amdhsa_group_segment_fixed_size 0
		.amdhsa_private_segment_fixed_size 0
		.amdhsa_kernarg_size 112
		.amdhsa_user_sgpr_count 6
		.amdhsa_user_sgpr_private_segment_buffer 1
		.amdhsa_user_sgpr_dispatch_ptr 0
		.amdhsa_user_sgpr_queue_ptr 0
		.amdhsa_user_sgpr_kernarg_segment_ptr 1
		.amdhsa_user_sgpr_dispatch_id 0
		.amdhsa_user_sgpr_flat_scratch_init 0
		.amdhsa_user_sgpr_private_segment_size 0
		.amdhsa_uses_dynamic_stack 0
		.amdhsa_system_sgpr_private_segment_wavefront_offset 0
		.amdhsa_system_sgpr_workgroup_id_x 1
		.amdhsa_system_sgpr_workgroup_id_y 0
		.amdhsa_system_sgpr_workgroup_id_z 0
		.amdhsa_system_sgpr_workgroup_info 0
		.amdhsa_system_vgpr_workitem_id 0
		.amdhsa_next_free_vgpr 1
		.amdhsa_next_free_sgpr 0
		.amdhsa_reserve_vcc 0
		.amdhsa_reserve_flat_scratch 0
		.amdhsa_float_round_mode_32 0
		.amdhsa_float_round_mode_16_64 0
		.amdhsa_float_denorm_mode_32 3
		.amdhsa_float_denorm_mode_16_64 3
		.amdhsa_dx10_clamp 1
		.amdhsa_ieee_mode 1
		.amdhsa_fp16_overflow 0
		.amdhsa_exception_fp_ieee_invalid_op 0
		.amdhsa_exception_fp_denorm_src 0
		.amdhsa_exception_fp_ieee_div_zero 0
		.amdhsa_exception_fp_ieee_overflow 0
		.amdhsa_exception_fp_ieee_underflow 0
		.amdhsa_exception_fp_ieee_inexact 0
		.amdhsa_exception_int_div_zero 0
	.end_amdhsa_kernel
	.section	.text._ZN7rocprim17ROCPRIM_400000_NS6detail17trampoline_kernelINS0_14default_configENS1_25partition_config_selectorILNS1_17partition_subalgoE8EjNS0_10empty_typeEbEEZZNS1_14partition_implILS5_8ELb0ES3_jN6thrust23THRUST_200600_302600_NS6detail15normal_iteratorINSA_10device_ptrIjEEEEPS6_PKS6_NS0_5tupleIJSF_S6_EEENSJ_IJSG_SG_EEENS0_18inequality_wrapperI22is_equal_div_10_uniqueIjEEEPmJS6_EEE10hipError_tPvRmT3_T4_T5_T6_T7_T9_mT8_P12ihipStream_tbDpT10_ENKUlT_T0_E_clISt17integral_constantIbLb1EES19_IbLb0EEEEDaS15_S16_EUlS15_E_NS1_11comp_targetILNS1_3genE8ELNS1_11target_archE1030ELNS1_3gpuE2ELNS1_3repE0EEENS1_30default_config_static_selectorELNS0_4arch9wavefront6targetE1EEEvT1_,"axG",@progbits,_ZN7rocprim17ROCPRIM_400000_NS6detail17trampoline_kernelINS0_14default_configENS1_25partition_config_selectorILNS1_17partition_subalgoE8EjNS0_10empty_typeEbEEZZNS1_14partition_implILS5_8ELb0ES3_jN6thrust23THRUST_200600_302600_NS6detail15normal_iteratorINSA_10device_ptrIjEEEEPS6_PKS6_NS0_5tupleIJSF_S6_EEENSJ_IJSG_SG_EEENS0_18inequality_wrapperI22is_equal_div_10_uniqueIjEEEPmJS6_EEE10hipError_tPvRmT3_T4_T5_T6_T7_T9_mT8_P12ihipStream_tbDpT10_ENKUlT_T0_E_clISt17integral_constantIbLb1EES19_IbLb0EEEEDaS15_S16_EUlS15_E_NS1_11comp_targetILNS1_3genE8ELNS1_11target_archE1030ELNS1_3gpuE2ELNS1_3repE0EEENS1_30default_config_static_selectorELNS0_4arch9wavefront6targetE1EEEvT1_,comdat
.Lfunc_end265:
	.size	_ZN7rocprim17ROCPRIM_400000_NS6detail17trampoline_kernelINS0_14default_configENS1_25partition_config_selectorILNS1_17partition_subalgoE8EjNS0_10empty_typeEbEEZZNS1_14partition_implILS5_8ELb0ES3_jN6thrust23THRUST_200600_302600_NS6detail15normal_iteratorINSA_10device_ptrIjEEEEPS6_PKS6_NS0_5tupleIJSF_S6_EEENSJ_IJSG_SG_EEENS0_18inequality_wrapperI22is_equal_div_10_uniqueIjEEEPmJS6_EEE10hipError_tPvRmT3_T4_T5_T6_T7_T9_mT8_P12ihipStream_tbDpT10_ENKUlT_T0_E_clISt17integral_constantIbLb1EES19_IbLb0EEEEDaS15_S16_EUlS15_E_NS1_11comp_targetILNS1_3genE8ELNS1_11target_archE1030ELNS1_3gpuE2ELNS1_3repE0EEENS1_30default_config_static_selectorELNS0_4arch9wavefront6targetE1EEEvT1_, .Lfunc_end265-_ZN7rocprim17ROCPRIM_400000_NS6detail17trampoline_kernelINS0_14default_configENS1_25partition_config_selectorILNS1_17partition_subalgoE8EjNS0_10empty_typeEbEEZZNS1_14partition_implILS5_8ELb0ES3_jN6thrust23THRUST_200600_302600_NS6detail15normal_iteratorINSA_10device_ptrIjEEEEPS6_PKS6_NS0_5tupleIJSF_S6_EEENSJ_IJSG_SG_EEENS0_18inequality_wrapperI22is_equal_div_10_uniqueIjEEEPmJS6_EEE10hipError_tPvRmT3_T4_T5_T6_T7_T9_mT8_P12ihipStream_tbDpT10_ENKUlT_T0_E_clISt17integral_constantIbLb1EES19_IbLb0EEEEDaS15_S16_EUlS15_E_NS1_11comp_targetILNS1_3genE8ELNS1_11target_archE1030ELNS1_3gpuE2ELNS1_3repE0EEENS1_30default_config_static_selectorELNS0_4arch9wavefront6targetE1EEEvT1_
                                        ; -- End function
	.set _ZN7rocprim17ROCPRIM_400000_NS6detail17trampoline_kernelINS0_14default_configENS1_25partition_config_selectorILNS1_17partition_subalgoE8EjNS0_10empty_typeEbEEZZNS1_14partition_implILS5_8ELb0ES3_jN6thrust23THRUST_200600_302600_NS6detail15normal_iteratorINSA_10device_ptrIjEEEEPS6_PKS6_NS0_5tupleIJSF_S6_EEENSJ_IJSG_SG_EEENS0_18inequality_wrapperI22is_equal_div_10_uniqueIjEEEPmJS6_EEE10hipError_tPvRmT3_T4_T5_T6_T7_T9_mT8_P12ihipStream_tbDpT10_ENKUlT_T0_E_clISt17integral_constantIbLb1EES19_IbLb0EEEEDaS15_S16_EUlS15_E_NS1_11comp_targetILNS1_3genE8ELNS1_11target_archE1030ELNS1_3gpuE2ELNS1_3repE0EEENS1_30default_config_static_selectorELNS0_4arch9wavefront6targetE1EEEvT1_.num_vgpr, 0
	.set _ZN7rocprim17ROCPRIM_400000_NS6detail17trampoline_kernelINS0_14default_configENS1_25partition_config_selectorILNS1_17partition_subalgoE8EjNS0_10empty_typeEbEEZZNS1_14partition_implILS5_8ELb0ES3_jN6thrust23THRUST_200600_302600_NS6detail15normal_iteratorINSA_10device_ptrIjEEEEPS6_PKS6_NS0_5tupleIJSF_S6_EEENSJ_IJSG_SG_EEENS0_18inequality_wrapperI22is_equal_div_10_uniqueIjEEEPmJS6_EEE10hipError_tPvRmT3_T4_T5_T6_T7_T9_mT8_P12ihipStream_tbDpT10_ENKUlT_T0_E_clISt17integral_constantIbLb1EES19_IbLb0EEEEDaS15_S16_EUlS15_E_NS1_11comp_targetILNS1_3genE8ELNS1_11target_archE1030ELNS1_3gpuE2ELNS1_3repE0EEENS1_30default_config_static_selectorELNS0_4arch9wavefront6targetE1EEEvT1_.num_agpr, 0
	.set _ZN7rocprim17ROCPRIM_400000_NS6detail17trampoline_kernelINS0_14default_configENS1_25partition_config_selectorILNS1_17partition_subalgoE8EjNS0_10empty_typeEbEEZZNS1_14partition_implILS5_8ELb0ES3_jN6thrust23THRUST_200600_302600_NS6detail15normal_iteratorINSA_10device_ptrIjEEEEPS6_PKS6_NS0_5tupleIJSF_S6_EEENSJ_IJSG_SG_EEENS0_18inequality_wrapperI22is_equal_div_10_uniqueIjEEEPmJS6_EEE10hipError_tPvRmT3_T4_T5_T6_T7_T9_mT8_P12ihipStream_tbDpT10_ENKUlT_T0_E_clISt17integral_constantIbLb1EES19_IbLb0EEEEDaS15_S16_EUlS15_E_NS1_11comp_targetILNS1_3genE8ELNS1_11target_archE1030ELNS1_3gpuE2ELNS1_3repE0EEENS1_30default_config_static_selectorELNS0_4arch9wavefront6targetE1EEEvT1_.numbered_sgpr, 0
	.set _ZN7rocprim17ROCPRIM_400000_NS6detail17trampoline_kernelINS0_14default_configENS1_25partition_config_selectorILNS1_17partition_subalgoE8EjNS0_10empty_typeEbEEZZNS1_14partition_implILS5_8ELb0ES3_jN6thrust23THRUST_200600_302600_NS6detail15normal_iteratorINSA_10device_ptrIjEEEEPS6_PKS6_NS0_5tupleIJSF_S6_EEENSJ_IJSG_SG_EEENS0_18inequality_wrapperI22is_equal_div_10_uniqueIjEEEPmJS6_EEE10hipError_tPvRmT3_T4_T5_T6_T7_T9_mT8_P12ihipStream_tbDpT10_ENKUlT_T0_E_clISt17integral_constantIbLb1EES19_IbLb0EEEEDaS15_S16_EUlS15_E_NS1_11comp_targetILNS1_3genE8ELNS1_11target_archE1030ELNS1_3gpuE2ELNS1_3repE0EEENS1_30default_config_static_selectorELNS0_4arch9wavefront6targetE1EEEvT1_.num_named_barrier, 0
	.set _ZN7rocprim17ROCPRIM_400000_NS6detail17trampoline_kernelINS0_14default_configENS1_25partition_config_selectorILNS1_17partition_subalgoE8EjNS0_10empty_typeEbEEZZNS1_14partition_implILS5_8ELb0ES3_jN6thrust23THRUST_200600_302600_NS6detail15normal_iteratorINSA_10device_ptrIjEEEEPS6_PKS6_NS0_5tupleIJSF_S6_EEENSJ_IJSG_SG_EEENS0_18inequality_wrapperI22is_equal_div_10_uniqueIjEEEPmJS6_EEE10hipError_tPvRmT3_T4_T5_T6_T7_T9_mT8_P12ihipStream_tbDpT10_ENKUlT_T0_E_clISt17integral_constantIbLb1EES19_IbLb0EEEEDaS15_S16_EUlS15_E_NS1_11comp_targetILNS1_3genE8ELNS1_11target_archE1030ELNS1_3gpuE2ELNS1_3repE0EEENS1_30default_config_static_selectorELNS0_4arch9wavefront6targetE1EEEvT1_.private_seg_size, 0
	.set _ZN7rocprim17ROCPRIM_400000_NS6detail17trampoline_kernelINS0_14default_configENS1_25partition_config_selectorILNS1_17partition_subalgoE8EjNS0_10empty_typeEbEEZZNS1_14partition_implILS5_8ELb0ES3_jN6thrust23THRUST_200600_302600_NS6detail15normal_iteratorINSA_10device_ptrIjEEEEPS6_PKS6_NS0_5tupleIJSF_S6_EEENSJ_IJSG_SG_EEENS0_18inequality_wrapperI22is_equal_div_10_uniqueIjEEEPmJS6_EEE10hipError_tPvRmT3_T4_T5_T6_T7_T9_mT8_P12ihipStream_tbDpT10_ENKUlT_T0_E_clISt17integral_constantIbLb1EES19_IbLb0EEEEDaS15_S16_EUlS15_E_NS1_11comp_targetILNS1_3genE8ELNS1_11target_archE1030ELNS1_3gpuE2ELNS1_3repE0EEENS1_30default_config_static_selectorELNS0_4arch9wavefront6targetE1EEEvT1_.uses_vcc, 0
	.set _ZN7rocprim17ROCPRIM_400000_NS6detail17trampoline_kernelINS0_14default_configENS1_25partition_config_selectorILNS1_17partition_subalgoE8EjNS0_10empty_typeEbEEZZNS1_14partition_implILS5_8ELb0ES3_jN6thrust23THRUST_200600_302600_NS6detail15normal_iteratorINSA_10device_ptrIjEEEEPS6_PKS6_NS0_5tupleIJSF_S6_EEENSJ_IJSG_SG_EEENS0_18inequality_wrapperI22is_equal_div_10_uniqueIjEEEPmJS6_EEE10hipError_tPvRmT3_T4_T5_T6_T7_T9_mT8_P12ihipStream_tbDpT10_ENKUlT_T0_E_clISt17integral_constantIbLb1EES19_IbLb0EEEEDaS15_S16_EUlS15_E_NS1_11comp_targetILNS1_3genE8ELNS1_11target_archE1030ELNS1_3gpuE2ELNS1_3repE0EEENS1_30default_config_static_selectorELNS0_4arch9wavefront6targetE1EEEvT1_.uses_flat_scratch, 0
	.set _ZN7rocprim17ROCPRIM_400000_NS6detail17trampoline_kernelINS0_14default_configENS1_25partition_config_selectorILNS1_17partition_subalgoE8EjNS0_10empty_typeEbEEZZNS1_14partition_implILS5_8ELb0ES3_jN6thrust23THRUST_200600_302600_NS6detail15normal_iteratorINSA_10device_ptrIjEEEEPS6_PKS6_NS0_5tupleIJSF_S6_EEENSJ_IJSG_SG_EEENS0_18inequality_wrapperI22is_equal_div_10_uniqueIjEEEPmJS6_EEE10hipError_tPvRmT3_T4_T5_T6_T7_T9_mT8_P12ihipStream_tbDpT10_ENKUlT_T0_E_clISt17integral_constantIbLb1EES19_IbLb0EEEEDaS15_S16_EUlS15_E_NS1_11comp_targetILNS1_3genE8ELNS1_11target_archE1030ELNS1_3gpuE2ELNS1_3repE0EEENS1_30default_config_static_selectorELNS0_4arch9wavefront6targetE1EEEvT1_.has_dyn_sized_stack, 0
	.set _ZN7rocprim17ROCPRIM_400000_NS6detail17trampoline_kernelINS0_14default_configENS1_25partition_config_selectorILNS1_17partition_subalgoE8EjNS0_10empty_typeEbEEZZNS1_14partition_implILS5_8ELb0ES3_jN6thrust23THRUST_200600_302600_NS6detail15normal_iteratorINSA_10device_ptrIjEEEEPS6_PKS6_NS0_5tupleIJSF_S6_EEENSJ_IJSG_SG_EEENS0_18inequality_wrapperI22is_equal_div_10_uniqueIjEEEPmJS6_EEE10hipError_tPvRmT3_T4_T5_T6_T7_T9_mT8_P12ihipStream_tbDpT10_ENKUlT_T0_E_clISt17integral_constantIbLb1EES19_IbLb0EEEEDaS15_S16_EUlS15_E_NS1_11comp_targetILNS1_3genE8ELNS1_11target_archE1030ELNS1_3gpuE2ELNS1_3repE0EEENS1_30default_config_static_selectorELNS0_4arch9wavefront6targetE1EEEvT1_.has_recursion, 0
	.set _ZN7rocprim17ROCPRIM_400000_NS6detail17trampoline_kernelINS0_14default_configENS1_25partition_config_selectorILNS1_17partition_subalgoE8EjNS0_10empty_typeEbEEZZNS1_14partition_implILS5_8ELb0ES3_jN6thrust23THRUST_200600_302600_NS6detail15normal_iteratorINSA_10device_ptrIjEEEEPS6_PKS6_NS0_5tupleIJSF_S6_EEENSJ_IJSG_SG_EEENS0_18inequality_wrapperI22is_equal_div_10_uniqueIjEEEPmJS6_EEE10hipError_tPvRmT3_T4_T5_T6_T7_T9_mT8_P12ihipStream_tbDpT10_ENKUlT_T0_E_clISt17integral_constantIbLb1EES19_IbLb0EEEEDaS15_S16_EUlS15_E_NS1_11comp_targetILNS1_3genE8ELNS1_11target_archE1030ELNS1_3gpuE2ELNS1_3repE0EEENS1_30default_config_static_selectorELNS0_4arch9wavefront6targetE1EEEvT1_.has_indirect_call, 0
	.section	.AMDGPU.csdata,"",@progbits
; Kernel info:
; codeLenInByte = 0
; TotalNumSgprs: 4
; NumVgprs: 0
; ScratchSize: 0
; MemoryBound: 0
; FloatMode: 240
; IeeeMode: 1
; LDSByteSize: 0 bytes/workgroup (compile time only)
; SGPRBlocks: 0
; VGPRBlocks: 0
; NumSGPRsForWavesPerEU: 4
; NumVGPRsForWavesPerEU: 1
; Occupancy: 10
; WaveLimiterHint : 0
; COMPUTE_PGM_RSRC2:SCRATCH_EN: 0
; COMPUTE_PGM_RSRC2:USER_SGPR: 6
; COMPUTE_PGM_RSRC2:TRAP_HANDLER: 0
; COMPUTE_PGM_RSRC2:TGID_X_EN: 1
; COMPUTE_PGM_RSRC2:TGID_Y_EN: 0
; COMPUTE_PGM_RSRC2:TGID_Z_EN: 0
; COMPUTE_PGM_RSRC2:TIDIG_COMP_CNT: 0
	.section	.text._ZN7rocprim17ROCPRIM_400000_NS6detail17trampoline_kernelINS0_14default_configENS1_25partition_config_selectorILNS1_17partition_subalgoE8EjNS0_10empty_typeEbEEZZNS1_14partition_implILS5_8ELb0ES3_jN6thrust23THRUST_200600_302600_NS6detail15normal_iteratorINSA_10device_ptrIjEEEEPS6_PKS6_NS0_5tupleIJSF_S6_EEENSJ_IJSG_SG_EEENS0_18inequality_wrapperI22is_equal_div_10_uniqueIjEEEPmJS6_EEE10hipError_tPvRmT3_T4_T5_T6_T7_T9_mT8_P12ihipStream_tbDpT10_ENKUlT_T0_E_clISt17integral_constantIbLb0EES19_IbLb1EEEEDaS15_S16_EUlS15_E_NS1_11comp_targetILNS1_3genE0ELNS1_11target_archE4294967295ELNS1_3gpuE0ELNS1_3repE0EEENS1_30default_config_static_selectorELNS0_4arch9wavefront6targetE1EEEvT1_,"axG",@progbits,_ZN7rocprim17ROCPRIM_400000_NS6detail17trampoline_kernelINS0_14default_configENS1_25partition_config_selectorILNS1_17partition_subalgoE8EjNS0_10empty_typeEbEEZZNS1_14partition_implILS5_8ELb0ES3_jN6thrust23THRUST_200600_302600_NS6detail15normal_iteratorINSA_10device_ptrIjEEEEPS6_PKS6_NS0_5tupleIJSF_S6_EEENSJ_IJSG_SG_EEENS0_18inequality_wrapperI22is_equal_div_10_uniqueIjEEEPmJS6_EEE10hipError_tPvRmT3_T4_T5_T6_T7_T9_mT8_P12ihipStream_tbDpT10_ENKUlT_T0_E_clISt17integral_constantIbLb0EES19_IbLb1EEEEDaS15_S16_EUlS15_E_NS1_11comp_targetILNS1_3genE0ELNS1_11target_archE4294967295ELNS1_3gpuE0ELNS1_3repE0EEENS1_30default_config_static_selectorELNS0_4arch9wavefront6targetE1EEEvT1_,comdat
	.protected	_ZN7rocprim17ROCPRIM_400000_NS6detail17trampoline_kernelINS0_14default_configENS1_25partition_config_selectorILNS1_17partition_subalgoE8EjNS0_10empty_typeEbEEZZNS1_14partition_implILS5_8ELb0ES3_jN6thrust23THRUST_200600_302600_NS6detail15normal_iteratorINSA_10device_ptrIjEEEEPS6_PKS6_NS0_5tupleIJSF_S6_EEENSJ_IJSG_SG_EEENS0_18inequality_wrapperI22is_equal_div_10_uniqueIjEEEPmJS6_EEE10hipError_tPvRmT3_T4_T5_T6_T7_T9_mT8_P12ihipStream_tbDpT10_ENKUlT_T0_E_clISt17integral_constantIbLb0EES19_IbLb1EEEEDaS15_S16_EUlS15_E_NS1_11comp_targetILNS1_3genE0ELNS1_11target_archE4294967295ELNS1_3gpuE0ELNS1_3repE0EEENS1_30default_config_static_selectorELNS0_4arch9wavefront6targetE1EEEvT1_ ; -- Begin function _ZN7rocprim17ROCPRIM_400000_NS6detail17trampoline_kernelINS0_14default_configENS1_25partition_config_selectorILNS1_17partition_subalgoE8EjNS0_10empty_typeEbEEZZNS1_14partition_implILS5_8ELb0ES3_jN6thrust23THRUST_200600_302600_NS6detail15normal_iteratorINSA_10device_ptrIjEEEEPS6_PKS6_NS0_5tupleIJSF_S6_EEENSJ_IJSG_SG_EEENS0_18inequality_wrapperI22is_equal_div_10_uniqueIjEEEPmJS6_EEE10hipError_tPvRmT3_T4_T5_T6_T7_T9_mT8_P12ihipStream_tbDpT10_ENKUlT_T0_E_clISt17integral_constantIbLb0EES19_IbLb1EEEEDaS15_S16_EUlS15_E_NS1_11comp_targetILNS1_3genE0ELNS1_11target_archE4294967295ELNS1_3gpuE0ELNS1_3repE0EEENS1_30default_config_static_selectorELNS0_4arch9wavefront6targetE1EEEvT1_
	.globl	_ZN7rocprim17ROCPRIM_400000_NS6detail17trampoline_kernelINS0_14default_configENS1_25partition_config_selectorILNS1_17partition_subalgoE8EjNS0_10empty_typeEbEEZZNS1_14partition_implILS5_8ELb0ES3_jN6thrust23THRUST_200600_302600_NS6detail15normal_iteratorINSA_10device_ptrIjEEEEPS6_PKS6_NS0_5tupleIJSF_S6_EEENSJ_IJSG_SG_EEENS0_18inequality_wrapperI22is_equal_div_10_uniqueIjEEEPmJS6_EEE10hipError_tPvRmT3_T4_T5_T6_T7_T9_mT8_P12ihipStream_tbDpT10_ENKUlT_T0_E_clISt17integral_constantIbLb0EES19_IbLb1EEEEDaS15_S16_EUlS15_E_NS1_11comp_targetILNS1_3genE0ELNS1_11target_archE4294967295ELNS1_3gpuE0ELNS1_3repE0EEENS1_30default_config_static_selectorELNS0_4arch9wavefront6targetE1EEEvT1_
	.p2align	8
	.type	_ZN7rocprim17ROCPRIM_400000_NS6detail17trampoline_kernelINS0_14default_configENS1_25partition_config_selectorILNS1_17partition_subalgoE8EjNS0_10empty_typeEbEEZZNS1_14partition_implILS5_8ELb0ES3_jN6thrust23THRUST_200600_302600_NS6detail15normal_iteratorINSA_10device_ptrIjEEEEPS6_PKS6_NS0_5tupleIJSF_S6_EEENSJ_IJSG_SG_EEENS0_18inequality_wrapperI22is_equal_div_10_uniqueIjEEEPmJS6_EEE10hipError_tPvRmT3_T4_T5_T6_T7_T9_mT8_P12ihipStream_tbDpT10_ENKUlT_T0_E_clISt17integral_constantIbLb0EES19_IbLb1EEEEDaS15_S16_EUlS15_E_NS1_11comp_targetILNS1_3genE0ELNS1_11target_archE4294967295ELNS1_3gpuE0ELNS1_3repE0EEENS1_30default_config_static_selectorELNS0_4arch9wavefront6targetE1EEEvT1_,@function
_ZN7rocprim17ROCPRIM_400000_NS6detail17trampoline_kernelINS0_14default_configENS1_25partition_config_selectorILNS1_17partition_subalgoE8EjNS0_10empty_typeEbEEZZNS1_14partition_implILS5_8ELb0ES3_jN6thrust23THRUST_200600_302600_NS6detail15normal_iteratorINSA_10device_ptrIjEEEEPS6_PKS6_NS0_5tupleIJSF_S6_EEENSJ_IJSG_SG_EEENS0_18inequality_wrapperI22is_equal_div_10_uniqueIjEEEPmJS6_EEE10hipError_tPvRmT3_T4_T5_T6_T7_T9_mT8_P12ihipStream_tbDpT10_ENKUlT_T0_E_clISt17integral_constantIbLb0EES19_IbLb1EEEEDaS15_S16_EUlS15_E_NS1_11comp_targetILNS1_3genE0ELNS1_11target_archE4294967295ELNS1_3gpuE0ELNS1_3repE0EEENS1_30default_config_static_selectorELNS0_4arch9wavefront6targetE1EEEvT1_: ; @_ZN7rocprim17ROCPRIM_400000_NS6detail17trampoline_kernelINS0_14default_configENS1_25partition_config_selectorILNS1_17partition_subalgoE8EjNS0_10empty_typeEbEEZZNS1_14partition_implILS5_8ELb0ES3_jN6thrust23THRUST_200600_302600_NS6detail15normal_iteratorINSA_10device_ptrIjEEEEPS6_PKS6_NS0_5tupleIJSF_S6_EEENSJ_IJSG_SG_EEENS0_18inequality_wrapperI22is_equal_div_10_uniqueIjEEEPmJS6_EEE10hipError_tPvRmT3_T4_T5_T6_T7_T9_mT8_P12ihipStream_tbDpT10_ENKUlT_T0_E_clISt17integral_constantIbLb0EES19_IbLb1EEEEDaS15_S16_EUlS15_E_NS1_11comp_targetILNS1_3genE0ELNS1_11target_archE4294967295ELNS1_3gpuE0ELNS1_3repE0EEENS1_30default_config_static_selectorELNS0_4arch9wavefront6targetE1EEEvT1_
; %bb.0:
	.section	.rodata,"a",@progbits
	.p2align	6, 0x0
	.amdhsa_kernel _ZN7rocprim17ROCPRIM_400000_NS6detail17trampoline_kernelINS0_14default_configENS1_25partition_config_selectorILNS1_17partition_subalgoE8EjNS0_10empty_typeEbEEZZNS1_14partition_implILS5_8ELb0ES3_jN6thrust23THRUST_200600_302600_NS6detail15normal_iteratorINSA_10device_ptrIjEEEEPS6_PKS6_NS0_5tupleIJSF_S6_EEENSJ_IJSG_SG_EEENS0_18inequality_wrapperI22is_equal_div_10_uniqueIjEEEPmJS6_EEE10hipError_tPvRmT3_T4_T5_T6_T7_T9_mT8_P12ihipStream_tbDpT10_ENKUlT_T0_E_clISt17integral_constantIbLb0EES19_IbLb1EEEEDaS15_S16_EUlS15_E_NS1_11comp_targetILNS1_3genE0ELNS1_11target_archE4294967295ELNS1_3gpuE0ELNS1_3repE0EEENS1_30default_config_static_selectorELNS0_4arch9wavefront6targetE1EEEvT1_
		.amdhsa_group_segment_fixed_size 0
		.amdhsa_private_segment_fixed_size 0
		.amdhsa_kernarg_size 128
		.amdhsa_user_sgpr_count 6
		.amdhsa_user_sgpr_private_segment_buffer 1
		.amdhsa_user_sgpr_dispatch_ptr 0
		.amdhsa_user_sgpr_queue_ptr 0
		.amdhsa_user_sgpr_kernarg_segment_ptr 1
		.amdhsa_user_sgpr_dispatch_id 0
		.amdhsa_user_sgpr_flat_scratch_init 0
		.amdhsa_user_sgpr_private_segment_size 0
		.amdhsa_uses_dynamic_stack 0
		.amdhsa_system_sgpr_private_segment_wavefront_offset 0
		.amdhsa_system_sgpr_workgroup_id_x 1
		.amdhsa_system_sgpr_workgroup_id_y 0
		.amdhsa_system_sgpr_workgroup_id_z 0
		.amdhsa_system_sgpr_workgroup_info 0
		.amdhsa_system_vgpr_workitem_id 0
		.amdhsa_next_free_vgpr 1
		.amdhsa_next_free_sgpr 0
		.amdhsa_reserve_vcc 0
		.amdhsa_reserve_flat_scratch 0
		.amdhsa_float_round_mode_32 0
		.amdhsa_float_round_mode_16_64 0
		.amdhsa_float_denorm_mode_32 3
		.amdhsa_float_denorm_mode_16_64 3
		.amdhsa_dx10_clamp 1
		.amdhsa_ieee_mode 1
		.amdhsa_fp16_overflow 0
		.amdhsa_exception_fp_ieee_invalid_op 0
		.amdhsa_exception_fp_denorm_src 0
		.amdhsa_exception_fp_ieee_div_zero 0
		.amdhsa_exception_fp_ieee_overflow 0
		.amdhsa_exception_fp_ieee_underflow 0
		.amdhsa_exception_fp_ieee_inexact 0
		.amdhsa_exception_int_div_zero 0
	.end_amdhsa_kernel
	.section	.text._ZN7rocprim17ROCPRIM_400000_NS6detail17trampoline_kernelINS0_14default_configENS1_25partition_config_selectorILNS1_17partition_subalgoE8EjNS0_10empty_typeEbEEZZNS1_14partition_implILS5_8ELb0ES3_jN6thrust23THRUST_200600_302600_NS6detail15normal_iteratorINSA_10device_ptrIjEEEEPS6_PKS6_NS0_5tupleIJSF_S6_EEENSJ_IJSG_SG_EEENS0_18inequality_wrapperI22is_equal_div_10_uniqueIjEEEPmJS6_EEE10hipError_tPvRmT3_T4_T5_T6_T7_T9_mT8_P12ihipStream_tbDpT10_ENKUlT_T0_E_clISt17integral_constantIbLb0EES19_IbLb1EEEEDaS15_S16_EUlS15_E_NS1_11comp_targetILNS1_3genE0ELNS1_11target_archE4294967295ELNS1_3gpuE0ELNS1_3repE0EEENS1_30default_config_static_selectorELNS0_4arch9wavefront6targetE1EEEvT1_,"axG",@progbits,_ZN7rocprim17ROCPRIM_400000_NS6detail17trampoline_kernelINS0_14default_configENS1_25partition_config_selectorILNS1_17partition_subalgoE8EjNS0_10empty_typeEbEEZZNS1_14partition_implILS5_8ELb0ES3_jN6thrust23THRUST_200600_302600_NS6detail15normal_iteratorINSA_10device_ptrIjEEEEPS6_PKS6_NS0_5tupleIJSF_S6_EEENSJ_IJSG_SG_EEENS0_18inequality_wrapperI22is_equal_div_10_uniqueIjEEEPmJS6_EEE10hipError_tPvRmT3_T4_T5_T6_T7_T9_mT8_P12ihipStream_tbDpT10_ENKUlT_T0_E_clISt17integral_constantIbLb0EES19_IbLb1EEEEDaS15_S16_EUlS15_E_NS1_11comp_targetILNS1_3genE0ELNS1_11target_archE4294967295ELNS1_3gpuE0ELNS1_3repE0EEENS1_30default_config_static_selectorELNS0_4arch9wavefront6targetE1EEEvT1_,comdat
.Lfunc_end266:
	.size	_ZN7rocprim17ROCPRIM_400000_NS6detail17trampoline_kernelINS0_14default_configENS1_25partition_config_selectorILNS1_17partition_subalgoE8EjNS0_10empty_typeEbEEZZNS1_14partition_implILS5_8ELb0ES3_jN6thrust23THRUST_200600_302600_NS6detail15normal_iteratorINSA_10device_ptrIjEEEEPS6_PKS6_NS0_5tupleIJSF_S6_EEENSJ_IJSG_SG_EEENS0_18inequality_wrapperI22is_equal_div_10_uniqueIjEEEPmJS6_EEE10hipError_tPvRmT3_T4_T5_T6_T7_T9_mT8_P12ihipStream_tbDpT10_ENKUlT_T0_E_clISt17integral_constantIbLb0EES19_IbLb1EEEEDaS15_S16_EUlS15_E_NS1_11comp_targetILNS1_3genE0ELNS1_11target_archE4294967295ELNS1_3gpuE0ELNS1_3repE0EEENS1_30default_config_static_selectorELNS0_4arch9wavefront6targetE1EEEvT1_, .Lfunc_end266-_ZN7rocprim17ROCPRIM_400000_NS6detail17trampoline_kernelINS0_14default_configENS1_25partition_config_selectorILNS1_17partition_subalgoE8EjNS0_10empty_typeEbEEZZNS1_14partition_implILS5_8ELb0ES3_jN6thrust23THRUST_200600_302600_NS6detail15normal_iteratorINSA_10device_ptrIjEEEEPS6_PKS6_NS0_5tupleIJSF_S6_EEENSJ_IJSG_SG_EEENS0_18inequality_wrapperI22is_equal_div_10_uniqueIjEEEPmJS6_EEE10hipError_tPvRmT3_T4_T5_T6_T7_T9_mT8_P12ihipStream_tbDpT10_ENKUlT_T0_E_clISt17integral_constantIbLb0EES19_IbLb1EEEEDaS15_S16_EUlS15_E_NS1_11comp_targetILNS1_3genE0ELNS1_11target_archE4294967295ELNS1_3gpuE0ELNS1_3repE0EEENS1_30default_config_static_selectorELNS0_4arch9wavefront6targetE1EEEvT1_
                                        ; -- End function
	.set _ZN7rocprim17ROCPRIM_400000_NS6detail17trampoline_kernelINS0_14default_configENS1_25partition_config_selectorILNS1_17partition_subalgoE8EjNS0_10empty_typeEbEEZZNS1_14partition_implILS5_8ELb0ES3_jN6thrust23THRUST_200600_302600_NS6detail15normal_iteratorINSA_10device_ptrIjEEEEPS6_PKS6_NS0_5tupleIJSF_S6_EEENSJ_IJSG_SG_EEENS0_18inequality_wrapperI22is_equal_div_10_uniqueIjEEEPmJS6_EEE10hipError_tPvRmT3_T4_T5_T6_T7_T9_mT8_P12ihipStream_tbDpT10_ENKUlT_T0_E_clISt17integral_constantIbLb0EES19_IbLb1EEEEDaS15_S16_EUlS15_E_NS1_11comp_targetILNS1_3genE0ELNS1_11target_archE4294967295ELNS1_3gpuE0ELNS1_3repE0EEENS1_30default_config_static_selectorELNS0_4arch9wavefront6targetE1EEEvT1_.num_vgpr, 0
	.set _ZN7rocprim17ROCPRIM_400000_NS6detail17trampoline_kernelINS0_14default_configENS1_25partition_config_selectorILNS1_17partition_subalgoE8EjNS0_10empty_typeEbEEZZNS1_14partition_implILS5_8ELb0ES3_jN6thrust23THRUST_200600_302600_NS6detail15normal_iteratorINSA_10device_ptrIjEEEEPS6_PKS6_NS0_5tupleIJSF_S6_EEENSJ_IJSG_SG_EEENS0_18inequality_wrapperI22is_equal_div_10_uniqueIjEEEPmJS6_EEE10hipError_tPvRmT3_T4_T5_T6_T7_T9_mT8_P12ihipStream_tbDpT10_ENKUlT_T0_E_clISt17integral_constantIbLb0EES19_IbLb1EEEEDaS15_S16_EUlS15_E_NS1_11comp_targetILNS1_3genE0ELNS1_11target_archE4294967295ELNS1_3gpuE0ELNS1_3repE0EEENS1_30default_config_static_selectorELNS0_4arch9wavefront6targetE1EEEvT1_.num_agpr, 0
	.set _ZN7rocprim17ROCPRIM_400000_NS6detail17trampoline_kernelINS0_14default_configENS1_25partition_config_selectorILNS1_17partition_subalgoE8EjNS0_10empty_typeEbEEZZNS1_14partition_implILS5_8ELb0ES3_jN6thrust23THRUST_200600_302600_NS6detail15normal_iteratorINSA_10device_ptrIjEEEEPS6_PKS6_NS0_5tupleIJSF_S6_EEENSJ_IJSG_SG_EEENS0_18inequality_wrapperI22is_equal_div_10_uniqueIjEEEPmJS6_EEE10hipError_tPvRmT3_T4_T5_T6_T7_T9_mT8_P12ihipStream_tbDpT10_ENKUlT_T0_E_clISt17integral_constantIbLb0EES19_IbLb1EEEEDaS15_S16_EUlS15_E_NS1_11comp_targetILNS1_3genE0ELNS1_11target_archE4294967295ELNS1_3gpuE0ELNS1_3repE0EEENS1_30default_config_static_selectorELNS0_4arch9wavefront6targetE1EEEvT1_.numbered_sgpr, 0
	.set _ZN7rocprim17ROCPRIM_400000_NS6detail17trampoline_kernelINS0_14default_configENS1_25partition_config_selectorILNS1_17partition_subalgoE8EjNS0_10empty_typeEbEEZZNS1_14partition_implILS5_8ELb0ES3_jN6thrust23THRUST_200600_302600_NS6detail15normal_iteratorINSA_10device_ptrIjEEEEPS6_PKS6_NS0_5tupleIJSF_S6_EEENSJ_IJSG_SG_EEENS0_18inequality_wrapperI22is_equal_div_10_uniqueIjEEEPmJS6_EEE10hipError_tPvRmT3_T4_T5_T6_T7_T9_mT8_P12ihipStream_tbDpT10_ENKUlT_T0_E_clISt17integral_constantIbLb0EES19_IbLb1EEEEDaS15_S16_EUlS15_E_NS1_11comp_targetILNS1_3genE0ELNS1_11target_archE4294967295ELNS1_3gpuE0ELNS1_3repE0EEENS1_30default_config_static_selectorELNS0_4arch9wavefront6targetE1EEEvT1_.num_named_barrier, 0
	.set _ZN7rocprim17ROCPRIM_400000_NS6detail17trampoline_kernelINS0_14default_configENS1_25partition_config_selectorILNS1_17partition_subalgoE8EjNS0_10empty_typeEbEEZZNS1_14partition_implILS5_8ELb0ES3_jN6thrust23THRUST_200600_302600_NS6detail15normal_iteratorINSA_10device_ptrIjEEEEPS6_PKS6_NS0_5tupleIJSF_S6_EEENSJ_IJSG_SG_EEENS0_18inequality_wrapperI22is_equal_div_10_uniqueIjEEEPmJS6_EEE10hipError_tPvRmT3_T4_T5_T6_T7_T9_mT8_P12ihipStream_tbDpT10_ENKUlT_T0_E_clISt17integral_constantIbLb0EES19_IbLb1EEEEDaS15_S16_EUlS15_E_NS1_11comp_targetILNS1_3genE0ELNS1_11target_archE4294967295ELNS1_3gpuE0ELNS1_3repE0EEENS1_30default_config_static_selectorELNS0_4arch9wavefront6targetE1EEEvT1_.private_seg_size, 0
	.set _ZN7rocprim17ROCPRIM_400000_NS6detail17trampoline_kernelINS0_14default_configENS1_25partition_config_selectorILNS1_17partition_subalgoE8EjNS0_10empty_typeEbEEZZNS1_14partition_implILS5_8ELb0ES3_jN6thrust23THRUST_200600_302600_NS6detail15normal_iteratorINSA_10device_ptrIjEEEEPS6_PKS6_NS0_5tupleIJSF_S6_EEENSJ_IJSG_SG_EEENS0_18inequality_wrapperI22is_equal_div_10_uniqueIjEEEPmJS6_EEE10hipError_tPvRmT3_T4_T5_T6_T7_T9_mT8_P12ihipStream_tbDpT10_ENKUlT_T0_E_clISt17integral_constantIbLb0EES19_IbLb1EEEEDaS15_S16_EUlS15_E_NS1_11comp_targetILNS1_3genE0ELNS1_11target_archE4294967295ELNS1_3gpuE0ELNS1_3repE0EEENS1_30default_config_static_selectorELNS0_4arch9wavefront6targetE1EEEvT1_.uses_vcc, 0
	.set _ZN7rocprim17ROCPRIM_400000_NS6detail17trampoline_kernelINS0_14default_configENS1_25partition_config_selectorILNS1_17partition_subalgoE8EjNS0_10empty_typeEbEEZZNS1_14partition_implILS5_8ELb0ES3_jN6thrust23THRUST_200600_302600_NS6detail15normal_iteratorINSA_10device_ptrIjEEEEPS6_PKS6_NS0_5tupleIJSF_S6_EEENSJ_IJSG_SG_EEENS0_18inequality_wrapperI22is_equal_div_10_uniqueIjEEEPmJS6_EEE10hipError_tPvRmT3_T4_T5_T6_T7_T9_mT8_P12ihipStream_tbDpT10_ENKUlT_T0_E_clISt17integral_constantIbLb0EES19_IbLb1EEEEDaS15_S16_EUlS15_E_NS1_11comp_targetILNS1_3genE0ELNS1_11target_archE4294967295ELNS1_3gpuE0ELNS1_3repE0EEENS1_30default_config_static_selectorELNS0_4arch9wavefront6targetE1EEEvT1_.uses_flat_scratch, 0
	.set _ZN7rocprim17ROCPRIM_400000_NS6detail17trampoline_kernelINS0_14default_configENS1_25partition_config_selectorILNS1_17partition_subalgoE8EjNS0_10empty_typeEbEEZZNS1_14partition_implILS5_8ELb0ES3_jN6thrust23THRUST_200600_302600_NS6detail15normal_iteratorINSA_10device_ptrIjEEEEPS6_PKS6_NS0_5tupleIJSF_S6_EEENSJ_IJSG_SG_EEENS0_18inequality_wrapperI22is_equal_div_10_uniqueIjEEEPmJS6_EEE10hipError_tPvRmT3_T4_T5_T6_T7_T9_mT8_P12ihipStream_tbDpT10_ENKUlT_T0_E_clISt17integral_constantIbLb0EES19_IbLb1EEEEDaS15_S16_EUlS15_E_NS1_11comp_targetILNS1_3genE0ELNS1_11target_archE4294967295ELNS1_3gpuE0ELNS1_3repE0EEENS1_30default_config_static_selectorELNS0_4arch9wavefront6targetE1EEEvT1_.has_dyn_sized_stack, 0
	.set _ZN7rocprim17ROCPRIM_400000_NS6detail17trampoline_kernelINS0_14default_configENS1_25partition_config_selectorILNS1_17partition_subalgoE8EjNS0_10empty_typeEbEEZZNS1_14partition_implILS5_8ELb0ES3_jN6thrust23THRUST_200600_302600_NS6detail15normal_iteratorINSA_10device_ptrIjEEEEPS6_PKS6_NS0_5tupleIJSF_S6_EEENSJ_IJSG_SG_EEENS0_18inequality_wrapperI22is_equal_div_10_uniqueIjEEEPmJS6_EEE10hipError_tPvRmT3_T4_T5_T6_T7_T9_mT8_P12ihipStream_tbDpT10_ENKUlT_T0_E_clISt17integral_constantIbLb0EES19_IbLb1EEEEDaS15_S16_EUlS15_E_NS1_11comp_targetILNS1_3genE0ELNS1_11target_archE4294967295ELNS1_3gpuE0ELNS1_3repE0EEENS1_30default_config_static_selectorELNS0_4arch9wavefront6targetE1EEEvT1_.has_recursion, 0
	.set _ZN7rocprim17ROCPRIM_400000_NS6detail17trampoline_kernelINS0_14default_configENS1_25partition_config_selectorILNS1_17partition_subalgoE8EjNS0_10empty_typeEbEEZZNS1_14partition_implILS5_8ELb0ES3_jN6thrust23THRUST_200600_302600_NS6detail15normal_iteratorINSA_10device_ptrIjEEEEPS6_PKS6_NS0_5tupleIJSF_S6_EEENSJ_IJSG_SG_EEENS0_18inequality_wrapperI22is_equal_div_10_uniqueIjEEEPmJS6_EEE10hipError_tPvRmT3_T4_T5_T6_T7_T9_mT8_P12ihipStream_tbDpT10_ENKUlT_T0_E_clISt17integral_constantIbLb0EES19_IbLb1EEEEDaS15_S16_EUlS15_E_NS1_11comp_targetILNS1_3genE0ELNS1_11target_archE4294967295ELNS1_3gpuE0ELNS1_3repE0EEENS1_30default_config_static_selectorELNS0_4arch9wavefront6targetE1EEEvT1_.has_indirect_call, 0
	.section	.AMDGPU.csdata,"",@progbits
; Kernel info:
; codeLenInByte = 0
; TotalNumSgprs: 4
; NumVgprs: 0
; ScratchSize: 0
; MemoryBound: 0
; FloatMode: 240
; IeeeMode: 1
; LDSByteSize: 0 bytes/workgroup (compile time only)
; SGPRBlocks: 0
; VGPRBlocks: 0
; NumSGPRsForWavesPerEU: 4
; NumVGPRsForWavesPerEU: 1
; Occupancy: 10
; WaveLimiterHint : 0
; COMPUTE_PGM_RSRC2:SCRATCH_EN: 0
; COMPUTE_PGM_RSRC2:USER_SGPR: 6
; COMPUTE_PGM_RSRC2:TRAP_HANDLER: 0
; COMPUTE_PGM_RSRC2:TGID_X_EN: 1
; COMPUTE_PGM_RSRC2:TGID_Y_EN: 0
; COMPUTE_PGM_RSRC2:TGID_Z_EN: 0
; COMPUTE_PGM_RSRC2:TIDIG_COMP_CNT: 0
	.section	.text._ZN7rocprim17ROCPRIM_400000_NS6detail17trampoline_kernelINS0_14default_configENS1_25partition_config_selectorILNS1_17partition_subalgoE8EjNS0_10empty_typeEbEEZZNS1_14partition_implILS5_8ELb0ES3_jN6thrust23THRUST_200600_302600_NS6detail15normal_iteratorINSA_10device_ptrIjEEEEPS6_PKS6_NS0_5tupleIJSF_S6_EEENSJ_IJSG_SG_EEENS0_18inequality_wrapperI22is_equal_div_10_uniqueIjEEEPmJS6_EEE10hipError_tPvRmT3_T4_T5_T6_T7_T9_mT8_P12ihipStream_tbDpT10_ENKUlT_T0_E_clISt17integral_constantIbLb0EES19_IbLb1EEEEDaS15_S16_EUlS15_E_NS1_11comp_targetILNS1_3genE5ELNS1_11target_archE942ELNS1_3gpuE9ELNS1_3repE0EEENS1_30default_config_static_selectorELNS0_4arch9wavefront6targetE1EEEvT1_,"axG",@progbits,_ZN7rocprim17ROCPRIM_400000_NS6detail17trampoline_kernelINS0_14default_configENS1_25partition_config_selectorILNS1_17partition_subalgoE8EjNS0_10empty_typeEbEEZZNS1_14partition_implILS5_8ELb0ES3_jN6thrust23THRUST_200600_302600_NS6detail15normal_iteratorINSA_10device_ptrIjEEEEPS6_PKS6_NS0_5tupleIJSF_S6_EEENSJ_IJSG_SG_EEENS0_18inequality_wrapperI22is_equal_div_10_uniqueIjEEEPmJS6_EEE10hipError_tPvRmT3_T4_T5_T6_T7_T9_mT8_P12ihipStream_tbDpT10_ENKUlT_T0_E_clISt17integral_constantIbLb0EES19_IbLb1EEEEDaS15_S16_EUlS15_E_NS1_11comp_targetILNS1_3genE5ELNS1_11target_archE942ELNS1_3gpuE9ELNS1_3repE0EEENS1_30default_config_static_selectorELNS0_4arch9wavefront6targetE1EEEvT1_,comdat
	.protected	_ZN7rocprim17ROCPRIM_400000_NS6detail17trampoline_kernelINS0_14default_configENS1_25partition_config_selectorILNS1_17partition_subalgoE8EjNS0_10empty_typeEbEEZZNS1_14partition_implILS5_8ELb0ES3_jN6thrust23THRUST_200600_302600_NS6detail15normal_iteratorINSA_10device_ptrIjEEEEPS6_PKS6_NS0_5tupleIJSF_S6_EEENSJ_IJSG_SG_EEENS0_18inequality_wrapperI22is_equal_div_10_uniqueIjEEEPmJS6_EEE10hipError_tPvRmT3_T4_T5_T6_T7_T9_mT8_P12ihipStream_tbDpT10_ENKUlT_T0_E_clISt17integral_constantIbLb0EES19_IbLb1EEEEDaS15_S16_EUlS15_E_NS1_11comp_targetILNS1_3genE5ELNS1_11target_archE942ELNS1_3gpuE9ELNS1_3repE0EEENS1_30default_config_static_selectorELNS0_4arch9wavefront6targetE1EEEvT1_ ; -- Begin function _ZN7rocprim17ROCPRIM_400000_NS6detail17trampoline_kernelINS0_14default_configENS1_25partition_config_selectorILNS1_17partition_subalgoE8EjNS0_10empty_typeEbEEZZNS1_14partition_implILS5_8ELb0ES3_jN6thrust23THRUST_200600_302600_NS6detail15normal_iteratorINSA_10device_ptrIjEEEEPS6_PKS6_NS0_5tupleIJSF_S6_EEENSJ_IJSG_SG_EEENS0_18inequality_wrapperI22is_equal_div_10_uniqueIjEEEPmJS6_EEE10hipError_tPvRmT3_T4_T5_T6_T7_T9_mT8_P12ihipStream_tbDpT10_ENKUlT_T0_E_clISt17integral_constantIbLb0EES19_IbLb1EEEEDaS15_S16_EUlS15_E_NS1_11comp_targetILNS1_3genE5ELNS1_11target_archE942ELNS1_3gpuE9ELNS1_3repE0EEENS1_30default_config_static_selectorELNS0_4arch9wavefront6targetE1EEEvT1_
	.globl	_ZN7rocprim17ROCPRIM_400000_NS6detail17trampoline_kernelINS0_14default_configENS1_25partition_config_selectorILNS1_17partition_subalgoE8EjNS0_10empty_typeEbEEZZNS1_14partition_implILS5_8ELb0ES3_jN6thrust23THRUST_200600_302600_NS6detail15normal_iteratorINSA_10device_ptrIjEEEEPS6_PKS6_NS0_5tupleIJSF_S6_EEENSJ_IJSG_SG_EEENS0_18inequality_wrapperI22is_equal_div_10_uniqueIjEEEPmJS6_EEE10hipError_tPvRmT3_T4_T5_T6_T7_T9_mT8_P12ihipStream_tbDpT10_ENKUlT_T0_E_clISt17integral_constantIbLb0EES19_IbLb1EEEEDaS15_S16_EUlS15_E_NS1_11comp_targetILNS1_3genE5ELNS1_11target_archE942ELNS1_3gpuE9ELNS1_3repE0EEENS1_30default_config_static_selectorELNS0_4arch9wavefront6targetE1EEEvT1_
	.p2align	8
	.type	_ZN7rocprim17ROCPRIM_400000_NS6detail17trampoline_kernelINS0_14default_configENS1_25partition_config_selectorILNS1_17partition_subalgoE8EjNS0_10empty_typeEbEEZZNS1_14partition_implILS5_8ELb0ES3_jN6thrust23THRUST_200600_302600_NS6detail15normal_iteratorINSA_10device_ptrIjEEEEPS6_PKS6_NS0_5tupleIJSF_S6_EEENSJ_IJSG_SG_EEENS0_18inequality_wrapperI22is_equal_div_10_uniqueIjEEEPmJS6_EEE10hipError_tPvRmT3_T4_T5_T6_T7_T9_mT8_P12ihipStream_tbDpT10_ENKUlT_T0_E_clISt17integral_constantIbLb0EES19_IbLb1EEEEDaS15_S16_EUlS15_E_NS1_11comp_targetILNS1_3genE5ELNS1_11target_archE942ELNS1_3gpuE9ELNS1_3repE0EEENS1_30default_config_static_selectorELNS0_4arch9wavefront6targetE1EEEvT1_,@function
_ZN7rocprim17ROCPRIM_400000_NS6detail17trampoline_kernelINS0_14default_configENS1_25partition_config_selectorILNS1_17partition_subalgoE8EjNS0_10empty_typeEbEEZZNS1_14partition_implILS5_8ELb0ES3_jN6thrust23THRUST_200600_302600_NS6detail15normal_iteratorINSA_10device_ptrIjEEEEPS6_PKS6_NS0_5tupleIJSF_S6_EEENSJ_IJSG_SG_EEENS0_18inequality_wrapperI22is_equal_div_10_uniqueIjEEEPmJS6_EEE10hipError_tPvRmT3_T4_T5_T6_T7_T9_mT8_P12ihipStream_tbDpT10_ENKUlT_T0_E_clISt17integral_constantIbLb0EES19_IbLb1EEEEDaS15_S16_EUlS15_E_NS1_11comp_targetILNS1_3genE5ELNS1_11target_archE942ELNS1_3gpuE9ELNS1_3repE0EEENS1_30default_config_static_selectorELNS0_4arch9wavefront6targetE1EEEvT1_: ; @_ZN7rocprim17ROCPRIM_400000_NS6detail17trampoline_kernelINS0_14default_configENS1_25partition_config_selectorILNS1_17partition_subalgoE8EjNS0_10empty_typeEbEEZZNS1_14partition_implILS5_8ELb0ES3_jN6thrust23THRUST_200600_302600_NS6detail15normal_iteratorINSA_10device_ptrIjEEEEPS6_PKS6_NS0_5tupleIJSF_S6_EEENSJ_IJSG_SG_EEENS0_18inequality_wrapperI22is_equal_div_10_uniqueIjEEEPmJS6_EEE10hipError_tPvRmT3_T4_T5_T6_T7_T9_mT8_P12ihipStream_tbDpT10_ENKUlT_T0_E_clISt17integral_constantIbLb0EES19_IbLb1EEEEDaS15_S16_EUlS15_E_NS1_11comp_targetILNS1_3genE5ELNS1_11target_archE942ELNS1_3gpuE9ELNS1_3repE0EEENS1_30default_config_static_selectorELNS0_4arch9wavefront6targetE1EEEvT1_
; %bb.0:
	.section	.rodata,"a",@progbits
	.p2align	6, 0x0
	.amdhsa_kernel _ZN7rocprim17ROCPRIM_400000_NS6detail17trampoline_kernelINS0_14default_configENS1_25partition_config_selectorILNS1_17partition_subalgoE8EjNS0_10empty_typeEbEEZZNS1_14partition_implILS5_8ELb0ES3_jN6thrust23THRUST_200600_302600_NS6detail15normal_iteratorINSA_10device_ptrIjEEEEPS6_PKS6_NS0_5tupleIJSF_S6_EEENSJ_IJSG_SG_EEENS0_18inequality_wrapperI22is_equal_div_10_uniqueIjEEEPmJS6_EEE10hipError_tPvRmT3_T4_T5_T6_T7_T9_mT8_P12ihipStream_tbDpT10_ENKUlT_T0_E_clISt17integral_constantIbLb0EES19_IbLb1EEEEDaS15_S16_EUlS15_E_NS1_11comp_targetILNS1_3genE5ELNS1_11target_archE942ELNS1_3gpuE9ELNS1_3repE0EEENS1_30default_config_static_selectorELNS0_4arch9wavefront6targetE1EEEvT1_
		.amdhsa_group_segment_fixed_size 0
		.amdhsa_private_segment_fixed_size 0
		.amdhsa_kernarg_size 128
		.amdhsa_user_sgpr_count 6
		.amdhsa_user_sgpr_private_segment_buffer 1
		.amdhsa_user_sgpr_dispatch_ptr 0
		.amdhsa_user_sgpr_queue_ptr 0
		.amdhsa_user_sgpr_kernarg_segment_ptr 1
		.amdhsa_user_sgpr_dispatch_id 0
		.amdhsa_user_sgpr_flat_scratch_init 0
		.amdhsa_user_sgpr_private_segment_size 0
		.amdhsa_uses_dynamic_stack 0
		.amdhsa_system_sgpr_private_segment_wavefront_offset 0
		.amdhsa_system_sgpr_workgroup_id_x 1
		.amdhsa_system_sgpr_workgroup_id_y 0
		.amdhsa_system_sgpr_workgroup_id_z 0
		.amdhsa_system_sgpr_workgroup_info 0
		.amdhsa_system_vgpr_workitem_id 0
		.amdhsa_next_free_vgpr 1
		.amdhsa_next_free_sgpr 0
		.amdhsa_reserve_vcc 0
		.amdhsa_reserve_flat_scratch 0
		.amdhsa_float_round_mode_32 0
		.amdhsa_float_round_mode_16_64 0
		.amdhsa_float_denorm_mode_32 3
		.amdhsa_float_denorm_mode_16_64 3
		.amdhsa_dx10_clamp 1
		.amdhsa_ieee_mode 1
		.amdhsa_fp16_overflow 0
		.amdhsa_exception_fp_ieee_invalid_op 0
		.amdhsa_exception_fp_denorm_src 0
		.amdhsa_exception_fp_ieee_div_zero 0
		.amdhsa_exception_fp_ieee_overflow 0
		.amdhsa_exception_fp_ieee_underflow 0
		.amdhsa_exception_fp_ieee_inexact 0
		.amdhsa_exception_int_div_zero 0
	.end_amdhsa_kernel
	.section	.text._ZN7rocprim17ROCPRIM_400000_NS6detail17trampoline_kernelINS0_14default_configENS1_25partition_config_selectorILNS1_17partition_subalgoE8EjNS0_10empty_typeEbEEZZNS1_14partition_implILS5_8ELb0ES3_jN6thrust23THRUST_200600_302600_NS6detail15normal_iteratorINSA_10device_ptrIjEEEEPS6_PKS6_NS0_5tupleIJSF_S6_EEENSJ_IJSG_SG_EEENS0_18inequality_wrapperI22is_equal_div_10_uniqueIjEEEPmJS6_EEE10hipError_tPvRmT3_T4_T5_T6_T7_T9_mT8_P12ihipStream_tbDpT10_ENKUlT_T0_E_clISt17integral_constantIbLb0EES19_IbLb1EEEEDaS15_S16_EUlS15_E_NS1_11comp_targetILNS1_3genE5ELNS1_11target_archE942ELNS1_3gpuE9ELNS1_3repE0EEENS1_30default_config_static_selectorELNS0_4arch9wavefront6targetE1EEEvT1_,"axG",@progbits,_ZN7rocprim17ROCPRIM_400000_NS6detail17trampoline_kernelINS0_14default_configENS1_25partition_config_selectorILNS1_17partition_subalgoE8EjNS0_10empty_typeEbEEZZNS1_14partition_implILS5_8ELb0ES3_jN6thrust23THRUST_200600_302600_NS6detail15normal_iteratorINSA_10device_ptrIjEEEEPS6_PKS6_NS0_5tupleIJSF_S6_EEENSJ_IJSG_SG_EEENS0_18inequality_wrapperI22is_equal_div_10_uniqueIjEEEPmJS6_EEE10hipError_tPvRmT3_T4_T5_T6_T7_T9_mT8_P12ihipStream_tbDpT10_ENKUlT_T0_E_clISt17integral_constantIbLb0EES19_IbLb1EEEEDaS15_S16_EUlS15_E_NS1_11comp_targetILNS1_3genE5ELNS1_11target_archE942ELNS1_3gpuE9ELNS1_3repE0EEENS1_30default_config_static_selectorELNS0_4arch9wavefront6targetE1EEEvT1_,comdat
.Lfunc_end267:
	.size	_ZN7rocprim17ROCPRIM_400000_NS6detail17trampoline_kernelINS0_14default_configENS1_25partition_config_selectorILNS1_17partition_subalgoE8EjNS0_10empty_typeEbEEZZNS1_14partition_implILS5_8ELb0ES3_jN6thrust23THRUST_200600_302600_NS6detail15normal_iteratorINSA_10device_ptrIjEEEEPS6_PKS6_NS0_5tupleIJSF_S6_EEENSJ_IJSG_SG_EEENS0_18inequality_wrapperI22is_equal_div_10_uniqueIjEEEPmJS6_EEE10hipError_tPvRmT3_T4_T5_T6_T7_T9_mT8_P12ihipStream_tbDpT10_ENKUlT_T0_E_clISt17integral_constantIbLb0EES19_IbLb1EEEEDaS15_S16_EUlS15_E_NS1_11comp_targetILNS1_3genE5ELNS1_11target_archE942ELNS1_3gpuE9ELNS1_3repE0EEENS1_30default_config_static_selectorELNS0_4arch9wavefront6targetE1EEEvT1_, .Lfunc_end267-_ZN7rocprim17ROCPRIM_400000_NS6detail17trampoline_kernelINS0_14default_configENS1_25partition_config_selectorILNS1_17partition_subalgoE8EjNS0_10empty_typeEbEEZZNS1_14partition_implILS5_8ELb0ES3_jN6thrust23THRUST_200600_302600_NS6detail15normal_iteratorINSA_10device_ptrIjEEEEPS6_PKS6_NS0_5tupleIJSF_S6_EEENSJ_IJSG_SG_EEENS0_18inequality_wrapperI22is_equal_div_10_uniqueIjEEEPmJS6_EEE10hipError_tPvRmT3_T4_T5_T6_T7_T9_mT8_P12ihipStream_tbDpT10_ENKUlT_T0_E_clISt17integral_constantIbLb0EES19_IbLb1EEEEDaS15_S16_EUlS15_E_NS1_11comp_targetILNS1_3genE5ELNS1_11target_archE942ELNS1_3gpuE9ELNS1_3repE0EEENS1_30default_config_static_selectorELNS0_4arch9wavefront6targetE1EEEvT1_
                                        ; -- End function
	.set _ZN7rocprim17ROCPRIM_400000_NS6detail17trampoline_kernelINS0_14default_configENS1_25partition_config_selectorILNS1_17partition_subalgoE8EjNS0_10empty_typeEbEEZZNS1_14partition_implILS5_8ELb0ES3_jN6thrust23THRUST_200600_302600_NS6detail15normal_iteratorINSA_10device_ptrIjEEEEPS6_PKS6_NS0_5tupleIJSF_S6_EEENSJ_IJSG_SG_EEENS0_18inequality_wrapperI22is_equal_div_10_uniqueIjEEEPmJS6_EEE10hipError_tPvRmT3_T4_T5_T6_T7_T9_mT8_P12ihipStream_tbDpT10_ENKUlT_T0_E_clISt17integral_constantIbLb0EES19_IbLb1EEEEDaS15_S16_EUlS15_E_NS1_11comp_targetILNS1_3genE5ELNS1_11target_archE942ELNS1_3gpuE9ELNS1_3repE0EEENS1_30default_config_static_selectorELNS0_4arch9wavefront6targetE1EEEvT1_.num_vgpr, 0
	.set _ZN7rocprim17ROCPRIM_400000_NS6detail17trampoline_kernelINS0_14default_configENS1_25partition_config_selectorILNS1_17partition_subalgoE8EjNS0_10empty_typeEbEEZZNS1_14partition_implILS5_8ELb0ES3_jN6thrust23THRUST_200600_302600_NS6detail15normal_iteratorINSA_10device_ptrIjEEEEPS6_PKS6_NS0_5tupleIJSF_S6_EEENSJ_IJSG_SG_EEENS0_18inequality_wrapperI22is_equal_div_10_uniqueIjEEEPmJS6_EEE10hipError_tPvRmT3_T4_T5_T6_T7_T9_mT8_P12ihipStream_tbDpT10_ENKUlT_T0_E_clISt17integral_constantIbLb0EES19_IbLb1EEEEDaS15_S16_EUlS15_E_NS1_11comp_targetILNS1_3genE5ELNS1_11target_archE942ELNS1_3gpuE9ELNS1_3repE0EEENS1_30default_config_static_selectorELNS0_4arch9wavefront6targetE1EEEvT1_.num_agpr, 0
	.set _ZN7rocprim17ROCPRIM_400000_NS6detail17trampoline_kernelINS0_14default_configENS1_25partition_config_selectorILNS1_17partition_subalgoE8EjNS0_10empty_typeEbEEZZNS1_14partition_implILS5_8ELb0ES3_jN6thrust23THRUST_200600_302600_NS6detail15normal_iteratorINSA_10device_ptrIjEEEEPS6_PKS6_NS0_5tupleIJSF_S6_EEENSJ_IJSG_SG_EEENS0_18inequality_wrapperI22is_equal_div_10_uniqueIjEEEPmJS6_EEE10hipError_tPvRmT3_T4_T5_T6_T7_T9_mT8_P12ihipStream_tbDpT10_ENKUlT_T0_E_clISt17integral_constantIbLb0EES19_IbLb1EEEEDaS15_S16_EUlS15_E_NS1_11comp_targetILNS1_3genE5ELNS1_11target_archE942ELNS1_3gpuE9ELNS1_3repE0EEENS1_30default_config_static_selectorELNS0_4arch9wavefront6targetE1EEEvT1_.numbered_sgpr, 0
	.set _ZN7rocprim17ROCPRIM_400000_NS6detail17trampoline_kernelINS0_14default_configENS1_25partition_config_selectorILNS1_17partition_subalgoE8EjNS0_10empty_typeEbEEZZNS1_14partition_implILS5_8ELb0ES3_jN6thrust23THRUST_200600_302600_NS6detail15normal_iteratorINSA_10device_ptrIjEEEEPS6_PKS6_NS0_5tupleIJSF_S6_EEENSJ_IJSG_SG_EEENS0_18inequality_wrapperI22is_equal_div_10_uniqueIjEEEPmJS6_EEE10hipError_tPvRmT3_T4_T5_T6_T7_T9_mT8_P12ihipStream_tbDpT10_ENKUlT_T0_E_clISt17integral_constantIbLb0EES19_IbLb1EEEEDaS15_S16_EUlS15_E_NS1_11comp_targetILNS1_3genE5ELNS1_11target_archE942ELNS1_3gpuE9ELNS1_3repE0EEENS1_30default_config_static_selectorELNS0_4arch9wavefront6targetE1EEEvT1_.num_named_barrier, 0
	.set _ZN7rocprim17ROCPRIM_400000_NS6detail17trampoline_kernelINS0_14default_configENS1_25partition_config_selectorILNS1_17partition_subalgoE8EjNS0_10empty_typeEbEEZZNS1_14partition_implILS5_8ELb0ES3_jN6thrust23THRUST_200600_302600_NS6detail15normal_iteratorINSA_10device_ptrIjEEEEPS6_PKS6_NS0_5tupleIJSF_S6_EEENSJ_IJSG_SG_EEENS0_18inequality_wrapperI22is_equal_div_10_uniqueIjEEEPmJS6_EEE10hipError_tPvRmT3_T4_T5_T6_T7_T9_mT8_P12ihipStream_tbDpT10_ENKUlT_T0_E_clISt17integral_constantIbLb0EES19_IbLb1EEEEDaS15_S16_EUlS15_E_NS1_11comp_targetILNS1_3genE5ELNS1_11target_archE942ELNS1_3gpuE9ELNS1_3repE0EEENS1_30default_config_static_selectorELNS0_4arch9wavefront6targetE1EEEvT1_.private_seg_size, 0
	.set _ZN7rocprim17ROCPRIM_400000_NS6detail17trampoline_kernelINS0_14default_configENS1_25partition_config_selectorILNS1_17partition_subalgoE8EjNS0_10empty_typeEbEEZZNS1_14partition_implILS5_8ELb0ES3_jN6thrust23THRUST_200600_302600_NS6detail15normal_iteratorINSA_10device_ptrIjEEEEPS6_PKS6_NS0_5tupleIJSF_S6_EEENSJ_IJSG_SG_EEENS0_18inequality_wrapperI22is_equal_div_10_uniqueIjEEEPmJS6_EEE10hipError_tPvRmT3_T4_T5_T6_T7_T9_mT8_P12ihipStream_tbDpT10_ENKUlT_T0_E_clISt17integral_constantIbLb0EES19_IbLb1EEEEDaS15_S16_EUlS15_E_NS1_11comp_targetILNS1_3genE5ELNS1_11target_archE942ELNS1_3gpuE9ELNS1_3repE0EEENS1_30default_config_static_selectorELNS0_4arch9wavefront6targetE1EEEvT1_.uses_vcc, 0
	.set _ZN7rocprim17ROCPRIM_400000_NS6detail17trampoline_kernelINS0_14default_configENS1_25partition_config_selectorILNS1_17partition_subalgoE8EjNS0_10empty_typeEbEEZZNS1_14partition_implILS5_8ELb0ES3_jN6thrust23THRUST_200600_302600_NS6detail15normal_iteratorINSA_10device_ptrIjEEEEPS6_PKS6_NS0_5tupleIJSF_S6_EEENSJ_IJSG_SG_EEENS0_18inequality_wrapperI22is_equal_div_10_uniqueIjEEEPmJS6_EEE10hipError_tPvRmT3_T4_T5_T6_T7_T9_mT8_P12ihipStream_tbDpT10_ENKUlT_T0_E_clISt17integral_constantIbLb0EES19_IbLb1EEEEDaS15_S16_EUlS15_E_NS1_11comp_targetILNS1_3genE5ELNS1_11target_archE942ELNS1_3gpuE9ELNS1_3repE0EEENS1_30default_config_static_selectorELNS0_4arch9wavefront6targetE1EEEvT1_.uses_flat_scratch, 0
	.set _ZN7rocprim17ROCPRIM_400000_NS6detail17trampoline_kernelINS0_14default_configENS1_25partition_config_selectorILNS1_17partition_subalgoE8EjNS0_10empty_typeEbEEZZNS1_14partition_implILS5_8ELb0ES3_jN6thrust23THRUST_200600_302600_NS6detail15normal_iteratorINSA_10device_ptrIjEEEEPS6_PKS6_NS0_5tupleIJSF_S6_EEENSJ_IJSG_SG_EEENS0_18inequality_wrapperI22is_equal_div_10_uniqueIjEEEPmJS6_EEE10hipError_tPvRmT3_T4_T5_T6_T7_T9_mT8_P12ihipStream_tbDpT10_ENKUlT_T0_E_clISt17integral_constantIbLb0EES19_IbLb1EEEEDaS15_S16_EUlS15_E_NS1_11comp_targetILNS1_3genE5ELNS1_11target_archE942ELNS1_3gpuE9ELNS1_3repE0EEENS1_30default_config_static_selectorELNS0_4arch9wavefront6targetE1EEEvT1_.has_dyn_sized_stack, 0
	.set _ZN7rocprim17ROCPRIM_400000_NS6detail17trampoline_kernelINS0_14default_configENS1_25partition_config_selectorILNS1_17partition_subalgoE8EjNS0_10empty_typeEbEEZZNS1_14partition_implILS5_8ELb0ES3_jN6thrust23THRUST_200600_302600_NS6detail15normal_iteratorINSA_10device_ptrIjEEEEPS6_PKS6_NS0_5tupleIJSF_S6_EEENSJ_IJSG_SG_EEENS0_18inequality_wrapperI22is_equal_div_10_uniqueIjEEEPmJS6_EEE10hipError_tPvRmT3_T4_T5_T6_T7_T9_mT8_P12ihipStream_tbDpT10_ENKUlT_T0_E_clISt17integral_constantIbLb0EES19_IbLb1EEEEDaS15_S16_EUlS15_E_NS1_11comp_targetILNS1_3genE5ELNS1_11target_archE942ELNS1_3gpuE9ELNS1_3repE0EEENS1_30default_config_static_selectorELNS0_4arch9wavefront6targetE1EEEvT1_.has_recursion, 0
	.set _ZN7rocprim17ROCPRIM_400000_NS6detail17trampoline_kernelINS0_14default_configENS1_25partition_config_selectorILNS1_17partition_subalgoE8EjNS0_10empty_typeEbEEZZNS1_14partition_implILS5_8ELb0ES3_jN6thrust23THRUST_200600_302600_NS6detail15normal_iteratorINSA_10device_ptrIjEEEEPS6_PKS6_NS0_5tupleIJSF_S6_EEENSJ_IJSG_SG_EEENS0_18inequality_wrapperI22is_equal_div_10_uniqueIjEEEPmJS6_EEE10hipError_tPvRmT3_T4_T5_T6_T7_T9_mT8_P12ihipStream_tbDpT10_ENKUlT_T0_E_clISt17integral_constantIbLb0EES19_IbLb1EEEEDaS15_S16_EUlS15_E_NS1_11comp_targetILNS1_3genE5ELNS1_11target_archE942ELNS1_3gpuE9ELNS1_3repE0EEENS1_30default_config_static_selectorELNS0_4arch9wavefront6targetE1EEEvT1_.has_indirect_call, 0
	.section	.AMDGPU.csdata,"",@progbits
; Kernel info:
; codeLenInByte = 0
; TotalNumSgprs: 4
; NumVgprs: 0
; ScratchSize: 0
; MemoryBound: 0
; FloatMode: 240
; IeeeMode: 1
; LDSByteSize: 0 bytes/workgroup (compile time only)
; SGPRBlocks: 0
; VGPRBlocks: 0
; NumSGPRsForWavesPerEU: 4
; NumVGPRsForWavesPerEU: 1
; Occupancy: 10
; WaveLimiterHint : 0
; COMPUTE_PGM_RSRC2:SCRATCH_EN: 0
; COMPUTE_PGM_RSRC2:USER_SGPR: 6
; COMPUTE_PGM_RSRC2:TRAP_HANDLER: 0
; COMPUTE_PGM_RSRC2:TGID_X_EN: 1
; COMPUTE_PGM_RSRC2:TGID_Y_EN: 0
; COMPUTE_PGM_RSRC2:TGID_Z_EN: 0
; COMPUTE_PGM_RSRC2:TIDIG_COMP_CNT: 0
	.section	.text._ZN7rocprim17ROCPRIM_400000_NS6detail17trampoline_kernelINS0_14default_configENS1_25partition_config_selectorILNS1_17partition_subalgoE8EjNS0_10empty_typeEbEEZZNS1_14partition_implILS5_8ELb0ES3_jN6thrust23THRUST_200600_302600_NS6detail15normal_iteratorINSA_10device_ptrIjEEEEPS6_PKS6_NS0_5tupleIJSF_S6_EEENSJ_IJSG_SG_EEENS0_18inequality_wrapperI22is_equal_div_10_uniqueIjEEEPmJS6_EEE10hipError_tPvRmT3_T4_T5_T6_T7_T9_mT8_P12ihipStream_tbDpT10_ENKUlT_T0_E_clISt17integral_constantIbLb0EES19_IbLb1EEEEDaS15_S16_EUlS15_E_NS1_11comp_targetILNS1_3genE4ELNS1_11target_archE910ELNS1_3gpuE8ELNS1_3repE0EEENS1_30default_config_static_selectorELNS0_4arch9wavefront6targetE1EEEvT1_,"axG",@progbits,_ZN7rocprim17ROCPRIM_400000_NS6detail17trampoline_kernelINS0_14default_configENS1_25partition_config_selectorILNS1_17partition_subalgoE8EjNS0_10empty_typeEbEEZZNS1_14partition_implILS5_8ELb0ES3_jN6thrust23THRUST_200600_302600_NS6detail15normal_iteratorINSA_10device_ptrIjEEEEPS6_PKS6_NS0_5tupleIJSF_S6_EEENSJ_IJSG_SG_EEENS0_18inequality_wrapperI22is_equal_div_10_uniqueIjEEEPmJS6_EEE10hipError_tPvRmT3_T4_T5_T6_T7_T9_mT8_P12ihipStream_tbDpT10_ENKUlT_T0_E_clISt17integral_constantIbLb0EES19_IbLb1EEEEDaS15_S16_EUlS15_E_NS1_11comp_targetILNS1_3genE4ELNS1_11target_archE910ELNS1_3gpuE8ELNS1_3repE0EEENS1_30default_config_static_selectorELNS0_4arch9wavefront6targetE1EEEvT1_,comdat
	.protected	_ZN7rocprim17ROCPRIM_400000_NS6detail17trampoline_kernelINS0_14default_configENS1_25partition_config_selectorILNS1_17partition_subalgoE8EjNS0_10empty_typeEbEEZZNS1_14partition_implILS5_8ELb0ES3_jN6thrust23THRUST_200600_302600_NS6detail15normal_iteratorINSA_10device_ptrIjEEEEPS6_PKS6_NS0_5tupleIJSF_S6_EEENSJ_IJSG_SG_EEENS0_18inequality_wrapperI22is_equal_div_10_uniqueIjEEEPmJS6_EEE10hipError_tPvRmT3_T4_T5_T6_T7_T9_mT8_P12ihipStream_tbDpT10_ENKUlT_T0_E_clISt17integral_constantIbLb0EES19_IbLb1EEEEDaS15_S16_EUlS15_E_NS1_11comp_targetILNS1_3genE4ELNS1_11target_archE910ELNS1_3gpuE8ELNS1_3repE0EEENS1_30default_config_static_selectorELNS0_4arch9wavefront6targetE1EEEvT1_ ; -- Begin function _ZN7rocprim17ROCPRIM_400000_NS6detail17trampoline_kernelINS0_14default_configENS1_25partition_config_selectorILNS1_17partition_subalgoE8EjNS0_10empty_typeEbEEZZNS1_14partition_implILS5_8ELb0ES3_jN6thrust23THRUST_200600_302600_NS6detail15normal_iteratorINSA_10device_ptrIjEEEEPS6_PKS6_NS0_5tupleIJSF_S6_EEENSJ_IJSG_SG_EEENS0_18inequality_wrapperI22is_equal_div_10_uniqueIjEEEPmJS6_EEE10hipError_tPvRmT3_T4_T5_T6_T7_T9_mT8_P12ihipStream_tbDpT10_ENKUlT_T0_E_clISt17integral_constantIbLb0EES19_IbLb1EEEEDaS15_S16_EUlS15_E_NS1_11comp_targetILNS1_3genE4ELNS1_11target_archE910ELNS1_3gpuE8ELNS1_3repE0EEENS1_30default_config_static_selectorELNS0_4arch9wavefront6targetE1EEEvT1_
	.globl	_ZN7rocprim17ROCPRIM_400000_NS6detail17trampoline_kernelINS0_14default_configENS1_25partition_config_selectorILNS1_17partition_subalgoE8EjNS0_10empty_typeEbEEZZNS1_14partition_implILS5_8ELb0ES3_jN6thrust23THRUST_200600_302600_NS6detail15normal_iteratorINSA_10device_ptrIjEEEEPS6_PKS6_NS0_5tupleIJSF_S6_EEENSJ_IJSG_SG_EEENS0_18inequality_wrapperI22is_equal_div_10_uniqueIjEEEPmJS6_EEE10hipError_tPvRmT3_T4_T5_T6_T7_T9_mT8_P12ihipStream_tbDpT10_ENKUlT_T0_E_clISt17integral_constantIbLb0EES19_IbLb1EEEEDaS15_S16_EUlS15_E_NS1_11comp_targetILNS1_3genE4ELNS1_11target_archE910ELNS1_3gpuE8ELNS1_3repE0EEENS1_30default_config_static_selectorELNS0_4arch9wavefront6targetE1EEEvT1_
	.p2align	8
	.type	_ZN7rocprim17ROCPRIM_400000_NS6detail17trampoline_kernelINS0_14default_configENS1_25partition_config_selectorILNS1_17partition_subalgoE8EjNS0_10empty_typeEbEEZZNS1_14partition_implILS5_8ELb0ES3_jN6thrust23THRUST_200600_302600_NS6detail15normal_iteratorINSA_10device_ptrIjEEEEPS6_PKS6_NS0_5tupleIJSF_S6_EEENSJ_IJSG_SG_EEENS0_18inequality_wrapperI22is_equal_div_10_uniqueIjEEEPmJS6_EEE10hipError_tPvRmT3_T4_T5_T6_T7_T9_mT8_P12ihipStream_tbDpT10_ENKUlT_T0_E_clISt17integral_constantIbLb0EES19_IbLb1EEEEDaS15_S16_EUlS15_E_NS1_11comp_targetILNS1_3genE4ELNS1_11target_archE910ELNS1_3gpuE8ELNS1_3repE0EEENS1_30default_config_static_selectorELNS0_4arch9wavefront6targetE1EEEvT1_,@function
_ZN7rocprim17ROCPRIM_400000_NS6detail17trampoline_kernelINS0_14default_configENS1_25partition_config_selectorILNS1_17partition_subalgoE8EjNS0_10empty_typeEbEEZZNS1_14partition_implILS5_8ELb0ES3_jN6thrust23THRUST_200600_302600_NS6detail15normal_iteratorINSA_10device_ptrIjEEEEPS6_PKS6_NS0_5tupleIJSF_S6_EEENSJ_IJSG_SG_EEENS0_18inequality_wrapperI22is_equal_div_10_uniqueIjEEEPmJS6_EEE10hipError_tPvRmT3_T4_T5_T6_T7_T9_mT8_P12ihipStream_tbDpT10_ENKUlT_T0_E_clISt17integral_constantIbLb0EES19_IbLb1EEEEDaS15_S16_EUlS15_E_NS1_11comp_targetILNS1_3genE4ELNS1_11target_archE910ELNS1_3gpuE8ELNS1_3repE0EEENS1_30default_config_static_selectorELNS0_4arch9wavefront6targetE1EEEvT1_: ; @_ZN7rocprim17ROCPRIM_400000_NS6detail17trampoline_kernelINS0_14default_configENS1_25partition_config_selectorILNS1_17partition_subalgoE8EjNS0_10empty_typeEbEEZZNS1_14partition_implILS5_8ELb0ES3_jN6thrust23THRUST_200600_302600_NS6detail15normal_iteratorINSA_10device_ptrIjEEEEPS6_PKS6_NS0_5tupleIJSF_S6_EEENSJ_IJSG_SG_EEENS0_18inequality_wrapperI22is_equal_div_10_uniqueIjEEEPmJS6_EEE10hipError_tPvRmT3_T4_T5_T6_T7_T9_mT8_P12ihipStream_tbDpT10_ENKUlT_T0_E_clISt17integral_constantIbLb0EES19_IbLb1EEEEDaS15_S16_EUlS15_E_NS1_11comp_targetILNS1_3genE4ELNS1_11target_archE910ELNS1_3gpuE8ELNS1_3repE0EEENS1_30default_config_static_selectorELNS0_4arch9wavefront6targetE1EEEvT1_
; %bb.0:
	.section	.rodata,"a",@progbits
	.p2align	6, 0x0
	.amdhsa_kernel _ZN7rocprim17ROCPRIM_400000_NS6detail17trampoline_kernelINS0_14default_configENS1_25partition_config_selectorILNS1_17partition_subalgoE8EjNS0_10empty_typeEbEEZZNS1_14partition_implILS5_8ELb0ES3_jN6thrust23THRUST_200600_302600_NS6detail15normal_iteratorINSA_10device_ptrIjEEEEPS6_PKS6_NS0_5tupleIJSF_S6_EEENSJ_IJSG_SG_EEENS0_18inequality_wrapperI22is_equal_div_10_uniqueIjEEEPmJS6_EEE10hipError_tPvRmT3_T4_T5_T6_T7_T9_mT8_P12ihipStream_tbDpT10_ENKUlT_T0_E_clISt17integral_constantIbLb0EES19_IbLb1EEEEDaS15_S16_EUlS15_E_NS1_11comp_targetILNS1_3genE4ELNS1_11target_archE910ELNS1_3gpuE8ELNS1_3repE0EEENS1_30default_config_static_selectorELNS0_4arch9wavefront6targetE1EEEvT1_
		.amdhsa_group_segment_fixed_size 0
		.amdhsa_private_segment_fixed_size 0
		.amdhsa_kernarg_size 128
		.amdhsa_user_sgpr_count 6
		.amdhsa_user_sgpr_private_segment_buffer 1
		.amdhsa_user_sgpr_dispatch_ptr 0
		.amdhsa_user_sgpr_queue_ptr 0
		.amdhsa_user_sgpr_kernarg_segment_ptr 1
		.amdhsa_user_sgpr_dispatch_id 0
		.amdhsa_user_sgpr_flat_scratch_init 0
		.amdhsa_user_sgpr_private_segment_size 0
		.amdhsa_uses_dynamic_stack 0
		.amdhsa_system_sgpr_private_segment_wavefront_offset 0
		.amdhsa_system_sgpr_workgroup_id_x 1
		.amdhsa_system_sgpr_workgroup_id_y 0
		.amdhsa_system_sgpr_workgroup_id_z 0
		.amdhsa_system_sgpr_workgroup_info 0
		.amdhsa_system_vgpr_workitem_id 0
		.amdhsa_next_free_vgpr 1
		.amdhsa_next_free_sgpr 0
		.amdhsa_reserve_vcc 0
		.amdhsa_reserve_flat_scratch 0
		.amdhsa_float_round_mode_32 0
		.amdhsa_float_round_mode_16_64 0
		.amdhsa_float_denorm_mode_32 3
		.amdhsa_float_denorm_mode_16_64 3
		.amdhsa_dx10_clamp 1
		.amdhsa_ieee_mode 1
		.amdhsa_fp16_overflow 0
		.amdhsa_exception_fp_ieee_invalid_op 0
		.amdhsa_exception_fp_denorm_src 0
		.amdhsa_exception_fp_ieee_div_zero 0
		.amdhsa_exception_fp_ieee_overflow 0
		.amdhsa_exception_fp_ieee_underflow 0
		.amdhsa_exception_fp_ieee_inexact 0
		.amdhsa_exception_int_div_zero 0
	.end_amdhsa_kernel
	.section	.text._ZN7rocprim17ROCPRIM_400000_NS6detail17trampoline_kernelINS0_14default_configENS1_25partition_config_selectorILNS1_17partition_subalgoE8EjNS0_10empty_typeEbEEZZNS1_14partition_implILS5_8ELb0ES3_jN6thrust23THRUST_200600_302600_NS6detail15normal_iteratorINSA_10device_ptrIjEEEEPS6_PKS6_NS0_5tupleIJSF_S6_EEENSJ_IJSG_SG_EEENS0_18inequality_wrapperI22is_equal_div_10_uniqueIjEEEPmJS6_EEE10hipError_tPvRmT3_T4_T5_T6_T7_T9_mT8_P12ihipStream_tbDpT10_ENKUlT_T0_E_clISt17integral_constantIbLb0EES19_IbLb1EEEEDaS15_S16_EUlS15_E_NS1_11comp_targetILNS1_3genE4ELNS1_11target_archE910ELNS1_3gpuE8ELNS1_3repE0EEENS1_30default_config_static_selectorELNS0_4arch9wavefront6targetE1EEEvT1_,"axG",@progbits,_ZN7rocprim17ROCPRIM_400000_NS6detail17trampoline_kernelINS0_14default_configENS1_25partition_config_selectorILNS1_17partition_subalgoE8EjNS0_10empty_typeEbEEZZNS1_14partition_implILS5_8ELb0ES3_jN6thrust23THRUST_200600_302600_NS6detail15normal_iteratorINSA_10device_ptrIjEEEEPS6_PKS6_NS0_5tupleIJSF_S6_EEENSJ_IJSG_SG_EEENS0_18inequality_wrapperI22is_equal_div_10_uniqueIjEEEPmJS6_EEE10hipError_tPvRmT3_T4_T5_T6_T7_T9_mT8_P12ihipStream_tbDpT10_ENKUlT_T0_E_clISt17integral_constantIbLb0EES19_IbLb1EEEEDaS15_S16_EUlS15_E_NS1_11comp_targetILNS1_3genE4ELNS1_11target_archE910ELNS1_3gpuE8ELNS1_3repE0EEENS1_30default_config_static_selectorELNS0_4arch9wavefront6targetE1EEEvT1_,comdat
.Lfunc_end268:
	.size	_ZN7rocprim17ROCPRIM_400000_NS6detail17trampoline_kernelINS0_14default_configENS1_25partition_config_selectorILNS1_17partition_subalgoE8EjNS0_10empty_typeEbEEZZNS1_14partition_implILS5_8ELb0ES3_jN6thrust23THRUST_200600_302600_NS6detail15normal_iteratorINSA_10device_ptrIjEEEEPS6_PKS6_NS0_5tupleIJSF_S6_EEENSJ_IJSG_SG_EEENS0_18inequality_wrapperI22is_equal_div_10_uniqueIjEEEPmJS6_EEE10hipError_tPvRmT3_T4_T5_T6_T7_T9_mT8_P12ihipStream_tbDpT10_ENKUlT_T0_E_clISt17integral_constantIbLb0EES19_IbLb1EEEEDaS15_S16_EUlS15_E_NS1_11comp_targetILNS1_3genE4ELNS1_11target_archE910ELNS1_3gpuE8ELNS1_3repE0EEENS1_30default_config_static_selectorELNS0_4arch9wavefront6targetE1EEEvT1_, .Lfunc_end268-_ZN7rocprim17ROCPRIM_400000_NS6detail17trampoline_kernelINS0_14default_configENS1_25partition_config_selectorILNS1_17partition_subalgoE8EjNS0_10empty_typeEbEEZZNS1_14partition_implILS5_8ELb0ES3_jN6thrust23THRUST_200600_302600_NS6detail15normal_iteratorINSA_10device_ptrIjEEEEPS6_PKS6_NS0_5tupleIJSF_S6_EEENSJ_IJSG_SG_EEENS0_18inequality_wrapperI22is_equal_div_10_uniqueIjEEEPmJS6_EEE10hipError_tPvRmT3_T4_T5_T6_T7_T9_mT8_P12ihipStream_tbDpT10_ENKUlT_T0_E_clISt17integral_constantIbLb0EES19_IbLb1EEEEDaS15_S16_EUlS15_E_NS1_11comp_targetILNS1_3genE4ELNS1_11target_archE910ELNS1_3gpuE8ELNS1_3repE0EEENS1_30default_config_static_selectorELNS0_4arch9wavefront6targetE1EEEvT1_
                                        ; -- End function
	.set _ZN7rocprim17ROCPRIM_400000_NS6detail17trampoline_kernelINS0_14default_configENS1_25partition_config_selectorILNS1_17partition_subalgoE8EjNS0_10empty_typeEbEEZZNS1_14partition_implILS5_8ELb0ES3_jN6thrust23THRUST_200600_302600_NS6detail15normal_iteratorINSA_10device_ptrIjEEEEPS6_PKS6_NS0_5tupleIJSF_S6_EEENSJ_IJSG_SG_EEENS0_18inequality_wrapperI22is_equal_div_10_uniqueIjEEEPmJS6_EEE10hipError_tPvRmT3_T4_T5_T6_T7_T9_mT8_P12ihipStream_tbDpT10_ENKUlT_T0_E_clISt17integral_constantIbLb0EES19_IbLb1EEEEDaS15_S16_EUlS15_E_NS1_11comp_targetILNS1_3genE4ELNS1_11target_archE910ELNS1_3gpuE8ELNS1_3repE0EEENS1_30default_config_static_selectorELNS0_4arch9wavefront6targetE1EEEvT1_.num_vgpr, 0
	.set _ZN7rocprim17ROCPRIM_400000_NS6detail17trampoline_kernelINS0_14default_configENS1_25partition_config_selectorILNS1_17partition_subalgoE8EjNS0_10empty_typeEbEEZZNS1_14partition_implILS5_8ELb0ES3_jN6thrust23THRUST_200600_302600_NS6detail15normal_iteratorINSA_10device_ptrIjEEEEPS6_PKS6_NS0_5tupleIJSF_S6_EEENSJ_IJSG_SG_EEENS0_18inequality_wrapperI22is_equal_div_10_uniqueIjEEEPmJS6_EEE10hipError_tPvRmT3_T4_T5_T6_T7_T9_mT8_P12ihipStream_tbDpT10_ENKUlT_T0_E_clISt17integral_constantIbLb0EES19_IbLb1EEEEDaS15_S16_EUlS15_E_NS1_11comp_targetILNS1_3genE4ELNS1_11target_archE910ELNS1_3gpuE8ELNS1_3repE0EEENS1_30default_config_static_selectorELNS0_4arch9wavefront6targetE1EEEvT1_.num_agpr, 0
	.set _ZN7rocprim17ROCPRIM_400000_NS6detail17trampoline_kernelINS0_14default_configENS1_25partition_config_selectorILNS1_17partition_subalgoE8EjNS0_10empty_typeEbEEZZNS1_14partition_implILS5_8ELb0ES3_jN6thrust23THRUST_200600_302600_NS6detail15normal_iteratorINSA_10device_ptrIjEEEEPS6_PKS6_NS0_5tupleIJSF_S6_EEENSJ_IJSG_SG_EEENS0_18inequality_wrapperI22is_equal_div_10_uniqueIjEEEPmJS6_EEE10hipError_tPvRmT3_T4_T5_T6_T7_T9_mT8_P12ihipStream_tbDpT10_ENKUlT_T0_E_clISt17integral_constantIbLb0EES19_IbLb1EEEEDaS15_S16_EUlS15_E_NS1_11comp_targetILNS1_3genE4ELNS1_11target_archE910ELNS1_3gpuE8ELNS1_3repE0EEENS1_30default_config_static_selectorELNS0_4arch9wavefront6targetE1EEEvT1_.numbered_sgpr, 0
	.set _ZN7rocprim17ROCPRIM_400000_NS6detail17trampoline_kernelINS0_14default_configENS1_25partition_config_selectorILNS1_17partition_subalgoE8EjNS0_10empty_typeEbEEZZNS1_14partition_implILS5_8ELb0ES3_jN6thrust23THRUST_200600_302600_NS6detail15normal_iteratorINSA_10device_ptrIjEEEEPS6_PKS6_NS0_5tupleIJSF_S6_EEENSJ_IJSG_SG_EEENS0_18inequality_wrapperI22is_equal_div_10_uniqueIjEEEPmJS6_EEE10hipError_tPvRmT3_T4_T5_T6_T7_T9_mT8_P12ihipStream_tbDpT10_ENKUlT_T0_E_clISt17integral_constantIbLb0EES19_IbLb1EEEEDaS15_S16_EUlS15_E_NS1_11comp_targetILNS1_3genE4ELNS1_11target_archE910ELNS1_3gpuE8ELNS1_3repE0EEENS1_30default_config_static_selectorELNS0_4arch9wavefront6targetE1EEEvT1_.num_named_barrier, 0
	.set _ZN7rocprim17ROCPRIM_400000_NS6detail17trampoline_kernelINS0_14default_configENS1_25partition_config_selectorILNS1_17partition_subalgoE8EjNS0_10empty_typeEbEEZZNS1_14partition_implILS5_8ELb0ES3_jN6thrust23THRUST_200600_302600_NS6detail15normal_iteratorINSA_10device_ptrIjEEEEPS6_PKS6_NS0_5tupleIJSF_S6_EEENSJ_IJSG_SG_EEENS0_18inequality_wrapperI22is_equal_div_10_uniqueIjEEEPmJS6_EEE10hipError_tPvRmT3_T4_T5_T6_T7_T9_mT8_P12ihipStream_tbDpT10_ENKUlT_T0_E_clISt17integral_constantIbLb0EES19_IbLb1EEEEDaS15_S16_EUlS15_E_NS1_11comp_targetILNS1_3genE4ELNS1_11target_archE910ELNS1_3gpuE8ELNS1_3repE0EEENS1_30default_config_static_selectorELNS0_4arch9wavefront6targetE1EEEvT1_.private_seg_size, 0
	.set _ZN7rocprim17ROCPRIM_400000_NS6detail17trampoline_kernelINS0_14default_configENS1_25partition_config_selectorILNS1_17partition_subalgoE8EjNS0_10empty_typeEbEEZZNS1_14partition_implILS5_8ELb0ES3_jN6thrust23THRUST_200600_302600_NS6detail15normal_iteratorINSA_10device_ptrIjEEEEPS6_PKS6_NS0_5tupleIJSF_S6_EEENSJ_IJSG_SG_EEENS0_18inequality_wrapperI22is_equal_div_10_uniqueIjEEEPmJS6_EEE10hipError_tPvRmT3_T4_T5_T6_T7_T9_mT8_P12ihipStream_tbDpT10_ENKUlT_T0_E_clISt17integral_constantIbLb0EES19_IbLb1EEEEDaS15_S16_EUlS15_E_NS1_11comp_targetILNS1_3genE4ELNS1_11target_archE910ELNS1_3gpuE8ELNS1_3repE0EEENS1_30default_config_static_selectorELNS0_4arch9wavefront6targetE1EEEvT1_.uses_vcc, 0
	.set _ZN7rocprim17ROCPRIM_400000_NS6detail17trampoline_kernelINS0_14default_configENS1_25partition_config_selectorILNS1_17partition_subalgoE8EjNS0_10empty_typeEbEEZZNS1_14partition_implILS5_8ELb0ES3_jN6thrust23THRUST_200600_302600_NS6detail15normal_iteratorINSA_10device_ptrIjEEEEPS6_PKS6_NS0_5tupleIJSF_S6_EEENSJ_IJSG_SG_EEENS0_18inequality_wrapperI22is_equal_div_10_uniqueIjEEEPmJS6_EEE10hipError_tPvRmT3_T4_T5_T6_T7_T9_mT8_P12ihipStream_tbDpT10_ENKUlT_T0_E_clISt17integral_constantIbLb0EES19_IbLb1EEEEDaS15_S16_EUlS15_E_NS1_11comp_targetILNS1_3genE4ELNS1_11target_archE910ELNS1_3gpuE8ELNS1_3repE0EEENS1_30default_config_static_selectorELNS0_4arch9wavefront6targetE1EEEvT1_.uses_flat_scratch, 0
	.set _ZN7rocprim17ROCPRIM_400000_NS6detail17trampoline_kernelINS0_14default_configENS1_25partition_config_selectorILNS1_17partition_subalgoE8EjNS0_10empty_typeEbEEZZNS1_14partition_implILS5_8ELb0ES3_jN6thrust23THRUST_200600_302600_NS6detail15normal_iteratorINSA_10device_ptrIjEEEEPS6_PKS6_NS0_5tupleIJSF_S6_EEENSJ_IJSG_SG_EEENS0_18inequality_wrapperI22is_equal_div_10_uniqueIjEEEPmJS6_EEE10hipError_tPvRmT3_T4_T5_T6_T7_T9_mT8_P12ihipStream_tbDpT10_ENKUlT_T0_E_clISt17integral_constantIbLb0EES19_IbLb1EEEEDaS15_S16_EUlS15_E_NS1_11comp_targetILNS1_3genE4ELNS1_11target_archE910ELNS1_3gpuE8ELNS1_3repE0EEENS1_30default_config_static_selectorELNS0_4arch9wavefront6targetE1EEEvT1_.has_dyn_sized_stack, 0
	.set _ZN7rocprim17ROCPRIM_400000_NS6detail17trampoline_kernelINS0_14default_configENS1_25partition_config_selectorILNS1_17partition_subalgoE8EjNS0_10empty_typeEbEEZZNS1_14partition_implILS5_8ELb0ES3_jN6thrust23THRUST_200600_302600_NS6detail15normal_iteratorINSA_10device_ptrIjEEEEPS6_PKS6_NS0_5tupleIJSF_S6_EEENSJ_IJSG_SG_EEENS0_18inequality_wrapperI22is_equal_div_10_uniqueIjEEEPmJS6_EEE10hipError_tPvRmT3_T4_T5_T6_T7_T9_mT8_P12ihipStream_tbDpT10_ENKUlT_T0_E_clISt17integral_constantIbLb0EES19_IbLb1EEEEDaS15_S16_EUlS15_E_NS1_11comp_targetILNS1_3genE4ELNS1_11target_archE910ELNS1_3gpuE8ELNS1_3repE0EEENS1_30default_config_static_selectorELNS0_4arch9wavefront6targetE1EEEvT1_.has_recursion, 0
	.set _ZN7rocprim17ROCPRIM_400000_NS6detail17trampoline_kernelINS0_14default_configENS1_25partition_config_selectorILNS1_17partition_subalgoE8EjNS0_10empty_typeEbEEZZNS1_14partition_implILS5_8ELb0ES3_jN6thrust23THRUST_200600_302600_NS6detail15normal_iteratorINSA_10device_ptrIjEEEEPS6_PKS6_NS0_5tupleIJSF_S6_EEENSJ_IJSG_SG_EEENS0_18inequality_wrapperI22is_equal_div_10_uniqueIjEEEPmJS6_EEE10hipError_tPvRmT3_T4_T5_T6_T7_T9_mT8_P12ihipStream_tbDpT10_ENKUlT_T0_E_clISt17integral_constantIbLb0EES19_IbLb1EEEEDaS15_S16_EUlS15_E_NS1_11comp_targetILNS1_3genE4ELNS1_11target_archE910ELNS1_3gpuE8ELNS1_3repE0EEENS1_30default_config_static_selectorELNS0_4arch9wavefront6targetE1EEEvT1_.has_indirect_call, 0
	.section	.AMDGPU.csdata,"",@progbits
; Kernel info:
; codeLenInByte = 0
; TotalNumSgprs: 4
; NumVgprs: 0
; ScratchSize: 0
; MemoryBound: 0
; FloatMode: 240
; IeeeMode: 1
; LDSByteSize: 0 bytes/workgroup (compile time only)
; SGPRBlocks: 0
; VGPRBlocks: 0
; NumSGPRsForWavesPerEU: 4
; NumVGPRsForWavesPerEU: 1
; Occupancy: 10
; WaveLimiterHint : 0
; COMPUTE_PGM_RSRC2:SCRATCH_EN: 0
; COMPUTE_PGM_RSRC2:USER_SGPR: 6
; COMPUTE_PGM_RSRC2:TRAP_HANDLER: 0
; COMPUTE_PGM_RSRC2:TGID_X_EN: 1
; COMPUTE_PGM_RSRC2:TGID_Y_EN: 0
; COMPUTE_PGM_RSRC2:TGID_Z_EN: 0
; COMPUTE_PGM_RSRC2:TIDIG_COMP_CNT: 0
	.section	.text._ZN7rocprim17ROCPRIM_400000_NS6detail17trampoline_kernelINS0_14default_configENS1_25partition_config_selectorILNS1_17partition_subalgoE8EjNS0_10empty_typeEbEEZZNS1_14partition_implILS5_8ELb0ES3_jN6thrust23THRUST_200600_302600_NS6detail15normal_iteratorINSA_10device_ptrIjEEEEPS6_PKS6_NS0_5tupleIJSF_S6_EEENSJ_IJSG_SG_EEENS0_18inequality_wrapperI22is_equal_div_10_uniqueIjEEEPmJS6_EEE10hipError_tPvRmT3_T4_T5_T6_T7_T9_mT8_P12ihipStream_tbDpT10_ENKUlT_T0_E_clISt17integral_constantIbLb0EES19_IbLb1EEEEDaS15_S16_EUlS15_E_NS1_11comp_targetILNS1_3genE3ELNS1_11target_archE908ELNS1_3gpuE7ELNS1_3repE0EEENS1_30default_config_static_selectorELNS0_4arch9wavefront6targetE1EEEvT1_,"axG",@progbits,_ZN7rocprim17ROCPRIM_400000_NS6detail17trampoline_kernelINS0_14default_configENS1_25partition_config_selectorILNS1_17partition_subalgoE8EjNS0_10empty_typeEbEEZZNS1_14partition_implILS5_8ELb0ES3_jN6thrust23THRUST_200600_302600_NS6detail15normal_iteratorINSA_10device_ptrIjEEEEPS6_PKS6_NS0_5tupleIJSF_S6_EEENSJ_IJSG_SG_EEENS0_18inequality_wrapperI22is_equal_div_10_uniqueIjEEEPmJS6_EEE10hipError_tPvRmT3_T4_T5_T6_T7_T9_mT8_P12ihipStream_tbDpT10_ENKUlT_T0_E_clISt17integral_constantIbLb0EES19_IbLb1EEEEDaS15_S16_EUlS15_E_NS1_11comp_targetILNS1_3genE3ELNS1_11target_archE908ELNS1_3gpuE7ELNS1_3repE0EEENS1_30default_config_static_selectorELNS0_4arch9wavefront6targetE1EEEvT1_,comdat
	.protected	_ZN7rocprim17ROCPRIM_400000_NS6detail17trampoline_kernelINS0_14default_configENS1_25partition_config_selectorILNS1_17partition_subalgoE8EjNS0_10empty_typeEbEEZZNS1_14partition_implILS5_8ELb0ES3_jN6thrust23THRUST_200600_302600_NS6detail15normal_iteratorINSA_10device_ptrIjEEEEPS6_PKS6_NS0_5tupleIJSF_S6_EEENSJ_IJSG_SG_EEENS0_18inequality_wrapperI22is_equal_div_10_uniqueIjEEEPmJS6_EEE10hipError_tPvRmT3_T4_T5_T6_T7_T9_mT8_P12ihipStream_tbDpT10_ENKUlT_T0_E_clISt17integral_constantIbLb0EES19_IbLb1EEEEDaS15_S16_EUlS15_E_NS1_11comp_targetILNS1_3genE3ELNS1_11target_archE908ELNS1_3gpuE7ELNS1_3repE0EEENS1_30default_config_static_selectorELNS0_4arch9wavefront6targetE1EEEvT1_ ; -- Begin function _ZN7rocprim17ROCPRIM_400000_NS6detail17trampoline_kernelINS0_14default_configENS1_25partition_config_selectorILNS1_17partition_subalgoE8EjNS0_10empty_typeEbEEZZNS1_14partition_implILS5_8ELb0ES3_jN6thrust23THRUST_200600_302600_NS6detail15normal_iteratorINSA_10device_ptrIjEEEEPS6_PKS6_NS0_5tupleIJSF_S6_EEENSJ_IJSG_SG_EEENS0_18inequality_wrapperI22is_equal_div_10_uniqueIjEEEPmJS6_EEE10hipError_tPvRmT3_T4_T5_T6_T7_T9_mT8_P12ihipStream_tbDpT10_ENKUlT_T0_E_clISt17integral_constantIbLb0EES19_IbLb1EEEEDaS15_S16_EUlS15_E_NS1_11comp_targetILNS1_3genE3ELNS1_11target_archE908ELNS1_3gpuE7ELNS1_3repE0EEENS1_30default_config_static_selectorELNS0_4arch9wavefront6targetE1EEEvT1_
	.globl	_ZN7rocprim17ROCPRIM_400000_NS6detail17trampoline_kernelINS0_14default_configENS1_25partition_config_selectorILNS1_17partition_subalgoE8EjNS0_10empty_typeEbEEZZNS1_14partition_implILS5_8ELb0ES3_jN6thrust23THRUST_200600_302600_NS6detail15normal_iteratorINSA_10device_ptrIjEEEEPS6_PKS6_NS0_5tupleIJSF_S6_EEENSJ_IJSG_SG_EEENS0_18inequality_wrapperI22is_equal_div_10_uniqueIjEEEPmJS6_EEE10hipError_tPvRmT3_T4_T5_T6_T7_T9_mT8_P12ihipStream_tbDpT10_ENKUlT_T0_E_clISt17integral_constantIbLb0EES19_IbLb1EEEEDaS15_S16_EUlS15_E_NS1_11comp_targetILNS1_3genE3ELNS1_11target_archE908ELNS1_3gpuE7ELNS1_3repE0EEENS1_30default_config_static_selectorELNS0_4arch9wavefront6targetE1EEEvT1_
	.p2align	8
	.type	_ZN7rocprim17ROCPRIM_400000_NS6detail17trampoline_kernelINS0_14default_configENS1_25partition_config_selectorILNS1_17partition_subalgoE8EjNS0_10empty_typeEbEEZZNS1_14partition_implILS5_8ELb0ES3_jN6thrust23THRUST_200600_302600_NS6detail15normal_iteratorINSA_10device_ptrIjEEEEPS6_PKS6_NS0_5tupleIJSF_S6_EEENSJ_IJSG_SG_EEENS0_18inequality_wrapperI22is_equal_div_10_uniqueIjEEEPmJS6_EEE10hipError_tPvRmT3_T4_T5_T6_T7_T9_mT8_P12ihipStream_tbDpT10_ENKUlT_T0_E_clISt17integral_constantIbLb0EES19_IbLb1EEEEDaS15_S16_EUlS15_E_NS1_11comp_targetILNS1_3genE3ELNS1_11target_archE908ELNS1_3gpuE7ELNS1_3repE0EEENS1_30default_config_static_selectorELNS0_4arch9wavefront6targetE1EEEvT1_,@function
_ZN7rocprim17ROCPRIM_400000_NS6detail17trampoline_kernelINS0_14default_configENS1_25partition_config_selectorILNS1_17partition_subalgoE8EjNS0_10empty_typeEbEEZZNS1_14partition_implILS5_8ELb0ES3_jN6thrust23THRUST_200600_302600_NS6detail15normal_iteratorINSA_10device_ptrIjEEEEPS6_PKS6_NS0_5tupleIJSF_S6_EEENSJ_IJSG_SG_EEENS0_18inequality_wrapperI22is_equal_div_10_uniqueIjEEEPmJS6_EEE10hipError_tPvRmT3_T4_T5_T6_T7_T9_mT8_P12ihipStream_tbDpT10_ENKUlT_T0_E_clISt17integral_constantIbLb0EES19_IbLb1EEEEDaS15_S16_EUlS15_E_NS1_11comp_targetILNS1_3genE3ELNS1_11target_archE908ELNS1_3gpuE7ELNS1_3repE0EEENS1_30default_config_static_selectorELNS0_4arch9wavefront6targetE1EEEvT1_: ; @_ZN7rocprim17ROCPRIM_400000_NS6detail17trampoline_kernelINS0_14default_configENS1_25partition_config_selectorILNS1_17partition_subalgoE8EjNS0_10empty_typeEbEEZZNS1_14partition_implILS5_8ELb0ES3_jN6thrust23THRUST_200600_302600_NS6detail15normal_iteratorINSA_10device_ptrIjEEEEPS6_PKS6_NS0_5tupleIJSF_S6_EEENSJ_IJSG_SG_EEENS0_18inequality_wrapperI22is_equal_div_10_uniqueIjEEEPmJS6_EEE10hipError_tPvRmT3_T4_T5_T6_T7_T9_mT8_P12ihipStream_tbDpT10_ENKUlT_T0_E_clISt17integral_constantIbLb0EES19_IbLb1EEEEDaS15_S16_EUlS15_E_NS1_11comp_targetILNS1_3genE3ELNS1_11target_archE908ELNS1_3gpuE7ELNS1_3repE0EEENS1_30default_config_static_selectorELNS0_4arch9wavefront6targetE1EEEvT1_
; %bb.0:
	.section	.rodata,"a",@progbits
	.p2align	6, 0x0
	.amdhsa_kernel _ZN7rocprim17ROCPRIM_400000_NS6detail17trampoline_kernelINS0_14default_configENS1_25partition_config_selectorILNS1_17partition_subalgoE8EjNS0_10empty_typeEbEEZZNS1_14partition_implILS5_8ELb0ES3_jN6thrust23THRUST_200600_302600_NS6detail15normal_iteratorINSA_10device_ptrIjEEEEPS6_PKS6_NS0_5tupleIJSF_S6_EEENSJ_IJSG_SG_EEENS0_18inequality_wrapperI22is_equal_div_10_uniqueIjEEEPmJS6_EEE10hipError_tPvRmT3_T4_T5_T6_T7_T9_mT8_P12ihipStream_tbDpT10_ENKUlT_T0_E_clISt17integral_constantIbLb0EES19_IbLb1EEEEDaS15_S16_EUlS15_E_NS1_11comp_targetILNS1_3genE3ELNS1_11target_archE908ELNS1_3gpuE7ELNS1_3repE0EEENS1_30default_config_static_selectorELNS0_4arch9wavefront6targetE1EEEvT1_
		.amdhsa_group_segment_fixed_size 0
		.amdhsa_private_segment_fixed_size 0
		.amdhsa_kernarg_size 128
		.amdhsa_user_sgpr_count 6
		.amdhsa_user_sgpr_private_segment_buffer 1
		.amdhsa_user_sgpr_dispatch_ptr 0
		.amdhsa_user_sgpr_queue_ptr 0
		.amdhsa_user_sgpr_kernarg_segment_ptr 1
		.amdhsa_user_sgpr_dispatch_id 0
		.amdhsa_user_sgpr_flat_scratch_init 0
		.amdhsa_user_sgpr_private_segment_size 0
		.amdhsa_uses_dynamic_stack 0
		.amdhsa_system_sgpr_private_segment_wavefront_offset 0
		.amdhsa_system_sgpr_workgroup_id_x 1
		.amdhsa_system_sgpr_workgroup_id_y 0
		.amdhsa_system_sgpr_workgroup_id_z 0
		.amdhsa_system_sgpr_workgroup_info 0
		.amdhsa_system_vgpr_workitem_id 0
		.amdhsa_next_free_vgpr 1
		.amdhsa_next_free_sgpr 0
		.amdhsa_reserve_vcc 0
		.amdhsa_reserve_flat_scratch 0
		.amdhsa_float_round_mode_32 0
		.amdhsa_float_round_mode_16_64 0
		.amdhsa_float_denorm_mode_32 3
		.amdhsa_float_denorm_mode_16_64 3
		.amdhsa_dx10_clamp 1
		.amdhsa_ieee_mode 1
		.amdhsa_fp16_overflow 0
		.amdhsa_exception_fp_ieee_invalid_op 0
		.amdhsa_exception_fp_denorm_src 0
		.amdhsa_exception_fp_ieee_div_zero 0
		.amdhsa_exception_fp_ieee_overflow 0
		.amdhsa_exception_fp_ieee_underflow 0
		.amdhsa_exception_fp_ieee_inexact 0
		.amdhsa_exception_int_div_zero 0
	.end_amdhsa_kernel
	.section	.text._ZN7rocprim17ROCPRIM_400000_NS6detail17trampoline_kernelINS0_14default_configENS1_25partition_config_selectorILNS1_17partition_subalgoE8EjNS0_10empty_typeEbEEZZNS1_14partition_implILS5_8ELb0ES3_jN6thrust23THRUST_200600_302600_NS6detail15normal_iteratorINSA_10device_ptrIjEEEEPS6_PKS6_NS0_5tupleIJSF_S6_EEENSJ_IJSG_SG_EEENS0_18inequality_wrapperI22is_equal_div_10_uniqueIjEEEPmJS6_EEE10hipError_tPvRmT3_T4_T5_T6_T7_T9_mT8_P12ihipStream_tbDpT10_ENKUlT_T0_E_clISt17integral_constantIbLb0EES19_IbLb1EEEEDaS15_S16_EUlS15_E_NS1_11comp_targetILNS1_3genE3ELNS1_11target_archE908ELNS1_3gpuE7ELNS1_3repE0EEENS1_30default_config_static_selectorELNS0_4arch9wavefront6targetE1EEEvT1_,"axG",@progbits,_ZN7rocprim17ROCPRIM_400000_NS6detail17trampoline_kernelINS0_14default_configENS1_25partition_config_selectorILNS1_17partition_subalgoE8EjNS0_10empty_typeEbEEZZNS1_14partition_implILS5_8ELb0ES3_jN6thrust23THRUST_200600_302600_NS6detail15normal_iteratorINSA_10device_ptrIjEEEEPS6_PKS6_NS0_5tupleIJSF_S6_EEENSJ_IJSG_SG_EEENS0_18inequality_wrapperI22is_equal_div_10_uniqueIjEEEPmJS6_EEE10hipError_tPvRmT3_T4_T5_T6_T7_T9_mT8_P12ihipStream_tbDpT10_ENKUlT_T0_E_clISt17integral_constantIbLb0EES19_IbLb1EEEEDaS15_S16_EUlS15_E_NS1_11comp_targetILNS1_3genE3ELNS1_11target_archE908ELNS1_3gpuE7ELNS1_3repE0EEENS1_30default_config_static_selectorELNS0_4arch9wavefront6targetE1EEEvT1_,comdat
.Lfunc_end269:
	.size	_ZN7rocprim17ROCPRIM_400000_NS6detail17trampoline_kernelINS0_14default_configENS1_25partition_config_selectorILNS1_17partition_subalgoE8EjNS0_10empty_typeEbEEZZNS1_14partition_implILS5_8ELb0ES3_jN6thrust23THRUST_200600_302600_NS6detail15normal_iteratorINSA_10device_ptrIjEEEEPS6_PKS6_NS0_5tupleIJSF_S6_EEENSJ_IJSG_SG_EEENS0_18inequality_wrapperI22is_equal_div_10_uniqueIjEEEPmJS6_EEE10hipError_tPvRmT3_T4_T5_T6_T7_T9_mT8_P12ihipStream_tbDpT10_ENKUlT_T0_E_clISt17integral_constantIbLb0EES19_IbLb1EEEEDaS15_S16_EUlS15_E_NS1_11comp_targetILNS1_3genE3ELNS1_11target_archE908ELNS1_3gpuE7ELNS1_3repE0EEENS1_30default_config_static_selectorELNS0_4arch9wavefront6targetE1EEEvT1_, .Lfunc_end269-_ZN7rocprim17ROCPRIM_400000_NS6detail17trampoline_kernelINS0_14default_configENS1_25partition_config_selectorILNS1_17partition_subalgoE8EjNS0_10empty_typeEbEEZZNS1_14partition_implILS5_8ELb0ES3_jN6thrust23THRUST_200600_302600_NS6detail15normal_iteratorINSA_10device_ptrIjEEEEPS6_PKS6_NS0_5tupleIJSF_S6_EEENSJ_IJSG_SG_EEENS0_18inequality_wrapperI22is_equal_div_10_uniqueIjEEEPmJS6_EEE10hipError_tPvRmT3_T4_T5_T6_T7_T9_mT8_P12ihipStream_tbDpT10_ENKUlT_T0_E_clISt17integral_constantIbLb0EES19_IbLb1EEEEDaS15_S16_EUlS15_E_NS1_11comp_targetILNS1_3genE3ELNS1_11target_archE908ELNS1_3gpuE7ELNS1_3repE0EEENS1_30default_config_static_selectorELNS0_4arch9wavefront6targetE1EEEvT1_
                                        ; -- End function
	.set _ZN7rocprim17ROCPRIM_400000_NS6detail17trampoline_kernelINS0_14default_configENS1_25partition_config_selectorILNS1_17partition_subalgoE8EjNS0_10empty_typeEbEEZZNS1_14partition_implILS5_8ELb0ES3_jN6thrust23THRUST_200600_302600_NS6detail15normal_iteratorINSA_10device_ptrIjEEEEPS6_PKS6_NS0_5tupleIJSF_S6_EEENSJ_IJSG_SG_EEENS0_18inequality_wrapperI22is_equal_div_10_uniqueIjEEEPmJS6_EEE10hipError_tPvRmT3_T4_T5_T6_T7_T9_mT8_P12ihipStream_tbDpT10_ENKUlT_T0_E_clISt17integral_constantIbLb0EES19_IbLb1EEEEDaS15_S16_EUlS15_E_NS1_11comp_targetILNS1_3genE3ELNS1_11target_archE908ELNS1_3gpuE7ELNS1_3repE0EEENS1_30default_config_static_selectorELNS0_4arch9wavefront6targetE1EEEvT1_.num_vgpr, 0
	.set _ZN7rocprim17ROCPRIM_400000_NS6detail17trampoline_kernelINS0_14default_configENS1_25partition_config_selectorILNS1_17partition_subalgoE8EjNS0_10empty_typeEbEEZZNS1_14partition_implILS5_8ELb0ES3_jN6thrust23THRUST_200600_302600_NS6detail15normal_iteratorINSA_10device_ptrIjEEEEPS6_PKS6_NS0_5tupleIJSF_S6_EEENSJ_IJSG_SG_EEENS0_18inequality_wrapperI22is_equal_div_10_uniqueIjEEEPmJS6_EEE10hipError_tPvRmT3_T4_T5_T6_T7_T9_mT8_P12ihipStream_tbDpT10_ENKUlT_T0_E_clISt17integral_constantIbLb0EES19_IbLb1EEEEDaS15_S16_EUlS15_E_NS1_11comp_targetILNS1_3genE3ELNS1_11target_archE908ELNS1_3gpuE7ELNS1_3repE0EEENS1_30default_config_static_selectorELNS0_4arch9wavefront6targetE1EEEvT1_.num_agpr, 0
	.set _ZN7rocprim17ROCPRIM_400000_NS6detail17trampoline_kernelINS0_14default_configENS1_25partition_config_selectorILNS1_17partition_subalgoE8EjNS0_10empty_typeEbEEZZNS1_14partition_implILS5_8ELb0ES3_jN6thrust23THRUST_200600_302600_NS6detail15normal_iteratorINSA_10device_ptrIjEEEEPS6_PKS6_NS0_5tupleIJSF_S6_EEENSJ_IJSG_SG_EEENS0_18inequality_wrapperI22is_equal_div_10_uniqueIjEEEPmJS6_EEE10hipError_tPvRmT3_T4_T5_T6_T7_T9_mT8_P12ihipStream_tbDpT10_ENKUlT_T0_E_clISt17integral_constantIbLb0EES19_IbLb1EEEEDaS15_S16_EUlS15_E_NS1_11comp_targetILNS1_3genE3ELNS1_11target_archE908ELNS1_3gpuE7ELNS1_3repE0EEENS1_30default_config_static_selectorELNS0_4arch9wavefront6targetE1EEEvT1_.numbered_sgpr, 0
	.set _ZN7rocprim17ROCPRIM_400000_NS6detail17trampoline_kernelINS0_14default_configENS1_25partition_config_selectorILNS1_17partition_subalgoE8EjNS0_10empty_typeEbEEZZNS1_14partition_implILS5_8ELb0ES3_jN6thrust23THRUST_200600_302600_NS6detail15normal_iteratorINSA_10device_ptrIjEEEEPS6_PKS6_NS0_5tupleIJSF_S6_EEENSJ_IJSG_SG_EEENS0_18inequality_wrapperI22is_equal_div_10_uniqueIjEEEPmJS6_EEE10hipError_tPvRmT3_T4_T5_T6_T7_T9_mT8_P12ihipStream_tbDpT10_ENKUlT_T0_E_clISt17integral_constantIbLb0EES19_IbLb1EEEEDaS15_S16_EUlS15_E_NS1_11comp_targetILNS1_3genE3ELNS1_11target_archE908ELNS1_3gpuE7ELNS1_3repE0EEENS1_30default_config_static_selectorELNS0_4arch9wavefront6targetE1EEEvT1_.num_named_barrier, 0
	.set _ZN7rocprim17ROCPRIM_400000_NS6detail17trampoline_kernelINS0_14default_configENS1_25partition_config_selectorILNS1_17partition_subalgoE8EjNS0_10empty_typeEbEEZZNS1_14partition_implILS5_8ELb0ES3_jN6thrust23THRUST_200600_302600_NS6detail15normal_iteratorINSA_10device_ptrIjEEEEPS6_PKS6_NS0_5tupleIJSF_S6_EEENSJ_IJSG_SG_EEENS0_18inequality_wrapperI22is_equal_div_10_uniqueIjEEEPmJS6_EEE10hipError_tPvRmT3_T4_T5_T6_T7_T9_mT8_P12ihipStream_tbDpT10_ENKUlT_T0_E_clISt17integral_constantIbLb0EES19_IbLb1EEEEDaS15_S16_EUlS15_E_NS1_11comp_targetILNS1_3genE3ELNS1_11target_archE908ELNS1_3gpuE7ELNS1_3repE0EEENS1_30default_config_static_selectorELNS0_4arch9wavefront6targetE1EEEvT1_.private_seg_size, 0
	.set _ZN7rocprim17ROCPRIM_400000_NS6detail17trampoline_kernelINS0_14default_configENS1_25partition_config_selectorILNS1_17partition_subalgoE8EjNS0_10empty_typeEbEEZZNS1_14partition_implILS5_8ELb0ES3_jN6thrust23THRUST_200600_302600_NS6detail15normal_iteratorINSA_10device_ptrIjEEEEPS6_PKS6_NS0_5tupleIJSF_S6_EEENSJ_IJSG_SG_EEENS0_18inequality_wrapperI22is_equal_div_10_uniqueIjEEEPmJS6_EEE10hipError_tPvRmT3_T4_T5_T6_T7_T9_mT8_P12ihipStream_tbDpT10_ENKUlT_T0_E_clISt17integral_constantIbLb0EES19_IbLb1EEEEDaS15_S16_EUlS15_E_NS1_11comp_targetILNS1_3genE3ELNS1_11target_archE908ELNS1_3gpuE7ELNS1_3repE0EEENS1_30default_config_static_selectorELNS0_4arch9wavefront6targetE1EEEvT1_.uses_vcc, 0
	.set _ZN7rocprim17ROCPRIM_400000_NS6detail17trampoline_kernelINS0_14default_configENS1_25partition_config_selectorILNS1_17partition_subalgoE8EjNS0_10empty_typeEbEEZZNS1_14partition_implILS5_8ELb0ES3_jN6thrust23THRUST_200600_302600_NS6detail15normal_iteratorINSA_10device_ptrIjEEEEPS6_PKS6_NS0_5tupleIJSF_S6_EEENSJ_IJSG_SG_EEENS0_18inequality_wrapperI22is_equal_div_10_uniqueIjEEEPmJS6_EEE10hipError_tPvRmT3_T4_T5_T6_T7_T9_mT8_P12ihipStream_tbDpT10_ENKUlT_T0_E_clISt17integral_constantIbLb0EES19_IbLb1EEEEDaS15_S16_EUlS15_E_NS1_11comp_targetILNS1_3genE3ELNS1_11target_archE908ELNS1_3gpuE7ELNS1_3repE0EEENS1_30default_config_static_selectorELNS0_4arch9wavefront6targetE1EEEvT1_.uses_flat_scratch, 0
	.set _ZN7rocprim17ROCPRIM_400000_NS6detail17trampoline_kernelINS0_14default_configENS1_25partition_config_selectorILNS1_17partition_subalgoE8EjNS0_10empty_typeEbEEZZNS1_14partition_implILS5_8ELb0ES3_jN6thrust23THRUST_200600_302600_NS6detail15normal_iteratorINSA_10device_ptrIjEEEEPS6_PKS6_NS0_5tupleIJSF_S6_EEENSJ_IJSG_SG_EEENS0_18inequality_wrapperI22is_equal_div_10_uniqueIjEEEPmJS6_EEE10hipError_tPvRmT3_T4_T5_T6_T7_T9_mT8_P12ihipStream_tbDpT10_ENKUlT_T0_E_clISt17integral_constantIbLb0EES19_IbLb1EEEEDaS15_S16_EUlS15_E_NS1_11comp_targetILNS1_3genE3ELNS1_11target_archE908ELNS1_3gpuE7ELNS1_3repE0EEENS1_30default_config_static_selectorELNS0_4arch9wavefront6targetE1EEEvT1_.has_dyn_sized_stack, 0
	.set _ZN7rocprim17ROCPRIM_400000_NS6detail17trampoline_kernelINS0_14default_configENS1_25partition_config_selectorILNS1_17partition_subalgoE8EjNS0_10empty_typeEbEEZZNS1_14partition_implILS5_8ELb0ES3_jN6thrust23THRUST_200600_302600_NS6detail15normal_iteratorINSA_10device_ptrIjEEEEPS6_PKS6_NS0_5tupleIJSF_S6_EEENSJ_IJSG_SG_EEENS0_18inequality_wrapperI22is_equal_div_10_uniqueIjEEEPmJS6_EEE10hipError_tPvRmT3_T4_T5_T6_T7_T9_mT8_P12ihipStream_tbDpT10_ENKUlT_T0_E_clISt17integral_constantIbLb0EES19_IbLb1EEEEDaS15_S16_EUlS15_E_NS1_11comp_targetILNS1_3genE3ELNS1_11target_archE908ELNS1_3gpuE7ELNS1_3repE0EEENS1_30default_config_static_selectorELNS0_4arch9wavefront6targetE1EEEvT1_.has_recursion, 0
	.set _ZN7rocprim17ROCPRIM_400000_NS6detail17trampoline_kernelINS0_14default_configENS1_25partition_config_selectorILNS1_17partition_subalgoE8EjNS0_10empty_typeEbEEZZNS1_14partition_implILS5_8ELb0ES3_jN6thrust23THRUST_200600_302600_NS6detail15normal_iteratorINSA_10device_ptrIjEEEEPS6_PKS6_NS0_5tupleIJSF_S6_EEENSJ_IJSG_SG_EEENS0_18inequality_wrapperI22is_equal_div_10_uniqueIjEEEPmJS6_EEE10hipError_tPvRmT3_T4_T5_T6_T7_T9_mT8_P12ihipStream_tbDpT10_ENKUlT_T0_E_clISt17integral_constantIbLb0EES19_IbLb1EEEEDaS15_S16_EUlS15_E_NS1_11comp_targetILNS1_3genE3ELNS1_11target_archE908ELNS1_3gpuE7ELNS1_3repE0EEENS1_30default_config_static_selectorELNS0_4arch9wavefront6targetE1EEEvT1_.has_indirect_call, 0
	.section	.AMDGPU.csdata,"",@progbits
; Kernel info:
; codeLenInByte = 0
; TotalNumSgprs: 4
; NumVgprs: 0
; ScratchSize: 0
; MemoryBound: 0
; FloatMode: 240
; IeeeMode: 1
; LDSByteSize: 0 bytes/workgroup (compile time only)
; SGPRBlocks: 0
; VGPRBlocks: 0
; NumSGPRsForWavesPerEU: 4
; NumVGPRsForWavesPerEU: 1
; Occupancy: 10
; WaveLimiterHint : 0
; COMPUTE_PGM_RSRC2:SCRATCH_EN: 0
; COMPUTE_PGM_RSRC2:USER_SGPR: 6
; COMPUTE_PGM_RSRC2:TRAP_HANDLER: 0
; COMPUTE_PGM_RSRC2:TGID_X_EN: 1
; COMPUTE_PGM_RSRC2:TGID_Y_EN: 0
; COMPUTE_PGM_RSRC2:TGID_Z_EN: 0
; COMPUTE_PGM_RSRC2:TIDIG_COMP_CNT: 0
	.section	.text._ZN7rocprim17ROCPRIM_400000_NS6detail17trampoline_kernelINS0_14default_configENS1_25partition_config_selectorILNS1_17partition_subalgoE8EjNS0_10empty_typeEbEEZZNS1_14partition_implILS5_8ELb0ES3_jN6thrust23THRUST_200600_302600_NS6detail15normal_iteratorINSA_10device_ptrIjEEEEPS6_PKS6_NS0_5tupleIJSF_S6_EEENSJ_IJSG_SG_EEENS0_18inequality_wrapperI22is_equal_div_10_uniqueIjEEEPmJS6_EEE10hipError_tPvRmT3_T4_T5_T6_T7_T9_mT8_P12ihipStream_tbDpT10_ENKUlT_T0_E_clISt17integral_constantIbLb0EES19_IbLb1EEEEDaS15_S16_EUlS15_E_NS1_11comp_targetILNS1_3genE2ELNS1_11target_archE906ELNS1_3gpuE6ELNS1_3repE0EEENS1_30default_config_static_selectorELNS0_4arch9wavefront6targetE1EEEvT1_,"axG",@progbits,_ZN7rocprim17ROCPRIM_400000_NS6detail17trampoline_kernelINS0_14default_configENS1_25partition_config_selectorILNS1_17partition_subalgoE8EjNS0_10empty_typeEbEEZZNS1_14partition_implILS5_8ELb0ES3_jN6thrust23THRUST_200600_302600_NS6detail15normal_iteratorINSA_10device_ptrIjEEEEPS6_PKS6_NS0_5tupleIJSF_S6_EEENSJ_IJSG_SG_EEENS0_18inequality_wrapperI22is_equal_div_10_uniqueIjEEEPmJS6_EEE10hipError_tPvRmT3_T4_T5_T6_T7_T9_mT8_P12ihipStream_tbDpT10_ENKUlT_T0_E_clISt17integral_constantIbLb0EES19_IbLb1EEEEDaS15_S16_EUlS15_E_NS1_11comp_targetILNS1_3genE2ELNS1_11target_archE906ELNS1_3gpuE6ELNS1_3repE0EEENS1_30default_config_static_selectorELNS0_4arch9wavefront6targetE1EEEvT1_,comdat
	.protected	_ZN7rocprim17ROCPRIM_400000_NS6detail17trampoline_kernelINS0_14default_configENS1_25partition_config_selectorILNS1_17partition_subalgoE8EjNS0_10empty_typeEbEEZZNS1_14partition_implILS5_8ELb0ES3_jN6thrust23THRUST_200600_302600_NS6detail15normal_iteratorINSA_10device_ptrIjEEEEPS6_PKS6_NS0_5tupleIJSF_S6_EEENSJ_IJSG_SG_EEENS0_18inequality_wrapperI22is_equal_div_10_uniqueIjEEEPmJS6_EEE10hipError_tPvRmT3_T4_T5_T6_T7_T9_mT8_P12ihipStream_tbDpT10_ENKUlT_T0_E_clISt17integral_constantIbLb0EES19_IbLb1EEEEDaS15_S16_EUlS15_E_NS1_11comp_targetILNS1_3genE2ELNS1_11target_archE906ELNS1_3gpuE6ELNS1_3repE0EEENS1_30default_config_static_selectorELNS0_4arch9wavefront6targetE1EEEvT1_ ; -- Begin function _ZN7rocprim17ROCPRIM_400000_NS6detail17trampoline_kernelINS0_14default_configENS1_25partition_config_selectorILNS1_17partition_subalgoE8EjNS0_10empty_typeEbEEZZNS1_14partition_implILS5_8ELb0ES3_jN6thrust23THRUST_200600_302600_NS6detail15normal_iteratorINSA_10device_ptrIjEEEEPS6_PKS6_NS0_5tupleIJSF_S6_EEENSJ_IJSG_SG_EEENS0_18inequality_wrapperI22is_equal_div_10_uniqueIjEEEPmJS6_EEE10hipError_tPvRmT3_T4_T5_T6_T7_T9_mT8_P12ihipStream_tbDpT10_ENKUlT_T0_E_clISt17integral_constantIbLb0EES19_IbLb1EEEEDaS15_S16_EUlS15_E_NS1_11comp_targetILNS1_3genE2ELNS1_11target_archE906ELNS1_3gpuE6ELNS1_3repE0EEENS1_30default_config_static_selectorELNS0_4arch9wavefront6targetE1EEEvT1_
	.globl	_ZN7rocprim17ROCPRIM_400000_NS6detail17trampoline_kernelINS0_14default_configENS1_25partition_config_selectorILNS1_17partition_subalgoE8EjNS0_10empty_typeEbEEZZNS1_14partition_implILS5_8ELb0ES3_jN6thrust23THRUST_200600_302600_NS6detail15normal_iteratorINSA_10device_ptrIjEEEEPS6_PKS6_NS0_5tupleIJSF_S6_EEENSJ_IJSG_SG_EEENS0_18inequality_wrapperI22is_equal_div_10_uniqueIjEEEPmJS6_EEE10hipError_tPvRmT3_T4_T5_T6_T7_T9_mT8_P12ihipStream_tbDpT10_ENKUlT_T0_E_clISt17integral_constantIbLb0EES19_IbLb1EEEEDaS15_S16_EUlS15_E_NS1_11comp_targetILNS1_3genE2ELNS1_11target_archE906ELNS1_3gpuE6ELNS1_3repE0EEENS1_30default_config_static_selectorELNS0_4arch9wavefront6targetE1EEEvT1_
	.p2align	8
	.type	_ZN7rocprim17ROCPRIM_400000_NS6detail17trampoline_kernelINS0_14default_configENS1_25partition_config_selectorILNS1_17partition_subalgoE8EjNS0_10empty_typeEbEEZZNS1_14partition_implILS5_8ELb0ES3_jN6thrust23THRUST_200600_302600_NS6detail15normal_iteratorINSA_10device_ptrIjEEEEPS6_PKS6_NS0_5tupleIJSF_S6_EEENSJ_IJSG_SG_EEENS0_18inequality_wrapperI22is_equal_div_10_uniqueIjEEEPmJS6_EEE10hipError_tPvRmT3_T4_T5_T6_T7_T9_mT8_P12ihipStream_tbDpT10_ENKUlT_T0_E_clISt17integral_constantIbLb0EES19_IbLb1EEEEDaS15_S16_EUlS15_E_NS1_11comp_targetILNS1_3genE2ELNS1_11target_archE906ELNS1_3gpuE6ELNS1_3repE0EEENS1_30default_config_static_selectorELNS0_4arch9wavefront6targetE1EEEvT1_,@function
_ZN7rocprim17ROCPRIM_400000_NS6detail17trampoline_kernelINS0_14default_configENS1_25partition_config_selectorILNS1_17partition_subalgoE8EjNS0_10empty_typeEbEEZZNS1_14partition_implILS5_8ELb0ES3_jN6thrust23THRUST_200600_302600_NS6detail15normal_iteratorINSA_10device_ptrIjEEEEPS6_PKS6_NS0_5tupleIJSF_S6_EEENSJ_IJSG_SG_EEENS0_18inequality_wrapperI22is_equal_div_10_uniqueIjEEEPmJS6_EEE10hipError_tPvRmT3_T4_T5_T6_T7_T9_mT8_P12ihipStream_tbDpT10_ENKUlT_T0_E_clISt17integral_constantIbLb0EES19_IbLb1EEEEDaS15_S16_EUlS15_E_NS1_11comp_targetILNS1_3genE2ELNS1_11target_archE906ELNS1_3gpuE6ELNS1_3repE0EEENS1_30default_config_static_selectorELNS0_4arch9wavefront6targetE1EEEvT1_: ; @_ZN7rocprim17ROCPRIM_400000_NS6detail17trampoline_kernelINS0_14default_configENS1_25partition_config_selectorILNS1_17partition_subalgoE8EjNS0_10empty_typeEbEEZZNS1_14partition_implILS5_8ELb0ES3_jN6thrust23THRUST_200600_302600_NS6detail15normal_iteratorINSA_10device_ptrIjEEEEPS6_PKS6_NS0_5tupleIJSF_S6_EEENSJ_IJSG_SG_EEENS0_18inequality_wrapperI22is_equal_div_10_uniqueIjEEEPmJS6_EEE10hipError_tPvRmT3_T4_T5_T6_T7_T9_mT8_P12ihipStream_tbDpT10_ENKUlT_T0_E_clISt17integral_constantIbLb0EES19_IbLb1EEEEDaS15_S16_EUlS15_E_NS1_11comp_targetILNS1_3genE2ELNS1_11target_archE906ELNS1_3gpuE6ELNS1_3repE0EEENS1_30default_config_static_selectorELNS0_4arch9wavefront6targetE1EEEvT1_
; %bb.0:
	s_load_dwordx2 s[34:35], s[4:5], 0x28
	s_load_dwordx4 s[36:39], s[4:5], 0x40
	s_load_dwordx2 s[6:7], s[4:5], 0x50
	s_load_dwordx2 s[42:43], s[4:5], 0x60
	v_cmp_ne_u32_e64 s[2:3], 0, v0
	v_cmp_eq_u32_e64 s[0:1], 0, v0
	s_and_saveexec_b64 s[8:9], s[0:1]
	s_cbranch_execz .LBB270_4
; %bb.1:
	s_mov_b64 s[12:13], exec
	v_mbcnt_lo_u32_b32 v1, s12, 0
	v_mbcnt_hi_u32_b32 v1, s13, v1
	v_cmp_eq_u32_e32 vcc, 0, v1
                                        ; implicit-def: $vgpr2
	s_and_saveexec_b64 s[10:11], vcc
	s_cbranch_execz .LBB270_3
; %bb.2:
	s_load_dwordx2 s[14:15], s[4:5], 0x70
	s_bcnt1_i32_b64 s12, s[12:13]
	v_mov_b32_e32 v2, 0
	v_mov_b32_e32 v3, s12
	s_waitcnt lgkmcnt(0)
	global_atomic_add v2, v2, v3, s[14:15] glc
.LBB270_3:
	s_or_b64 exec, exec, s[10:11]
	s_waitcnt vmcnt(0)
	v_readfirstlane_b32 s10, v2
	v_add_u32_e32 v1, s10, v1
	v_mov_b32_e32 v2, 0
	ds_write_b32 v2, v1
.LBB270_4:
	s_or_b64 exec, exec, s[8:9]
	v_mov_b32_e32 v2, 0
	s_load_dwordx4 s[8:11], s[4:5], 0x8
	s_load_dword s12, s[4:5], 0x68
	s_waitcnt lgkmcnt(0)
	s_barrier
	ds_read_b32 v1, v2
	s_waitcnt lgkmcnt(0)
	s_barrier
	global_load_dwordx2 v[18:19], v2, s[38:39]
	s_lshl_b64 s[4:5], s[10:11], 2
	s_add_u32 s13, s8, s4
	s_addc_u32 s9, s9, s5
	s_add_i32 s14, s12, -1
	s_lshl_b32 s4, s14, 12
	s_add_i32 s8, s10, s4
	s_lshl_b32 s4, s12, 12
	s_add_u32 s4, s10, s4
	s_addc_u32 s5, s11, 0
	v_mov_b32_e32 v3, s4
	v_readfirstlane_b32 s33, v1
	v_lshlrev_b32_e32 v1, 12, v1
	v_mov_b32_e32 v4, s5
	v_cmp_le_u64_e32 vcc, s[6:7], v[3:4]
	s_cmp_eq_u32 s33, s14
	v_lshlrev_b64 v[1:2], 2, v[1:2]
	s_cselect_b64 s[38:39], -1, 0
	s_and_b64 s[44:45], vcc, s[38:39]
	v_mov_b32_e32 v3, s9
	v_add_co_u32_e32 v20, vcc, s13, v1
	s_xor_b64 s[40:41], s[44:45], -1
	v_addc_co_u32_e32 v21, vcc, v3, v2, vcc
	s_mov_b64 s[4:5], -1
	s_and_b64 vcc, exec, s[40:41]
	v_lshrrev_b32_e32 v22, 3, v0
	s_cbranch_vccz .LBB270_6
; %bb.5:
	v_lshlrev_b32_e32 v5, 2, v0
	v_add_co_u32_e32 v1, vcc, v20, v5
	v_addc_co_u32_e32 v2, vcc, 0, v21, vcc
	v_add_co_u32_e32 v3, vcc, 0x1000, v1
	v_addc_co_u32_e32 v4, vcc, 0, v2, vcc
	flat_load_dword v6, v[1:2]
	flat_load_dword v7, v[1:2] offset:1024
	flat_load_dword v8, v[1:2] offset:2048
	;; [unrolled: 1-line block ×3, first 2 shown]
	flat_load_dword v10, v[3:4]
	flat_load_dword v11, v[3:4] offset:1024
	flat_load_dword v12, v[3:4] offset:2048
	;; [unrolled: 1-line block ×3, first 2 shown]
	v_add_co_u32_e32 v3, vcc, 0x2000, v1
	v_addc_co_u32_e32 v4, vcc, 0, v2, vcc
	flat_load_dword v14, v[3:4]
	flat_load_dword v15, v[3:4] offset:1024
	flat_load_dword v16, v[3:4] offset:2048
	;; [unrolled: 1-line block ×3, first 2 shown]
	v_add_co_u32_e32 v1, vcc, 0x3000, v1
	v_addc_co_u32_e32 v2, vcc, 0, v2, vcc
	flat_load_dword v3, v[1:2]
	flat_load_dword v4, v[1:2] offset:1024
	flat_load_dword v23, v[1:2] offset:2048
	;; [unrolled: 1-line block ×3, first 2 shown]
	v_or_b32_e32 v2, 0x100, v0
	v_or_b32_e32 v25, 0x200, v0
	;; [unrolled: 1-line block ×9, first 2 shown]
	v_and_b32_e32 v1, 28, v22
	v_or_b32_e32 v33, 0xa00, v0
	v_lshrrev_b32_e32 v2, 3, v2
	v_lshrrev_b32_e32 v25, 3, v25
	;; [unrolled: 1-line block ×9, first 2 shown]
	v_add_u32_e32 v1, v1, v5
	v_lshrrev_b32_e32 v33, 3, v33
	v_and_b32_e32 v2, 60, v2
	v_and_b32_e32 v25, 0x5c, v25
	;; [unrolled: 1-line block ×9, first 2 shown]
	v_add_u32_e32 v2, v2, v5
	v_add_u32_e32 v25, v25, v5
	v_add_u32_e32 v26, v26, v5
	v_add_u32_e32 v27, v27, v5
	v_add_u32_e32 v28, v28, v5
	v_add_u32_e32 v29, v29, v5
	v_add_u32_e32 v30, v30, v5
	v_add_u32_e32 v31, v31, v5
	v_add_u32_e32 v32, v32, v5
	s_mov_b64 s[4:5], 0
	s_waitcnt vmcnt(0) lgkmcnt(0)
	ds_write_b32 v1, v6
	ds_write_b32 v2, v7 offset:1024
	ds_write_b32 v25, v8 offset:2048
	;; [unrolled: 1-line block ×9, first 2 shown]
	v_and_b32_e32 v1, 0x15c, v33
	v_add_u32_e32 v1, v1, v5
	ds_write_b32 v1, v16 offset:10240
	v_or_b32_e32 v1, 0xb00, v0
	v_lshrrev_b32_e32 v1, 3, v1
	v_and_b32_e32 v1, 0x17c, v1
	v_add_u32_e32 v1, v1, v5
	ds_write_b32 v1, v17 offset:11264
	v_or_b32_e32 v1, 0xc00, v0
	v_lshrrev_b32_e32 v1, 3, v1
	;; [unrolled: 5-line block ×5, first 2 shown]
	v_and_b32_e32 v1, 0x1fc, v1
	v_add_u32_e32 v1, v1, v5
	ds_write_b32 v1, v24 offset:15360
	s_waitcnt lgkmcnt(0)
	s_barrier
.LBB270_6:
	s_andn2_b64 vcc, exec, s[4:5]
	s_sub_i32 s56, s6, s8
	s_cbranch_vccnz .LBB270_40
; %bb.7:
	v_mov_b32_e32 v1, 0
	v_cmp_gt_u32_e32 vcc, s56, v0
	v_mov_b32_e32 v2, v1
	v_mov_b32_e32 v3, v1
	;; [unrolled: 1-line block ×15, first 2 shown]
	s_and_saveexec_b64 s[4:5], vcc
	s_cbranch_execz .LBB270_9
; %bb.8:
	v_lshlrev_b32_e32 v2, 2, v0
	v_add_co_u32_e32 v2, vcc, v20, v2
	v_addc_co_u32_e32 v3, vcc, 0, v21, vcc
	flat_load_dword v2, v[2:3]
	v_mov_b32_e32 v3, v1
	v_mov_b32_e32 v4, v1
	;; [unrolled: 1-line block ×15, first 2 shown]
	s_waitcnt vmcnt(0) lgkmcnt(0)
	v_mov_b32_e32 v1, v2
	v_mov_b32_e32 v2, v3
	;; [unrolled: 1-line block ×16, first 2 shown]
.LBB270_9:
	s_or_b64 exec, exec, s[4:5]
	v_or_b32_e32 v17, 0x100, v0
	v_cmp_gt_u32_e32 vcc, s56, v17
	s_and_saveexec_b64 s[4:5], vcc
	s_cbranch_execz .LBB270_11
; %bb.10:
	v_lshlrev_b32_e32 v2, 2, v0
	v_add_co_u32_e32 v23, vcc, v20, v2
	v_addc_co_u32_e32 v24, vcc, 0, v21, vcc
	flat_load_dword v2, v[23:24] offset:1024
.LBB270_11:
	s_or_b64 exec, exec, s[4:5]
	v_or_b32_e32 v23, 0x200, v0
	v_cmp_gt_u32_e32 vcc, s56, v23
	s_and_saveexec_b64 s[4:5], vcc
	s_cbranch_execz .LBB270_13
; %bb.12:
	v_lshlrev_b32_e32 v3, 2, v0
	v_add_co_u32_e32 v24, vcc, v20, v3
	v_addc_co_u32_e32 v25, vcc, 0, v21, vcc
	flat_load_dword v3, v[24:25] offset:2048
.LBB270_13:
	;; [unrolled: 11-line block ×3, first 2 shown]
	s_or_b64 exec, exec, s[4:5]
	v_or_b32_e32 v25, 0x400, v0
	v_cmp_gt_u32_e32 vcc, s56, v25
	s_and_saveexec_b64 s[4:5], vcc
	s_cbranch_execz .LBB270_17
; %bb.16:
	v_lshlrev_b32_e32 v5, 2, v25
	v_add_co_u32_e32 v26, vcc, v20, v5
	v_addc_co_u32_e32 v27, vcc, 0, v21, vcc
	flat_load_dword v5, v[26:27]
.LBB270_17:
	s_or_b64 exec, exec, s[4:5]
	v_or_b32_e32 v26, 0x500, v0
	v_cmp_gt_u32_e32 vcc, s56, v26
	s_and_saveexec_b64 s[4:5], vcc
	s_cbranch_execz .LBB270_19
; %bb.18:
	v_lshlrev_b32_e32 v6, 2, v26
	v_add_co_u32_e32 v27, vcc, v20, v6
	v_addc_co_u32_e32 v28, vcc, 0, v21, vcc
	flat_load_dword v6, v[27:28]
.LBB270_19:
	;; [unrolled: 11-line block ×12, first 2 shown]
	s_or_b64 exec, exec, s[4:5]
	v_and_b32_e32 v22, 28, v22
	v_lshlrev_b32_e32 v37, 2, v0
	v_add_u32_e32 v22, v22, v37
	ds_write_b32 v22, v1
	v_lshrrev_b32_e32 v1, 3, v17
	v_and_b32_e32 v1, 60, v1
	v_add_u32_e32 v1, v1, v37
	s_waitcnt vmcnt(0) lgkmcnt(0)
	ds_write_b32 v1, v2 offset:1024
	v_lshrrev_b32_e32 v1, 3, v23
	v_and_b32_e32 v1, 0x7c, v1
	v_add_u32_e32 v1, v1, v37
	ds_write_b32 v1, v3 offset:2048
	v_lshrrev_b32_e32 v1, 3, v24
	v_and_b32_e32 v1, 0x7c, v1
	v_add_u32_e32 v1, v1, v37
	;; [unrolled: 4-line block ×14, first 2 shown]
	ds_write_b32 v1, v16 offset:15360
	s_waitcnt lgkmcnt(0)
	s_barrier
.LBB270_40:
	v_lshlrev_b32_e32 v1, 1, v0
	v_and_b32_e32 v1, 0x1fc, v1
	v_lshl_add_u32 v1, v0, 6, v1
	ds_read2_b32 v[15:16], v1 offset1:1
	ds_read2_b32 v[13:14], v1 offset0:2 offset1:3
	ds_read2_b32 v[11:12], v1 offset0:4 offset1:5
	;; [unrolled: 1-line block ×7, first 2 shown]
	s_cmp_lg_u32 s33, 0
	s_cselect_b64 s[46:47], -1, 0
	s_cmp_lg_u64 s[10:11], 0
	s_cselect_b64 s[4:5], -1, 0
	s_or_b64 s[4:5], s[4:5], s[46:47]
	v_lshlrev_b32_e32 v17, 4, v0
	s_mov_b64 s[48:49], 0
	s_and_b64 vcc, exec, s[4:5]
	s_waitcnt vmcnt(0) lgkmcnt(0)
	s_barrier
	s_cbranch_vccz .LBB270_45
; %bb.41:
	v_add_co_u32_e32 v20, vcc, -4, v20
	v_addc_co_u32_e32 v21, vcc, -1, v21, vcc
	flat_load_dword v20, v[20:21]
	v_lshlrev_b32_e32 v21, 2, v0
	s_and_b64 vcc, exec, s[40:41]
	ds_write_b32 v21, v2
	s_cbranch_vccz .LBB270_46
; %bb.42:
	s_waitcnt vmcnt(0) lgkmcnt(0)
	v_mov_b32_e32 v22, v20
	s_barrier
	s_and_saveexec_b64 s[4:5], s[2:3]
; %bb.43:
	v_add_u32_e32 v22, -4, v21
	ds_read_b32 v22, v22
; %bb.44:
	s_or_b64 exec, exec, s[4:5]
	s_mov_b32 s4, 0x66666667
	v_mul_hi_i32 v23, v1, s4
	v_mul_hi_i32 v24, v2, s4
	s_waitcnt lgkmcnt(0)
	v_mul_hi_i32 v22, v22, s4
	v_lshrrev_b32_e32 v25, 31, v23
	v_ashrrev_i32_e32 v23, 2, v23
	v_add_u32_e32 v23, v23, v25
	v_mul_hi_i32 v25, v4, s4
	v_lshrrev_b32_e32 v26, 31, v24
	v_ashrrev_i32_e32 v24, 2, v24
	v_add_u32_e32 v24, v24, v26
	v_mul_hi_i32 v26, v3, s4
	v_cmp_ne_u32_e32 vcc, v23, v24
	v_lshrrev_b32_e32 v24, 31, v25
	v_ashrrev_i32_e32 v25, 2, v25
	v_add_u32_e32 v24, v25, v24
	v_cndmask_b32_e64 v54, 0, 1, vcc
	v_cmp_ne_u32_e32 vcc, v24, v23
	v_lshrrev_b32_e32 v23, 31, v26
	v_ashrrev_i32_e32 v25, 2, v26
	v_mul_hi_i32 v26, v6, s4
	v_add_u32_e32 v23, v25, v23
	v_cndmask_b32_e64 v55, 0, 1, vcc
	v_cmp_ne_u32_e32 vcc, v23, v24
	v_lshrrev_b32_e32 v24, 31, v26
	v_ashrrev_i32_e32 v25, 2, v26
	v_mul_hi_i32 v26, v5, s4
	;; [unrolled: 6-line block ×12, first 2 shown]
	v_add_u32_e32 v24, v25, v24
	v_cndmask_b32_e64 v66, 0, 1, vcc
	v_cmp_ne_u32_e32 vcc, v24, v23
	v_lshrrev_b32_e32 v23, 31, v26
	v_ashrrev_i32_e32 v25, 2, v26
	v_add_u32_e32 v23, v25, v23
	v_cndmask_b32_e64 v67, 0, 1, vcc
	v_cmp_ne_u32_e32 vcc, v23, v24
	v_lshrrev_b32_e32 v24, 31, v22
	v_ashrrev_i32_e32 v22, 2, v22
	v_add_u32_e32 v22, v22, v24
	v_cndmask_b32_e64 v68, 0, 1, vcc
	v_cmp_ne_u32_e64 s[50:51], v22, v23
	s_branch .LBB270_82
.LBB270_45:
                                        ; implicit-def: $sgpr50_sgpr51
                                        ; implicit-def: $vgpr54
                                        ; implicit-def: $vgpr55
                                        ; implicit-def: $vgpr56
                                        ; implicit-def: $vgpr57
                                        ; implicit-def: $vgpr58
                                        ; implicit-def: $vgpr59
                                        ; implicit-def: $vgpr60
                                        ; implicit-def: $vgpr61
                                        ; implicit-def: $vgpr62
                                        ; implicit-def: $vgpr68
                                        ; implicit-def: $vgpr67
                                        ; implicit-def: $vgpr66
                                        ; implicit-def: $vgpr65
                                        ; implicit-def: $vgpr64
                                        ; implicit-def: $vgpr63
	s_branch .LBB270_83
.LBB270_46:
                                        ; implicit-def: $sgpr50_sgpr51
                                        ; implicit-def: $vgpr54
                                        ; implicit-def: $vgpr55
                                        ; implicit-def: $vgpr56
                                        ; implicit-def: $vgpr57
                                        ; implicit-def: $vgpr58
                                        ; implicit-def: $vgpr59
                                        ; implicit-def: $vgpr60
                                        ; implicit-def: $vgpr61
                                        ; implicit-def: $vgpr62
                                        ; implicit-def: $vgpr68
                                        ; implicit-def: $vgpr67
                                        ; implicit-def: $vgpr66
                                        ; implicit-def: $vgpr65
                                        ; implicit-def: $vgpr64
                                        ; implicit-def: $vgpr63
	s_cbranch_execz .LBB270_82
; %bb.47:
	v_or_b32_e32 v22, 15, v17
	v_cmp_gt_u32_e32 vcc, s56, v22
	s_mov_b64 s[6:7], 0
	s_mov_b64 s[4:5], 0
	s_and_saveexec_b64 s[8:9], vcc
	s_cbranch_execz .LBB270_49
; %bb.48:
	s_mov_b32 s4, 0x66666667
	v_mul_hi_i32 v22, v1, s4
	v_mul_hi_i32 v23, v2, s4
	v_lshrrev_b32_e32 v24, 31, v22
	v_ashrrev_i32_e32 v22, 2, v22
	v_lshrrev_b32_e32 v25, 31, v23
	v_ashrrev_i32_e32 v23, 2, v23
	v_add_u32_e32 v22, v22, v24
	v_add_u32_e32 v23, v23, v25
	v_cmp_ne_u32_e32 vcc, v22, v23
	s_and_b64 s[4:5], vcc, exec
.LBB270_49:
	s_or_b64 exec, exec, s[8:9]
	v_or_b32_e32 v22, 14, v17
	v_cmp_gt_u32_e32 vcc, s56, v22
	s_and_saveexec_b64 s[8:9], vcc
	s_cbranch_execz .LBB270_51
; %bb.50:
	s_mov_b32 s6, 0x66666667
	v_mul_hi_i32 v22, v4, s6
	v_mul_hi_i32 v23, v1, s6
	v_lshrrev_b32_e32 v24, 31, v22
	v_ashrrev_i32_e32 v22, 2, v22
	v_lshrrev_b32_e32 v25, 31, v23
	v_ashrrev_i32_e32 v23, 2, v23
	v_add_u32_e32 v22, v22, v24
	v_add_u32_e32 v23, v23, v25
	v_cmp_ne_u32_e32 vcc, v22, v23
	s_and_b64 s[6:7], vcc, exec
.LBB270_51:
	s_or_b64 exec, exec, s[8:9]
	v_or_b32_e32 v22, 13, v17
	v_cmp_gt_u32_e32 vcc, s56, v22
	s_mov_b64 s[10:11], 0
	s_mov_b64 s[8:9], 0
	s_and_saveexec_b64 s[12:13], vcc
	s_cbranch_execz .LBB270_53
; %bb.52:
	s_mov_b32 s8, 0x66666667
	v_mul_hi_i32 v22, v3, s8
	v_mul_hi_i32 v23, v4, s8
	v_lshrrev_b32_e32 v24, 31, v22
	v_ashrrev_i32_e32 v22, 2, v22
	v_lshrrev_b32_e32 v25, 31, v23
	v_ashrrev_i32_e32 v23, 2, v23
	v_add_u32_e32 v22, v22, v24
	v_add_u32_e32 v23, v23, v25
	v_cmp_ne_u32_e32 vcc, v22, v23
	s_and_b64 s[8:9], vcc, exec
.LBB270_53:
	s_or_b64 exec, exec, s[12:13]
	v_or_b32_e32 v22, 12, v17
	v_cmp_gt_u32_e32 vcc, s56, v22
	s_and_saveexec_b64 s[12:13], vcc
	s_cbranch_execz .LBB270_55
; %bb.54:
	s_mov_b32 s10, 0x66666667
	v_mul_hi_i32 v22, v6, s10
	v_mul_hi_i32 v23, v3, s10
	v_lshrrev_b32_e32 v24, 31, v22
	v_ashrrev_i32_e32 v22, 2, v22
	v_lshrrev_b32_e32 v25, 31, v23
	v_ashrrev_i32_e32 v23, 2, v23
	v_add_u32_e32 v22, v22, v24
	v_add_u32_e32 v23, v23, v25
	v_cmp_ne_u32_e32 vcc, v22, v23
	s_and_b64 s[10:11], vcc, exec
.LBB270_55:
	s_or_b64 exec, exec, s[12:13]
	;; [unrolled: 38-line block ×7, first 2 shown]
	v_or_b32_e32 v22, 1, v17
	v_cmp_gt_u32_e32 vcc, s56, v22
	s_mov_b64 s[48:49], 0
	s_and_saveexec_b64 s[50:51], vcc
	s_cbranch_execz .LBB270_77
; %bb.76:
	s_mov_b32 s48, 0x66666667
	v_mul_hi_i32 v22, v15, s48
	v_mul_hi_i32 v23, v16, s48
	v_lshrrev_b32_e32 v24, 31, v22
	v_ashrrev_i32_e32 v22, 2, v22
	v_lshrrev_b32_e32 v25, 31, v23
	v_ashrrev_i32_e32 v23, 2, v23
	v_add_u32_e32 v22, v22, v24
	v_add_u32_e32 v23, v23, v25
	v_cmp_ne_u32_e32 vcc, v22, v23
	s_and_b64 s[48:49], vcc, exec
.LBB270_77:
	s_or_b64 exec, exec, s[50:51]
	s_waitcnt vmcnt(0) lgkmcnt(0)
	s_barrier
	s_and_saveexec_b64 s[50:51], s[2:3]
; %bb.78:
	v_add_u32_e32 v20, -4, v21
	ds_read_b32 v20, v20
; %bb.79:
	s_or_b64 exec, exec, s[50:51]
	v_cmp_gt_u32_e32 vcc, s56, v17
	s_mov_b64 s[50:51], 0
	s_and_saveexec_b64 s[52:53], vcc
	s_cbranch_execz .LBB270_81
; %bb.80:
	s_mov_b32 s50, 0x66666667
	s_waitcnt lgkmcnt(0)
	v_mul_hi_i32 v20, v20, s50
	v_mul_hi_i32 v21, v15, s50
	v_lshrrev_b32_e32 v22, 31, v20
	v_ashrrev_i32_e32 v20, 2, v20
	v_lshrrev_b32_e32 v23, 31, v21
	v_ashrrev_i32_e32 v21, 2, v21
	v_add_u32_e32 v20, v20, v22
	v_add_u32_e32 v21, v21, v23
	v_cmp_ne_u32_e32 vcc, v20, v21
	s_and_b64 s[50:51], vcc, exec
.LBB270_81:
	s_or_b64 exec, exec, s[52:53]
	v_cndmask_b32_e64 v68, 0, 1, s[48:49]
	v_cndmask_b32_e64 v67, 0, 1, s[30:31]
	;; [unrolled: 1-line block ×15, first 2 shown]
.LBB270_82:
	s_mov_b64 s[48:49], -1
	s_cbranch_execnz .LBB270_123
.LBB270_83:
	s_waitcnt vmcnt(0) lgkmcnt(0)
	v_lshlrev_b32_e32 v20, 2, v0
	s_and_b64 vcc, exec, s[40:41]
	ds_write_b32 v20, v2
	s_cbranch_vccz .LBB270_87
; %bb.84:
	s_mov_b32 s54, 0x66666667
	v_mul_hi_i32 v21, v1, s54
	v_mul_hi_i32 v22, v2, s54
	s_waitcnt lgkmcnt(0)
	s_barrier
	v_lshrrev_b32_e32 v23, 31, v21
	v_ashrrev_i32_e32 v21, 2, v21
	v_add_u32_e32 v21, v21, v23
	v_mul_hi_i32 v23, v4, s54
	v_lshrrev_b32_e32 v24, 31, v22
	v_ashrrev_i32_e32 v22, 2, v22
	v_add_u32_e32 v22, v22, v24
	v_mul_hi_i32 v24, v3, s54
	v_cmp_ne_u32_e32 vcc, v21, v22
	v_lshrrev_b32_e32 v22, 31, v23
	v_ashrrev_i32_e32 v23, 2, v23
	v_add_u32_e32 v22, v23, v22
	v_mul_hi_i32 v23, v6, s54
	v_cmp_ne_u32_e64 s[4:5], v22, v21
	v_lshrrev_b32_e32 v21, 31, v24
	v_ashrrev_i32_e32 v24, 2, v24
	v_add_u32_e32 v21, v24, v21
	v_mul_hi_i32 v24, v5, s54
	v_cmp_ne_u32_e64 s[6:7], v21, v22
	;; [unrolled: 5-line block ×12, first 2 shown]
	v_lshrrev_b32_e32 v22, 31, v23
	v_ashrrev_i32_e32 v23, 2, v23
	v_add_u32_e32 v22, v23, v22
	v_cmp_ne_u32_e64 s[28:29], v22, v21
	v_lshrrev_b32_e32 v21, 31, v24
	v_ashrrev_i32_e32 v23, 2, v24
	v_add_u32_e32 v21, v23, v21
	v_cmp_ne_u32_e64 s[30:31], v21, v22
                                        ; implicit-def: $sgpr50_sgpr51
	s_and_saveexec_b64 s[52:53], s[2:3]
	s_xor_b64 s[52:53], exec, s[52:53]
	s_cbranch_execz .LBB270_86
; %bb.85:
	v_add_u32_e32 v22, -4, v20
	ds_read_b32 v22, v22
	s_or_b64 s[48:49], s[48:49], exec
	s_waitcnt lgkmcnt(0)
	v_mul_hi_i32 v22, v22, s54
	v_lshrrev_b32_e32 v23, 31, v22
	v_ashrrev_i32_e32 v22, 2, v22
	v_add_u32_e32 v22, v22, v23
	v_cmp_ne_u32_e64 s[50:51], v22, v21
.LBB270_86:
	s_or_b64 exec, exec, s[52:53]
	v_cndmask_b32_e64 v54, 0, 1, vcc
	v_cndmask_b32_e64 v55, 0, 1, s[4:5]
	v_cndmask_b32_e64 v56, 0, 1, s[6:7]
	v_cndmask_b32_e64 v57, 0, 1, s[8:9]
	v_cndmask_b32_e64 v58, 0, 1, s[10:11]
	v_cndmask_b32_e64 v59, 0, 1, s[12:13]
	v_cndmask_b32_e64 v60, 0, 1, s[14:15]
	v_cndmask_b32_e64 v61, 0, 1, s[16:17]
	v_cndmask_b32_e64 v62, 0, 1, s[18:19]
	v_cndmask_b32_e64 v63, 0, 1, s[20:21]
	v_cndmask_b32_e64 v64, 0, 1, s[22:23]
	v_cndmask_b32_e64 v65, 0, 1, s[24:25]
	v_cndmask_b32_e64 v66, 0, 1, s[26:27]
	v_cndmask_b32_e64 v67, 0, 1, s[28:29]
	v_cndmask_b32_e64 v68, 0, 1, s[30:31]
	s_branch .LBB270_123
.LBB270_87:
                                        ; implicit-def: $sgpr50_sgpr51
                                        ; implicit-def: $vgpr54
                                        ; implicit-def: $vgpr55
                                        ; implicit-def: $vgpr56
                                        ; implicit-def: $vgpr57
                                        ; implicit-def: $vgpr58
                                        ; implicit-def: $vgpr59
                                        ; implicit-def: $vgpr60
                                        ; implicit-def: $vgpr61
                                        ; implicit-def: $vgpr62
                                        ; implicit-def: $vgpr68
                                        ; implicit-def: $vgpr67
                                        ; implicit-def: $vgpr66
                                        ; implicit-def: $vgpr65
                                        ; implicit-def: $vgpr64
                                        ; implicit-def: $vgpr63
	s_cbranch_execz .LBB270_123
; %bb.88:
	v_or_b32_e32 v21, 15, v17
	v_cmp_gt_u32_e32 vcc, s56, v21
	s_mov_b64 s[6:7], 0
	s_mov_b64 s[4:5], 0
	s_and_saveexec_b64 s[8:9], vcc
	s_cbranch_execz .LBB270_90
; %bb.89:
	s_mov_b32 s4, 0x66666667
	v_mul_hi_i32 v21, v1, s4
	v_mul_hi_i32 v22, v2, s4
	v_lshrrev_b32_e32 v23, 31, v21
	v_ashrrev_i32_e32 v21, 2, v21
	v_lshrrev_b32_e32 v24, 31, v22
	v_ashrrev_i32_e32 v22, 2, v22
	v_add_u32_e32 v21, v21, v23
	v_add_u32_e32 v22, v22, v24
	v_cmp_ne_u32_e32 vcc, v21, v22
	s_and_b64 s[4:5], vcc, exec
.LBB270_90:
	s_or_b64 exec, exec, s[8:9]
	v_or_b32_e32 v21, 14, v17
	v_cmp_gt_u32_e32 vcc, s56, v21
	s_and_saveexec_b64 s[8:9], vcc
	s_cbranch_execz .LBB270_92
; %bb.91:
	s_mov_b32 s6, 0x66666667
	v_mul_hi_i32 v21, v4, s6
	v_mul_hi_i32 v22, v1, s6
	v_lshrrev_b32_e32 v23, 31, v21
	v_ashrrev_i32_e32 v21, 2, v21
	v_lshrrev_b32_e32 v24, 31, v22
	v_ashrrev_i32_e32 v22, 2, v22
	v_add_u32_e32 v21, v21, v23
	v_add_u32_e32 v22, v22, v24
	v_cmp_ne_u32_e32 vcc, v21, v22
	s_and_b64 s[6:7], vcc, exec
.LBB270_92:
	s_or_b64 exec, exec, s[8:9]
	v_or_b32_e32 v21, 13, v17
	v_cmp_gt_u32_e32 vcc, s56, v21
	s_mov_b64 s[10:11], 0
	s_mov_b64 s[8:9], 0
	s_and_saveexec_b64 s[12:13], vcc
	s_cbranch_execz .LBB270_94
; %bb.93:
	s_mov_b32 s8, 0x66666667
	v_mul_hi_i32 v21, v3, s8
	v_mul_hi_i32 v22, v4, s8
	v_lshrrev_b32_e32 v23, 31, v21
	v_ashrrev_i32_e32 v21, 2, v21
	v_lshrrev_b32_e32 v24, 31, v22
	v_ashrrev_i32_e32 v22, 2, v22
	v_add_u32_e32 v21, v21, v23
	v_add_u32_e32 v22, v22, v24
	v_cmp_ne_u32_e32 vcc, v21, v22
	s_and_b64 s[8:9], vcc, exec
.LBB270_94:
	s_or_b64 exec, exec, s[12:13]
	v_or_b32_e32 v21, 12, v17
	v_cmp_gt_u32_e32 vcc, s56, v21
	s_and_saveexec_b64 s[12:13], vcc
	s_cbranch_execz .LBB270_96
; %bb.95:
	s_mov_b32 s10, 0x66666667
	v_mul_hi_i32 v21, v6, s10
	v_mul_hi_i32 v22, v3, s10
	v_lshrrev_b32_e32 v23, 31, v21
	v_ashrrev_i32_e32 v21, 2, v21
	v_lshrrev_b32_e32 v24, 31, v22
	v_ashrrev_i32_e32 v22, 2, v22
	v_add_u32_e32 v21, v21, v23
	v_add_u32_e32 v22, v22, v24
	v_cmp_ne_u32_e32 vcc, v21, v22
	s_and_b64 s[10:11], vcc, exec
.LBB270_96:
	s_or_b64 exec, exec, s[12:13]
	v_or_b32_e32 v21, 11, v17
	v_cmp_gt_u32_e32 vcc, s56, v21
	s_mov_b64 s[14:15], 0
	s_mov_b64 s[12:13], 0
	s_and_saveexec_b64 s[16:17], vcc
	s_cbranch_execz .LBB270_98
; %bb.97:
	s_mov_b32 s12, 0x66666667
	v_mul_hi_i32 v21, v5, s12
	v_mul_hi_i32 v22, v6, s12
	v_lshrrev_b32_e32 v23, 31, v21
	v_ashrrev_i32_e32 v21, 2, v21
	v_lshrrev_b32_e32 v24, 31, v22
	v_ashrrev_i32_e32 v22, 2, v22
	v_add_u32_e32 v21, v21, v23
	v_add_u32_e32 v22, v22, v24
	v_cmp_ne_u32_e32 vcc, v21, v22
	s_and_b64 s[12:13], vcc, exec
.LBB270_98:
	s_or_b64 exec, exec, s[16:17]
	v_or_b32_e32 v21, 10, v17
	v_cmp_gt_u32_e32 vcc, s56, v21
	s_and_saveexec_b64 s[16:17], vcc
	s_cbranch_execz .LBB270_100
; %bb.99:
	s_mov_b32 s14, 0x66666667
	v_mul_hi_i32 v21, v8, s14
	v_mul_hi_i32 v22, v5, s14
	v_lshrrev_b32_e32 v23, 31, v21
	v_ashrrev_i32_e32 v21, 2, v21
	v_lshrrev_b32_e32 v24, 31, v22
	v_ashrrev_i32_e32 v22, 2, v22
	v_add_u32_e32 v21, v21, v23
	v_add_u32_e32 v22, v22, v24
	v_cmp_ne_u32_e32 vcc, v21, v22
	s_and_b64 s[14:15], vcc, exec
.LBB270_100:
	s_or_b64 exec, exec, s[16:17]
	v_or_b32_e32 v21, 9, v17
	v_cmp_gt_u32_e32 vcc, s56, v21
	s_mov_b64 s[18:19], 0
	s_mov_b64 s[16:17], 0
	s_and_saveexec_b64 s[20:21], vcc
	s_cbranch_execz .LBB270_102
; %bb.101:
	s_mov_b32 s16, 0x66666667
	v_mul_hi_i32 v21, v7, s16
	v_mul_hi_i32 v22, v8, s16
	v_lshrrev_b32_e32 v23, 31, v21
	v_ashrrev_i32_e32 v21, 2, v21
	v_lshrrev_b32_e32 v24, 31, v22
	v_ashrrev_i32_e32 v22, 2, v22
	v_add_u32_e32 v21, v21, v23
	v_add_u32_e32 v22, v22, v24
	v_cmp_ne_u32_e32 vcc, v21, v22
	s_and_b64 s[16:17], vcc, exec
.LBB270_102:
	s_or_b64 exec, exec, s[20:21]
	v_or_b32_e32 v21, 8, v17
	v_cmp_gt_u32_e32 vcc, s56, v21
	s_and_saveexec_b64 s[20:21], vcc
	s_cbranch_execz .LBB270_104
; %bb.103:
	s_mov_b32 s18, 0x66666667
	v_mul_hi_i32 v21, v10, s18
	v_mul_hi_i32 v22, v7, s18
	v_lshrrev_b32_e32 v23, 31, v21
	v_ashrrev_i32_e32 v21, 2, v21
	v_lshrrev_b32_e32 v24, 31, v22
	v_ashrrev_i32_e32 v22, 2, v22
	v_add_u32_e32 v21, v21, v23
	v_add_u32_e32 v22, v22, v24
	v_cmp_ne_u32_e32 vcc, v21, v22
	s_and_b64 s[18:19], vcc, exec
.LBB270_104:
	s_or_b64 exec, exec, s[20:21]
	v_or_b32_e32 v21, 7, v17
	v_cmp_gt_u32_e32 vcc, s56, v21
	s_mov_b64 s[22:23], 0
	s_mov_b64 s[20:21], 0
	s_and_saveexec_b64 s[24:25], vcc
	s_cbranch_execz .LBB270_106
; %bb.105:
	s_mov_b32 s20, 0x66666667
	v_mul_hi_i32 v21, v9, s20
	v_mul_hi_i32 v22, v10, s20
	v_lshrrev_b32_e32 v23, 31, v21
	v_ashrrev_i32_e32 v21, 2, v21
	v_lshrrev_b32_e32 v24, 31, v22
	v_ashrrev_i32_e32 v22, 2, v22
	v_add_u32_e32 v21, v21, v23
	v_add_u32_e32 v22, v22, v24
	v_cmp_ne_u32_e32 vcc, v21, v22
	s_and_b64 s[20:21], vcc, exec
.LBB270_106:
	s_or_b64 exec, exec, s[24:25]
	v_or_b32_e32 v21, 6, v17
	v_cmp_gt_u32_e32 vcc, s56, v21
	s_and_saveexec_b64 s[24:25], vcc
	s_cbranch_execz .LBB270_108
; %bb.107:
	s_mov_b32 s22, 0x66666667
	v_mul_hi_i32 v21, v12, s22
	v_mul_hi_i32 v22, v9, s22
	v_lshrrev_b32_e32 v23, 31, v21
	v_ashrrev_i32_e32 v21, 2, v21
	v_lshrrev_b32_e32 v24, 31, v22
	v_ashrrev_i32_e32 v22, 2, v22
	v_add_u32_e32 v21, v21, v23
	v_add_u32_e32 v22, v22, v24
	v_cmp_ne_u32_e32 vcc, v21, v22
	s_and_b64 s[22:23], vcc, exec
.LBB270_108:
	s_or_b64 exec, exec, s[24:25]
	v_or_b32_e32 v21, 5, v17
	v_cmp_gt_u32_e32 vcc, s56, v21
	s_mov_b64 s[26:27], 0
	s_mov_b64 s[24:25], 0
	s_and_saveexec_b64 s[28:29], vcc
	s_cbranch_execz .LBB270_110
; %bb.109:
	s_mov_b32 s24, 0x66666667
	v_mul_hi_i32 v21, v11, s24
	v_mul_hi_i32 v22, v12, s24
	v_lshrrev_b32_e32 v23, 31, v21
	v_ashrrev_i32_e32 v21, 2, v21
	v_lshrrev_b32_e32 v24, 31, v22
	v_ashrrev_i32_e32 v22, 2, v22
	v_add_u32_e32 v21, v21, v23
	v_add_u32_e32 v22, v22, v24
	v_cmp_ne_u32_e32 vcc, v21, v22
	s_and_b64 s[24:25], vcc, exec
.LBB270_110:
	s_or_b64 exec, exec, s[28:29]
	v_or_b32_e32 v21, 4, v17
	v_cmp_gt_u32_e32 vcc, s56, v21
	s_and_saveexec_b64 s[28:29], vcc
	s_cbranch_execz .LBB270_112
; %bb.111:
	s_mov_b32 s26, 0x66666667
	v_mul_hi_i32 v21, v14, s26
	v_mul_hi_i32 v22, v11, s26
	v_lshrrev_b32_e32 v23, 31, v21
	v_ashrrev_i32_e32 v21, 2, v21
	v_lshrrev_b32_e32 v24, 31, v22
	v_ashrrev_i32_e32 v22, 2, v22
	v_add_u32_e32 v21, v21, v23
	v_add_u32_e32 v22, v22, v24
	v_cmp_ne_u32_e32 vcc, v21, v22
	s_and_b64 s[26:27], vcc, exec
.LBB270_112:
	s_or_b64 exec, exec, s[28:29]
	v_or_b32_e32 v21, 3, v17
	v_cmp_gt_u32_e32 vcc, s56, v21
	s_mov_b64 s[30:31], 0
	s_mov_b64 s[28:29], 0
	s_and_saveexec_b64 s[50:51], vcc
	s_cbranch_execz .LBB270_114
; %bb.113:
	s_mov_b32 s28, 0x66666667
	v_mul_hi_i32 v21, v13, s28
	v_mul_hi_i32 v22, v14, s28
	v_lshrrev_b32_e32 v23, 31, v21
	v_ashrrev_i32_e32 v21, 2, v21
	v_lshrrev_b32_e32 v24, 31, v22
	v_ashrrev_i32_e32 v22, 2, v22
	v_add_u32_e32 v21, v21, v23
	v_add_u32_e32 v22, v22, v24
	v_cmp_ne_u32_e32 vcc, v21, v22
	s_and_b64 s[28:29], vcc, exec
.LBB270_114:
	s_or_b64 exec, exec, s[50:51]
	v_or_b32_e32 v21, 2, v17
	v_cmp_gt_u32_e32 vcc, s56, v21
	s_and_saveexec_b64 s[50:51], vcc
	s_cbranch_execz .LBB270_116
; %bb.115:
	s_mov_b32 s30, 0x66666667
	v_mul_hi_i32 v21, v16, s30
	v_mul_hi_i32 v22, v13, s30
	v_lshrrev_b32_e32 v23, 31, v21
	v_ashrrev_i32_e32 v21, 2, v21
	v_lshrrev_b32_e32 v24, 31, v22
	v_ashrrev_i32_e32 v22, 2, v22
	v_add_u32_e32 v21, v21, v23
	v_add_u32_e32 v22, v22, v24
	v_cmp_ne_u32_e32 vcc, v21, v22
	s_and_b64 s[30:31], vcc, exec
.LBB270_116:
	s_or_b64 exec, exec, s[50:51]
	v_or_b32_e32 v21, 1, v17
	v_cmp_gt_u32_e32 vcc, s56, v21
	s_mov_b64 s[52:53], 0
	s_and_saveexec_b64 s[50:51], vcc
	s_cbranch_execz .LBB270_118
; %bb.117:
	s_mov_b32 s52, 0x66666667
	v_mul_hi_i32 v21, v15, s52
	v_mul_hi_i32 v22, v16, s52
	v_lshrrev_b32_e32 v23, 31, v21
	v_ashrrev_i32_e32 v21, 2, v21
	v_lshrrev_b32_e32 v24, 31, v22
	v_ashrrev_i32_e32 v22, 2, v22
	v_add_u32_e32 v21, v21, v23
	v_add_u32_e32 v22, v22, v24
	v_cmp_ne_u32_e32 vcc, v21, v22
	s_and_b64 s[52:53], vcc, exec
.LBB270_118:
	s_or_b64 exec, exec, s[50:51]
	s_waitcnt lgkmcnt(0)
	s_barrier
                                        ; implicit-def: $sgpr50_sgpr51
	s_and_saveexec_b64 s[54:55], s[2:3]
	s_cbranch_execz .LBB270_122
; %bb.119:
	v_cmp_gt_u32_e32 vcc, s56, v17
	s_mov_b64 s[50:51], 0
	s_and_saveexec_b64 s[2:3], vcc
	s_cbranch_execz .LBB270_121
; %bb.120:
	v_add_u32_e32 v20, -4, v20
	ds_read_b32 v20, v20
	s_mov_b32 s50, 0x66666667
	v_mul_hi_i32 v21, v15, s50
	s_waitcnt lgkmcnt(0)
	v_mul_hi_i32 v20, v20, s50
	v_lshrrev_b32_e32 v22, 31, v21
	v_ashrrev_i32_e32 v21, 2, v21
	v_add_u32_e32 v21, v21, v22
	v_lshrrev_b32_e32 v23, 31, v20
	v_ashrrev_i32_e32 v20, 2, v20
	v_add_u32_e32 v20, v20, v23
	v_cmp_ne_u32_e32 vcc, v20, v21
	s_and_b64 s[50:51], vcc, exec
.LBB270_121:
	s_or_b64 exec, exec, s[2:3]
	s_or_b64 s[48:49], s[48:49], exec
.LBB270_122:
	s_or_b64 exec, exec, s[54:55]
	v_cndmask_b32_e64 v67, 0, 1, s[30:31]
	v_cndmask_b32_e64 v66, 0, 1, s[28:29]
	;; [unrolled: 1-line block ×15, first 2 shown]
.LBB270_123:
	v_mov_b32_e32 v31, 1
	s_and_saveexec_b64 s[2:3], s[48:49]
; %bb.124:
	v_cndmask_b32_e64 v31, 0, 1, s[50:51]
; %bb.125:
	s_or_b64 exec, exec, s[2:3]
	s_andn2_b64 vcc, exec, s[44:45]
	s_cbranch_vccnz .LBB270_127
; %bb.126:
	v_cmp_gt_u32_e32 vcc, s56, v17
	s_waitcnt vmcnt(0) lgkmcnt(0)
	v_or_b32_e32 v20, 1, v17
	v_cndmask_b32_e32 v31, 0, v31, vcc
	v_cmp_gt_u32_e32 vcc, s56, v20
	v_or_b32_e32 v20, 2, v17
	v_cndmask_b32_e32 v68, 0, v68, vcc
	v_cmp_gt_u32_e32 vcc, s56, v20
	;; [unrolled: 3-line block ×15, first 2 shown]
	v_cndmask_b32_e32 v54, 0, v54, vcc
.LBB270_127:
	v_and_b32_e32 v40, 0xff, v66
	v_and_b32_e32 v42, 0xff, v65
	v_add_u32_sdwa v21, v64, v63 dst_sel:DWORD dst_unused:UNUSED_PAD src0_sel:BYTE_0 src1_sel:BYTE_0
	v_and_b32_e32 v36, 0xff, v68
	v_and_b32_e32 v38, 0xff, v67
	v_add3_u32 v21, v21, v42, v40
	v_and_b32_e32 v34, 0xffff, v31
	v_and_b32_e32 v17, 0xff, v62
	v_add3_u32 v21, v21, v38, v36
	;; [unrolled: 3-line block ×5, first 2 shown]
	v_and_b32_e32 v41, 0xff, v55
	s_waitcnt vmcnt(0) lgkmcnt(0)
	v_and_b32_e32 v20, 0xff, v54
	v_add3_u32 v21, v21, v37, v39
	v_add3_u32 v45, v21, v41, v20
	v_mbcnt_lo_u32_b32 v20, -1, 0
	v_mbcnt_hi_u32_b32 v43, -1, v20
	v_and_b32_e32 v20, 15, v43
	v_cmp_eq_u32_e64 s[14:15], 0, v20
	v_cmp_lt_u32_e64 s[12:13], 1, v20
	v_cmp_lt_u32_e64 s[10:11], 3, v20
	;; [unrolled: 1-line block ×3, first 2 shown]
	v_and_b32_e32 v20, 16, v43
	v_cmp_eq_u32_e64 s[6:7], 0, v20
	v_or_b32_e32 v20, 63, v0
	v_cmp_lt_u32_e64 s[2:3], 31, v43
	v_lshrrev_b32_e32 v44, 6, v0
	v_cmp_eq_u32_e64 s[4:5], v0, v20
	s_and_b64 vcc, exec, s[46:47]
	s_barrier
	s_cbranch_vccz .LBB270_149
; %bb.128:
	v_mov_b32_dpp v20, v45 row_shr:1 row_mask:0xf bank_mask:0xf
	v_cndmask_b32_e64 v20, v20, 0, s[14:15]
	v_add_u32_e32 v20, v20, v45
	s_nop 1
	v_mov_b32_dpp v21, v20 row_shr:2 row_mask:0xf bank_mask:0xf
	v_cndmask_b32_e64 v21, 0, v21, s[12:13]
	v_add_u32_e32 v20, v20, v21
	s_nop 1
	;; [unrolled: 4-line block ×4, first 2 shown]
	v_mov_b32_dpp v21, v20 row_bcast:15 row_mask:0xf bank_mask:0xf
	v_cndmask_b32_e64 v21, v21, 0, s[6:7]
	v_add_u32_e32 v20, v20, v21
	s_nop 1
	v_mov_b32_dpp v21, v20 row_bcast:31 row_mask:0xf bank_mask:0xf
	v_cndmask_b32_e64 v21, 0, v21, s[2:3]
	v_add_u32_e32 v20, v20, v21
	s_and_saveexec_b64 s[16:17], s[4:5]
; %bb.129:
	v_lshlrev_b32_e32 v21, 2, v44
	ds_write_b32 v21, v20
; %bb.130:
	s_or_b64 exec, exec, s[16:17]
	v_cmp_gt_u32_e32 vcc, 4, v0
	s_waitcnt lgkmcnt(0)
	s_barrier
	s_and_saveexec_b64 s[16:17], vcc
	s_cbranch_execz .LBB270_132
; %bb.131:
	v_lshlrev_b32_e32 v21, 2, v0
	ds_read_b32 v22, v21
	v_and_b32_e32 v23, 3, v43
	v_cmp_ne_u32_e32 vcc, 0, v23
	s_waitcnt lgkmcnt(0)
	v_mov_b32_dpp v24, v22 row_shr:1 row_mask:0xf bank_mask:0xf
	v_cndmask_b32_e32 v24, 0, v24, vcc
	v_add_u32_e32 v22, v24, v22
	v_cmp_lt_u32_e32 vcc, 1, v23
	s_nop 0
	v_mov_b32_dpp v24, v22 row_shr:2 row_mask:0xf bank_mask:0xf
	v_cndmask_b32_e32 v23, 0, v24, vcc
	v_add_u32_e32 v22, v22, v23
	ds_write_b32 v21, v22
.LBB270_132:
	s_or_b64 exec, exec, s[16:17]
	v_cmp_gt_u32_e32 vcc, 64, v0
	v_cmp_lt_u32_e64 s[16:17], 63, v0
	s_waitcnt lgkmcnt(0)
	s_barrier
                                        ; implicit-def: $vgpr46
	s_and_saveexec_b64 s[18:19], s[16:17]
	s_cbranch_execz .LBB270_134
; %bb.133:
	v_lshl_add_u32 v21, v44, 2, -4
	ds_read_b32 v46, v21
	s_waitcnt lgkmcnt(0)
	v_add_u32_e32 v20, v46, v20
.LBB270_134:
	s_or_b64 exec, exec, s[18:19]
	v_subrev_co_u32_e64 v21, s[16:17], 1, v43
	v_and_b32_e32 v22, 64, v43
	v_cmp_lt_i32_e64 s[18:19], v21, v22
	v_cndmask_b32_e64 v21, v21, v43, s[18:19]
	v_lshlrev_b32_e32 v21, 2, v21
	ds_bpermute_b32 v47, v21, v20
	s_and_saveexec_b64 s[18:19], vcc
	s_cbranch_execz .LBB270_154
; %bb.135:
	v_mov_b32_e32 v26, 0
	ds_read_b32 v20, v26 offset:12
	s_and_saveexec_b64 s[20:21], s[16:17]
	s_cbranch_execz .LBB270_137
; %bb.136:
	s_add_i32 s22, s33, 64
	s_mov_b32 s23, 0
	s_lshl_b64 s[22:23], s[22:23], 3
	s_add_u32 s22, s42, s22
	v_mov_b32_e32 v21, 1
	s_addc_u32 s23, s43, s23
	s_waitcnt lgkmcnt(0)
	global_store_dwordx2 v26, v[20:21], s[22:23]
.LBB270_137:
	s_or_b64 exec, exec, s[20:21]
	v_xad_u32 v22, v43, -1, s33
	v_add_u32_e32 v25, 64, v22
	v_lshlrev_b64 v[23:24], 3, v[25:26]
	v_mov_b32_e32 v21, s43
	v_add_co_u32_e32 v27, vcc, s42, v23
	v_addc_co_u32_e32 v28, vcc, v21, v24, vcc
	global_load_dwordx2 v[24:25], v[27:28], off glc
	s_waitcnt vmcnt(0)
	v_cmp_eq_u16_sdwa s[22:23], v25, v26 src0_sel:BYTE_0 src1_sel:DWORD
	s_and_saveexec_b64 s[20:21], s[22:23]
	s_cbranch_execz .LBB270_141
; %bb.138:
	s_mov_b64 s[22:23], 0
	v_mov_b32_e32 v21, 0
.LBB270_139:                            ; =>This Inner Loop Header: Depth=1
	global_load_dwordx2 v[24:25], v[27:28], off glc
	s_waitcnt vmcnt(0)
	v_cmp_ne_u16_sdwa s[24:25], v25, v21 src0_sel:BYTE_0 src1_sel:DWORD
	s_or_b64 s[22:23], s[24:25], s[22:23]
	s_andn2_b64 exec, exec, s[22:23]
	s_cbranch_execnz .LBB270_139
; %bb.140:
	s_or_b64 exec, exec, s[22:23]
.LBB270_141:
	s_or_b64 exec, exec, s[20:21]
	v_and_b32_e32 v49, 63, v43
	v_mov_b32_e32 v48, 2
	v_lshlrev_b64 v[26:27], v43, -1
	v_cmp_ne_u32_e32 vcc, 63, v49
	v_cmp_eq_u16_sdwa s[20:21], v25, v48 src0_sel:BYTE_0 src1_sel:DWORD
	v_addc_co_u32_e32 v28, vcc, 0, v43, vcc
	v_and_b32_e32 v21, s21, v27
	v_lshlrev_b32_e32 v50, 2, v28
	v_or_b32_e32 v21, 0x80000000, v21
	ds_bpermute_b32 v28, v50, v24
	v_and_b32_e32 v23, s20, v26
	v_ffbl_b32_e32 v21, v21
	v_add_u32_e32 v21, 32, v21
	v_ffbl_b32_e32 v23, v23
	v_min_u32_e32 v21, v23, v21
	v_cmp_lt_u32_e32 vcc, v49, v21
	s_waitcnt lgkmcnt(0)
	v_cndmask_b32_e32 v23, 0, v28, vcc
	v_cmp_gt_u32_e32 vcc, 62, v49
	v_add_u32_e32 v23, v23, v24
	v_cndmask_b32_e64 v24, 0, 2, vcc
	v_add_lshl_u32 v51, v24, v43, 2
	ds_bpermute_b32 v24, v51, v23
	v_add_u32_e32 v52, 2, v49
	v_cmp_le_u32_e32 vcc, v52, v21
	v_add_u32_e32 v69, 4, v49
	v_add_u32_e32 v71, 8, v49
	s_waitcnt lgkmcnt(0)
	v_cndmask_b32_e32 v24, 0, v24, vcc
	v_cmp_gt_u32_e32 vcc, 60, v49
	v_add_u32_e32 v23, v23, v24
	v_cndmask_b32_e64 v24, 0, 4, vcc
	v_add_lshl_u32 v53, v24, v43, 2
	ds_bpermute_b32 v24, v53, v23
	v_cmp_le_u32_e32 vcc, v69, v21
	v_add_u32_e32 v73, 16, v49
	v_add_u32_e32 v75, 32, v49
	s_waitcnt lgkmcnt(0)
	v_cndmask_b32_e32 v24, 0, v24, vcc
	v_cmp_gt_u32_e32 vcc, 56, v49
	v_add_u32_e32 v23, v23, v24
	v_cndmask_b32_e64 v24, 0, 8, vcc
	v_add_lshl_u32 v70, v24, v43, 2
	ds_bpermute_b32 v24, v70, v23
	v_cmp_le_u32_e32 vcc, v71, v21
	s_waitcnt lgkmcnt(0)
	v_cndmask_b32_e32 v24, 0, v24, vcc
	v_cmp_gt_u32_e32 vcc, 48, v49
	v_add_u32_e32 v23, v23, v24
	v_cndmask_b32_e64 v24, 0, 16, vcc
	v_add_lshl_u32 v72, v24, v43, 2
	ds_bpermute_b32 v24, v72, v23
	v_cmp_le_u32_e32 vcc, v73, v21
	s_waitcnt lgkmcnt(0)
	v_cndmask_b32_e32 v24, 0, v24, vcc
	v_add_u32_e32 v23, v23, v24
	v_mov_b32_e32 v24, 0x80
	v_lshl_or_b32 v74, v43, 2, v24
	ds_bpermute_b32 v24, v74, v23
	v_cmp_le_u32_e32 vcc, v75, v21
	s_waitcnt lgkmcnt(0)
	v_cndmask_b32_e32 v21, 0, v24, vcc
	v_add_u32_e32 v24, v23, v21
	v_mov_b32_e32 v23, 0
	s_branch .LBB270_144
.LBB270_142:                            ;   in Loop: Header=BB270_144 Depth=1
	s_or_b64 exec, exec, s[20:21]
	v_cmp_eq_u16_sdwa s[20:21], v25, v48 src0_sel:BYTE_0 src1_sel:DWORD
	v_and_b32_e32 v28, s21, v27
	v_or_b32_e32 v28, 0x80000000, v28
	ds_bpermute_b32 v76, v50, v24
	v_and_b32_e32 v29, s20, v26
	v_ffbl_b32_e32 v28, v28
	v_add_u32_e32 v28, 32, v28
	v_ffbl_b32_e32 v29, v29
	v_min_u32_e32 v28, v29, v28
	v_cmp_lt_u32_e32 vcc, v49, v28
	s_waitcnt lgkmcnt(0)
	v_cndmask_b32_e32 v29, 0, v76, vcc
	v_add_u32_e32 v24, v29, v24
	ds_bpermute_b32 v29, v51, v24
	v_cmp_le_u32_e32 vcc, v52, v28
	v_subrev_u32_e32 v22, 64, v22
	s_mov_b64 s[20:21], 0
	s_waitcnt lgkmcnt(0)
	v_cndmask_b32_e32 v29, 0, v29, vcc
	v_add_u32_e32 v24, v24, v29
	ds_bpermute_b32 v29, v53, v24
	v_cmp_le_u32_e32 vcc, v69, v28
	s_waitcnt lgkmcnt(0)
	v_cndmask_b32_e32 v29, 0, v29, vcc
	v_add_u32_e32 v24, v24, v29
	ds_bpermute_b32 v29, v70, v24
	v_cmp_le_u32_e32 vcc, v71, v28
	;; [unrolled: 5-line block ×4, first 2 shown]
	s_waitcnt lgkmcnt(0)
	v_cndmask_b32_e32 v28, 0, v29, vcc
	v_add3_u32 v24, v28, v21, v24
.LBB270_143:                            ;   in Loop: Header=BB270_144 Depth=1
	s_and_b64 vcc, exec, s[20:21]
	s_cbranch_vccnz .LBB270_150
.LBB270_144:                            ; =>This Loop Header: Depth=1
                                        ;     Child Loop BB270_147 Depth 2
	v_cmp_ne_u16_sdwa s[20:21], v25, v48 src0_sel:BYTE_0 src1_sel:DWORD
	v_mov_b32_e32 v21, v24
	s_cmp_lg_u64 s[20:21], exec
	s_mov_b64 s[20:21], -1
                                        ; implicit-def: $vgpr24
                                        ; implicit-def: $vgpr25
	s_cbranch_scc1 .LBB270_143
; %bb.145:                              ;   in Loop: Header=BB270_144 Depth=1
	v_lshlrev_b64 v[24:25], 3, v[22:23]
	v_mov_b32_e32 v29, s43
	v_add_co_u32_e32 v28, vcc, s42, v24
	v_addc_co_u32_e32 v29, vcc, v29, v25, vcc
	global_load_dwordx2 v[24:25], v[28:29], off glc
	s_waitcnt vmcnt(0)
	v_cmp_eq_u16_sdwa s[22:23], v25, v23 src0_sel:BYTE_0 src1_sel:DWORD
	s_and_saveexec_b64 s[20:21], s[22:23]
	s_cbranch_execz .LBB270_142
; %bb.146:                              ;   in Loop: Header=BB270_144 Depth=1
	s_mov_b64 s[22:23], 0
.LBB270_147:                            ;   Parent Loop BB270_144 Depth=1
                                        ; =>  This Inner Loop Header: Depth=2
	global_load_dwordx2 v[24:25], v[28:29], off glc
	s_waitcnt vmcnt(0)
	v_cmp_ne_u16_sdwa s[24:25], v25, v23 src0_sel:BYTE_0 src1_sel:DWORD
	s_or_b64 s[22:23], s[24:25], s[22:23]
	s_andn2_b64 exec, exec, s[22:23]
	s_cbranch_execnz .LBB270_147
; %bb.148:                              ;   in Loop: Header=BB270_144 Depth=1
	s_or_b64 exec, exec, s[22:23]
	s_branch .LBB270_142
.LBB270_149:
                                        ; implicit-def: $vgpr21
                                        ; implicit-def: $vgpr46
	s_cbranch_execnz .LBB270_155
	s_branch .LBB270_164
.LBB270_150:
	s_and_saveexec_b64 s[20:21], s[16:17]
	s_cbranch_execz .LBB270_152
; %bb.151:
	s_add_i32 s22, s33, 64
	s_mov_b32 s23, 0
	s_lshl_b64 s[22:23], s[22:23], 3
	s_add_u32 s22, s42, s22
	v_add_u32_e32 v22, v21, v20
	v_mov_b32_e32 v23, 2
	s_addc_u32 s23, s43, s23
	v_mov_b32_e32 v24, 0
	global_store_dwordx2 v24, v[22:23], s[22:23]
	ds_write_b64 v24, v[20:21] offset:16896
.LBB270_152:
	s_or_b64 exec, exec, s[20:21]
	s_and_b64 exec, exec, s[0:1]
; %bb.153:
	v_mov_b32_e32 v20, 0
	ds_write_b32 v20, v21 offset:12
.LBB270_154:
	s_or_b64 exec, exec, s[18:19]
	v_mov_b32_e32 v20, 0
	s_waitcnt vmcnt(0) lgkmcnt(0)
	s_barrier
	ds_read_b32 v22, v20 offset:12
	s_waitcnt lgkmcnt(0)
	s_barrier
	ds_read_b64 v[20:21], v20 offset:16896
	v_cndmask_b32_e64 v23, v47, v46, s[16:17]
	v_cndmask_b32_e64 v23, v23, 0, s[0:1]
	v_add_u32_e32 v46, v22, v23
	s_branch .LBB270_164
.LBB270_155:
	s_waitcnt lgkmcnt(0)
	v_mov_b32_dpp v20, v45 row_shr:1 row_mask:0xf bank_mask:0xf
	v_cndmask_b32_e64 v20, v20, 0, s[14:15]
	v_add_u32_e32 v20, v20, v45
	s_nop 1
	v_mov_b32_dpp v21, v20 row_shr:2 row_mask:0xf bank_mask:0xf
	v_cndmask_b32_e64 v21, 0, v21, s[12:13]
	v_add_u32_e32 v20, v20, v21
	s_nop 1
	;; [unrolled: 4-line block ×4, first 2 shown]
	v_mov_b32_dpp v21, v20 row_bcast:15 row_mask:0xf bank_mask:0xf
	v_cndmask_b32_e64 v21, v21, 0, s[6:7]
	v_add_u32_e32 v20, v20, v21
	s_nop 1
	v_mov_b32_dpp v21, v20 row_bcast:31 row_mask:0xf bank_mask:0xf
	v_cndmask_b32_e64 v21, 0, v21, s[2:3]
	v_add_u32_e32 v20, v20, v21
	s_and_saveexec_b64 s[2:3], s[4:5]
; %bb.156:
	v_lshlrev_b32_e32 v21, 2, v44
	ds_write_b32 v21, v20
; %bb.157:
	s_or_b64 exec, exec, s[2:3]
	v_cmp_gt_u32_e32 vcc, 4, v0
	s_waitcnt lgkmcnt(0)
	s_barrier
	s_and_saveexec_b64 s[2:3], vcc
	s_cbranch_execz .LBB270_159
; %bb.158:
	v_lshlrev_b32_e32 v21, 2, v0
	ds_read_b32 v22, v21
	v_and_b32_e32 v23, 3, v43
	v_cmp_ne_u32_e32 vcc, 0, v23
	s_waitcnt lgkmcnt(0)
	v_mov_b32_dpp v24, v22 row_shr:1 row_mask:0xf bank_mask:0xf
	v_cndmask_b32_e32 v24, 0, v24, vcc
	v_add_u32_e32 v22, v24, v22
	v_cmp_lt_u32_e32 vcc, 1, v23
	s_nop 0
	v_mov_b32_dpp v24, v22 row_shr:2 row_mask:0xf bank_mask:0xf
	v_cndmask_b32_e32 v23, 0, v24, vcc
	v_add_u32_e32 v22, v22, v23
	ds_write_b32 v21, v22
.LBB270_159:
	s_or_b64 exec, exec, s[2:3]
	v_cmp_lt_u32_e32 vcc, 63, v0
	v_mov_b32_e32 v21, 0
	v_mov_b32_e32 v22, 0
	s_waitcnt lgkmcnt(0)
	s_barrier
	s_and_saveexec_b64 s[2:3], vcc
; %bb.160:
	v_lshl_add_u32 v22, v44, 2, -4
	ds_read_b32 v22, v22
; %bb.161:
	s_or_b64 exec, exec, s[2:3]
	v_subrev_co_u32_e32 v23, vcc, 1, v43
	v_and_b32_e32 v24, 64, v43
	v_cmp_lt_i32_e64 s[2:3], v23, v24
	v_cndmask_b32_e64 v23, v23, v43, s[2:3]
	s_waitcnt lgkmcnt(0)
	v_add_u32_e32 v20, v22, v20
	v_lshlrev_b32_e32 v23, 2, v23
	ds_bpermute_b32 v23, v23, v20
	ds_read_b32 v20, v21 offset:12
	s_and_saveexec_b64 s[2:3], s[0:1]
	s_cbranch_execz .LBB270_163
; %bb.162:
	v_mov_b32_e32 v24, 0
	v_mov_b32_e32 v21, 2
	s_waitcnt lgkmcnt(0)
	global_store_dwordx2 v24, v[20:21], s[42:43] offset:512
.LBB270_163:
	s_or_b64 exec, exec, s[2:3]
	s_waitcnt lgkmcnt(1)
	v_cndmask_b32_e32 v21, v23, v22, vcc
	v_cndmask_b32_e64 v46, v21, 0, s[0:1]
	s_waitcnt vmcnt(0) lgkmcnt(0)
	s_barrier
	v_mov_b32_e32 v21, 0
.LBB270_164:
	v_add_u32_e32 v52, v46, v34
	v_add_u32_e32 v50, v52, v36
	;; [unrolled: 1-line block ×5, first 2 shown]
	v_add_u32_sdwa v40, v42, v64 dst_sel:DWORD dst_unused:UNUSED_PAD src0_sel:DWORD src1_sel:BYTE_0
	v_add_u32_sdwa v38, v40, v63 dst_sel:DWORD dst_unused:UNUSED_PAD src0_sel:DWORD src1_sel:BYTE_0
	v_add_u32_e32 v36, v38, v17
	v_add_u32_e32 v34, v36, v30
	;; [unrolled: 1-line block ×6, first 2 shown]
	s_movk_i32 s4, 0x101
	v_add_u32_e32 v24, v26, v39
	s_waitcnt lgkmcnt(0)
	v_cmp_gt_u32_e32 vcc, s4, v20
	v_add_u32_e32 v22, v24, v41
	s_mov_b64 s[2:3], -1
	v_and_b32_e32 v17, 1, v31
	s_cbranch_vccnz .LBB270_168
; %bb.165:
	s_and_b64 vcc, exec, s[2:3]
	s_cbranch_vccnz .LBB270_201
.LBB270_166:
	s_and_b64 s[0:1], s[0:1], s[38:39]
	s_and_saveexec_b64 s[2:3], s[0:1]
	s_cbranch_execnz .LBB270_237
.LBB270_167:
	s_endpgm
.LBB270_168:
	v_lshlrev_b64 v[69:70], 2, v[18:19]
	v_mov_b32_e32 v25, s35
	v_add_co_u32_e32 v69, vcc, s34, v69
	v_add_u32_e32 v23, v21, v20
	v_addc_co_u32_e32 v70, vcc, v25, v70, vcc
	v_cmp_lt_u32_e32 vcc, v46, v23
	s_or_b64 s[2:3], s[40:41], vcc
	v_cmp_eq_u32_e32 vcc, 1, v17
	s_and_b64 s[4:5], s[2:3], vcc
	s_and_saveexec_b64 s[2:3], s[4:5]
	s_cbranch_execz .LBB270_170
; %bb.169:
	v_mov_b32_e32 v47, 0
	v_lshlrev_b64 v[71:72], 2, v[46:47]
	v_add_co_u32_e32 v71, vcc, v69, v71
	v_addc_co_u32_e32 v72, vcc, v70, v72, vcc
	global_store_dword v[71:72], v15, off
.LBB270_170:
	s_or_b64 exec, exec, s[2:3]
	v_cmp_lt_u32_e32 vcc, v52, v23
	v_and_b32_e32 v25, 1, v68
	s_or_b64 s[2:3], s[40:41], vcc
	v_cmp_eq_u32_e32 vcc, 1, v25
	s_and_b64 s[4:5], s[2:3], vcc
	s_and_saveexec_b64 s[2:3], s[4:5]
	s_cbranch_execz .LBB270_172
; %bb.171:
	v_mov_b32_e32 v53, 0
	v_lshlrev_b64 v[71:72], 2, v[52:53]
	v_add_co_u32_e32 v71, vcc, v69, v71
	v_addc_co_u32_e32 v72, vcc, v70, v72, vcc
	global_store_dword v[71:72], v16, off
.LBB270_172:
	s_or_b64 exec, exec, s[2:3]
	v_cmp_lt_u32_e32 vcc, v50, v23
	v_and_b32_e32 v25, 1, v67
	;; [unrolled: 15-line block ×15, first 2 shown]
	s_or_b64 s[2:3], s[40:41], vcc
	v_cmp_eq_u32_e32 vcc, 1, v23
	s_and_b64 s[4:5], s[2:3], vcc
	s_and_saveexec_b64 s[2:3], s[4:5]
	s_cbranch_execz .LBB270_200
; %bb.199:
	v_mov_b32_e32 v23, 0
	v_lshlrev_b64 v[71:72], 2, v[22:23]
	v_add_co_u32_e32 v69, vcc, v69, v71
	v_addc_co_u32_e32 v70, vcc, v70, v72, vcc
	global_store_dword v[69:70], v2, off
.LBB270_200:
	s_or_b64 exec, exec, s[2:3]
	s_branch .LBB270_166
.LBB270_201:
	v_cmp_eq_u32_e32 vcc, 1, v17
	s_and_saveexec_b64 s[2:3], vcc
; %bb.202:
	v_sub_u32_e32 v17, v46, v21
	v_lshlrev_b32_e32 v17, 2, v17
	ds_write_b32 v17, v15
; %bb.203:
	s_or_b64 exec, exec, s[2:3]
	v_and_b32_e32 v15, 1, v68
	v_cmp_eq_u32_e32 vcc, 1, v15
	s_and_saveexec_b64 s[2:3], vcc
; %bb.204:
	v_sub_u32_e32 v15, v52, v21
	v_lshlrev_b32_e32 v15, 2, v15
	ds_write_b32 v15, v16
; %bb.205:
	s_or_b64 exec, exec, s[2:3]
	v_and_b32_e32 v15, 1, v67
	;; [unrolled: 9-line block ×15, first 2 shown]
	v_cmp_eq_u32_e32 vcc, 1, v1
	s_and_saveexec_b64 s[2:3], vcc
; %bb.232:
	v_sub_u32_e32 v1, v22, v21
	v_lshlrev_b32_e32 v1, 2, v1
	ds_write_b32 v1, v2
; %bb.233:
	s_or_b64 exec, exec, s[2:3]
	v_cmp_lt_u32_e32 vcc, v0, v20
	s_waitcnt vmcnt(0) lgkmcnt(0)
	s_barrier
	s_and_saveexec_b64 s[4:5], vcc
	s_cbranch_execz .LBB270_236
; %bb.234:
	v_mov_b32_e32 v1, 0
	v_lshlrev_b64 v[4:5], 2, v[18:19]
	v_mov_b32_e32 v2, v21
	v_mov_b32_e32 v3, v1
	;; [unrolled: 1-line block ×3, first 2 shown]
	v_add_co_u32_e32 v4, vcc, s34, v4
	v_lshlrev_b64 v[2:3], 2, v[2:3]
	v_addc_co_u32_e32 v5, vcc, v6, v5, vcc
	v_add_co_u32_e32 v2, vcc, v4, v2
	v_addc_co_u32_e32 v3, vcc, v5, v3, vcc
	v_lshlrev_b32_e32 v4, 2, v0
	s_mov_b64 s[6:7], 0
.LBB270_235:                            ; =>This Inner Loop Header: Depth=1
	ds_read_b32 v7, v4
	v_lshlrev_b64 v[5:6], 2, v[0:1]
	v_add_u32_e32 v0, 0x100, v0
	v_cmp_ge_u32_e32 vcc, v0, v20
	v_add_co_u32_e64 v5, s[2:3], v2, v5
	v_add_u32_e32 v4, 0x400, v4
	v_addc_co_u32_e64 v6, s[2:3], v3, v6, s[2:3]
	s_or_b64 s[6:7], vcc, s[6:7]
	s_waitcnt lgkmcnt(0)
	global_store_dword v[5:6], v7, off
	s_andn2_b64 exec, exec, s[6:7]
	s_cbranch_execnz .LBB270_235
.LBB270_236:
	s_or_b64 exec, exec, s[4:5]
	s_and_b64 s[0:1], s[0:1], s[38:39]
	s_and_saveexec_b64 s[2:3], s[0:1]
	s_cbranch_execz .LBB270_167
.LBB270_237:
	v_add_co_u32_e32 v0, vcc, v18, v20
	v_addc_co_u32_e32 v1, vcc, 0, v19, vcc
	v_add_co_u32_e32 v0, vcc, v0, v21
	v_mov_b32_e32 v2, 0
	v_addc_co_u32_e32 v1, vcc, 0, v1, vcc
	global_store_dwordx2 v2, v[0:1], s[36:37]
	s_endpgm
	.section	.rodata,"a",@progbits
	.p2align	6, 0x0
	.amdhsa_kernel _ZN7rocprim17ROCPRIM_400000_NS6detail17trampoline_kernelINS0_14default_configENS1_25partition_config_selectorILNS1_17partition_subalgoE8EjNS0_10empty_typeEbEEZZNS1_14partition_implILS5_8ELb0ES3_jN6thrust23THRUST_200600_302600_NS6detail15normal_iteratorINSA_10device_ptrIjEEEEPS6_PKS6_NS0_5tupleIJSF_S6_EEENSJ_IJSG_SG_EEENS0_18inequality_wrapperI22is_equal_div_10_uniqueIjEEEPmJS6_EEE10hipError_tPvRmT3_T4_T5_T6_T7_T9_mT8_P12ihipStream_tbDpT10_ENKUlT_T0_E_clISt17integral_constantIbLb0EES19_IbLb1EEEEDaS15_S16_EUlS15_E_NS1_11comp_targetILNS1_3genE2ELNS1_11target_archE906ELNS1_3gpuE6ELNS1_3repE0EEENS1_30default_config_static_selectorELNS0_4arch9wavefront6targetE1EEEvT1_
		.amdhsa_group_segment_fixed_size 16904
		.amdhsa_private_segment_fixed_size 0
		.amdhsa_kernarg_size 128
		.amdhsa_user_sgpr_count 6
		.amdhsa_user_sgpr_private_segment_buffer 1
		.amdhsa_user_sgpr_dispatch_ptr 0
		.amdhsa_user_sgpr_queue_ptr 0
		.amdhsa_user_sgpr_kernarg_segment_ptr 1
		.amdhsa_user_sgpr_dispatch_id 0
		.amdhsa_user_sgpr_flat_scratch_init 0
		.amdhsa_user_sgpr_private_segment_size 0
		.amdhsa_uses_dynamic_stack 0
		.amdhsa_system_sgpr_private_segment_wavefront_offset 0
		.amdhsa_system_sgpr_workgroup_id_x 1
		.amdhsa_system_sgpr_workgroup_id_y 0
		.amdhsa_system_sgpr_workgroup_id_z 0
		.amdhsa_system_sgpr_workgroup_info 0
		.amdhsa_system_vgpr_workitem_id 0
		.amdhsa_next_free_vgpr 77
		.amdhsa_next_free_sgpr 98
		.amdhsa_reserve_vcc 1
		.amdhsa_reserve_flat_scratch 0
		.amdhsa_float_round_mode_32 0
		.amdhsa_float_round_mode_16_64 0
		.amdhsa_float_denorm_mode_32 3
		.amdhsa_float_denorm_mode_16_64 3
		.amdhsa_dx10_clamp 1
		.amdhsa_ieee_mode 1
		.amdhsa_fp16_overflow 0
		.amdhsa_exception_fp_ieee_invalid_op 0
		.amdhsa_exception_fp_denorm_src 0
		.amdhsa_exception_fp_ieee_div_zero 0
		.amdhsa_exception_fp_ieee_overflow 0
		.amdhsa_exception_fp_ieee_underflow 0
		.amdhsa_exception_fp_ieee_inexact 0
		.amdhsa_exception_int_div_zero 0
	.end_amdhsa_kernel
	.section	.text._ZN7rocprim17ROCPRIM_400000_NS6detail17trampoline_kernelINS0_14default_configENS1_25partition_config_selectorILNS1_17partition_subalgoE8EjNS0_10empty_typeEbEEZZNS1_14partition_implILS5_8ELb0ES3_jN6thrust23THRUST_200600_302600_NS6detail15normal_iteratorINSA_10device_ptrIjEEEEPS6_PKS6_NS0_5tupleIJSF_S6_EEENSJ_IJSG_SG_EEENS0_18inequality_wrapperI22is_equal_div_10_uniqueIjEEEPmJS6_EEE10hipError_tPvRmT3_T4_T5_T6_T7_T9_mT8_P12ihipStream_tbDpT10_ENKUlT_T0_E_clISt17integral_constantIbLb0EES19_IbLb1EEEEDaS15_S16_EUlS15_E_NS1_11comp_targetILNS1_3genE2ELNS1_11target_archE906ELNS1_3gpuE6ELNS1_3repE0EEENS1_30default_config_static_selectorELNS0_4arch9wavefront6targetE1EEEvT1_,"axG",@progbits,_ZN7rocprim17ROCPRIM_400000_NS6detail17trampoline_kernelINS0_14default_configENS1_25partition_config_selectorILNS1_17partition_subalgoE8EjNS0_10empty_typeEbEEZZNS1_14partition_implILS5_8ELb0ES3_jN6thrust23THRUST_200600_302600_NS6detail15normal_iteratorINSA_10device_ptrIjEEEEPS6_PKS6_NS0_5tupleIJSF_S6_EEENSJ_IJSG_SG_EEENS0_18inequality_wrapperI22is_equal_div_10_uniqueIjEEEPmJS6_EEE10hipError_tPvRmT3_T4_T5_T6_T7_T9_mT8_P12ihipStream_tbDpT10_ENKUlT_T0_E_clISt17integral_constantIbLb0EES19_IbLb1EEEEDaS15_S16_EUlS15_E_NS1_11comp_targetILNS1_3genE2ELNS1_11target_archE906ELNS1_3gpuE6ELNS1_3repE0EEENS1_30default_config_static_selectorELNS0_4arch9wavefront6targetE1EEEvT1_,comdat
.Lfunc_end270:
	.size	_ZN7rocprim17ROCPRIM_400000_NS6detail17trampoline_kernelINS0_14default_configENS1_25partition_config_selectorILNS1_17partition_subalgoE8EjNS0_10empty_typeEbEEZZNS1_14partition_implILS5_8ELb0ES3_jN6thrust23THRUST_200600_302600_NS6detail15normal_iteratorINSA_10device_ptrIjEEEEPS6_PKS6_NS0_5tupleIJSF_S6_EEENSJ_IJSG_SG_EEENS0_18inequality_wrapperI22is_equal_div_10_uniqueIjEEEPmJS6_EEE10hipError_tPvRmT3_T4_T5_T6_T7_T9_mT8_P12ihipStream_tbDpT10_ENKUlT_T0_E_clISt17integral_constantIbLb0EES19_IbLb1EEEEDaS15_S16_EUlS15_E_NS1_11comp_targetILNS1_3genE2ELNS1_11target_archE906ELNS1_3gpuE6ELNS1_3repE0EEENS1_30default_config_static_selectorELNS0_4arch9wavefront6targetE1EEEvT1_, .Lfunc_end270-_ZN7rocprim17ROCPRIM_400000_NS6detail17trampoline_kernelINS0_14default_configENS1_25partition_config_selectorILNS1_17partition_subalgoE8EjNS0_10empty_typeEbEEZZNS1_14partition_implILS5_8ELb0ES3_jN6thrust23THRUST_200600_302600_NS6detail15normal_iteratorINSA_10device_ptrIjEEEEPS6_PKS6_NS0_5tupleIJSF_S6_EEENSJ_IJSG_SG_EEENS0_18inequality_wrapperI22is_equal_div_10_uniqueIjEEEPmJS6_EEE10hipError_tPvRmT3_T4_T5_T6_T7_T9_mT8_P12ihipStream_tbDpT10_ENKUlT_T0_E_clISt17integral_constantIbLb0EES19_IbLb1EEEEDaS15_S16_EUlS15_E_NS1_11comp_targetILNS1_3genE2ELNS1_11target_archE906ELNS1_3gpuE6ELNS1_3repE0EEENS1_30default_config_static_selectorELNS0_4arch9wavefront6targetE1EEEvT1_
                                        ; -- End function
	.set _ZN7rocprim17ROCPRIM_400000_NS6detail17trampoline_kernelINS0_14default_configENS1_25partition_config_selectorILNS1_17partition_subalgoE8EjNS0_10empty_typeEbEEZZNS1_14partition_implILS5_8ELb0ES3_jN6thrust23THRUST_200600_302600_NS6detail15normal_iteratorINSA_10device_ptrIjEEEEPS6_PKS6_NS0_5tupleIJSF_S6_EEENSJ_IJSG_SG_EEENS0_18inequality_wrapperI22is_equal_div_10_uniqueIjEEEPmJS6_EEE10hipError_tPvRmT3_T4_T5_T6_T7_T9_mT8_P12ihipStream_tbDpT10_ENKUlT_T0_E_clISt17integral_constantIbLb0EES19_IbLb1EEEEDaS15_S16_EUlS15_E_NS1_11comp_targetILNS1_3genE2ELNS1_11target_archE906ELNS1_3gpuE6ELNS1_3repE0EEENS1_30default_config_static_selectorELNS0_4arch9wavefront6targetE1EEEvT1_.num_vgpr, 77
	.set _ZN7rocprim17ROCPRIM_400000_NS6detail17trampoline_kernelINS0_14default_configENS1_25partition_config_selectorILNS1_17partition_subalgoE8EjNS0_10empty_typeEbEEZZNS1_14partition_implILS5_8ELb0ES3_jN6thrust23THRUST_200600_302600_NS6detail15normal_iteratorINSA_10device_ptrIjEEEEPS6_PKS6_NS0_5tupleIJSF_S6_EEENSJ_IJSG_SG_EEENS0_18inequality_wrapperI22is_equal_div_10_uniqueIjEEEPmJS6_EEE10hipError_tPvRmT3_T4_T5_T6_T7_T9_mT8_P12ihipStream_tbDpT10_ENKUlT_T0_E_clISt17integral_constantIbLb0EES19_IbLb1EEEEDaS15_S16_EUlS15_E_NS1_11comp_targetILNS1_3genE2ELNS1_11target_archE906ELNS1_3gpuE6ELNS1_3repE0EEENS1_30default_config_static_selectorELNS0_4arch9wavefront6targetE1EEEvT1_.num_agpr, 0
	.set _ZN7rocprim17ROCPRIM_400000_NS6detail17trampoline_kernelINS0_14default_configENS1_25partition_config_selectorILNS1_17partition_subalgoE8EjNS0_10empty_typeEbEEZZNS1_14partition_implILS5_8ELb0ES3_jN6thrust23THRUST_200600_302600_NS6detail15normal_iteratorINSA_10device_ptrIjEEEEPS6_PKS6_NS0_5tupleIJSF_S6_EEENSJ_IJSG_SG_EEENS0_18inequality_wrapperI22is_equal_div_10_uniqueIjEEEPmJS6_EEE10hipError_tPvRmT3_T4_T5_T6_T7_T9_mT8_P12ihipStream_tbDpT10_ENKUlT_T0_E_clISt17integral_constantIbLb0EES19_IbLb1EEEEDaS15_S16_EUlS15_E_NS1_11comp_targetILNS1_3genE2ELNS1_11target_archE906ELNS1_3gpuE6ELNS1_3repE0EEENS1_30default_config_static_selectorELNS0_4arch9wavefront6targetE1EEEvT1_.numbered_sgpr, 57
	.set _ZN7rocprim17ROCPRIM_400000_NS6detail17trampoline_kernelINS0_14default_configENS1_25partition_config_selectorILNS1_17partition_subalgoE8EjNS0_10empty_typeEbEEZZNS1_14partition_implILS5_8ELb0ES3_jN6thrust23THRUST_200600_302600_NS6detail15normal_iteratorINSA_10device_ptrIjEEEEPS6_PKS6_NS0_5tupleIJSF_S6_EEENSJ_IJSG_SG_EEENS0_18inequality_wrapperI22is_equal_div_10_uniqueIjEEEPmJS6_EEE10hipError_tPvRmT3_T4_T5_T6_T7_T9_mT8_P12ihipStream_tbDpT10_ENKUlT_T0_E_clISt17integral_constantIbLb0EES19_IbLb1EEEEDaS15_S16_EUlS15_E_NS1_11comp_targetILNS1_3genE2ELNS1_11target_archE906ELNS1_3gpuE6ELNS1_3repE0EEENS1_30default_config_static_selectorELNS0_4arch9wavefront6targetE1EEEvT1_.num_named_barrier, 0
	.set _ZN7rocprim17ROCPRIM_400000_NS6detail17trampoline_kernelINS0_14default_configENS1_25partition_config_selectorILNS1_17partition_subalgoE8EjNS0_10empty_typeEbEEZZNS1_14partition_implILS5_8ELb0ES3_jN6thrust23THRUST_200600_302600_NS6detail15normal_iteratorINSA_10device_ptrIjEEEEPS6_PKS6_NS0_5tupleIJSF_S6_EEENSJ_IJSG_SG_EEENS0_18inequality_wrapperI22is_equal_div_10_uniqueIjEEEPmJS6_EEE10hipError_tPvRmT3_T4_T5_T6_T7_T9_mT8_P12ihipStream_tbDpT10_ENKUlT_T0_E_clISt17integral_constantIbLb0EES19_IbLb1EEEEDaS15_S16_EUlS15_E_NS1_11comp_targetILNS1_3genE2ELNS1_11target_archE906ELNS1_3gpuE6ELNS1_3repE0EEENS1_30default_config_static_selectorELNS0_4arch9wavefront6targetE1EEEvT1_.private_seg_size, 0
	.set _ZN7rocprim17ROCPRIM_400000_NS6detail17trampoline_kernelINS0_14default_configENS1_25partition_config_selectorILNS1_17partition_subalgoE8EjNS0_10empty_typeEbEEZZNS1_14partition_implILS5_8ELb0ES3_jN6thrust23THRUST_200600_302600_NS6detail15normal_iteratorINSA_10device_ptrIjEEEEPS6_PKS6_NS0_5tupleIJSF_S6_EEENSJ_IJSG_SG_EEENS0_18inequality_wrapperI22is_equal_div_10_uniqueIjEEEPmJS6_EEE10hipError_tPvRmT3_T4_T5_T6_T7_T9_mT8_P12ihipStream_tbDpT10_ENKUlT_T0_E_clISt17integral_constantIbLb0EES19_IbLb1EEEEDaS15_S16_EUlS15_E_NS1_11comp_targetILNS1_3genE2ELNS1_11target_archE906ELNS1_3gpuE6ELNS1_3repE0EEENS1_30default_config_static_selectorELNS0_4arch9wavefront6targetE1EEEvT1_.uses_vcc, 1
	.set _ZN7rocprim17ROCPRIM_400000_NS6detail17trampoline_kernelINS0_14default_configENS1_25partition_config_selectorILNS1_17partition_subalgoE8EjNS0_10empty_typeEbEEZZNS1_14partition_implILS5_8ELb0ES3_jN6thrust23THRUST_200600_302600_NS6detail15normal_iteratorINSA_10device_ptrIjEEEEPS6_PKS6_NS0_5tupleIJSF_S6_EEENSJ_IJSG_SG_EEENS0_18inequality_wrapperI22is_equal_div_10_uniqueIjEEEPmJS6_EEE10hipError_tPvRmT3_T4_T5_T6_T7_T9_mT8_P12ihipStream_tbDpT10_ENKUlT_T0_E_clISt17integral_constantIbLb0EES19_IbLb1EEEEDaS15_S16_EUlS15_E_NS1_11comp_targetILNS1_3genE2ELNS1_11target_archE906ELNS1_3gpuE6ELNS1_3repE0EEENS1_30default_config_static_selectorELNS0_4arch9wavefront6targetE1EEEvT1_.uses_flat_scratch, 0
	.set _ZN7rocprim17ROCPRIM_400000_NS6detail17trampoline_kernelINS0_14default_configENS1_25partition_config_selectorILNS1_17partition_subalgoE8EjNS0_10empty_typeEbEEZZNS1_14partition_implILS5_8ELb0ES3_jN6thrust23THRUST_200600_302600_NS6detail15normal_iteratorINSA_10device_ptrIjEEEEPS6_PKS6_NS0_5tupleIJSF_S6_EEENSJ_IJSG_SG_EEENS0_18inequality_wrapperI22is_equal_div_10_uniqueIjEEEPmJS6_EEE10hipError_tPvRmT3_T4_T5_T6_T7_T9_mT8_P12ihipStream_tbDpT10_ENKUlT_T0_E_clISt17integral_constantIbLb0EES19_IbLb1EEEEDaS15_S16_EUlS15_E_NS1_11comp_targetILNS1_3genE2ELNS1_11target_archE906ELNS1_3gpuE6ELNS1_3repE0EEENS1_30default_config_static_selectorELNS0_4arch9wavefront6targetE1EEEvT1_.has_dyn_sized_stack, 0
	.set _ZN7rocprim17ROCPRIM_400000_NS6detail17trampoline_kernelINS0_14default_configENS1_25partition_config_selectorILNS1_17partition_subalgoE8EjNS0_10empty_typeEbEEZZNS1_14partition_implILS5_8ELb0ES3_jN6thrust23THRUST_200600_302600_NS6detail15normal_iteratorINSA_10device_ptrIjEEEEPS6_PKS6_NS0_5tupleIJSF_S6_EEENSJ_IJSG_SG_EEENS0_18inequality_wrapperI22is_equal_div_10_uniqueIjEEEPmJS6_EEE10hipError_tPvRmT3_T4_T5_T6_T7_T9_mT8_P12ihipStream_tbDpT10_ENKUlT_T0_E_clISt17integral_constantIbLb0EES19_IbLb1EEEEDaS15_S16_EUlS15_E_NS1_11comp_targetILNS1_3genE2ELNS1_11target_archE906ELNS1_3gpuE6ELNS1_3repE0EEENS1_30default_config_static_selectorELNS0_4arch9wavefront6targetE1EEEvT1_.has_recursion, 0
	.set _ZN7rocprim17ROCPRIM_400000_NS6detail17trampoline_kernelINS0_14default_configENS1_25partition_config_selectorILNS1_17partition_subalgoE8EjNS0_10empty_typeEbEEZZNS1_14partition_implILS5_8ELb0ES3_jN6thrust23THRUST_200600_302600_NS6detail15normal_iteratorINSA_10device_ptrIjEEEEPS6_PKS6_NS0_5tupleIJSF_S6_EEENSJ_IJSG_SG_EEENS0_18inequality_wrapperI22is_equal_div_10_uniqueIjEEEPmJS6_EEE10hipError_tPvRmT3_T4_T5_T6_T7_T9_mT8_P12ihipStream_tbDpT10_ENKUlT_T0_E_clISt17integral_constantIbLb0EES19_IbLb1EEEEDaS15_S16_EUlS15_E_NS1_11comp_targetILNS1_3genE2ELNS1_11target_archE906ELNS1_3gpuE6ELNS1_3repE0EEENS1_30default_config_static_selectorELNS0_4arch9wavefront6targetE1EEEvT1_.has_indirect_call, 0
	.section	.AMDGPU.csdata,"",@progbits
; Kernel info:
; codeLenInByte = 10632
; TotalNumSgprs: 61
; NumVgprs: 77
; ScratchSize: 0
; MemoryBound: 0
; FloatMode: 240
; IeeeMode: 1
; LDSByteSize: 16904 bytes/workgroup (compile time only)
; SGPRBlocks: 12
; VGPRBlocks: 19
; NumSGPRsForWavesPerEU: 102
; NumVGPRsForWavesPerEU: 77
; Occupancy: 3
; WaveLimiterHint : 1
; COMPUTE_PGM_RSRC2:SCRATCH_EN: 0
; COMPUTE_PGM_RSRC2:USER_SGPR: 6
; COMPUTE_PGM_RSRC2:TRAP_HANDLER: 0
; COMPUTE_PGM_RSRC2:TGID_X_EN: 1
; COMPUTE_PGM_RSRC2:TGID_Y_EN: 0
; COMPUTE_PGM_RSRC2:TGID_Z_EN: 0
; COMPUTE_PGM_RSRC2:TIDIG_COMP_CNT: 0
	.section	.text._ZN7rocprim17ROCPRIM_400000_NS6detail17trampoline_kernelINS0_14default_configENS1_25partition_config_selectorILNS1_17partition_subalgoE8EjNS0_10empty_typeEbEEZZNS1_14partition_implILS5_8ELb0ES3_jN6thrust23THRUST_200600_302600_NS6detail15normal_iteratorINSA_10device_ptrIjEEEEPS6_PKS6_NS0_5tupleIJSF_S6_EEENSJ_IJSG_SG_EEENS0_18inequality_wrapperI22is_equal_div_10_uniqueIjEEEPmJS6_EEE10hipError_tPvRmT3_T4_T5_T6_T7_T9_mT8_P12ihipStream_tbDpT10_ENKUlT_T0_E_clISt17integral_constantIbLb0EES19_IbLb1EEEEDaS15_S16_EUlS15_E_NS1_11comp_targetILNS1_3genE10ELNS1_11target_archE1200ELNS1_3gpuE4ELNS1_3repE0EEENS1_30default_config_static_selectorELNS0_4arch9wavefront6targetE1EEEvT1_,"axG",@progbits,_ZN7rocprim17ROCPRIM_400000_NS6detail17trampoline_kernelINS0_14default_configENS1_25partition_config_selectorILNS1_17partition_subalgoE8EjNS0_10empty_typeEbEEZZNS1_14partition_implILS5_8ELb0ES3_jN6thrust23THRUST_200600_302600_NS6detail15normal_iteratorINSA_10device_ptrIjEEEEPS6_PKS6_NS0_5tupleIJSF_S6_EEENSJ_IJSG_SG_EEENS0_18inequality_wrapperI22is_equal_div_10_uniqueIjEEEPmJS6_EEE10hipError_tPvRmT3_T4_T5_T6_T7_T9_mT8_P12ihipStream_tbDpT10_ENKUlT_T0_E_clISt17integral_constantIbLb0EES19_IbLb1EEEEDaS15_S16_EUlS15_E_NS1_11comp_targetILNS1_3genE10ELNS1_11target_archE1200ELNS1_3gpuE4ELNS1_3repE0EEENS1_30default_config_static_selectorELNS0_4arch9wavefront6targetE1EEEvT1_,comdat
	.protected	_ZN7rocprim17ROCPRIM_400000_NS6detail17trampoline_kernelINS0_14default_configENS1_25partition_config_selectorILNS1_17partition_subalgoE8EjNS0_10empty_typeEbEEZZNS1_14partition_implILS5_8ELb0ES3_jN6thrust23THRUST_200600_302600_NS6detail15normal_iteratorINSA_10device_ptrIjEEEEPS6_PKS6_NS0_5tupleIJSF_S6_EEENSJ_IJSG_SG_EEENS0_18inequality_wrapperI22is_equal_div_10_uniqueIjEEEPmJS6_EEE10hipError_tPvRmT3_T4_T5_T6_T7_T9_mT8_P12ihipStream_tbDpT10_ENKUlT_T0_E_clISt17integral_constantIbLb0EES19_IbLb1EEEEDaS15_S16_EUlS15_E_NS1_11comp_targetILNS1_3genE10ELNS1_11target_archE1200ELNS1_3gpuE4ELNS1_3repE0EEENS1_30default_config_static_selectorELNS0_4arch9wavefront6targetE1EEEvT1_ ; -- Begin function _ZN7rocprim17ROCPRIM_400000_NS6detail17trampoline_kernelINS0_14default_configENS1_25partition_config_selectorILNS1_17partition_subalgoE8EjNS0_10empty_typeEbEEZZNS1_14partition_implILS5_8ELb0ES3_jN6thrust23THRUST_200600_302600_NS6detail15normal_iteratorINSA_10device_ptrIjEEEEPS6_PKS6_NS0_5tupleIJSF_S6_EEENSJ_IJSG_SG_EEENS0_18inequality_wrapperI22is_equal_div_10_uniqueIjEEEPmJS6_EEE10hipError_tPvRmT3_T4_T5_T6_T7_T9_mT8_P12ihipStream_tbDpT10_ENKUlT_T0_E_clISt17integral_constantIbLb0EES19_IbLb1EEEEDaS15_S16_EUlS15_E_NS1_11comp_targetILNS1_3genE10ELNS1_11target_archE1200ELNS1_3gpuE4ELNS1_3repE0EEENS1_30default_config_static_selectorELNS0_4arch9wavefront6targetE1EEEvT1_
	.globl	_ZN7rocprim17ROCPRIM_400000_NS6detail17trampoline_kernelINS0_14default_configENS1_25partition_config_selectorILNS1_17partition_subalgoE8EjNS0_10empty_typeEbEEZZNS1_14partition_implILS5_8ELb0ES3_jN6thrust23THRUST_200600_302600_NS6detail15normal_iteratorINSA_10device_ptrIjEEEEPS6_PKS6_NS0_5tupleIJSF_S6_EEENSJ_IJSG_SG_EEENS0_18inequality_wrapperI22is_equal_div_10_uniqueIjEEEPmJS6_EEE10hipError_tPvRmT3_T4_T5_T6_T7_T9_mT8_P12ihipStream_tbDpT10_ENKUlT_T0_E_clISt17integral_constantIbLb0EES19_IbLb1EEEEDaS15_S16_EUlS15_E_NS1_11comp_targetILNS1_3genE10ELNS1_11target_archE1200ELNS1_3gpuE4ELNS1_3repE0EEENS1_30default_config_static_selectorELNS0_4arch9wavefront6targetE1EEEvT1_
	.p2align	8
	.type	_ZN7rocprim17ROCPRIM_400000_NS6detail17trampoline_kernelINS0_14default_configENS1_25partition_config_selectorILNS1_17partition_subalgoE8EjNS0_10empty_typeEbEEZZNS1_14partition_implILS5_8ELb0ES3_jN6thrust23THRUST_200600_302600_NS6detail15normal_iteratorINSA_10device_ptrIjEEEEPS6_PKS6_NS0_5tupleIJSF_S6_EEENSJ_IJSG_SG_EEENS0_18inequality_wrapperI22is_equal_div_10_uniqueIjEEEPmJS6_EEE10hipError_tPvRmT3_T4_T5_T6_T7_T9_mT8_P12ihipStream_tbDpT10_ENKUlT_T0_E_clISt17integral_constantIbLb0EES19_IbLb1EEEEDaS15_S16_EUlS15_E_NS1_11comp_targetILNS1_3genE10ELNS1_11target_archE1200ELNS1_3gpuE4ELNS1_3repE0EEENS1_30default_config_static_selectorELNS0_4arch9wavefront6targetE1EEEvT1_,@function
_ZN7rocprim17ROCPRIM_400000_NS6detail17trampoline_kernelINS0_14default_configENS1_25partition_config_selectorILNS1_17partition_subalgoE8EjNS0_10empty_typeEbEEZZNS1_14partition_implILS5_8ELb0ES3_jN6thrust23THRUST_200600_302600_NS6detail15normal_iteratorINSA_10device_ptrIjEEEEPS6_PKS6_NS0_5tupleIJSF_S6_EEENSJ_IJSG_SG_EEENS0_18inequality_wrapperI22is_equal_div_10_uniqueIjEEEPmJS6_EEE10hipError_tPvRmT3_T4_T5_T6_T7_T9_mT8_P12ihipStream_tbDpT10_ENKUlT_T0_E_clISt17integral_constantIbLb0EES19_IbLb1EEEEDaS15_S16_EUlS15_E_NS1_11comp_targetILNS1_3genE10ELNS1_11target_archE1200ELNS1_3gpuE4ELNS1_3repE0EEENS1_30default_config_static_selectorELNS0_4arch9wavefront6targetE1EEEvT1_: ; @_ZN7rocprim17ROCPRIM_400000_NS6detail17trampoline_kernelINS0_14default_configENS1_25partition_config_selectorILNS1_17partition_subalgoE8EjNS0_10empty_typeEbEEZZNS1_14partition_implILS5_8ELb0ES3_jN6thrust23THRUST_200600_302600_NS6detail15normal_iteratorINSA_10device_ptrIjEEEEPS6_PKS6_NS0_5tupleIJSF_S6_EEENSJ_IJSG_SG_EEENS0_18inequality_wrapperI22is_equal_div_10_uniqueIjEEEPmJS6_EEE10hipError_tPvRmT3_T4_T5_T6_T7_T9_mT8_P12ihipStream_tbDpT10_ENKUlT_T0_E_clISt17integral_constantIbLb0EES19_IbLb1EEEEDaS15_S16_EUlS15_E_NS1_11comp_targetILNS1_3genE10ELNS1_11target_archE1200ELNS1_3gpuE4ELNS1_3repE0EEENS1_30default_config_static_selectorELNS0_4arch9wavefront6targetE1EEEvT1_
; %bb.0:
	.section	.rodata,"a",@progbits
	.p2align	6, 0x0
	.amdhsa_kernel _ZN7rocprim17ROCPRIM_400000_NS6detail17trampoline_kernelINS0_14default_configENS1_25partition_config_selectorILNS1_17partition_subalgoE8EjNS0_10empty_typeEbEEZZNS1_14partition_implILS5_8ELb0ES3_jN6thrust23THRUST_200600_302600_NS6detail15normal_iteratorINSA_10device_ptrIjEEEEPS6_PKS6_NS0_5tupleIJSF_S6_EEENSJ_IJSG_SG_EEENS0_18inequality_wrapperI22is_equal_div_10_uniqueIjEEEPmJS6_EEE10hipError_tPvRmT3_T4_T5_T6_T7_T9_mT8_P12ihipStream_tbDpT10_ENKUlT_T0_E_clISt17integral_constantIbLb0EES19_IbLb1EEEEDaS15_S16_EUlS15_E_NS1_11comp_targetILNS1_3genE10ELNS1_11target_archE1200ELNS1_3gpuE4ELNS1_3repE0EEENS1_30default_config_static_selectorELNS0_4arch9wavefront6targetE1EEEvT1_
		.amdhsa_group_segment_fixed_size 0
		.amdhsa_private_segment_fixed_size 0
		.amdhsa_kernarg_size 128
		.amdhsa_user_sgpr_count 6
		.amdhsa_user_sgpr_private_segment_buffer 1
		.amdhsa_user_sgpr_dispatch_ptr 0
		.amdhsa_user_sgpr_queue_ptr 0
		.amdhsa_user_sgpr_kernarg_segment_ptr 1
		.amdhsa_user_sgpr_dispatch_id 0
		.amdhsa_user_sgpr_flat_scratch_init 0
		.amdhsa_user_sgpr_private_segment_size 0
		.amdhsa_uses_dynamic_stack 0
		.amdhsa_system_sgpr_private_segment_wavefront_offset 0
		.amdhsa_system_sgpr_workgroup_id_x 1
		.amdhsa_system_sgpr_workgroup_id_y 0
		.amdhsa_system_sgpr_workgroup_id_z 0
		.amdhsa_system_sgpr_workgroup_info 0
		.amdhsa_system_vgpr_workitem_id 0
		.amdhsa_next_free_vgpr 1
		.amdhsa_next_free_sgpr 0
		.amdhsa_reserve_vcc 0
		.amdhsa_reserve_flat_scratch 0
		.amdhsa_float_round_mode_32 0
		.amdhsa_float_round_mode_16_64 0
		.amdhsa_float_denorm_mode_32 3
		.amdhsa_float_denorm_mode_16_64 3
		.amdhsa_dx10_clamp 1
		.amdhsa_ieee_mode 1
		.amdhsa_fp16_overflow 0
		.amdhsa_exception_fp_ieee_invalid_op 0
		.amdhsa_exception_fp_denorm_src 0
		.amdhsa_exception_fp_ieee_div_zero 0
		.amdhsa_exception_fp_ieee_overflow 0
		.amdhsa_exception_fp_ieee_underflow 0
		.amdhsa_exception_fp_ieee_inexact 0
		.amdhsa_exception_int_div_zero 0
	.end_amdhsa_kernel
	.section	.text._ZN7rocprim17ROCPRIM_400000_NS6detail17trampoline_kernelINS0_14default_configENS1_25partition_config_selectorILNS1_17partition_subalgoE8EjNS0_10empty_typeEbEEZZNS1_14partition_implILS5_8ELb0ES3_jN6thrust23THRUST_200600_302600_NS6detail15normal_iteratorINSA_10device_ptrIjEEEEPS6_PKS6_NS0_5tupleIJSF_S6_EEENSJ_IJSG_SG_EEENS0_18inequality_wrapperI22is_equal_div_10_uniqueIjEEEPmJS6_EEE10hipError_tPvRmT3_T4_T5_T6_T7_T9_mT8_P12ihipStream_tbDpT10_ENKUlT_T0_E_clISt17integral_constantIbLb0EES19_IbLb1EEEEDaS15_S16_EUlS15_E_NS1_11comp_targetILNS1_3genE10ELNS1_11target_archE1200ELNS1_3gpuE4ELNS1_3repE0EEENS1_30default_config_static_selectorELNS0_4arch9wavefront6targetE1EEEvT1_,"axG",@progbits,_ZN7rocprim17ROCPRIM_400000_NS6detail17trampoline_kernelINS0_14default_configENS1_25partition_config_selectorILNS1_17partition_subalgoE8EjNS0_10empty_typeEbEEZZNS1_14partition_implILS5_8ELb0ES3_jN6thrust23THRUST_200600_302600_NS6detail15normal_iteratorINSA_10device_ptrIjEEEEPS6_PKS6_NS0_5tupleIJSF_S6_EEENSJ_IJSG_SG_EEENS0_18inequality_wrapperI22is_equal_div_10_uniqueIjEEEPmJS6_EEE10hipError_tPvRmT3_T4_T5_T6_T7_T9_mT8_P12ihipStream_tbDpT10_ENKUlT_T0_E_clISt17integral_constantIbLb0EES19_IbLb1EEEEDaS15_S16_EUlS15_E_NS1_11comp_targetILNS1_3genE10ELNS1_11target_archE1200ELNS1_3gpuE4ELNS1_3repE0EEENS1_30default_config_static_selectorELNS0_4arch9wavefront6targetE1EEEvT1_,comdat
.Lfunc_end271:
	.size	_ZN7rocprim17ROCPRIM_400000_NS6detail17trampoline_kernelINS0_14default_configENS1_25partition_config_selectorILNS1_17partition_subalgoE8EjNS0_10empty_typeEbEEZZNS1_14partition_implILS5_8ELb0ES3_jN6thrust23THRUST_200600_302600_NS6detail15normal_iteratorINSA_10device_ptrIjEEEEPS6_PKS6_NS0_5tupleIJSF_S6_EEENSJ_IJSG_SG_EEENS0_18inequality_wrapperI22is_equal_div_10_uniqueIjEEEPmJS6_EEE10hipError_tPvRmT3_T4_T5_T6_T7_T9_mT8_P12ihipStream_tbDpT10_ENKUlT_T0_E_clISt17integral_constantIbLb0EES19_IbLb1EEEEDaS15_S16_EUlS15_E_NS1_11comp_targetILNS1_3genE10ELNS1_11target_archE1200ELNS1_3gpuE4ELNS1_3repE0EEENS1_30default_config_static_selectorELNS0_4arch9wavefront6targetE1EEEvT1_, .Lfunc_end271-_ZN7rocprim17ROCPRIM_400000_NS6detail17trampoline_kernelINS0_14default_configENS1_25partition_config_selectorILNS1_17partition_subalgoE8EjNS0_10empty_typeEbEEZZNS1_14partition_implILS5_8ELb0ES3_jN6thrust23THRUST_200600_302600_NS6detail15normal_iteratorINSA_10device_ptrIjEEEEPS6_PKS6_NS0_5tupleIJSF_S6_EEENSJ_IJSG_SG_EEENS0_18inequality_wrapperI22is_equal_div_10_uniqueIjEEEPmJS6_EEE10hipError_tPvRmT3_T4_T5_T6_T7_T9_mT8_P12ihipStream_tbDpT10_ENKUlT_T0_E_clISt17integral_constantIbLb0EES19_IbLb1EEEEDaS15_S16_EUlS15_E_NS1_11comp_targetILNS1_3genE10ELNS1_11target_archE1200ELNS1_3gpuE4ELNS1_3repE0EEENS1_30default_config_static_selectorELNS0_4arch9wavefront6targetE1EEEvT1_
                                        ; -- End function
	.set _ZN7rocprim17ROCPRIM_400000_NS6detail17trampoline_kernelINS0_14default_configENS1_25partition_config_selectorILNS1_17partition_subalgoE8EjNS0_10empty_typeEbEEZZNS1_14partition_implILS5_8ELb0ES3_jN6thrust23THRUST_200600_302600_NS6detail15normal_iteratorINSA_10device_ptrIjEEEEPS6_PKS6_NS0_5tupleIJSF_S6_EEENSJ_IJSG_SG_EEENS0_18inequality_wrapperI22is_equal_div_10_uniqueIjEEEPmJS6_EEE10hipError_tPvRmT3_T4_T5_T6_T7_T9_mT8_P12ihipStream_tbDpT10_ENKUlT_T0_E_clISt17integral_constantIbLb0EES19_IbLb1EEEEDaS15_S16_EUlS15_E_NS1_11comp_targetILNS1_3genE10ELNS1_11target_archE1200ELNS1_3gpuE4ELNS1_3repE0EEENS1_30default_config_static_selectorELNS0_4arch9wavefront6targetE1EEEvT1_.num_vgpr, 0
	.set _ZN7rocprim17ROCPRIM_400000_NS6detail17trampoline_kernelINS0_14default_configENS1_25partition_config_selectorILNS1_17partition_subalgoE8EjNS0_10empty_typeEbEEZZNS1_14partition_implILS5_8ELb0ES3_jN6thrust23THRUST_200600_302600_NS6detail15normal_iteratorINSA_10device_ptrIjEEEEPS6_PKS6_NS0_5tupleIJSF_S6_EEENSJ_IJSG_SG_EEENS0_18inequality_wrapperI22is_equal_div_10_uniqueIjEEEPmJS6_EEE10hipError_tPvRmT3_T4_T5_T6_T7_T9_mT8_P12ihipStream_tbDpT10_ENKUlT_T0_E_clISt17integral_constantIbLb0EES19_IbLb1EEEEDaS15_S16_EUlS15_E_NS1_11comp_targetILNS1_3genE10ELNS1_11target_archE1200ELNS1_3gpuE4ELNS1_3repE0EEENS1_30default_config_static_selectorELNS0_4arch9wavefront6targetE1EEEvT1_.num_agpr, 0
	.set _ZN7rocprim17ROCPRIM_400000_NS6detail17trampoline_kernelINS0_14default_configENS1_25partition_config_selectorILNS1_17partition_subalgoE8EjNS0_10empty_typeEbEEZZNS1_14partition_implILS5_8ELb0ES3_jN6thrust23THRUST_200600_302600_NS6detail15normal_iteratorINSA_10device_ptrIjEEEEPS6_PKS6_NS0_5tupleIJSF_S6_EEENSJ_IJSG_SG_EEENS0_18inequality_wrapperI22is_equal_div_10_uniqueIjEEEPmJS6_EEE10hipError_tPvRmT3_T4_T5_T6_T7_T9_mT8_P12ihipStream_tbDpT10_ENKUlT_T0_E_clISt17integral_constantIbLb0EES19_IbLb1EEEEDaS15_S16_EUlS15_E_NS1_11comp_targetILNS1_3genE10ELNS1_11target_archE1200ELNS1_3gpuE4ELNS1_3repE0EEENS1_30default_config_static_selectorELNS0_4arch9wavefront6targetE1EEEvT1_.numbered_sgpr, 0
	.set _ZN7rocprim17ROCPRIM_400000_NS6detail17trampoline_kernelINS0_14default_configENS1_25partition_config_selectorILNS1_17partition_subalgoE8EjNS0_10empty_typeEbEEZZNS1_14partition_implILS5_8ELb0ES3_jN6thrust23THRUST_200600_302600_NS6detail15normal_iteratorINSA_10device_ptrIjEEEEPS6_PKS6_NS0_5tupleIJSF_S6_EEENSJ_IJSG_SG_EEENS0_18inequality_wrapperI22is_equal_div_10_uniqueIjEEEPmJS6_EEE10hipError_tPvRmT3_T4_T5_T6_T7_T9_mT8_P12ihipStream_tbDpT10_ENKUlT_T0_E_clISt17integral_constantIbLb0EES19_IbLb1EEEEDaS15_S16_EUlS15_E_NS1_11comp_targetILNS1_3genE10ELNS1_11target_archE1200ELNS1_3gpuE4ELNS1_3repE0EEENS1_30default_config_static_selectorELNS0_4arch9wavefront6targetE1EEEvT1_.num_named_barrier, 0
	.set _ZN7rocprim17ROCPRIM_400000_NS6detail17trampoline_kernelINS0_14default_configENS1_25partition_config_selectorILNS1_17partition_subalgoE8EjNS0_10empty_typeEbEEZZNS1_14partition_implILS5_8ELb0ES3_jN6thrust23THRUST_200600_302600_NS6detail15normal_iteratorINSA_10device_ptrIjEEEEPS6_PKS6_NS0_5tupleIJSF_S6_EEENSJ_IJSG_SG_EEENS0_18inequality_wrapperI22is_equal_div_10_uniqueIjEEEPmJS6_EEE10hipError_tPvRmT3_T4_T5_T6_T7_T9_mT8_P12ihipStream_tbDpT10_ENKUlT_T0_E_clISt17integral_constantIbLb0EES19_IbLb1EEEEDaS15_S16_EUlS15_E_NS1_11comp_targetILNS1_3genE10ELNS1_11target_archE1200ELNS1_3gpuE4ELNS1_3repE0EEENS1_30default_config_static_selectorELNS0_4arch9wavefront6targetE1EEEvT1_.private_seg_size, 0
	.set _ZN7rocprim17ROCPRIM_400000_NS6detail17trampoline_kernelINS0_14default_configENS1_25partition_config_selectorILNS1_17partition_subalgoE8EjNS0_10empty_typeEbEEZZNS1_14partition_implILS5_8ELb0ES3_jN6thrust23THRUST_200600_302600_NS6detail15normal_iteratorINSA_10device_ptrIjEEEEPS6_PKS6_NS0_5tupleIJSF_S6_EEENSJ_IJSG_SG_EEENS0_18inequality_wrapperI22is_equal_div_10_uniqueIjEEEPmJS6_EEE10hipError_tPvRmT3_T4_T5_T6_T7_T9_mT8_P12ihipStream_tbDpT10_ENKUlT_T0_E_clISt17integral_constantIbLb0EES19_IbLb1EEEEDaS15_S16_EUlS15_E_NS1_11comp_targetILNS1_3genE10ELNS1_11target_archE1200ELNS1_3gpuE4ELNS1_3repE0EEENS1_30default_config_static_selectorELNS0_4arch9wavefront6targetE1EEEvT1_.uses_vcc, 0
	.set _ZN7rocprim17ROCPRIM_400000_NS6detail17trampoline_kernelINS0_14default_configENS1_25partition_config_selectorILNS1_17partition_subalgoE8EjNS0_10empty_typeEbEEZZNS1_14partition_implILS5_8ELb0ES3_jN6thrust23THRUST_200600_302600_NS6detail15normal_iteratorINSA_10device_ptrIjEEEEPS6_PKS6_NS0_5tupleIJSF_S6_EEENSJ_IJSG_SG_EEENS0_18inequality_wrapperI22is_equal_div_10_uniqueIjEEEPmJS6_EEE10hipError_tPvRmT3_T4_T5_T6_T7_T9_mT8_P12ihipStream_tbDpT10_ENKUlT_T0_E_clISt17integral_constantIbLb0EES19_IbLb1EEEEDaS15_S16_EUlS15_E_NS1_11comp_targetILNS1_3genE10ELNS1_11target_archE1200ELNS1_3gpuE4ELNS1_3repE0EEENS1_30default_config_static_selectorELNS0_4arch9wavefront6targetE1EEEvT1_.uses_flat_scratch, 0
	.set _ZN7rocprim17ROCPRIM_400000_NS6detail17trampoline_kernelINS0_14default_configENS1_25partition_config_selectorILNS1_17partition_subalgoE8EjNS0_10empty_typeEbEEZZNS1_14partition_implILS5_8ELb0ES3_jN6thrust23THRUST_200600_302600_NS6detail15normal_iteratorINSA_10device_ptrIjEEEEPS6_PKS6_NS0_5tupleIJSF_S6_EEENSJ_IJSG_SG_EEENS0_18inequality_wrapperI22is_equal_div_10_uniqueIjEEEPmJS6_EEE10hipError_tPvRmT3_T4_T5_T6_T7_T9_mT8_P12ihipStream_tbDpT10_ENKUlT_T0_E_clISt17integral_constantIbLb0EES19_IbLb1EEEEDaS15_S16_EUlS15_E_NS1_11comp_targetILNS1_3genE10ELNS1_11target_archE1200ELNS1_3gpuE4ELNS1_3repE0EEENS1_30default_config_static_selectorELNS0_4arch9wavefront6targetE1EEEvT1_.has_dyn_sized_stack, 0
	.set _ZN7rocprim17ROCPRIM_400000_NS6detail17trampoline_kernelINS0_14default_configENS1_25partition_config_selectorILNS1_17partition_subalgoE8EjNS0_10empty_typeEbEEZZNS1_14partition_implILS5_8ELb0ES3_jN6thrust23THRUST_200600_302600_NS6detail15normal_iteratorINSA_10device_ptrIjEEEEPS6_PKS6_NS0_5tupleIJSF_S6_EEENSJ_IJSG_SG_EEENS0_18inequality_wrapperI22is_equal_div_10_uniqueIjEEEPmJS6_EEE10hipError_tPvRmT3_T4_T5_T6_T7_T9_mT8_P12ihipStream_tbDpT10_ENKUlT_T0_E_clISt17integral_constantIbLb0EES19_IbLb1EEEEDaS15_S16_EUlS15_E_NS1_11comp_targetILNS1_3genE10ELNS1_11target_archE1200ELNS1_3gpuE4ELNS1_3repE0EEENS1_30default_config_static_selectorELNS0_4arch9wavefront6targetE1EEEvT1_.has_recursion, 0
	.set _ZN7rocprim17ROCPRIM_400000_NS6detail17trampoline_kernelINS0_14default_configENS1_25partition_config_selectorILNS1_17partition_subalgoE8EjNS0_10empty_typeEbEEZZNS1_14partition_implILS5_8ELb0ES3_jN6thrust23THRUST_200600_302600_NS6detail15normal_iteratorINSA_10device_ptrIjEEEEPS6_PKS6_NS0_5tupleIJSF_S6_EEENSJ_IJSG_SG_EEENS0_18inequality_wrapperI22is_equal_div_10_uniqueIjEEEPmJS6_EEE10hipError_tPvRmT3_T4_T5_T6_T7_T9_mT8_P12ihipStream_tbDpT10_ENKUlT_T0_E_clISt17integral_constantIbLb0EES19_IbLb1EEEEDaS15_S16_EUlS15_E_NS1_11comp_targetILNS1_3genE10ELNS1_11target_archE1200ELNS1_3gpuE4ELNS1_3repE0EEENS1_30default_config_static_selectorELNS0_4arch9wavefront6targetE1EEEvT1_.has_indirect_call, 0
	.section	.AMDGPU.csdata,"",@progbits
; Kernel info:
; codeLenInByte = 0
; TotalNumSgprs: 4
; NumVgprs: 0
; ScratchSize: 0
; MemoryBound: 0
; FloatMode: 240
; IeeeMode: 1
; LDSByteSize: 0 bytes/workgroup (compile time only)
; SGPRBlocks: 0
; VGPRBlocks: 0
; NumSGPRsForWavesPerEU: 4
; NumVGPRsForWavesPerEU: 1
; Occupancy: 10
; WaveLimiterHint : 0
; COMPUTE_PGM_RSRC2:SCRATCH_EN: 0
; COMPUTE_PGM_RSRC2:USER_SGPR: 6
; COMPUTE_PGM_RSRC2:TRAP_HANDLER: 0
; COMPUTE_PGM_RSRC2:TGID_X_EN: 1
; COMPUTE_PGM_RSRC2:TGID_Y_EN: 0
; COMPUTE_PGM_RSRC2:TGID_Z_EN: 0
; COMPUTE_PGM_RSRC2:TIDIG_COMP_CNT: 0
	.section	.text._ZN7rocprim17ROCPRIM_400000_NS6detail17trampoline_kernelINS0_14default_configENS1_25partition_config_selectorILNS1_17partition_subalgoE8EjNS0_10empty_typeEbEEZZNS1_14partition_implILS5_8ELb0ES3_jN6thrust23THRUST_200600_302600_NS6detail15normal_iteratorINSA_10device_ptrIjEEEEPS6_PKS6_NS0_5tupleIJSF_S6_EEENSJ_IJSG_SG_EEENS0_18inequality_wrapperI22is_equal_div_10_uniqueIjEEEPmJS6_EEE10hipError_tPvRmT3_T4_T5_T6_T7_T9_mT8_P12ihipStream_tbDpT10_ENKUlT_T0_E_clISt17integral_constantIbLb0EES19_IbLb1EEEEDaS15_S16_EUlS15_E_NS1_11comp_targetILNS1_3genE9ELNS1_11target_archE1100ELNS1_3gpuE3ELNS1_3repE0EEENS1_30default_config_static_selectorELNS0_4arch9wavefront6targetE1EEEvT1_,"axG",@progbits,_ZN7rocprim17ROCPRIM_400000_NS6detail17trampoline_kernelINS0_14default_configENS1_25partition_config_selectorILNS1_17partition_subalgoE8EjNS0_10empty_typeEbEEZZNS1_14partition_implILS5_8ELb0ES3_jN6thrust23THRUST_200600_302600_NS6detail15normal_iteratorINSA_10device_ptrIjEEEEPS6_PKS6_NS0_5tupleIJSF_S6_EEENSJ_IJSG_SG_EEENS0_18inequality_wrapperI22is_equal_div_10_uniqueIjEEEPmJS6_EEE10hipError_tPvRmT3_T4_T5_T6_T7_T9_mT8_P12ihipStream_tbDpT10_ENKUlT_T0_E_clISt17integral_constantIbLb0EES19_IbLb1EEEEDaS15_S16_EUlS15_E_NS1_11comp_targetILNS1_3genE9ELNS1_11target_archE1100ELNS1_3gpuE3ELNS1_3repE0EEENS1_30default_config_static_selectorELNS0_4arch9wavefront6targetE1EEEvT1_,comdat
	.protected	_ZN7rocprim17ROCPRIM_400000_NS6detail17trampoline_kernelINS0_14default_configENS1_25partition_config_selectorILNS1_17partition_subalgoE8EjNS0_10empty_typeEbEEZZNS1_14partition_implILS5_8ELb0ES3_jN6thrust23THRUST_200600_302600_NS6detail15normal_iteratorINSA_10device_ptrIjEEEEPS6_PKS6_NS0_5tupleIJSF_S6_EEENSJ_IJSG_SG_EEENS0_18inequality_wrapperI22is_equal_div_10_uniqueIjEEEPmJS6_EEE10hipError_tPvRmT3_T4_T5_T6_T7_T9_mT8_P12ihipStream_tbDpT10_ENKUlT_T0_E_clISt17integral_constantIbLb0EES19_IbLb1EEEEDaS15_S16_EUlS15_E_NS1_11comp_targetILNS1_3genE9ELNS1_11target_archE1100ELNS1_3gpuE3ELNS1_3repE0EEENS1_30default_config_static_selectorELNS0_4arch9wavefront6targetE1EEEvT1_ ; -- Begin function _ZN7rocprim17ROCPRIM_400000_NS6detail17trampoline_kernelINS0_14default_configENS1_25partition_config_selectorILNS1_17partition_subalgoE8EjNS0_10empty_typeEbEEZZNS1_14partition_implILS5_8ELb0ES3_jN6thrust23THRUST_200600_302600_NS6detail15normal_iteratorINSA_10device_ptrIjEEEEPS6_PKS6_NS0_5tupleIJSF_S6_EEENSJ_IJSG_SG_EEENS0_18inequality_wrapperI22is_equal_div_10_uniqueIjEEEPmJS6_EEE10hipError_tPvRmT3_T4_T5_T6_T7_T9_mT8_P12ihipStream_tbDpT10_ENKUlT_T0_E_clISt17integral_constantIbLb0EES19_IbLb1EEEEDaS15_S16_EUlS15_E_NS1_11comp_targetILNS1_3genE9ELNS1_11target_archE1100ELNS1_3gpuE3ELNS1_3repE0EEENS1_30default_config_static_selectorELNS0_4arch9wavefront6targetE1EEEvT1_
	.globl	_ZN7rocprim17ROCPRIM_400000_NS6detail17trampoline_kernelINS0_14default_configENS1_25partition_config_selectorILNS1_17partition_subalgoE8EjNS0_10empty_typeEbEEZZNS1_14partition_implILS5_8ELb0ES3_jN6thrust23THRUST_200600_302600_NS6detail15normal_iteratorINSA_10device_ptrIjEEEEPS6_PKS6_NS0_5tupleIJSF_S6_EEENSJ_IJSG_SG_EEENS0_18inequality_wrapperI22is_equal_div_10_uniqueIjEEEPmJS6_EEE10hipError_tPvRmT3_T4_T5_T6_T7_T9_mT8_P12ihipStream_tbDpT10_ENKUlT_T0_E_clISt17integral_constantIbLb0EES19_IbLb1EEEEDaS15_S16_EUlS15_E_NS1_11comp_targetILNS1_3genE9ELNS1_11target_archE1100ELNS1_3gpuE3ELNS1_3repE0EEENS1_30default_config_static_selectorELNS0_4arch9wavefront6targetE1EEEvT1_
	.p2align	8
	.type	_ZN7rocprim17ROCPRIM_400000_NS6detail17trampoline_kernelINS0_14default_configENS1_25partition_config_selectorILNS1_17partition_subalgoE8EjNS0_10empty_typeEbEEZZNS1_14partition_implILS5_8ELb0ES3_jN6thrust23THRUST_200600_302600_NS6detail15normal_iteratorINSA_10device_ptrIjEEEEPS6_PKS6_NS0_5tupleIJSF_S6_EEENSJ_IJSG_SG_EEENS0_18inequality_wrapperI22is_equal_div_10_uniqueIjEEEPmJS6_EEE10hipError_tPvRmT3_T4_T5_T6_T7_T9_mT8_P12ihipStream_tbDpT10_ENKUlT_T0_E_clISt17integral_constantIbLb0EES19_IbLb1EEEEDaS15_S16_EUlS15_E_NS1_11comp_targetILNS1_3genE9ELNS1_11target_archE1100ELNS1_3gpuE3ELNS1_3repE0EEENS1_30default_config_static_selectorELNS0_4arch9wavefront6targetE1EEEvT1_,@function
_ZN7rocprim17ROCPRIM_400000_NS6detail17trampoline_kernelINS0_14default_configENS1_25partition_config_selectorILNS1_17partition_subalgoE8EjNS0_10empty_typeEbEEZZNS1_14partition_implILS5_8ELb0ES3_jN6thrust23THRUST_200600_302600_NS6detail15normal_iteratorINSA_10device_ptrIjEEEEPS6_PKS6_NS0_5tupleIJSF_S6_EEENSJ_IJSG_SG_EEENS0_18inequality_wrapperI22is_equal_div_10_uniqueIjEEEPmJS6_EEE10hipError_tPvRmT3_T4_T5_T6_T7_T9_mT8_P12ihipStream_tbDpT10_ENKUlT_T0_E_clISt17integral_constantIbLb0EES19_IbLb1EEEEDaS15_S16_EUlS15_E_NS1_11comp_targetILNS1_3genE9ELNS1_11target_archE1100ELNS1_3gpuE3ELNS1_3repE0EEENS1_30default_config_static_selectorELNS0_4arch9wavefront6targetE1EEEvT1_: ; @_ZN7rocprim17ROCPRIM_400000_NS6detail17trampoline_kernelINS0_14default_configENS1_25partition_config_selectorILNS1_17partition_subalgoE8EjNS0_10empty_typeEbEEZZNS1_14partition_implILS5_8ELb0ES3_jN6thrust23THRUST_200600_302600_NS6detail15normal_iteratorINSA_10device_ptrIjEEEEPS6_PKS6_NS0_5tupleIJSF_S6_EEENSJ_IJSG_SG_EEENS0_18inequality_wrapperI22is_equal_div_10_uniqueIjEEEPmJS6_EEE10hipError_tPvRmT3_T4_T5_T6_T7_T9_mT8_P12ihipStream_tbDpT10_ENKUlT_T0_E_clISt17integral_constantIbLb0EES19_IbLb1EEEEDaS15_S16_EUlS15_E_NS1_11comp_targetILNS1_3genE9ELNS1_11target_archE1100ELNS1_3gpuE3ELNS1_3repE0EEENS1_30default_config_static_selectorELNS0_4arch9wavefront6targetE1EEEvT1_
; %bb.0:
	.section	.rodata,"a",@progbits
	.p2align	6, 0x0
	.amdhsa_kernel _ZN7rocprim17ROCPRIM_400000_NS6detail17trampoline_kernelINS0_14default_configENS1_25partition_config_selectorILNS1_17partition_subalgoE8EjNS0_10empty_typeEbEEZZNS1_14partition_implILS5_8ELb0ES3_jN6thrust23THRUST_200600_302600_NS6detail15normal_iteratorINSA_10device_ptrIjEEEEPS6_PKS6_NS0_5tupleIJSF_S6_EEENSJ_IJSG_SG_EEENS0_18inequality_wrapperI22is_equal_div_10_uniqueIjEEEPmJS6_EEE10hipError_tPvRmT3_T4_T5_T6_T7_T9_mT8_P12ihipStream_tbDpT10_ENKUlT_T0_E_clISt17integral_constantIbLb0EES19_IbLb1EEEEDaS15_S16_EUlS15_E_NS1_11comp_targetILNS1_3genE9ELNS1_11target_archE1100ELNS1_3gpuE3ELNS1_3repE0EEENS1_30default_config_static_selectorELNS0_4arch9wavefront6targetE1EEEvT1_
		.amdhsa_group_segment_fixed_size 0
		.amdhsa_private_segment_fixed_size 0
		.amdhsa_kernarg_size 128
		.amdhsa_user_sgpr_count 6
		.amdhsa_user_sgpr_private_segment_buffer 1
		.amdhsa_user_sgpr_dispatch_ptr 0
		.amdhsa_user_sgpr_queue_ptr 0
		.amdhsa_user_sgpr_kernarg_segment_ptr 1
		.amdhsa_user_sgpr_dispatch_id 0
		.amdhsa_user_sgpr_flat_scratch_init 0
		.amdhsa_user_sgpr_private_segment_size 0
		.amdhsa_uses_dynamic_stack 0
		.amdhsa_system_sgpr_private_segment_wavefront_offset 0
		.amdhsa_system_sgpr_workgroup_id_x 1
		.amdhsa_system_sgpr_workgroup_id_y 0
		.amdhsa_system_sgpr_workgroup_id_z 0
		.amdhsa_system_sgpr_workgroup_info 0
		.amdhsa_system_vgpr_workitem_id 0
		.amdhsa_next_free_vgpr 1
		.amdhsa_next_free_sgpr 0
		.amdhsa_reserve_vcc 0
		.amdhsa_reserve_flat_scratch 0
		.amdhsa_float_round_mode_32 0
		.amdhsa_float_round_mode_16_64 0
		.amdhsa_float_denorm_mode_32 3
		.amdhsa_float_denorm_mode_16_64 3
		.amdhsa_dx10_clamp 1
		.amdhsa_ieee_mode 1
		.amdhsa_fp16_overflow 0
		.amdhsa_exception_fp_ieee_invalid_op 0
		.amdhsa_exception_fp_denorm_src 0
		.amdhsa_exception_fp_ieee_div_zero 0
		.amdhsa_exception_fp_ieee_overflow 0
		.amdhsa_exception_fp_ieee_underflow 0
		.amdhsa_exception_fp_ieee_inexact 0
		.amdhsa_exception_int_div_zero 0
	.end_amdhsa_kernel
	.section	.text._ZN7rocprim17ROCPRIM_400000_NS6detail17trampoline_kernelINS0_14default_configENS1_25partition_config_selectorILNS1_17partition_subalgoE8EjNS0_10empty_typeEbEEZZNS1_14partition_implILS5_8ELb0ES3_jN6thrust23THRUST_200600_302600_NS6detail15normal_iteratorINSA_10device_ptrIjEEEEPS6_PKS6_NS0_5tupleIJSF_S6_EEENSJ_IJSG_SG_EEENS0_18inequality_wrapperI22is_equal_div_10_uniqueIjEEEPmJS6_EEE10hipError_tPvRmT3_T4_T5_T6_T7_T9_mT8_P12ihipStream_tbDpT10_ENKUlT_T0_E_clISt17integral_constantIbLb0EES19_IbLb1EEEEDaS15_S16_EUlS15_E_NS1_11comp_targetILNS1_3genE9ELNS1_11target_archE1100ELNS1_3gpuE3ELNS1_3repE0EEENS1_30default_config_static_selectorELNS0_4arch9wavefront6targetE1EEEvT1_,"axG",@progbits,_ZN7rocprim17ROCPRIM_400000_NS6detail17trampoline_kernelINS0_14default_configENS1_25partition_config_selectorILNS1_17partition_subalgoE8EjNS0_10empty_typeEbEEZZNS1_14partition_implILS5_8ELb0ES3_jN6thrust23THRUST_200600_302600_NS6detail15normal_iteratorINSA_10device_ptrIjEEEEPS6_PKS6_NS0_5tupleIJSF_S6_EEENSJ_IJSG_SG_EEENS0_18inequality_wrapperI22is_equal_div_10_uniqueIjEEEPmJS6_EEE10hipError_tPvRmT3_T4_T5_T6_T7_T9_mT8_P12ihipStream_tbDpT10_ENKUlT_T0_E_clISt17integral_constantIbLb0EES19_IbLb1EEEEDaS15_S16_EUlS15_E_NS1_11comp_targetILNS1_3genE9ELNS1_11target_archE1100ELNS1_3gpuE3ELNS1_3repE0EEENS1_30default_config_static_selectorELNS0_4arch9wavefront6targetE1EEEvT1_,comdat
.Lfunc_end272:
	.size	_ZN7rocprim17ROCPRIM_400000_NS6detail17trampoline_kernelINS0_14default_configENS1_25partition_config_selectorILNS1_17partition_subalgoE8EjNS0_10empty_typeEbEEZZNS1_14partition_implILS5_8ELb0ES3_jN6thrust23THRUST_200600_302600_NS6detail15normal_iteratorINSA_10device_ptrIjEEEEPS6_PKS6_NS0_5tupleIJSF_S6_EEENSJ_IJSG_SG_EEENS0_18inequality_wrapperI22is_equal_div_10_uniqueIjEEEPmJS6_EEE10hipError_tPvRmT3_T4_T5_T6_T7_T9_mT8_P12ihipStream_tbDpT10_ENKUlT_T0_E_clISt17integral_constantIbLb0EES19_IbLb1EEEEDaS15_S16_EUlS15_E_NS1_11comp_targetILNS1_3genE9ELNS1_11target_archE1100ELNS1_3gpuE3ELNS1_3repE0EEENS1_30default_config_static_selectorELNS0_4arch9wavefront6targetE1EEEvT1_, .Lfunc_end272-_ZN7rocprim17ROCPRIM_400000_NS6detail17trampoline_kernelINS0_14default_configENS1_25partition_config_selectorILNS1_17partition_subalgoE8EjNS0_10empty_typeEbEEZZNS1_14partition_implILS5_8ELb0ES3_jN6thrust23THRUST_200600_302600_NS6detail15normal_iteratorINSA_10device_ptrIjEEEEPS6_PKS6_NS0_5tupleIJSF_S6_EEENSJ_IJSG_SG_EEENS0_18inequality_wrapperI22is_equal_div_10_uniqueIjEEEPmJS6_EEE10hipError_tPvRmT3_T4_T5_T6_T7_T9_mT8_P12ihipStream_tbDpT10_ENKUlT_T0_E_clISt17integral_constantIbLb0EES19_IbLb1EEEEDaS15_S16_EUlS15_E_NS1_11comp_targetILNS1_3genE9ELNS1_11target_archE1100ELNS1_3gpuE3ELNS1_3repE0EEENS1_30default_config_static_selectorELNS0_4arch9wavefront6targetE1EEEvT1_
                                        ; -- End function
	.set _ZN7rocprim17ROCPRIM_400000_NS6detail17trampoline_kernelINS0_14default_configENS1_25partition_config_selectorILNS1_17partition_subalgoE8EjNS0_10empty_typeEbEEZZNS1_14partition_implILS5_8ELb0ES3_jN6thrust23THRUST_200600_302600_NS6detail15normal_iteratorINSA_10device_ptrIjEEEEPS6_PKS6_NS0_5tupleIJSF_S6_EEENSJ_IJSG_SG_EEENS0_18inequality_wrapperI22is_equal_div_10_uniqueIjEEEPmJS6_EEE10hipError_tPvRmT3_T4_T5_T6_T7_T9_mT8_P12ihipStream_tbDpT10_ENKUlT_T0_E_clISt17integral_constantIbLb0EES19_IbLb1EEEEDaS15_S16_EUlS15_E_NS1_11comp_targetILNS1_3genE9ELNS1_11target_archE1100ELNS1_3gpuE3ELNS1_3repE0EEENS1_30default_config_static_selectorELNS0_4arch9wavefront6targetE1EEEvT1_.num_vgpr, 0
	.set _ZN7rocprim17ROCPRIM_400000_NS6detail17trampoline_kernelINS0_14default_configENS1_25partition_config_selectorILNS1_17partition_subalgoE8EjNS0_10empty_typeEbEEZZNS1_14partition_implILS5_8ELb0ES3_jN6thrust23THRUST_200600_302600_NS6detail15normal_iteratorINSA_10device_ptrIjEEEEPS6_PKS6_NS0_5tupleIJSF_S6_EEENSJ_IJSG_SG_EEENS0_18inequality_wrapperI22is_equal_div_10_uniqueIjEEEPmJS6_EEE10hipError_tPvRmT3_T4_T5_T6_T7_T9_mT8_P12ihipStream_tbDpT10_ENKUlT_T0_E_clISt17integral_constantIbLb0EES19_IbLb1EEEEDaS15_S16_EUlS15_E_NS1_11comp_targetILNS1_3genE9ELNS1_11target_archE1100ELNS1_3gpuE3ELNS1_3repE0EEENS1_30default_config_static_selectorELNS0_4arch9wavefront6targetE1EEEvT1_.num_agpr, 0
	.set _ZN7rocprim17ROCPRIM_400000_NS6detail17trampoline_kernelINS0_14default_configENS1_25partition_config_selectorILNS1_17partition_subalgoE8EjNS0_10empty_typeEbEEZZNS1_14partition_implILS5_8ELb0ES3_jN6thrust23THRUST_200600_302600_NS6detail15normal_iteratorINSA_10device_ptrIjEEEEPS6_PKS6_NS0_5tupleIJSF_S6_EEENSJ_IJSG_SG_EEENS0_18inequality_wrapperI22is_equal_div_10_uniqueIjEEEPmJS6_EEE10hipError_tPvRmT3_T4_T5_T6_T7_T9_mT8_P12ihipStream_tbDpT10_ENKUlT_T0_E_clISt17integral_constantIbLb0EES19_IbLb1EEEEDaS15_S16_EUlS15_E_NS1_11comp_targetILNS1_3genE9ELNS1_11target_archE1100ELNS1_3gpuE3ELNS1_3repE0EEENS1_30default_config_static_selectorELNS0_4arch9wavefront6targetE1EEEvT1_.numbered_sgpr, 0
	.set _ZN7rocprim17ROCPRIM_400000_NS6detail17trampoline_kernelINS0_14default_configENS1_25partition_config_selectorILNS1_17partition_subalgoE8EjNS0_10empty_typeEbEEZZNS1_14partition_implILS5_8ELb0ES3_jN6thrust23THRUST_200600_302600_NS6detail15normal_iteratorINSA_10device_ptrIjEEEEPS6_PKS6_NS0_5tupleIJSF_S6_EEENSJ_IJSG_SG_EEENS0_18inequality_wrapperI22is_equal_div_10_uniqueIjEEEPmJS6_EEE10hipError_tPvRmT3_T4_T5_T6_T7_T9_mT8_P12ihipStream_tbDpT10_ENKUlT_T0_E_clISt17integral_constantIbLb0EES19_IbLb1EEEEDaS15_S16_EUlS15_E_NS1_11comp_targetILNS1_3genE9ELNS1_11target_archE1100ELNS1_3gpuE3ELNS1_3repE0EEENS1_30default_config_static_selectorELNS0_4arch9wavefront6targetE1EEEvT1_.num_named_barrier, 0
	.set _ZN7rocprim17ROCPRIM_400000_NS6detail17trampoline_kernelINS0_14default_configENS1_25partition_config_selectorILNS1_17partition_subalgoE8EjNS0_10empty_typeEbEEZZNS1_14partition_implILS5_8ELb0ES3_jN6thrust23THRUST_200600_302600_NS6detail15normal_iteratorINSA_10device_ptrIjEEEEPS6_PKS6_NS0_5tupleIJSF_S6_EEENSJ_IJSG_SG_EEENS0_18inequality_wrapperI22is_equal_div_10_uniqueIjEEEPmJS6_EEE10hipError_tPvRmT3_T4_T5_T6_T7_T9_mT8_P12ihipStream_tbDpT10_ENKUlT_T0_E_clISt17integral_constantIbLb0EES19_IbLb1EEEEDaS15_S16_EUlS15_E_NS1_11comp_targetILNS1_3genE9ELNS1_11target_archE1100ELNS1_3gpuE3ELNS1_3repE0EEENS1_30default_config_static_selectorELNS0_4arch9wavefront6targetE1EEEvT1_.private_seg_size, 0
	.set _ZN7rocprim17ROCPRIM_400000_NS6detail17trampoline_kernelINS0_14default_configENS1_25partition_config_selectorILNS1_17partition_subalgoE8EjNS0_10empty_typeEbEEZZNS1_14partition_implILS5_8ELb0ES3_jN6thrust23THRUST_200600_302600_NS6detail15normal_iteratorINSA_10device_ptrIjEEEEPS6_PKS6_NS0_5tupleIJSF_S6_EEENSJ_IJSG_SG_EEENS0_18inequality_wrapperI22is_equal_div_10_uniqueIjEEEPmJS6_EEE10hipError_tPvRmT3_T4_T5_T6_T7_T9_mT8_P12ihipStream_tbDpT10_ENKUlT_T0_E_clISt17integral_constantIbLb0EES19_IbLb1EEEEDaS15_S16_EUlS15_E_NS1_11comp_targetILNS1_3genE9ELNS1_11target_archE1100ELNS1_3gpuE3ELNS1_3repE0EEENS1_30default_config_static_selectorELNS0_4arch9wavefront6targetE1EEEvT1_.uses_vcc, 0
	.set _ZN7rocprim17ROCPRIM_400000_NS6detail17trampoline_kernelINS0_14default_configENS1_25partition_config_selectorILNS1_17partition_subalgoE8EjNS0_10empty_typeEbEEZZNS1_14partition_implILS5_8ELb0ES3_jN6thrust23THRUST_200600_302600_NS6detail15normal_iteratorINSA_10device_ptrIjEEEEPS6_PKS6_NS0_5tupleIJSF_S6_EEENSJ_IJSG_SG_EEENS0_18inequality_wrapperI22is_equal_div_10_uniqueIjEEEPmJS6_EEE10hipError_tPvRmT3_T4_T5_T6_T7_T9_mT8_P12ihipStream_tbDpT10_ENKUlT_T0_E_clISt17integral_constantIbLb0EES19_IbLb1EEEEDaS15_S16_EUlS15_E_NS1_11comp_targetILNS1_3genE9ELNS1_11target_archE1100ELNS1_3gpuE3ELNS1_3repE0EEENS1_30default_config_static_selectorELNS0_4arch9wavefront6targetE1EEEvT1_.uses_flat_scratch, 0
	.set _ZN7rocprim17ROCPRIM_400000_NS6detail17trampoline_kernelINS0_14default_configENS1_25partition_config_selectorILNS1_17partition_subalgoE8EjNS0_10empty_typeEbEEZZNS1_14partition_implILS5_8ELb0ES3_jN6thrust23THRUST_200600_302600_NS6detail15normal_iteratorINSA_10device_ptrIjEEEEPS6_PKS6_NS0_5tupleIJSF_S6_EEENSJ_IJSG_SG_EEENS0_18inequality_wrapperI22is_equal_div_10_uniqueIjEEEPmJS6_EEE10hipError_tPvRmT3_T4_T5_T6_T7_T9_mT8_P12ihipStream_tbDpT10_ENKUlT_T0_E_clISt17integral_constantIbLb0EES19_IbLb1EEEEDaS15_S16_EUlS15_E_NS1_11comp_targetILNS1_3genE9ELNS1_11target_archE1100ELNS1_3gpuE3ELNS1_3repE0EEENS1_30default_config_static_selectorELNS0_4arch9wavefront6targetE1EEEvT1_.has_dyn_sized_stack, 0
	.set _ZN7rocprim17ROCPRIM_400000_NS6detail17trampoline_kernelINS0_14default_configENS1_25partition_config_selectorILNS1_17partition_subalgoE8EjNS0_10empty_typeEbEEZZNS1_14partition_implILS5_8ELb0ES3_jN6thrust23THRUST_200600_302600_NS6detail15normal_iteratorINSA_10device_ptrIjEEEEPS6_PKS6_NS0_5tupleIJSF_S6_EEENSJ_IJSG_SG_EEENS0_18inequality_wrapperI22is_equal_div_10_uniqueIjEEEPmJS6_EEE10hipError_tPvRmT3_T4_T5_T6_T7_T9_mT8_P12ihipStream_tbDpT10_ENKUlT_T0_E_clISt17integral_constantIbLb0EES19_IbLb1EEEEDaS15_S16_EUlS15_E_NS1_11comp_targetILNS1_3genE9ELNS1_11target_archE1100ELNS1_3gpuE3ELNS1_3repE0EEENS1_30default_config_static_selectorELNS0_4arch9wavefront6targetE1EEEvT1_.has_recursion, 0
	.set _ZN7rocprim17ROCPRIM_400000_NS6detail17trampoline_kernelINS0_14default_configENS1_25partition_config_selectorILNS1_17partition_subalgoE8EjNS0_10empty_typeEbEEZZNS1_14partition_implILS5_8ELb0ES3_jN6thrust23THRUST_200600_302600_NS6detail15normal_iteratorINSA_10device_ptrIjEEEEPS6_PKS6_NS0_5tupleIJSF_S6_EEENSJ_IJSG_SG_EEENS0_18inequality_wrapperI22is_equal_div_10_uniqueIjEEEPmJS6_EEE10hipError_tPvRmT3_T4_T5_T6_T7_T9_mT8_P12ihipStream_tbDpT10_ENKUlT_T0_E_clISt17integral_constantIbLb0EES19_IbLb1EEEEDaS15_S16_EUlS15_E_NS1_11comp_targetILNS1_3genE9ELNS1_11target_archE1100ELNS1_3gpuE3ELNS1_3repE0EEENS1_30default_config_static_selectorELNS0_4arch9wavefront6targetE1EEEvT1_.has_indirect_call, 0
	.section	.AMDGPU.csdata,"",@progbits
; Kernel info:
; codeLenInByte = 0
; TotalNumSgprs: 4
; NumVgprs: 0
; ScratchSize: 0
; MemoryBound: 0
; FloatMode: 240
; IeeeMode: 1
; LDSByteSize: 0 bytes/workgroup (compile time only)
; SGPRBlocks: 0
; VGPRBlocks: 0
; NumSGPRsForWavesPerEU: 4
; NumVGPRsForWavesPerEU: 1
; Occupancy: 10
; WaveLimiterHint : 0
; COMPUTE_PGM_RSRC2:SCRATCH_EN: 0
; COMPUTE_PGM_RSRC2:USER_SGPR: 6
; COMPUTE_PGM_RSRC2:TRAP_HANDLER: 0
; COMPUTE_PGM_RSRC2:TGID_X_EN: 1
; COMPUTE_PGM_RSRC2:TGID_Y_EN: 0
; COMPUTE_PGM_RSRC2:TGID_Z_EN: 0
; COMPUTE_PGM_RSRC2:TIDIG_COMP_CNT: 0
	.section	.text._ZN7rocprim17ROCPRIM_400000_NS6detail17trampoline_kernelINS0_14default_configENS1_25partition_config_selectorILNS1_17partition_subalgoE8EjNS0_10empty_typeEbEEZZNS1_14partition_implILS5_8ELb0ES3_jN6thrust23THRUST_200600_302600_NS6detail15normal_iteratorINSA_10device_ptrIjEEEEPS6_PKS6_NS0_5tupleIJSF_S6_EEENSJ_IJSG_SG_EEENS0_18inequality_wrapperI22is_equal_div_10_uniqueIjEEEPmJS6_EEE10hipError_tPvRmT3_T4_T5_T6_T7_T9_mT8_P12ihipStream_tbDpT10_ENKUlT_T0_E_clISt17integral_constantIbLb0EES19_IbLb1EEEEDaS15_S16_EUlS15_E_NS1_11comp_targetILNS1_3genE8ELNS1_11target_archE1030ELNS1_3gpuE2ELNS1_3repE0EEENS1_30default_config_static_selectorELNS0_4arch9wavefront6targetE1EEEvT1_,"axG",@progbits,_ZN7rocprim17ROCPRIM_400000_NS6detail17trampoline_kernelINS0_14default_configENS1_25partition_config_selectorILNS1_17partition_subalgoE8EjNS0_10empty_typeEbEEZZNS1_14partition_implILS5_8ELb0ES3_jN6thrust23THRUST_200600_302600_NS6detail15normal_iteratorINSA_10device_ptrIjEEEEPS6_PKS6_NS0_5tupleIJSF_S6_EEENSJ_IJSG_SG_EEENS0_18inequality_wrapperI22is_equal_div_10_uniqueIjEEEPmJS6_EEE10hipError_tPvRmT3_T4_T5_T6_T7_T9_mT8_P12ihipStream_tbDpT10_ENKUlT_T0_E_clISt17integral_constantIbLb0EES19_IbLb1EEEEDaS15_S16_EUlS15_E_NS1_11comp_targetILNS1_3genE8ELNS1_11target_archE1030ELNS1_3gpuE2ELNS1_3repE0EEENS1_30default_config_static_selectorELNS0_4arch9wavefront6targetE1EEEvT1_,comdat
	.protected	_ZN7rocprim17ROCPRIM_400000_NS6detail17trampoline_kernelINS0_14default_configENS1_25partition_config_selectorILNS1_17partition_subalgoE8EjNS0_10empty_typeEbEEZZNS1_14partition_implILS5_8ELb0ES3_jN6thrust23THRUST_200600_302600_NS6detail15normal_iteratorINSA_10device_ptrIjEEEEPS6_PKS6_NS0_5tupleIJSF_S6_EEENSJ_IJSG_SG_EEENS0_18inequality_wrapperI22is_equal_div_10_uniqueIjEEEPmJS6_EEE10hipError_tPvRmT3_T4_T5_T6_T7_T9_mT8_P12ihipStream_tbDpT10_ENKUlT_T0_E_clISt17integral_constantIbLb0EES19_IbLb1EEEEDaS15_S16_EUlS15_E_NS1_11comp_targetILNS1_3genE8ELNS1_11target_archE1030ELNS1_3gpuE2ELNS1_3repE0EEENS1_30default_config_static_selectorELNS0_4arch9wavefront6targetE1EEEvT1_ ; -- Begin function _ZN7rocprim17ROCPRIM_400000_NS6detail17trampoline_kernelINS0_14default_configENS1_25partition_config_selectorILNS1_17partition_subalgoE8EjNS0_10empty_typeEbEEZZNS1_14partition_implILS5_8ELb0ES3_jN6thrust23THRUST_200600_302600_NS6detail15normal_iteratorINSA_10device_ptrIjEEEEPS6_PKS6_NS0_5tupleIJSF_S6_EEENSJ_IJSG_SG_EEENS0_18inequality_wrapperI22is_equal_div_10_uniqueIjEEEPmJS6_EEE10hipError_tPvRmT3_T4_T5_T6_T7_T9_mT8_P12ihipStream_tbDpT10_ENKUlT_T0_E_clISt17integral_constantIbLb0EES19_IbLb1EEEEDaS15_S16_EUlS15_E_NS1_11comp_targetILNS1_3genE8ELNS1_11target_archE1030ELNS1_3gpuE2ELNS1_3repE0EEENS1_30default_config_static_selectorELNS0_4arch9wavefront6targetE1EEEvT1_
	.globl	_ZN7rocprim17ROCPRIM_400000_NS6detail17trampoline_kernelINS0_14default_configENS1_25partition_config_selectorILNS1_17partition_subalgoE8EjNS0_10empty_typeEbEEZZNS1_14partition_implILS5_8ELb0ES3_jN6thrust23THRUST_200600_302600_NS6detail15normal_iteratorINSA_10device_ptrIjEEEEPS6_PKS6_NS0_5tupleIJSF_S6_EEENSJ_IJSG_SG_EEENS0_18inequality_wrapperI22is_equal_div_10_uniqueIjEEEPmJS6_EEE10hipError_tPvRmT3_T4_T5_T6_T7_T9_mT8_P12ihipStream_tbDpT10_ENKUlT_T0_E_clISt17integral_constantIbLb0EES19_IbLb1EEEEDaS15_S16_EUlS15_E_NS1_11comp_targetILNS1_3genE8ELNS1_11target_archE1030ELNS1_3gpuE2ELNS1_3repE0EEENS1_30default_config_static_selectorELNS0_4arch9wavefront6targetE1EEEvT1_
	.p2align	8
	.type	_ZN7rocprim17ROCPRIM_400000_NS6detail17trampoline_kernelINS0_14default_configENS1_25partition_config_selectorILNS1_17partition_subalgoE8EjNS0_10empty_typeEbEEZZNS1_14partition_implILS5_8ELb0ES3_jN6thrust23THRUST_200600_302600_NS6detail15normal_iteratorINSA_10device_ptrIjEEEEPS6_PKS6_NS0_5tupleIJSF_S6_EEENSJ_IJSG_SG_EEENS0_18inequality_wrapperI22is_equal_div_10_uniqueIjEEEPmJS6_EEE10hipError_tPvRmT3_T4_T5_T6_T7_T9_mT8_P12ihipStream_tbDpT10_ENKUlT_T0_E_clISt17integral_constantIbLb0EES19_IbLb1EEEEDaS15_S16_EUlS15_E_NS1_11comp_targetILNS1_3genE8ELNS1_11target_archE1030ELNS1_3gpuE2ELNS1_3repE0EEENS1_30default_config_static_selectorELNS0_4arch9wavefront6targetE1EEEvT1_,@function
_ZN7rocprim17ROCPRIM_400000_NS6detail17trampoline_kernelINS0_14default_configENS1_25partition_config_selectorILNS1_17partition_subalgoE8EjNS0_10empty_typeEbEEZZNS1_14partition_implILS5_8ELb0ES3_jN6thrust23THRUST_200600_302600_NS6detail15normal_iteratorINSA_10device_ptrIjEEEEPS6_PKS6_NS0_5tupleIJSF_S6_EEENSJ_IJSG_SG_EEENS0_18inequality_wrapperI22is_equal_div_10_uniqueIjEEEPmJS6_EEE10hipError_tPvRmT3_T4_T5_T6_T7_T9_mT8_P12ihipStream_tbDpT10_ENKUlT_T0_E_clISt17integral_constantIbLb0EES19_IbLb1EEEEDaS15_S16_EUlS15_E_NS1_11comp_targetILNS1_3genE8ELNS1_11target_archE1030ELNS1_3gpuE2ELNS1_3repE0EEENS1_30default_config_static_selectorELNS0_4arch9wavefront6targetE1EEEvT1_: ; @_ZN7rocprim17ROCPRIM_400000_NS6detail17trampoline_kernelINS0_14default_configENS1_25partition_config_selectorILNS1_17partition_subalgoE8EjNS0_10empty_typeEbEEZZNS1_14partition_implILS5_8ELb0ES3_jN6thrust23THRUST_200600_302600_NS6detail15normal_iteratorINSA_10device_ptrIjEEEEPS6_PKS6_NS0_5tupleIJSF_S6_EEENSJ_IJSG_SG_EEENS0_18inequality_wrapperI22is_equal_div_10_uniqueIjEEEPmJS6_EEE10hipError_tPvRmT3_T4_T5_T6_T7_T9_mT8_P12ihipStream_tbDpT10_ENKUlT_T0_E_clISt17integral_constantIbLb0EES19_IbLb1EEEEDaS15_S16_EUlS15_E_NS1_11comp_targetILNS1_3genE8ELNS1_11target_archE1030ELNS1_3gpuE2ELNS1_3repE0EEENS1_30default_config_static_selectorELNS0_4arch9wavefront6targetE1EEEvT1_
; %bb.0:
	.section	.rodata,"a",@progbits
	.p2align	6, 0x0
	.amdhsa_kernel _ZN7rocprim17ROCPRIM_400000_NS6detail17trampoline_kernelINS0_14default_configENS1_25partition_config_selectorILNS1_17partition_subalgoE8EjNS0_10empty_typeEbEEZZNS1_14partition_implILS5_8ELb0ES3_jN6thrust23THRUST_200600_302600_NS6detail15normal_iteratorINSA_10device_ptrIjEEEEPS6_PKS6_NS0_5tupleIJSF_S6_EEENSJ_IJSG_SG_EEENS0_18inequality_wrapperI22is_equal_div_10_uniqueIjEEEPmJS6_EEE10hipError_tPvRmT3_T4_T5_T6_T7_T9_mT8_P12ihipStream_tbDpT10_ENKUlT_T0_E_clISt17integral_constantIbLb0EES19_IbLb1EEEEDaS15_S16_EUlS15_E_NS1_11comp_targetILNS1_3genE8ELNS1_11target_archE1030ELNS1_3gpuE2ELNS1_3repE0EEENS1_30default_config_static_selectorELNS0_4arch9wavefront6targetE1EEEvT1_
		.amdhsa_group_segment_fixed_size 0
		.amdhsa_private_segment_fixed_size 0
		.amdhsa_kernarg_size 128
		.amdhsa_user_sgpr_count 6
		.amdhsa_user_sgpr_private_segment_buffer 1
		.amdhsa_user_sgpr_dispatch_ptr 0
		.amdhsa_user_sgpr_queue_ptr 0
		.amdhsa_user_sgpr_kernarg_segment_ptr 1
		.amdhsa_user_sgpr_dispatch_id 0
		.amdhsa_user_sgpr_flat_scratch_init 0
		.amdhsa_user_sgpr_private_segment_size 0
		.amdhsa_uses_dynamic_stack 0
		.amdhsa_system_sgpr_private_segment_wavefront_offset 0
		.amdhsa_system_sgpr_workgroup_id_x 1
		.amdhsa_system_sgpr_workgroup_id_y 0
		.amdhsa_system_sgpr_workgroup_id_z 0
		.amdhsa_system_sgpr_workgroup_info 0
		.amdhsa_system_vgpr_workitem_id 0
		.amdhsa_next_free_vgpr 1
		.amdhsa_next_free_sgpr 0
		.amdhsa_reserve_vcc 0
		.amdhsa_reserve_flat_scratch 0
		.amdhsa_float_round_mode_32 0
		.amdhsa_float_round_mode_16_64 0
		.amdhsa_float_denorm_mode_32 3
		.amdhsa_float_denorm_mode_16_64 3
		.amdhsa_dx10_clamp 1
		.amdhsa_ieee_mode 1
		.amdhsa_fp16_overflow 0
		.amdhsa_exception_fp_ieee_invalid_op 0
		.amdhsa_exception_fp_denorm_src 0
		.amdhsa_exception_fp_ieee_div_zero 0
		.amdhsa_exception_fp_ieee_overflow 0
		.amdhsa_exception_fp_ieee_underflow 0
		.amdhsa_exception_fp_ieee_inexact 0
		.amdhsa_exception_int_div_zero 0
	.end_amdhsa_kernel
	.section	.text._ZN7rocprim17ROCPRIM_400000_NS6detail17trampoline_kernelINS0_14default_configENS1_25partition_config_selectorILNS1_17partition_subalgoE8EjNS0_10empty_typeEbEEZZNS1_14partition_implILS5_8ELb0ES3_jN6thrust23THRUST_200600_302600_NS6detail15normal_iteratorINSA_10device_ptrIjEEEEPS6_PKS6_NS0_5tupleIJSF_S6_EEENSJ_IJSG_SG_EEENS0_18inequality_wrapperI22is_equal_div_10_uniqueIjEEEPmJS6_EEE10hipError_tPvRmT3_T4_T5_T6_T7_T9_mT8_P12ihipStream_tbDpT10_ENKUlT_T0_E_clISt17integral_constantIbLb0EES19_IbLb1EEEEDaS15_S16_EUlS15_E_NS1_11comp_targetILNS1_3genE8ELNS1_11target_archE1030ELNS1_3gpuE2ELNS1_3repE0EEENS1_30default_config_static_selectorELNS0_4arch9wavefront6targetE1EEEvT1_,"axG",@progbits,_ZN7rocprim17ROCPRIM_400000_NS6detail17trampoline_kernelINS0_14default_configENS1_25partition_config_selectorILNS1_17partition_subalgoE8EjNS0_10empty_typeEbEEZZNS1_14partition_implILS5_8ELb0ES3_jN6thrust23THRUST_200600_302600_NS6detail15normal_iteratorINSA_10device_ptrIjEEEEPS6_PKS6_NS0_5tupleIJSF_S6_EEENSJ_IJSG_SG_EEENS0_18inequality_wrapperI22is_equal_div_10_uniqueIjEEEPmJS6_EEE10hipError_tPvRmT3_T4_T5_T6_T7_T9_mT8_P12ihipStream_tbDpT10_ENKUlT_T0_E_clISt17integral_constantIbLb0EES19_IbLb1EEEEDaS15_S16_EUlS15_E_NS1_11comp_targetILNS1_3genE8ELNS1_11target_archE1030ELNS1_3gpuE2ELNS1_3repE0EEENS1_30default_config_static_selectorELNS0_4arch9wavefront6targetE1EEEvT1_,comdat
.Lfunc_end273:
	.size	_ZN7rocprim17ROCPRIM_400000_NS6detail17trampoline_kernelINS0_14default_configENS1_25partition_config_selectorILNS1_17partition_subalgoE8EjNS0_10empty_typeEbEEZZNS1_14partition_implILS5_8ELb0ES3_jN6thrust23THRUST_200600_302600_NS6detail15normal_iteratorINSA_10device_ptrIjEEEEPS6_PKS6_NS0_5tupleIJSF_S6_EEENSJ_IJSG_SG_EEENS0_18inequality_wrapperI22is_equal_div_10_uniqueIjEEEPmJS6_EEE10hipError_tPvRmT3_T4_T5_T6_T7_T9_mT8_P12ihipStream_tbDpT10_ENKUlT_T0_E_clISt17integral_constantIbLb0EES19_IbLb1EEEEDaS15_S16_EUlS15_E_NS1_11comp_targetILNS1_3genE8ELNS1_11target_archE1030ELNS1_3gpuE2ELNS1_3repE0EEENS1_30default_config_static_selectorELNS0_4arch9wavefront6targetE1EEEvT1_, .Lfunc_end273-_ZN7rocprim17ROCPRIM_400000_NS6detail17trampoline_kernelINS0_14default_configENS1_25partition_config_selectorILNS1_17partition_subalgoE8EjNS0_10empty_typeEbEEZZNS1_14partition_implILS5_8ELb0ES3_jN6thrust23THRUST_200600_302600_NS6detail15normal_iteratorINSA_10device_ptrIjEEEEPS6_PKS6_NS0_5tupleIJSF_S6_EEENSJ_IJSG_SG_EEENS0_18inequality_wrapperI22is_equal_div_10_uniqueIjEEEPmJS6_EEE10hipError_tPvRmT3_T4_T5_T6_T7_T9_mT8_P12ihipStream_tbDpT10_ENKUlT_T0_E_clISt17integral_constantIbLb0EES19_IbLb1EEEEDaS15_S16_EUlS15_E_NS1_11comp_targetILNS1_3genE8ELNS1_11target_archE1030ELNS1_3gpuE2ELNS1_3repE0EEENS1_30default_config_static_selectorELNS0_4arch9wavefront6targetE1EEEvT1_
                                        ; -- End function
	.set _ZN7rocprim17ROCPRIM_400000_NS6detail17trampoline_kernelINS0_14default_configENS1_25partition_config_selectorILNS1_17partition_subalgoE8EjNS0_10empty_typeEbEEZZNS1_14partition_implILS5_8ELb0ES3_jN6thrust23THRUST_200600_302600_NS6detail15normal_iteratorINSA_10device_ptrIjEEEEPS6_PKS6_NS0_5tupleIJSF_S6_EEENSJ_IJSG_SG_EEENS0_18inequality_wrapperI22is_equal_div_10_uniqueIjEEEPmJS6_EEE10hipError_tPvRmT3_T4_T5_T6_T7_T9_mT8_P12ihipStream_tbDpT10_ENKUlT_T0_E_clISt17integral_constantIbLb0EES19_IbLb1EEEEDaS15_S16_EUlS15_E_NS1_11comp_targetILNS1_3genE8ELNS1_11target_archE1030ELNS1_3gpuE2ELNS1_3repE0EEENS1_30default_config_static_selectorELNS0_4arch9wavefront6targetE1EEEvT1_.num_vgpr, 0
	.set _ZN7rocprim17ROCPRIM_400000_NS6detail17trampoline_kernelINS0_14default_configENS1_25partition_config_selectorILNS1_17partition_subalgoE8EjNS0_10empty_typeEbEEZZNS1_14partition_implILS5_8ELb0ES3_jN6thrust23THRUST_200600_302600_NS6detail15normal_iteratorINSA_10device_ptrIjEEEEPS6_PKS6_NS0_5tupleIJSF_S6_EEENSJ_IJSG_SG_EEENS0_18inequality_wrapperI22is_equal_div_10_uniqueIjEEEPmJS6_EEE10hipError_tPvRmT3_T4_T5_T6_T7_T9_mT8_P12ihipStream_tbDpT10_ENKUlT_T0_E_clISt17integral_constantIbLb0EES19_IbLb1EEEEDaS15_S16_EUlS15_E_NS1_11comp_targetILNS1_3genE8ELNS1_11target_archE1030ELNS1_3gpuE2ELNS1_3repE0EEENS1_30default_config_static_selectorELNS0_4arch9wavefront6targetE1EEEvT1_.num_agpr, 0
	.set _ZN7rocprim17ROCPRIM_400000_NS6detail17trampoline_kernelINS0_14default_configENS1_25partition_config_selectorILNS1_17partition_subalgoE8EjNS0_10empty_typeEbEEZZNS1_14partition_implILS5_8ELb0ES3_jN6thrust23THRUST_200600_302600_NS6detail15normal_iteratorINSA_10device_ptrIjEEEEPS6_PKS6_NS0_5tupleIJSF_S6_EEENSJ_IJSG_SG_EEENS0_18inequality_wrapperI22is_equal_div_10_uniqueIjEEEPmJS6_EEE10hipError_tPvRmT3_T4_T5_T6_T7_T9_mT8_P12ihipStream_tbDpT10_ENKUlT_T0_E_clISt17integral_constantIbLb0EES19_IbLb1EEEEDaS15_S16_EUlS15_E_NS1_11comp_targetILNS1_3genE8ELNS1_11target_archE1030ELNS1_3gpuE2ELNS1_3repE0EEENS1_30default_config_static_selectorELNS0_4arch9wavefront6targetE1EEEvT1_.numbered_sgpr, 0
	.set _ZN7rocprim17ROCPRIM_400000_NS6detail17trampoline_kernelINS0_14default_configENS1_25partition_config_selectorILNS1_17partition_subalgoE8EjNS0_10empty_typeEbEEZZNS1_14partition_implILS5_8ELb0ES3_jN6thrust23THRUST_200600_302600_NS6detail15normal_iteratorINSA_10device_ptrIjEEEEPS6_PKS6_NS0_5tupleIJSF_S6_EEENSJ_IJSG_SG_EEENS0_18inequality_wrapperI22is_equal_div_10_uniqueIjEEEPmJS6_EEE10hipError_tPvRmT3_T4_T5_T6_T7_T9_mT8_P12ihipStream_tbDpT10_ENKUlT_T0_E_clISt17integral_constantIbLb0EES19_IbLb1EEEEDaS15_S16_EUlS15_E_NS1_11comp_targetILNS1_3genE8ELNS1_11target_archE1030ELNS1_3gpuE2ELNS1_3repE0EEENS1_30default_config_static_selectorELNS0_4arch9wavefront6targetE1EEEvT1_.num_named_barrier, 0
	.set _ZN7rocprim17ROCPRIM_400000_NS6detail17trampoline_kernelINS0_14default_configENS1_25partition_config_selectorILNS1_17partition_subalgoE8EjNS0_10empty_typeEbEEZZNS1_14partition_implILS5_8ELb0ES3_jN6thrust23THRUST_200600_302600_NS6detail15normal_iteratorINSA_10device_ptrIjEEEEPS6_PKS6_NS0_5tupleIJSF_S6_EEENSJ_IJSG_SG_EEENS0_18inequality_wrapperI22is_equal_div_10_uniqueIjEEEPmJS6_EEE10hipError_tPvRmT3_T4_T5_T6_T7_T9_mT8_P12ihipStream_tbDpT10_ENKUlT_T0_E_clISt17integral_constantIbLb0EES19_IbLb1EEEEDaS15_S16_EUlS15_E_NS1_11comp_targetILNS1_3genE8ELNS1_11target_archE1030ELNS1_3gpuE2ELNS1_3repE0EEENS1_30default_config_static_selectorELNS0_4arch9wavefront6targetE1EEEvT1_.private_seg_size, 0
	.set _ZN7rocprim17ROCPRIM_400000_NS6detail17trampoline_kernelINS0_14default_configENS1_25partition_config_selectorILNS1_17partition_subalgoE8EjNS0_10empty_typeEbEEZZNS1_14partition_implILS5_8ELb0ES3_jN6thrust23THRUST_200600_302600_NS6detail15normal_iteratorINSA_10device_ptrIjEEEEPS6_PKS6_NS0_5tupleIJSF_S6_EEENSJ_IJSG_SG_EEENS0_18inequality_wrapperI22is_equal_div_10_uniqueIjEEEPmJS6_EEE10hipError_tPvRmT3_T4_T5_T6_T7_T9_mT8_P12ihipStream_tbDpT10_ENKUlT_T0_E_clISt17integral_constantIbLb0EES19_IbLb1EEEEDaS15_S16_EUlS15_E_NS1_11comp_targetILNS1_3genE8ELNS1_11target_archE1030ELNS1_3gpuE2ELNS1_3repE0EEENS1_30default_config_static_selectorELNS0_4arch9wavefront6targetE1EEEvT1_.uses_vcc, 0
	.set _ZN7rocprim17ROCPRIM_400000_NS6detail17trampoline_kernelINS0_14default_configENS1_25partition_config_selectorILNS1_17partition_subalgoE8EjNS0_10empty_typeEbEEZZNS1_14partition_implILS5_8ELb0ES3_jN6thrust23THRUST_200600_302600_NS6detail15normal_iteratorINSA_10device_ptrIjEEEEPS6_PKS6_NS0_5tupleIJSF_S6_EEENSJ_IJSG_SG_EEENS0_18inequality_wrapperI22is_equal_div_10_uniqueIjEEEPmJS6_EEE10hipError_tPvRmT3_T4_T5_T6_T7_T9_mT8_P12ihipStream_tbDpT10_ENKUlT_T0_E_clISt17integral_constantIbLb0EES19_IbLb1EEEEDaS15_S16_EUlS15_E_NS1_11comp_targetILNS1_3genE8ELNS1_11target_archE1030ELNS1_3gpuE2ELNS1_3repE0EEENS1_30default_config_static_selectorELNS0_4arch9wavefront6targetE1EEEvT1_.uses_flat_scratch, 0
	.set _ZN7rocprim17ROCPRIM_400000_NS6detail17trampoline_kernelINS0_14default_configENS1_25partition_config_selectorILNS1_17partition_subalgoE8EjNS0_10empty_typeEbEEZZNS1_14partition_implILS5_8ELb0ES3_jN6thrust23THRUST_200600_302600_NS6detail15normal_iteratorINSA_10device_ptrIjEEEEPS6_PKS6_NS0_5tupleIJSF_S6_EEENSJ_IJSG_SG_EEENS0_18inequality_wrapperI22is_equal_div_10_uniqueIjEEEPmJS6_EEE10hipError_tPvRmT3_T4_T5_T6_T7_T9_mT8_P12ihipStream_tbDpT10_ENKUlT_T0_E_clISt17integral_constantIbLb0EES19_IbLb1EEEEDaS15_S16_EUlS15_E_NS1_11comp_targetILNS1_3genE8ELNS1_11target_archE1030ELNS1_3gpuE2ELNS1_3repE0EEENS1_30default_config_static_selectorELNS0_4arch9wavefront6targetE1EEEvT1_.has_dyn_sized_stack, 0
	.set _ZN7rocprim17ROCPRIM_400000_NS6detail17trampoline_kernelINS0_14default_configENS1_25partition_config_selectorILNS1_17partition_subalgoE8EjNS0_10empty_typeEbEEZZNS1_14partition_implILS5_8ELb0ES3_jN6thrust23THRUST_200600_302600_NS6detail15normal_iteratorINSA_10device_ptrIjEEEEPS6_PKS6_NS0_5tupleIJSF_S6_EEENSJ_IJSG_SG_EEENS0_18inequality_wrapperI22is_equal_div_10_uniqueIjEEEPmJS6_EEE10hipError_tPvRmT3_T4_T5_T6_T7_T9_mT8_P12ihipStream_tbDpT10_ENKUlT_T0_E_clISt17integral_constantIbLb0EES19_IbLb1EEEEDaS15_S16_EUlS15_E_NS1_11comp_targetILNS1_3genE8ELNS1_11target_archE1030ELNS1_3gpuE2ELNS1_3repE0EEENS1_30default_config_static_selectorELNS0_4arch9wavefront6targetE1EEEvT1_.has_recursion, 0
	.set _ZN7rocprim17ROCPRIM_400000_NS6detail17trampoline_kernelINS0_14default_configENS1_25partition_config_selectorILNS1_17partition_subalgoE8EjNS0_10empty_typeEbEEZZNS1_14partition_implILS5_8ELb0ES3_jN6thrust23THRUST_200600_302600_NS6detail15normal_iteratorINSA_10device_ptrIjEEEEPS6_PKS6_NS0_5tupleIJSF_S6_EEENSJ_IJSG_SG_EEENS0_18inequality_wrapperI22is_equal_div_10_uniqueIjEEEPmJS6_EEE10hipError_tPvRmT3_T4_T5_T6_T7_T9_mT8_P12ihipStream_tbDpT10_ENKUlT_T0_E_clISt17integral_constantIbLb0EES19_IbLb1EEEEDaS15_S16_EUlS15_E_NS1_11comp_targetILNS1_3genE8ELNS1_11target_archE1030ELNS1_3gpuE2ELNS1_3repE0EEENS1_30default_config_static_selectorELNS0_4arch9wavefront6targetE1EEEvT1_.has_indirect_call, 0
	.section	.AMDGPU.csdata,"",@progbits
; Kernel info:
; codeLenInByte = 0
; TotalNumSgprs: 4
; NumVgprs: 0
; ScratchSize: 0
; MemoryBound: 0
; FloatMode: 240
; IeeeMode: 1
; LDSByteSize: 0 bytes/workgroup (compile time only)
; SGPRBlocks: 0
; VGPRBlocks: 0
; NumSGPRsForWavesPerEU: 4
; NumVGPRsForWavesPerEU: 1
; Occupancy: 10
; WaveLimiterHint : 0
; COMPUTE_PGM_RSRC2:SCRATCH_EN: 0
; COMPUTE_PGM_RSRC2:USER_SGPR: 6
; COMPUTE_PGM_RSRC2:TRAP_HANDLER: 0
; COMPUTE_PGM_RSRC2:TGID_X_EN: 1
; COMPUTE_PGM_RSRC2:TGID_Y_EN: 0
; COMPUTE_PGM_RSRC2:TGID_Z_EN: 0
; COMPUTE_PGM_RSRC2:TIDIG_COMP_CNT: 0
	.section	.text._ZN6thrust23THRUST_200600_302600_NS11hip_rocprim14__parallel_for6kernelILj256ENS1_20__uninitialized_fill7functorINS0_10device_ptrItEEtEEmLj1EEEvT0_T1_SA_,"axG",@progbits,_ZN6thrust23THRUST_200600_302600_NS11hip_rocprim14__parallel_for6kernelILj256ENS1_20__uninitialized_fill7functorINS0_10device_ptrItEEtEEmLj1EEEvT0_T1_SA_,comdat
	.protected	_ZN6thrust23THRUST_200600_302600_NS11hip_rocprim14__parallel_for6kernelILj256ENS1_20__uninitialized_fill7functorINS0_10device_ptrItEEtEEmLj1EEEvT0_T1_SA_ ; -- Begin function _ZN6thrust23THRUST_200600_302600_NS11hip_rocprim14__parallel_for6kernelILj256ENS1_20__uninitialized_fill7functorINS0_10device_ptrItEEtEEmLj1EEEvT0_T1_SA_
	.globl	_ZN6thrust23THRUST_200600_302600_NS11hip_rocprim14__parallel_for6kernelILj256ENS1_20__uninitialized_fill7functorINS0_10device_ptrItEEtEEmLj1EEEvT0_T1_SA_
	.p2align	8
	.type	_ZN6thrust23THRUST_200600_302600_NS11hip_rocprim14__parallel_for6kernelILj256ENS1_20__uninitialized_fill7functorINS0_10device_ptrItEEtEEmLj1EEEvT0_T1_SA_,@function
_ZN6thrust23THRUST_200600_302600_NS11hip_rocprim14__parallel_for6kernelILj256ENS1_20__uninitialized_fill7functorINS0_10device_ptrItEEtEEmLj1EEEvT0_T1_SA_: ; @_ZN6thrust23THRUST_200600_302600_NS11hip_rocprim14__parallel_for6kernelILj256ENS1_20__uninitialized_fill7functorINS0_10device_ptrItEEtEEmLj1EEEvT0_T1_SA_
; %bb.0:
	s_load_dwordx4 s[12:15], s[4:5], 0x10
	s_load_dwordx2 s[0:1], s[4:5], 0x0
	s_load_dword s8, s[4:5], 0x8
	s_lshl_b32 s2, s6, 8
	v_mov_b32_e32 v1, 0xff
	s_waitcnt lgkmcnt(0)
	s_add_u32 s2, s14, s2
	s_addc_u32 s3, s15, 0
	s_sub_u32 s4, s12, s2
	v_mov_b32_e32 v2, 0
	s_subb_u32 s5, s13, s3
	v_cmp_gt_u64_e32 vcc, s[4:5], v[1:2]
	s_mov_b64 s[6:7], -1
	s_cbranch_vccz .LBB274_3
; %bb.1:
	s_andn2_b64 vcc, exec, s[6:7]
	s_cbranch_vccz .LBB274_6
.LBB274_2:
	s_endpgm
.LBB274_3:
	v_cmp_gt_u32_e32 vcc, s4, v0
	s_and_saveexec_b64 s[4:5], vcc
	s_cbranch_execz .LBB274_5
; %bb.4:
	s_lshl_b64 s[6:7], s[2:3], 1
	s_add_u32 s6, s0, s6
	s_addc_u32 s7, s1, s7
	v_lshlrev_b32_e32 v1, 1, v0
	v_mov_b32_e32 v2, s7
	v_add_co_u32_e32 v1, vcc, s6, v1
	v_addc_co_u32_e32 v2, vcc, 0, v2, vcc
	v_mov_b32_e32 v3, s8
	flat_store_short v[1:2], v3
.LBB274_5:
	s_or_b64 exec, exec, s[4:5]
	s_cbranch_execnz .LBB274_2
.LBB274_6:
	s_lshl_b64 s[2:3], s[2:3], 1
	s_add_u32 s0, s0, s2
	s_addc_u32 s1, s1, s3
	v_lshlrev_b32_e32 v0, 1, v0
	v_mov_b32_e32 v1, s1
	v_add_co_u32_e32 v0, vcc, s0, v0
	v_addc_co_u32_e32 v1, vcc, 0, v1, vcc
	v_mov_b32_e32 v2, s8
	flat_store_short v[0:1], v2
	s_endpgm
	.section	.rodata,"a",@progbits
	.p2align	6, 0x0
	.amdhsa_kernel _ZN6thrust23THRUST_200600_302600_NS11hip_rocprim14__parallel_for6kernelILj256ENS1_20__uninitialized_fill7functorINS0_10device_ptrItEEtEEmLj1EEEvT0_T1_SA_
		.amdhsa_group_segment_fixed_size 0
		.amdhsa_private_segment_fixed_size 0
		.amdhsa_kernarg_size 32
		.amdhsa_user_sgpr_count 6
		.amdhsa_user_sgpr_private_segment_buffer 1
		.amdhsa_user_sgpr_dispatch_ptr 0
		.amdhsa_user_sgpr_queue_ptr 0
		.amdhsa_user_sgpr_kernarg_segment_ptr 1
		.amdhsa_user_sgpr_dispatch_id 0
		.amdhsa_user_sgpr_flat_scratch_init 0
		.amdhsa_user_sgpr_private_segment_size 0
		.amdhsa_uses_dynamic_stack 0
		.amdhsa_system_sgpr_private_segment_wavefront_offset 0
		.amdhsa_system_sgpr_workgroup_id_x 1
		.amdhsa_system_sgpr_workgroup_id_y 0
		.amdhsa_system_sgpr_workgroup_id_z 0
		.amdhsa_system_sgpr_workgroup_info 0
		.amdhsa_system_vgpr_workitem_id 0
		.amdhsa_next_free_vgpr 4
		.amdhsa_next_free_sgpr 16
		.amdhsa_reserve_vcc 1
		.amdhsa_reserve_flat_scratch 0
		.amdhsa_float_round_mode_32 0
		.amdhsa_float_round_mode_16_64 0
		.amdhsa_float_denorm_mode_32 3
		.amdhsa_float_denorm_mode_16_64 3
		.amdhsa_dx10_clamp 1
		.amdhsa_ieee_mode 1
		.amdhsa_fp16_overflow 0
		.amdhsa_exception_fp_ieee_invalid_op 0
		.amdhsa_exception_fp_denorm_src 0
		.amdhsa_exception_fp_ieee_div_zero 0
		.amdhsa_exception_fp_ieee_overflow 0
		.amdhsa_exception_fp_ieee_underflow 0
		.amdhsa_exception_fp_ieee_inexact 0
		.amdhsa_exception_int_div_zero 0
	.end_amdhsa_kernel
	.section	.text._ZN6thrust23THRUST_200600_302600_NS11hip_rocprim14__parallel_for6kernelILj256ENS1_20__uninitialized_fill7functorINS0_10device_ptrItEEtEEmLj1EEEvT0_T1_SA_,"axG",@progbits,_ZN6thrust23THRUST_200600_302600_NS11hip_rocprim14__parallel_for6kernelILj256ENS1_20__uninitialized_fill7functorINS0_10device_ptrItEEtEEmLj1EEEvT0_T1_SA_,comdat
.Lfunc_end274:
	.size	_ZN6thrust23THRUST_200600_302600_NS11hip_rocprim14__parallel_for6kernelILj256ENS1_20__uninitialized_fill7functorINS0_10device_ptrItEEtEEmLj1EEEvT0_T1_SA_, .Lfunc_end274-_ZN6thrust23THRUST_200600_302600_NS11hip_rocprim14__parallel_for6kernelILj256ENS1_20__uninitialized_fill7functorINS0_10device_ptrItEEtEEmLj1EEEvT0_T1_SA_
                                        ; -- End function
	.set _ZN6thrust23THRUST_200600_302600_NS11hip_rocprim14__parallel_for6kernelILj256ENS1_20__uninitialized_fill7functorINS0_10device_ptrItEEtEEmLj1EEEvT0_T1_SA_.num_vgpr, 4
	.set _ZN6thrust23THRUST_200600_302600_NS11hip_rocprim14__parallel_for6kernelILj256ENS1_20__uninitialized_fill7functorINS0_10device_ptrItEEtEEmLj1EEEvT0_T1_SA_.num_agpr, 0
	.set _ZN6thrust23THRUST_200600_302600_NS11hip_rocprim14__parallel_for6kernelILj256ENS1_20__uninitialized_fill7functorINS0_10device_ptrItEEtEEmLj1EEEvT0_T1_SA_.numbered_sgpr, 16
	.set _ZN6thrust23THRUST_200600_302600_NS11hip_rocprim14__parallel_for6kernelILj256ENS1_20__uninitialized_fill7functorINS0_10device_ptrItEEtEEmLj1EEEvT0_T1_SA_.num_named_barrier, 0
	.set _ZN6thrust23THRUST_200600_302600_NS11hip_rocprim14__parallel_for6kernelILj256ENS1_20__uninitialized_fill7functorINS0_10device_ptrItEEtEEmLj1EEEvT0_T1_SA_.private_seg_size, 0
	.set _ZN6thrust23THRUST_200600_302600_NS11hip_rocprim14__parallel_for6kernelILj256ENS1_20__uninitialized_fill7functorINS0_10device_ptrItEEtEEmLj1EEEvT0_T1_SA_.uses_vcc, 1
	.set _ZN6thrust23THRUST_200600_302600_NS11hip_rocprim14__parallel_for6kernelILj256ENS1_20__uninitialized_fill7functorINS0_10device_ptrItEEtEEmLj1EEEvT0_T1_SA_.uses_flat_scratch, 0
	.set _ZN6thrust23THRUST_200600_302600_NS11hip_rocprim14__parallel_for6kernelILj256ENS1_20__uninitialized_fill7functorINS0_10device_ptrItEEtEEmLj1EEEvT0_T1_SA_.has_dyn_sized_stack, 0
	.set _ZN6thrust23THRUST_200600_302600_NS11hip_rocprim14__parallel_for6kernelILj256ENS1_20__uninitialized_fill7functorINS0_10device_ptrItEEtEEmLj1EEEvT0_T1_SA_.has_recursion, 0
	.set _ZN6thrust23THRUST_200600_302600_NS11hip_rocprim14__parallel_for6kernelILj256ENS1_20__uninitialized_fill7functorINS0_10device_ptrItEEtEEmLj1EEEvT0_T1_SA_.has_indirect_call, 0
	.section	.AMDGPU.csdata,"",@progbits
; Kernel info:
; codeLenInByte = 188
; TotalNumSgprs: 20
; NumVgprs: 4
; ScratchSize: 0
; MemoryBound: 0
; FloatMode: 240
; IeeeMode: 1
; LDSByteSize: 0 bytes/workgroup (compile time only)
; SGPRBlocks: 2
; VGPRBlocks: 0
; NumSGPRsForWavesPerEU: 20
; NumVGPRsForWavesPerEU: 4
; Occupancy: 10
; WaveLimiterHint : 0
; COMPUTE_PGM_RSRC2:SCRATCH_EN: 0
; COMPUTE_PGM_RSRC2:USER_SGPR: 6
; COMPUTE_PGM_RSRC2:TRAP_HANDLER: 0
; COMPUTE_PGM_RSRC2:TGID_X_EN: 1
; COMPUTE_PGM_RSRC2:TGID_Y_EN: 0
; COMPUTE_PGM_RSRC2:TGID_Z_EN: 0
; COMPUTE_PGM_RSRC2:TIDIG_COMP_CNT: 0
	.section	.text._ZN7rocprim17ROCPRIM_400000_NS6detail17trampoline_kernelINS0_14default_configENS1_25partition_config_selectorILNS1_17partition_subalgoE8EtNS0_10empty_typeEbEEZZNS1_14partition_implILS5_8ELb0ES3_jN6thrust23THRUST_200600_302600_NS6detail15normal_iteratorINSA_10device_ptrItEEEEPS6_PKS6_NS0_5tupleIJSF_S6_EEENSJ_IJSG_SG_EEENS0_18inequality_wrapperINSA_8equal_toItEEEEPmJS6_EEE10hipError_tPvRmT3_T4_T5_T6_T7_T9_mT8_P12ihipStream_tbDpT10_ENKUlT_T0_E_clISt17integral_constantIbLb0EES1A_EEDaS15_S16_EUlS15_E_NS1_11comp_targetILNS1_3genE0ELNS1_11target_archE4294967295ELNS1_3gpuE0ELNS1_3repE0EEENS1_30default_config_static_selectorELNS0_4arch9wavefront6targetE1EEEvT1_,"axG",@progbits,_ZN7rocprim17ROCPRIM_400000_NS6detail17trampoline_kernelINS0_14default_configENS1_25partition_config_selectorILNS1_17partition_subalgoE8EtNS0_10empty_typeEbEEZZNS1_14partition_implILS5_8ELb0ES3_jN6thrust23THRUST_200600_302600_NS6detail15normal_iteratorINSA_10device_ptrItEEEEPS6_PKS6_NS0_5tupleIJSF_S6_EEENSJ_IJSG_SG_EEENS0_18inequality_wrapperINSA_8equal_toItEEEEPmJS6_EEE10hipError_tPvRmT3_T4_T5_T6_T7_T9_mT8_P12ihipStream_tbDpT10_ENKUlT_T0_E_clISt17integral_constantIbLb0EES1A_EEDaS15_S16_EUlS15_E_NS1_11comp_targetILNS1_3genE0ELNS1_11target_archE4294967295ELNS1_3gpuE0ELNS1_3repE0EEENS1_30default_config_static_selectorELNS0_4arch9wavefront6targetE1EEEvT1_,comdat
	.protected	_ZN7rocprim17ROCPRIM_400000_NS6detail17trampoline_kernelINS0_14default_configENS1_25partition_config_selectorILNS1_17partition_subalgoE8EtNS0_10empty_typeEbEEZZNS1_14partition_implILS5_8ELb0ES3_jN6thrust23THRUST_200600_302600_NS6detail15normal_iteratorINSA_10device_ptrItEEEEPS6_PKS6_NS0_5tupleIJSF_S6_EEENSJ_IJSG_SG_EEENS0_18inequality_wrapperINSA_8equal_toItEEEEPmJS6_EEE10hipError_tPvRmT3_T4_T5_T6_T7_T9_mT8_P12ihipStream_tbDpT10_ENKUlT_T0_E_clISt17integral_constantIbLb0EES1A_EEDaS15_S16_EUlS15_E_NS1_11comp_targetILNS1_3genE0ELNS1_11target_archE4294967295ELNS1_3gpuE0ELNS1_3repE0EEENS1_30default_config_static_selectorELNS0_4arch9wavefront6targetE1EEEvT1_ ; -- Begin function _ZN7rocprim17ROCPRIM_400000_NS6detail17trampoline_kernelINS0_14default_configENS1_25partition_config_selectorILNS1_17partition_subalgoE8EtNS0_10empty_typeEbEEZZNS1_14partition_implILS5_8ELb0ES3_jN6thrust23THRUST_200600_302600_NS6detail15normal_iteratorINSA_10device_ptrItEEEEPS6_PKS6_NS0_5tupleIJSF_S6_EEENSJ_IJSG_SG_EEENS0_18inequality_wrapperINSA_8equal_toItEEEEPmJS6_EEE10hipError_tPvRmT3_T4_T5_T6_T7_T9_mT8_P12ihipStream_tbDpT10_ENKUlT_T0_E_clISt17integral_constantIbLb0EES1A_EEDaS15_S16_EUlS15_E_NS1_11comp_targetILNS1_3genE0ELNS1_11target_archE4294967295ELNS1_3gpuE0ELNS1_3repE0EEENS1_30default_config_static_selectorELNS0_4arch9wavefront6targetE1EEEvT1_
	.globl	_ZN7rocprim17ROCPRIM_400000_NS6detail17trampoline_kernelINS0_14default_configENS1_25partition_config_selectorILNS1_17partition_subalgoE8EtNS0_10empty_typeEbEEZZNS1_14partition_implILS5_8ELb0ES3_jN6thrust23THRUST_200600_302600_NS6detail15normal_iteratorINSA_10device_ptrItEEEEPS6_PKS6_NS0_5tupleIJSF_S6_EEENSJ_IJSG_SG_EEENS0_18inequality_wrapperINSA_8equal_toItEEEEPmJS6_EEE10hipError_tPvRmT3_T4_T5_T6_T7_T9_mT8_P12ihipStream_tbDpT10_ENKUlT_T0_E_clISt17integral_constantIbLb0EES1A_EEDaS15_S16_EUlS15_E_NS1_11comp_targetILNS1_3genE0ELNS1_11target_archE4294967295ELNS1_3gpuE0ELNS1_3repE0EEENS1_30default_config_static_selectorELNS0_4arch9wavefront6targetE1EEEvT1_
	.p2align	8
	.type	_ZN7rocprim17ROCPRIM_400000_NS6detail17trampoline_kernelINS0_14default_configENS1_25partition_config_selectorILNS1_17partition_subalgoE8EtNS0_10empty_typeEbEEZZNS1_14partition_implILS5_8ELb0ES3_jN6thrust23THRUST_200600_302600_NS6detail15normal_iteratorINSA_10device_ptrItEEEEPS6_PKS6_NS0_5tupleIJSF_S6_EEENSJ_IJSG_SG_EEENS0_18inequality_wrapperINSA_8equal_toItEEEEPmJS6_EEE10hipError_tPvRmT3_T4_T5_T6_T7_T9_mT8_P12ihipStream_tbDpT10_ENKUlT_T0_E_clISt17integral_constantIbLb0EES1A_EEDaS15_S16_EUlS15_E_NS1_11comp_targetILNS1_3genE0ELNS1_11target_archE4294967295ELNS1_3gpuE0ELNS1_3repE0EEENS1_30default_config_static_selectorELNS0_4arch9wavefront6targetE1EEEvT1_,@function
_ZN7rocprim17ROCPRIM_400000_NS6detail17trampoline_kernelINS0_14default_configENS1_25partition_config_selectorILNS1_17partition_subalgoE8EtNS0_10empty_typeEbEEZZNS1_14partition_implILS5_8ELb0ES3_jN6thrust23THRUST_200600_302600_NS6detail15normal_iteratorINSA_10device_ptrItEEEEPS6_PKS6_NS0_5tupleIJSF_S6_EEENSJ_IJSG_SG_EEENS0_18inequality_wrapperINSA_8equal_toItEEEEPmJS6_EEE10hipError_tPvRmT3_T4_T5_T6_T7_T9_mT8_P12ihipStream_tbDpT10_ENKUlT_T0_E_clISt17integral_constantIbLb0EES1A_EEDaS15_S16_EUlS15_E_NS1_11comp_targetILNS1_3genE0ELNS1_11target_archE4294967295ELNS1_3gpuE0ELNS1_3repE0EEENS1_30default_config_static_selectorELNS0_4arch9wavefront6targetE1EEEvT1_: ; @_ZN7rocprim17ROCPRIM_400000_NS6detail17trampoline_kernelINS0_14default_configENS1_25partition_config_selectorILNS1_17partition_subalgoE8EtNS0_10empty_typeEbEEZZNS1_14partition_implILS5_8ELb0ES3_jN6thrust23THRUST_200600_302600_NS6detail15normal_iteratorINSA_10device_ptrItEEEEPS6_PKS6_NS0_5tupleIJSF_S6_EEENSJ_IJSG_SG_EEENS0_18inequality_wrapperINSA_8equal_toItEEEEPmJS6_EEE10hipError_tPvRmT3_T4_T5_T6_T7_T9_mT8_P12ihipStream_tbDpT10_ENKUlT_T0_E_clISt17integral_constantIbLb0EES1A_EEDaS15_S16_EUlS15_E_NS1_11comp_targetILNS1_3genE0ELNS1_11target_archE4294967295ELNS1_3gpuE0ELNS1_3repE0EEENS1_30default_config_static_selectorELNS0_4arch9wavefront6targetE1EEEvT1_
; %bb.0:
	.section	.rodata,"a",@progbits
	.p2align	6, 0x0
	.amdhsa_kernel _ZN7rocprim17ROCPRIM_400000_NS6detail17trampoline_kernelINS0_14default_configENS1_25partition_config_selectorILNS1_17partition_subalgoE8EtNS0_10empty_typeEbEEZZNS1_14partition_implILS5_8ELb0ES3_jN6thrust23THRUST_200600_302600_NS6detail15normal_iteratorINSA_10device_ptrItEEEEPS6_PKS6_NS0_5tupleIJSF_S6_EEENSJ_IJSG_SG_EEENS0_18inequality_wrapperINSA_8equal_toItEEEEPmJS6_EEE10hipError_tPvRmT3_T4_T5_T6_T7_T9_mT8_P12ihipStream_tbDpT10_ENKUlT_T0_E_clISt17integral_constantIbLb0EES1A_EEDaS15_S16_EUlS15_E_NS1_11comp_targetILNS1_3genE0ELNS1_11target_archE4294967295ELNS1_3gpuE0ELNS1_3repE0EEENS1_30default_config_static_selectorELNS0_4arch9wavefront6targetE1EEEvT1_
		.amdhsa_group_segment_fixed_size 0
		.amdhsa_private_segment_fixed_size 0
		.amdhsa_kernarg_size 112
		.amdhsa_user_sgpr_count 6
		.amdhsa_user_sgpr_private_segment_buffer 1
		.amdhsa_user_sgpr_dispatch_ptr 0
		.amdhsa_user_sgpr_queue_ptr 0
		.amdhsa_user_sgpr_kernarg_segment_ptr 1
		.amdhsa_user_sgpr_dispatch_id 0
		.amdhsa_user_sgpr_flat_scratch_init 0
		.amdhsa_user_sgpr_private_segment_size 0
		.amdhsa_uses_dynamic_stack 0
		.amdhsa_system_sgpr_private_segment_wavefront_offset 0
		.amdhsa_system_sgpr_workgroup_id_x 1
		.amdhsa_system_sgpr_workgroup_id_y 0
		.amdhsa_system_sgpr_workgroup_id_z 0
		.amdhsa_system_sgpr_workgroup_info 0
		.amdhsa_system_vgpr_workitem_id 0
		.amdhsa_next_free_vgpr 1
		.amdhsa_next_free_sgpr 0
		.amdhsa_reserve_vcc 0
		.amdhsa_reserve_flat_scratch 0
		.amdhsa_float_round_mode_32 0
		.amdhsa_float_round_mode_16_64 0
		.amdhsa_float_denorm_mode_32 3
		.amdhsa_float_denorm_mode_16_64 3
		.amdhsa_dx10_clamp 1
		.amdhsa_ieee_mode 1
		.amdhsa_fp16_overflow 0
		.amdhsa_exception_fp_ieee_invalid_op 0
		.amdhsa_exception_fp_denorm_src 0
		.amdhsa_exception_fp_ieee_div_zero 0
		.amdhsa_exception_fp_ieee_overflow 0
		.amdhsa_exception_fp_ieee_underflow 0
		.amdhsa_exception_fp_ieee_inexact 0
		.amdhsa_exception_int_div_zero 0
	.end_amdhsa_kernel
	.section	.text._ZN7rocprim17ROCPRIM_400000_NS6detail17trampoline_kernelINS0_14default_configENS1_25partition_config_selectorILNS1_17partition_subalgoE8EtNS0_10empty_typeEbEEZZNS1_14partition_implILS5_8ELb0ES3_jN6thrust23THRUST_200600_302600_NS6detail15normal_iteratorINSA_10device_ptrItEEEEPS6_PKS6_NS0_5tupleIJSF_S6_EEENSJ_IJSG_SG_EEENS0_18inequality_wrapperINSA_8equal_toItEEEEPmJS6_EEE10hipError_tPvRmT3_T4_T5_T6_T7_T9_mT8_P12ihipStream_tbDpT10_ENKUlT_T0_E_clISt17integral_constantIbLb0EES1A_EEDaS15_S16_EUlS15_E_NS1_11comp_targetILNS1_3genE0ELNS1_11target_archE4294967295ELNS1_3gpuE0ELNS1_3repE0EEENS1_30default_config_static_selectorELNS0_4arch9wavefront6targetE1EEEvT1_,"axG",@progbits,_ZN7rocprim17ROCPRIM_400000_NS6detail17trampoline_kernelINS0_14default_configENS1_25partition_config_selectorILNS1_17partition_subalgoE8EtNS0_10empty_typeEbEEZZNS1_14partition_implILS5_8ELb0ES3_jN6thrust23THRUST_200600_302600_NS6detail15normal_iteratorINSA_10device_ptrItEEEEPS6_PKS6_NS0_5tupleIJSF_S6_EEENSJ_IJSG_SG_EEENS0_18inequality_wrapperINSA_8equal_toItEEEEPmJS6_EEE10hipError_tPvRmT3_T4_T5_T6_T7_T9_mT8_P12ihipStream_tbDpT10_ENKUlT_T0_E_clISt17integral_constantIbLb0EES1A_EEDaS15_S16_EUlS15_E_NS1_11comp_targetILNS1_3genE0ELNS1_11target_archE4294967295ELNS1_3gpuE0ELNS1_3repE0EEENS1_30default_config_static_selectorELNS0_4arch9wavefront6targetE1EEEvT1_,comdat
.Lfunc_end275:
	.size	_ZN7rocprim17ROCPRIM_400000_NS6detail17trampoline_kernelINS0_14default_configENS1_25partition_config_selectorILNS1_17partition_subalgoE8EtNS0_10empty_typeEbEEZZNS1_14partition_implILS5_8ELb0ES3_jN6thrust23THRUST_200600_302600_NS6detail15normal_iteratorINSA_10device_ptrItEEEEPS6_PKS6_NS0_5tupleIJSF_S6_EEENSJ_IJSG_SG_EEENS0_18inequality_wrapperINSA_8equal_toItEEEEPmJS6_EEE10hipError_tPvRmT3_T4_T5_T6_T7_T9_mT8_P12ihipStream_tbDpT10_ENKUlT_T0_E_clISt17integral_constantIbLb0EES1A_EEDaS15_S16_EUlS15_E_NS1_11comp_targetILNS1_3genE0ELNS1_11target_archE4294967295ELNS1_3gpuE0ELNS1_3repE0EEENS1_30default_config_static_selectorELNS0_4arch9wavefront6targetE1EEEvT1_, .Lfunc_end275-_ZN7rocprim17ROCPRIM_400000_NS6detail17trampoline_kernelINS0_14default_configENS1_25partition_config_selectorILNS1_17partition_subalgoE8EtNS0_10empty_typeEbEEZZNS1_14partition_implILS5_8ELb0ES3_jN6thrust23THRUST_200600_302600_NS6detail15normal_iteratorINSA_10device_ptrItEEEEPS6_PKS6_NS0_5tupleIJSF_S6_EEENSJ_IJSG_SG_EEENS0_18inequality_wrapperINSA_8equal_toItEEEEPmJS6_EEE10hipError_tPvRmT3_T4_T5_T6_T7_T9_mT8_P12ihipStream_tbDpT10_ENKUlT_T0_E_clISt17integral_constantIbLb0EES1A_EEDaS15_S16_EUlS15_E_NS1_11comp_targetILNS1_3genE0ELNS1_11target_archE4294967295ELNS1_3gpuE0ELNS1_3repE0EEENS1_30default_config_static_selectorELNS0_4arch9wavefront6targetE1EEEvT1_
                                        ; -- End function
	.set _ZN7rocprim17ROCPRIM_400000_NS6detail17trampoline_kernelINS0_14default_configENS1_25partition_config_selectorILNS1_17partition_subalgoE8EtNS0_10empty_typeEbEEZZNS1_14partition_implILS5_8ELb0ES3_jN6thrust23THRUST_200600_302600_NS6detail15normal_iteratorINSA_10device_ptrItEEEEPS6_PKS6_NS0_5tupleIJSF_S6_EEENSJ_IJSG_SG_EEENS0_18inequality_wrapperINSA_8equal_toItEEEEPmJS6_EEE10hipError_tPvRmT3_T4_T5_T6_T7_T9_mT8_P12ihipStream_tbDpT10_ENKUlT_T0_E_clISt17integral_constantIbLb0EES1A_EEDaS15_S16_EUlS15_E_NS1_11comp_targetILNS1_3genE0ELNS1_11target_archE4294967295ELNS1_3gpuE0ELNS1_3repE0EEENS1_30default_config_static_selectorELNS0_4arch9wavefront6targetE1EEEvT1_.num_vgpr, 0
	.set _ZN7rocprim17ROCPRIM_400000_NS6detail17trampoline_kernelINS0_14default_configENS1_25partition_config_selectorILNS1_17partition_subalgoE8EtNS0_10empty_typeEbEEZZNS1_14partition_implILS5_8ELb0ES3_jN6thrust23THRUST_200600_302600_NS6detail15normal_iteratorINSA_10device_ptrItEEEEPS6_PKS6_NS0_5tupleIJSF_S6_EEENSJ_IJSG_SG_EEENS0_18inequality_wrapperINSA_8equal_toItEEEEPmJS6_EEE10hipError_tPvRmT3_T4_T5_T6_T7_T9_mT8_P12ihipStream_tbDpT10_ENKUlT_T0_E_clISt17integral_constantIbLb0EES1A_EEDaS15_S16_EUlS15_E_NS1_11comp_targetILNS1_3genE0ELNS1_11target_archE4294967295ELNS1_3gpuE0ELNS1_3repE0EEENS1_30default_config_static_selectorELNS0_4arch9wavefront6targetE1EEEvT1_.num_agpr, 0
	.set _ZN7rocprim17ROCPRIM_400000_NS6detail17trampoline_kernelINS0_14default_configENS1_25partition_config_selectorILNS1_17partition_subalgoE8EtNS0_10empty_typeEbEEZZNS1_14partition_implILS5_8ELb0ES3_jN6thrust23THRUST_200600_302600_NS6detail15normal_iteratorINSA_10device_ptrItEEEEPS6_PKS6_NS0_5tupleIJSF_S6_EEENSJ_IJSG_SG_EEENS0_18inequality_wrapperINSA_8equal_toItEEEEPmJS6_EEE10hipError_tPvRmT3_T4_T5_T6_T7_T9_mT8_P12ihipStream_tbDpT10_ENKUlT_T0_E_clISt17integral_constantIbLb0EES1A_EEDaS15_S16_EUlS15_E_NS1_11comp_targetILNS1_3genE0ELNS1_11target_archE4294967295ELNS1_3gpuE0ELNS1_3repE0EEENS1_30default_config_static_selectorELNS0_4arch9wavefront6targetE1EEEvT1_.numbered_sgpr, 0
	.set _ZN7rocprim17ROCPRIM_400000_NS6detail17trampoline_kernelINS0_14default_configENS1_25partition_config_selectorILNS1_17partition_subalgoE8EtNS0_10empty_typeEbEEZZNS1_14partition_implILS5_8ELb0ES3_jN6thrust23THRUST_200600_302600_NS6detail15normal_iteratorINSA_10device_ptrItEEEEPS6_PKS6_NS0_5tupleIJSF_S6_EEENSJ_IJSG_SG_EEENS0_18inequality_wrapperINSA_8equal_toItEEEEPmJS6_EEE10hipError_tPvRmT3_T4_T5_T6_T7_T9_mT8_P12ihipStream_tbDpT10_ENKUlT_T0_E_clISt17integral_constantIbLb0EES1A_EEDaS15_S16_EUlS15_E_NS1_11comp_targetILNS1_3genE0ELNS1_11target_archE4294967295ELNS1_3gpuE0ELNS1_3repE0EEENS1_30default_config_static_selectorELNS0_4arch9wavefront6targetE1EEEvT1_.num_named_barrier, 0
	.set _ZN7rocprim17ROCPRIM_400000_NS6detail17trampoline_kernelINS0_14default_configENS1_25partition_config_selectorILNS1_17partition_subalgoE8EtNS0_10empty_typeEbEEZZNS1_14partition_implILS5_8ELb0ES3_jN6thrust23THRUST_200600_302600_NS6detail15normal_iteratorINSA_10device_ptrItEEEEPS6_PKS6_NS0_5tupleIJSF_S6_EEENSJ_IJSG_SG_EEENS0_18inequality_wrapperINSA_8equal_toItEEEEPmJS6_EEE10hipError_tPvRmT3_T4_T5_T6_T7_T9_mT8_P12ihipStream_tbDpT10_ENKUlT_T0_E_clISt17integral_constantIbLb0EES1A_EEDaS15_S16_EUlS15_E_NS1_11comp_targetILNS1_3genE0ELNS1_11target_archE4294967295ELNS1_3gpuE0ELNS1_3repE0EEENS1_30default_config_static_selectorELNS0_4arch9wavefront6targetE1EEEvT1_.private_seg_size, 0
	.set _ZN7rocprim17ROCPRIM_400000_NS6detail17trampoline_kernelINS0_14default_configENS1_25partition_config_selectorILNS1_17partition_subalgoE8EtNS0_10empty_typeEbEEZZNS1_14partition_implILS5_8ELb0ES3_jN6thrust23THRUST_200600_302600_NS6detail15normal_iteratorINSA_10device_ptrItEEEEPS6_PKS6_NS0_5tupleIJSF_S6_EEENSJ_IJSG_SG_EEENS0_18inequality_wrapperINSA_8equal_toItEEEEPmJS6_EEE10hipError_tPvRmT3_T4_T5_T6_T7_T9_mT8_P12ihipStream_tbDpT10_ENKUlT_T0_E_clISt17integral_constantIbLb0EES1A_EEDaS15_S16_EUlS15_E_NS1_11comp_targetILNS1_3genE0ELNS1_11target_archE4294967295ELNS1_3gpuE0ELNS1_3repE0EEENS1_30default_config_static_selectorELNS0_4arch9wavefront6targetE1EEEvT1_.uses_vcc, 0
	.set _ZN7rocprim17ROCPRIM_400000_NS6detail17trampoline_kernelINS0_14default_configENS1_25partition_config_selectorILNS1_17partition_subalgoE8EtNS0_10empty_typeEbEEZZNS1_14partition_implILS5_8ELb0ES3_jN6thrust23THRUST_200600_302600_NS6detail15normal_iteratorINSA_10device_ptrItEEEEPS6_PKS6_NS0_5tupleIJSF_S6_EEENSJ_IJSG_SG_EEENS0_18inequality_wrapperINSA_8equal_toItEEEEPmJS6_EEE10hipError_tPvRmT3_T4_T5_T6_T7_T9_mT8_P12ihipStream_tbDpT10_ENKUlT_T0_E_clISt17integral_constantIbLb0EES1A_EEDaS15_S16_EUlS15_E_NS1_11comp_targetILNS1_3genE0ELNS1_11target_archE4294967295ELNS1_3gpuE0ELNS1_3repE0EEENS1_30default_config_static_selectorELNS0_4arch9wavefront6targetE1EEEvT1_.uses_flat_scratch, 0
	.set _ZN7rocprim17ROCPRIM_400000_NS6detail17trampoline_kernelINS0_14default_configENS1_25partition_config_selectorILNS1_17partition_subalgoE8EtNS0_10empty_typeEbEEZZNS1_14partition_implILS5_8ELb0ES3_jN6thrust23THRUST_200600_302600_NS6detail15normal_iteratorINSA_10device_ptrItEEEEPS6_PKS6_NS0_5tupleIJSF_S6_EEENSJ_IJSG_SG_EEENS0_18inequality_wrapperINSA_8equal_toItEEEEPmJS6_EEE10hipError_tPvRmT3_T4_T5_T6_T7_T9_mT8_P12ihipStream_tbDpT10_ENKUlT_T0_E_clISt17integral_constantIbLb0EES1A_EEDaS15_S16_EUlS15_E_NS1_11comp_targetILNS1_3genE0ELNS1_11target_archE4294967295ELNS1_3gpuE0ELNS1_3repE0EEENS1_30default_config_static_selectorELNS0_4arch9wavefront6targetE1EEEvT1_.has_dyn_sized_stack, 0
	.set _ZN7rocprim17ROCPRIM_400000_NS6detail17trampoline_kernelINS0_14default_configENS1_25partition_config_selectorILNS1_17partition_subalgoE8EtNS0_10empty_typeEbEEZZNS1_14partition_implILS5_8ELb0ES3_jN6thrust23THRUST_200600_302600_NS6detail15normal_iteratorINSA_10device_ptrItEEEEPS6_PKS6_NS0_5tupleIJSF_S6_EEENSJ_IJSG_SG_EEENS0_18inequality_wrapperINSA_8equal_toItEEEEPmJS6_EEE10hipError_tPvRmT3_T4_T5_T6_T7_T9_mT8_P12ihipStream_tbDpT10_ENKUlT_T0_E_clISt17integral_constantIbLb0EES1A_EEDaS15_S16_EUlS15_E_NS1_11comp_targetILNS1_3genE0ELNS1_11target_archE4294967295ELNS1_3gpuE0ELNS1_3repE0EEENS1_30default_config_static_selectorELNS0_4arch9wavefront6targetE1EEEvT1_.has_recursion, 0
	.set _ZN7rocprim17ROCPRIM_400000_NS6detail17trampoline_kernelINS0_14default_configENS1_25partition_config_selectorILNS1_17partition_subalgoE8EtNS0_10empty_typeEbEEZZNS1_14partition_implILS5_8ELb0ES3_jN6thrust23THRUST_200600_302600_NS6detail15normal_iteratorINSA_10device_ptrItEEEEPS6_PKS6_NS0_5tupleIJSF_S6_EEENSJ_IJSG_SG_EEENS0_18inequality_wrapperINSA_8equal_toItEEEEPmJS6_EEE10hipError_tPvRmT3_T4_T5_T6_T7_T9_mT8_P12ihipStream_tbDpT10_ENKUlT_T0_E_clISt17integral_constantIbLb0EES1A_EEDaS15_S16_EUlS15_E_NS1_11comp_targetILNS1_3genE0ELNS1_11target_archE4294967295ELNS1_3gpuE0ELNS1_3repE0EEENS1_30default_config_static_selectorELNS0_4arch9wavefront6targetE1EEEvT1_.has_indirect_call, 0
	.section	.AMDGPU.csdata,"",@progbits
; Kernel info:
; codeLenInByte = 0
; TotalNumSgprs: 4
; NumVgprs: 0
; ScratchSize: 0
; MemoryBound: 0
; FloatMode: 240
; IeeeMode: 1
; LDSByteSize: 0 bytes/workgroup (compile time only)
; SGPRBlocks: 0
; VGPRBlocks: 0
; NumSGPRsForWavesPerEU: 4
; NumVGPRsForWavesPerEU: 1
; Occupancy: 10
; WaveLimiterHint : 0
; COMPUTE_PGM_RSRC2:SCRATCH_EN: 0
; COMPUTE_PGM_RSRC2:USER_SGPR: 6
; COMPUTE_PGM_RSRC2:TRAP_HANDLER: 0
; COMPUTE_PGM_RSRC2:TGID_X_EN: 1
; COMPUTE_PGM_RSRC2:TGID_Y_EN: 0
; COMPUTE_PGM_RSRC2:TGID_Z_EN: 0
; COMPUTE_PGM_RSRC2:TIDIG_COMP_CNT: 0
	.section	.text._ZN7rocprim17ROCPRIM_400000_NS6detail17trampoline_kernelINS0_14default_configENS1_25partition_config_selectorILNS1_17partition_subalgoE8EtNS0_10empty_typeEbEEZZNS1_14partition_implILS5_8ELb0ES3_jN6thrust23THRUST_200600_302600_NS6detail15normal_iteratorINSA_10device_ptrItEEEEPS6_PKS6_NS0_5tupleIJSF_S6_EEENSJ_IJSG_SG_EEENS0_18inequality_wrapperINSA_8equal_toItEEEEPmJS6_EEE10hipError_tPvRmT3_T4_T5_T6_T7_T9_mT8_P12ihipStream_tbDpT10_ENKUlT_T0_E_clISt17integral_constantIbLb0EES1A_EEDaS15_S16_EUlS15_E_NS1_11comp_targetILNS1_3genE5ELNS1_11target_archE942ELNS1_3gpuE9ELNS1_3repE0EEENS1_30default_config_static_selectorELNS0_4arch9wavefront6targetE1EEEvT1_,"axG",@progbits,_ZN7rocprim17ROCPRIM_400000_NS6detail17trampoline_kernelINS0_14default_configENS1_25partition_config_selectorILNS1_17partition_subalgoE8EtNS0_10empty_typeEbEEZZNS1_14partition_implILS5_8ELb0ES3_jN6thrust23THRUST_200600_302600_NS6detail15normal_iteratorINSA_10device_ptrItEEEEPS6_PKS6_NS0_5tupleIJSF_S6_EEENSJ_IJSG_SG_EEENS0_18inequality_wrapperINSA_8equal_toItEEEEPmJS6_EEE10hipError_tPvRmT3_T4_T5_T6_T7_T9_mT8_P12ihipStream_tbDpT10_ENKUlT_T0_E_clISt17integral_constantIbLb0EES1A_EEDaS15_S16_EUlS15_E_NS1_11comp_targetILNS1_3genE5ELNS1_11target_archE942ELNS1_3gpuE9ELNS1_3repE0EEENS1_30default_config_static_selectorELNS0_4arch9wavefront6targetE1EEEvT1_,comdat
	.protected	_ZN7rocprim17ROCPRIM_400000_NS6detail17trampoline_kernelINS0_14default_configENS1_25partition_config_selectorILNS1_17partition_subalgoE8EtNS0_10empty_typeEbEEZZNS1_14partition_implILS5_8ELb0ES3_jN6thrust23THRUST_200600_302600_NS6detail15normal_iteratorINSA_10device_ptrItEEEEPS6_PKS6_NS0_5tupleIJSF_S6_EEENSJ_IJSG_SG_EEENS0_18inequality_wrapperINSA_8equal_toItEEEEPmJS6_EEE10hipError_tPvRmT3_T4_T5_T6_T7_T9_mT8_P12ihipStream_tbDpT10_ENKUlT_T0_E_clISt17integral_constantIbLb0EES1A_EEDaS15_S16_EUlS15_E_NS1_11comp_targetILNS1_3genE5ELNS1_11target_archE942ELNS1_3gpuE9ELNS1_3repE0EEENS1_30default_config_static_selectorELNS0_4arch9wavefront6targetE1EEEvT1_ ; -- Begin function _ZN7rocprim17ROCPRIM_400000_NS6detail17trampoline_kernelINS0_14default_configENS1_25partition_config_selectorILNS1_17partition_subalgoE8EtNS0_10empty_typeEbEEZZNS1_14partition_implILS5_8ELb0ES3_jN6thrust23THRUST_200600_302600_NS6detail15normal_iteratorINSA_10device_ptrItEEEEPS6_PKS6_NS0_5tupleIJSF_S6_EEENSJ_IJSG_SG_EEENS0_18inequality_wrapperINSA_8equal_toItEEEEPmJS6_EEE10hipError_tPvRmT3_T4_T5_T6_T7_T9_mT8_P12ihipStream_tbDpT10_ENKUlT_T0_E_clISt17integral_constantIbLb0EES1A_EEDaS15_S16_EUlS15_E_NS1_11comp_targetILNS1_3genE5ELNS1_11target_archE942ELNS1_3gpuE9ELNS1_3repE0EEENS1_30default_config_static_selectorELNS0_4arch9wavefront6targetE1EEEvT1_
	.globl	_ZN7rocprim17ROCPRIM_400000_NS6detail17trampoline_kernelINS0_14default_configENS1_25partition_config_selectorILNS1_17partition_subalgoE8EtNS0_10empty_typeEbEEZZNS1_14partition_implILS5_8ELb0ES3_jN6thrust23THRUST_200600_302600_NS6detail15normal_iteratorINSA_10device_ptrItEEEEPS6_PKS6_NS0_5tupleIJSF_S6_EEENSJ_IJSG_SG_EEENS0_18inequality_wrapperINSA_8equal_toItEEEEPmJS6_EEE10hipError_tPvRmT3_T4_T5_T6_T7_T9_mT8_P12ihipStream_tbDpT10_ENKUlT_T0_E_clISt17integral_constantIbLb0EES1A_EEDaS15_S16_EUlS15_E_NS1_11comp_targetILNS1_3genE5ELNS1_11target_archE942ELNS1_3gpuE9ELNS1_3repE0EEENS1_30default_config_static_selectorELNS0_4arch9wavefront6targetE1EEEvT1_
	.p2align	8
	.type	_ZN7rocprim17ROCPRIM_400000_NS6detail17trampoline_kernelINS0_14default_configENS1_25partition_config_selectorILNS1_17partition_subalgoE8EtNS0_10empty_typeEbEEZZNS1_14partition_implILS5_8ELb0ES3_jN6thrust23THRUST_200600_302600_NS6detail15normal_iteratorINSA_10device_ptrItEEEEPS6_PKS6_NS0_5tupleIJSF_S6_EEENSJ_IJSG_SG_EEENS0_18inequality_wrapperINSA_8equal_toItEEEEPmJS6_EEE10hipError_tPvRmT3_T4_T5_T6_T7_T9_mT8_P12ihipStream_tbDpT10_ENKUlT_T0_E_clISt17integral_constantIbLb0EES1A_EEDaS15_S16_EUlS15_E_NS1_11comp_targetILNS1_3genE5ELNS1_11target_archE942ELNS1_3gpuE9ELNS1_3repE0EEENS1_30default_config_static_selectorELNS0_4arch9wavefront6targetE1EEEvT1_,@function
_ZN7rocprim17ROCPRIM_400000_NS6detail17trampoline_kernelINS0_14default_configENS1_25partition_config_selectorILNS1_17partition_subalgoE8EtNS0_10empty_typeEbEEZZNS1_14partition_implILS5_8ELb0ES3_jN6thrust23THRUST_200600_302600_NS6detail15normal_iteratorINSA_10device_ptrItEEEEPS6_PKS6_NS0_5tupleIJSF_S6_EEENSJ_IJSG_SG_EEENS0_18inequality_wrapperINSA_8equal_toItEEEEPmJS6_EEE10hipError_tPvRmT3_T4_T5_T6_T7_T9_mT8_P12ihipStream_tbDpT10_ENKUlT_T0_E_clISt17integral_constantIbLb0EES1A_EEDaS15_S16_EUlS15_E_NS1_11comp_targetILNS1_3genE5ELNS1_11target_archE942ELNS1_3gpuE9ELNS1_3repE0EEENS1_30default_config_static_selectorELNS0_4arch9wavefront6targetE1EEEvT1_: ; @_ZN7rocprim17ROCPRIM_400000_NS6detail17trampoline_kernelINS0_14default_configENS1_25partition_config_selectorILNS1_17partition_subalgoE8EtNS0_10empty_typeEbEEZZNS1_14partition_implILS5_8ELb0ES3_jN6thrust23THRUST_200600_302600_NS6detail15normal_iteratorINSA_10device_ptrItEEEEPS6_PKS6_NS0_5tupleIJSF_S6_EEENSJ_IJSG_SG_EEENS0_18inequality_wrapperINSA_8equal_toItEEEEPmJS6_EEE10hipError_tPvRmT3_T4_T5_T6_T7_T9_mT8_P12ihipStream_tbDpT10_ENKUlT_T0_E_clISt17integral_constantIbLb0EES1A_EEDaS15_S16_EUlS15_E_NS1_11comp_targetILNS1_3genE5ELNS1_11target_archE942ELNS1_3gpuE9ELNS1_3repE0EEENS1_30default_config_static_selectorELNS0_4arch9wavefront6targetE1EEEvT1_
; %bb.0:
	.section	.rodata,"a",@progbits
	.p2align	6, 0x0
	.amdhsa_kernel _ZN7rocprim17ROCPRIM_400000_NS6detail17trampoline_kernelINS0_14default_configENS1_25partition_config_selectorILNS1_17partition_subalgoE8EtNS0_10empty_typeEbEEZZNS1_14partition_implILS5_8ELb0ES3_jN6thrust23THRUST_200600_302600_NS6detail15normal_iteratorINSA_10device_ptrItEEEEPS6_PKS6_NS0_5tupleIJSF_S6_EEENSJ_IJSG_SG_EEENS0_18inequality_wrapperINSA_8equal_toItEEEEPmJS6_EEE10hipError_tPvRmT3_T4_T5_T6_T7_T9_mT8_P12ihipStream_tbDpT10_ENKUlT_T0_E_clISt17integral_constantIbLb0EES1A_EEDaS15_S16_EUlS15_E_NS1_11comp_targetILNS1_3genE5ELNS1_11target_archE942ELNS1_3gpuE9ELNS1_3repE0EEENS1_30default_config_static_selectorELNS0_4arch9wavefront6targetE1EEEvT1_
		.amdhsa_group_segment_fixed_size 0
		.amdhsa_private_segment_fixed_size 0
		.amdhsa_kernarg_size 112
		.amdhsa_user_sgpr_count 6
		.amdhsa_user_sgpr_private_segment_buffer 1
		.amdhsa_user_sgpr_dispatch_ptr 0
		.amdhsa_user_sgpr_queue_ptr 0
		.amdhsa_user_sgpr_kernarg_segment_ptr 1
		.amdhsa_user_sgpr_dispatch_id 0
		.amdhsa_user_sgpr_flat_scratch_init 0
		.amdhsa_user_sgpr_private_segment_size 0
		.amdhsa_uses_dynamic_stack 0
		.amdhsa_system_sgpr_private_segment_wavefront_offset 0
		.amdhsa_system_sgpr_workgroup_id_x 1
		.amdhsa_system_sgpr_workgroup_id_y 0
		.amdhsa_system_sgpr_workgroup_id_z 0
		.amdhsa_system_sgpr_workgroup_info 0
		.amdhsa_system_vgpr_workitem_id 0
		.amdhsa_next_free_vgpr 1
		.amdhsa_next_free_sgpr 0
		.amdhsa_reserve_vcc 0
		.amdhsa_reserve_flat_scratch 0
		.amdhsa_float_round_mode_32 0
		.amdhsa_float_round_mode_16_64 0
		.amdhsa_float_denorm_mode_32 3
		.amdhsa_float_denorm_mode_16_64 3
		.amdhsa_dx10_clamp 1
		.amdhsa_ieee_mode 1
		.amdhsa_fp16_overflow 0
		.amdhsa_exception_fp_ieee_invalid_op 0
		.amdhsa_exception_fp_denorm_src 0
		.amdhsa_exception_fp_ieee_div_zero 0
		.amdhsa_exception_fp_ieee_overflow 0
		.amdhsa_exception_fp_ieee_underflow 0
		.amdhsa_exception_fp_ieee_inexact 0
		.amdhsa_exception_int_div_zero 0
	.end_amdhsa_kernel
	.section	.text._ZN7rocprim17ROCPRIM_400000_NS6detail17trampoline_kernelINS0_14default_configENS1_25partition_config_selectorILNS1_17partition_subalgoE8EtNS0_10empty_typeEbEEZZNS1_14partition_implILS5_8ELb0ES3_jN6thrust23THRUST_200600_302600_NS6detail15normal_iteratorINSA_10device_ptrItEEEEPS6_PKS6_NS0_5tupleIJSF_S6_EEENSJ_IJSG_SG_EEENS0_18inequality_wrapperINSA_8equal_toItEEEEPmJS6_EEE10hipError_tPvRmT3_T4_T5_T6_T7_T9_mT8_P12ihipStream_tbDpT10_ENKUlT_T0_E_clISt17integral_constantIbLb0EES1A_EEDaS15_S16_EUlS15_E_NS1_11comp_targetILNS1_3genE5ELNS1_11target_archE942ELNS1_3gpuE9ELNS1_3repE0EEENS1_30default_config_static_selectorELNS0_4arch9wavefront6targetE1EEEvT1_,"axG",@progbits,_ZN7rocprim17ROCPRIM_400000_NS6detail17trampoline_kernelINS0_14default_configENS1_25partition_config_selectorILNS1_17partition_subalgoE8EtNS0_10empty_typeEbEEZZNS1_14partition_implILS5_8ELb0ES3_jN6thrust23THRUST_200600_302600_NS6detail15normal_iteratorINSA_10device_ptrItEEEEPS6_PKS6_NS0_5tupleIJSF_S6_EEENSJ_IJSG_SG_EEENS0_18inequality_wrapperINSA_8equal_toItEEEEPmJS6_EEE10hipError_tPvRmT3_T4_T5_T6_T7_T9_mT8_P12ihipStream_tbDpT10_ENKUlT_T0_E_clISt17integral_constantIbLb0EES1A_EEDaS15_S16_EUlS15_E_NS1_11comp_targetILNS1_3genE5ELNS1_11target_archE942ELNS1_3gpuE9ELNS1_3repE0EEENS1_30default_config_static_selectorELNS0_4arch9wavefront6targetE1EEEvT1_,comdat
.Lfunc_end276:
	.size	_ZN7rocprim17ROCPRIM_400000_NS6detail17trampoline_kernelINS0_14default_configENS1_25partition_config_selectorILNS1_17partition_subalgoE8EtNS0_10empty_typeEbEEZZNS1_14partition_implILS5_8ELb0ES3_jN6thrust23THRUST_200600_302600_NS6detail15normal_iteratorINSA_10device_ptrItEEEEPS6_PKS6_NS0_5tupleIJSF_S6_EEENSJ_IJSG_SG_EEENS0_18inequality_wrapperINSA_8equal_toItEEEEPmJS6_EEE10hipError_tPvRmT3_T4_T5_T6_T7_T9_mT8_P12ihipStream_tbDpT10_ENKUlT_T0_E_clISt17integral_constantIbLb0EES1A_EEDaS15_S16_EUlS15_E_NS1_11comp_targetILNS1_3genE5ELNS1_11target_archE942ELNS1_3gpuE9ELNS1_3repE0EEENS1_30default_config_static_selectorELNS0_4arch9wavefront6targetE1EEEvT1_, .Lfunc_end276-_ZN7rocprim17ROCPRIM_400000_NS6detail17trampoline_kernelINS0_14default_configENS1_25partition_config_selectorILNS1_17partition_subalgoE8EtNS0_10empty_typeEbEEZZNS1_14partition_implILS5_8ELb0ES3_jN6thrust23THRUST_200600_302600_NS6detail15normal_iteratorINSA_10device_ptrItEEEEPS6_PKS6_NS0_5tupleIJSF_S6_EEENSJ_IJSG_SG_EEENS0_18inequality_wrapperINSA_8equal_toItEEEEPmJS6_EEE10hipError_tPvRmT3_T4_T5_T6_T7_T9_mT8_P12ihipStream_tbDpT10_ENKUlT_T0_E_clISt17integral_constantIbLb0EES1A_EEDaS15_S16_EUlS15_E_NS1_11comp_targetILNS1_3genE5ELNS1_11target_archE942ELNS1_3gpuE9ELNS1_3repE0EEENS1_30default_config_static_selectorELNS0_4arch9wavefront6targetE1EEEvT1_
                                        ; -- End function
	.set _ZN7rocprim17ROCPRIM_400000_NS6detail17trampoline_kernelINS0_14default_configENS1_25partition_config_selectorILNS1_17partition_subalgoE8EtNS0_10empty_typeEbEEZZNS1_14partition_implILS5_8ELb0ES3_jN6thrust23THRUST_200600_302600_NS6detail15normal_iteratorINSA_10device_ptrItEEEEPS6_PKS6_NS0_5tupleIJSF_S6_EEENSJ_IJSG_SG_EEENS0_18inequality_wrapperINSA_8equal_toItEEEEPmJS6_EEE10hipError_tPvRmT3_T4_T5_T6_T7_T9_mT8_P12ihipStream_tbDpT10_ENKUlT_T0_E_clISt17integral_constantIbLb0EES1A_EEDaS15_S16_EUlS15_E_NS1_11comp_targetILNS1_3genE5ELNS1_11target_archE942ELNS1_3gpuE9ELNS1_3repE0EEENS1_30default_config_static_selectorELNS0_4arch9wavefront6targetE1EEEvT1_.num_vgpr, 0
	.set _ZN7rocprim17ROCPRIM_400000_NS6detail17trampoline_kernelINS0_14default_configENS1_25partition_config_selectorILNS1_17partition_subalgoE8EtNS0_10empty_typeEbEEZZNS1_14partition_implILS5_8ELb0ES3_jN6thrust23THRUST_200600_302600_NS6detail15normal_iteratorINSA_10device_ptrItEEEEPS6_PKS6_NS0_5tupleIJSF_S6_EEENSJ_IJSG_SG_EEENS0_18inequality_wrapperINSA_8equal_toItEEEEPmJS6_EEE10hipError_tPvRmT3_T4_T5_T6_T7_T9_mT8_P12ihipStream_tbDpT10_ENKUlT_T0_E_clISt17integral_constantIbLb0EES1A_EEDaS15_S16_EUlS15_E_NS1_11comp_targetILNS1_3genE5ELNS1_11target_archE942ELNS1_3gpuE9ELNS1_3repE0EEENS1_30default_config_static_selectorELNS0_4arch9wavefront6targetE1EEEvT1_.num_agpr, 0
	.set _ZN7rocprim17ROCPRIM_400000_NS6detail17trampoline_kernelINS0_14default_configENS1_25partition_config_selectorILNS1_17partition_subalgoE8EtNS0_10empty_typeEbEEZZNS1_14partition_implILS5_8ELb0ES3_jN6thrust23THRUST_200600_302600_NS6detail15normal_iteratorINSA_10device_ptrItEEEEPS6_PKS6_NS0_5tupleIJSF_S6_EEENSJ_IJSG_SG_EEENS0_18inequality_wrapperINSA_8equal_toItEEEEPmJS6_EEE10hipError_tPvRmT3_T4_T5_T6_T7_T9_mT8_P12ihipStream_tbDpT10_ENKUlT_T0_E_clISt17integral_constantIbLb0EES1A_EEDaS15_S16_EUlS15_E_NS1_11comp_targetILNS1_3genE5ELNS1_11target_archE942ELNS1_3gpuE9ELNS1_3repE0EEENS1_30default_config_static_selectorELNS0_4arch9wavefront6targetE1EEEvT1_.numbered_sgpr, 0
	.set _ZN7rocprim17ROCPRIM_400000_NS6detail17trampoline_kernelINS0_14default_configENS1_25partition_config_selectorILNS1_17partition_subalgoE8EtNS0_10empty_typeEbEEZZNS1_14partition_implILS5_8ELb0ES3_jN6thrust23THRUST_200600_302600_NS6detail15normal_iteratorINSA_10device_ptrItEEEEPS6_PKS6_NS0_5tupleIJSF_S6_EEENSJ_IJSG_SG_EEENS0_18inequality_wrapperINSA_8equal_toItEEEEPmJS6_EEE10hipError_tPvRmT3_T4_T5_T6_T7_T9_mT8_P12ihipStream_tbDpT10_ENKUlT_T0_E_clISt17integral_constantIbLb0EES1A_EEDaS15_S16_EUlS15_E_NS1_11comp_targetILNS1_3genE5ELNS1_11target_archE942ELNS1_3gpuE9ELNS1_3repE0EEENS1_30default_config_static_selectorELNS0_4arch9wavefront6targetE1EEEvT1_.num_named_barrier, 0
	.set _ZN7rocprim17ROCPRIM_400000_NS6detail17trampoline_kernelINS0_14default_configENS1_25partition_config_selectorILNS1_17partition_subalgoE8EtNS0_10empty_typeEbEEZZNS1_14partition_implILS5_8ELb0ES3_jN6thrust23THRUST_200600_302600_NS6detail15normal_iteratorINSA_10device_ptrItEEEEPS6_PKS6_NS0_5tupleIJSF_S6_EEENSJ_IJSG_SG_EEENS0_18inequality_wrapperINSA_8equal_toItEEEEPmJS6_EEE10hipError_tPvRmT3_T4_T5_T6_T7_T9_mT8_P12ihipStream_tbDpT10_ENKUlT_T0_E_clISt17integral_constantIbLb0EES1A_EEDaS15_S16_EUlS15_E_NS1_11comp_targetILNS1_3genE5ELNS1_11target_archE942ELNS1_3gpuE9ELNS1_3repE0EEENS1_30default_config_static_selectorELNS0_4arch9wavefront6targetE1EEEvT1_.private_seg_size, 0
	.set _ZN7rocprim17ROCPRIM_400000_NS6detail17trampoline_kernelINS0_14default_configENS1_25partition_config_selectorILNS1_17partition_subalgoE8EtNS0_10empty_typeEbEEZZNS1_14partition_implILS5_8ELb0ES3_jN6thrust23THRUST_200600_302600_NS6detail15normal_iteratorINSA_10device_ptrItEEEEPS6_PKS6_NS0_5tupleIJSF_S6_EEENSJ_IJSG_SG_EEENS0_18inequality_wrapperINSA_8equal_toItEEEEPmJS6_EEE10hipError_tPvRmT3_T4_T5_T6_T7_T9_mT8_P12ihipStream_tbDpT10_ENKUlT_T0_E_clISt17integral_constantIbLb0EES1A_EEDaS15_S16_EUlS15_E_NS1_11comp_targetILNS1_3genE5ELNS1_11target_archE942ELNS1_3gpuE9ELNS1_3repE0EEENS1_30default_config_static_selectorELNS0_4arch9wavefront6targetE1EEEvT1_.uses_vcc, 0
	.set _ZN7rocprim17ROCPRIM_400000_NS6detail17trampoline_kernelINS0_14default_configENS1_25partition_config_selectorILNS1_17partition_subalgoE8EtNS0_10empty_typeEbEEZZNS1_14partition_implILS5_8ELb0ES3_jN6thrust23THRUST_200600_302600_NS6detail15normal_iteratorINSA_10device_ptrItEEEEPS6_PKS6_NS0_5tupleIJSF_S6_EEENSJ_IJSG_SG_EEENS0_18inequality_wrapperINSA_8equal_toItEEEEPmJS6_EEE10hipError_tPvRmT3_T4_T5_T6_T7_T9_mT8_P12ihipStream_tbDpT10_ENKUlT_T0_E_clISt17integral_constantIbLb0EES1A_EEDaS15_S16_EUlS15_E_NS1_11comp_targetILNS1_3genE5ELNS1_11target_archE942ELNS1_3gpuE9ELNS1_3repE0EEENS1_30default_config_static_selectorELNS0_4arch9wavefront6targetE1EEEvT1_.uses_flat_scratch, 0
	.set _ZN7rocprim17ROCPRIM_400000_NS6detail17trampoline_kernelINS0_14default_configENS1_25partition_config_selectorILNS1_17partition_subalgoE8EtNS0_10empty_typeEbEEZZNS1_14partition_implILS5_8ELb0ES3_jN6thrust23THRUST_200600_302600_NS6detail15normal_iteratorINSA_10device_ptrItEEEEPS6_PKS6_NS0_5tupleIJSF_S6_EEENSJ_IJSG_SG_EEENS0_18inequality_wrapperINSA_8equal_toItEEEEPmJS6_EEE10hipError_tPvRmT3_T4_T5_T6_T7_T9_mT8_P12ihipStream_tbDpT10_ENKUlT_T0_E_clISt17integral_constantIbLb0EES1A_EEDaS15_S16_EUlS15_E_NS1_11comp_targetILNS1_3genE5ELNS1_11target_archE942ELNS1_3gpuE9ELNS1_3repE0EEENS1_30default_config_static_selectorELNS0_4arch9wavefront6targetE1EEEvT1_.has_dyn_sized_stack, 0
	.set _ZN7rocprim17ROCPRIM_400000_NS6detail17trampoline_kernelINS0_14default_configENS1_25partition_config_selectorILNS1_17partition_subalgoE8EtNS0_10empty_typeEbEEZZNS1_14partition_implILS5_8ELb0ES3_jN6thrust23THRUST_200600_302600_NS6detail15normal_iteratorINSA_10device_ptrItEEEEPS6_PKS6_NS0_5tupleIJSF_S6_EEENSJ_IJSG_SG_EEENS0_18inequality_wrapperINSA_8equal_toItEEEEPmJS6_EEE10hipError_tPvRmT3_T4_T5_T6_T7_T9_mT8_P12ihipStream_tbDpT10_ENKUlT_T0_E_clISt17integral_constantIbLb0EES1A_EEDaS15_S16_EUlS15_E_NS1_11comp_targetILNS1_3genE5ELNS1_11target_archE942ELNS1_3gpuE9ELNS1_3repE0EEENS1_30default_config_static_selectorELNS0_4arch9wavefront6targetE1EEEvT1_.has_recursion, 0
	.set _ZN7rocprim17ROCPRIM_400000_NS6detail17trampoline_kernelINS0_14default_configENS1_25partition_config_selectorILNS1_17partition_subalgoE8EtNS0_10empty_typeEbEEZZNS1_14partition_implILS5_8ELb0ES3_jN6thrust23THRUST_200600_302600_NS6detail15normal_iteratorINSA_10device_ptrItEEEEPS6_PKS6_NS0_5tupleIJSF_S6_EEENSJ_IJSG_SG_EEENS0_18inequality_wrapperINSA_8equal_toItEEEEPmJS6_EEE10hipError_tPvRmT3_T4_T5_T6_T7_T9_mT8_P12ihipStream_tbDpT10_ENKUlT_T0_E_clISt17integral_constantIbLb0EES1A_EEDaS15_S16_EUlS15_E_NS1_11comp_targetILNS1_3genE5ELNS1_11target_archE942ELNS1_3gpuE9ELNS1_3repE0EEENS1_30default_config_static_selectorELNS0_4arch9wavefront6targetE1EEEvT1_.has_indirect_call, 0
	.section	.AMDGPU.csdata,"",@progbits
; Kernel info:
; codeLenInByte = 0
; TotalNumSgprs: 4
; NumVgprs: 0
; ScratchSize: 0
; MemoryBound: 0
; FloatMode: 240
; IeeeMode: 1
; LDSByteSize: 0 bytes/workgroup (compile time only)
; SGPRBlocks: 0
; VGPRBlocks: 0
; NumSGPRsForWavesPerEU: 4
; NumVGPRsForWavesPerEU: 1
; Occupancy: 10
; WaveLimiterHint : 0
; COMPUTE_PGM_RSRC2:SCRATCH_EN: 0
; COMPUTE_PGM_RSRC2:USER_SGPR: 6
; COMPUTE_PGM_RSRC2:TRAP_HANDLER: 0
; COMPUTE_PGM_RSRC2:TGID_X_EN: 1
; COMPUTE_PGM_RSRC2:TGID_Y_EN: 0
; COMPUTE_PGM_RSRC2:TGID_Z_EN: 0
; COMPUTE_PGM_RSRC2:TIDIG_COMP_CNT: 0
	.section	.text._ZN7rocprim17ROCPRIM_400000_NS6detail17trampoline_kernelINS0_14default_configENS1_25partition_config_selectorILNS1_17partition_subalgoE8EtNS0_10empty_typeEbEEZZNS1_14partition_implILS5_8ELb0ES3_jN6thrust23THRUST_200600_302600_NS6detail15normal_iteratorINSA_10device_ptrItEEEEPS6_PKS6_NS0_5tupleIJSF_S6_EEENSJ_IJSG_SG_EEENS0_18inequality_wrapperINSA_8equal_toItEEEEPmJS6_EEE10hipError_tPvRmT3_T4_T5_T6_T7_T9_mT8_P12ihipStream_tbDpT10_ENKUlT_T0_E_clISt17integral_constantIbLb0EES1A_EEDaS15_S16_EUlS15_E_NS1_11comp_targetILNS1_3genE4ELNS1_11target_archE910ELNS1_3gpuE8ELNS1_3repE0EEENS1_30default_config_static_selectorELNS0_4arch9wavefront6targetE1EEEvT1_,"axG",@progbits,_ZN7rocprim17ROCPRIM_400000_NS6detail17trampoline_kernelINS0_14default_configENS1_25partition_config_selectorILNS1_17partition_subalgoE8EtNS0_10empty_typeEbEEZZNS1_14partition_implILS5_8ELb0ES3_jN6thrust23THRUST_200600_302600_NS6detail15normal_iteratorINSA_10device_ptrItEEEEPS6_PKS6_NS0_5tupleIJSF_S6_EEENSJ_IJSG_SG_EEENS0_18inequality_wrapperINSA_8equal_toItEEEEPmJS6_EEE10hipError_tPvRmT3_T4_T5_T6_T7_T9_mT8_P12ihipStream_tbDpT10_ENKUlT_T0_E_clISt17integral_constantIbLb0EES1A_EEDaS15_S16_EUlS15_E_NS1_11comp_targetILNS1_3genE4ELNS1_11target_archE910ELNS1_3gpuE8ELNS1_3repE0EEENS1_30default_config_static_selectorELNS0_4arch9wavefront6targetE1EEEvT1_,comdat
	.protected	_ZN7rocprim17ROCPRIM_400000_NS6detail17trampoline_kernelINS0_14default_configENS1_25partition_config_selectorILNS1_17partition_subalgoE8EtNS0_10empty_typeEbEEZZNS1_14partition_implILS5_8ELb0ES3_jN6thrust23THRUST_200600_302600_NS6detail15normal_iteratorINSA_10device_ptrItEEEEPS6_PKS6_NS0_5tupleIJSF_S6_EEENSJ_IJSG_SG_EEENS0_18inequality_wrapperINSA_8equal_toItEEEEPmJS6_EEE10hipError_tPvRmT3_T4_T5_T6_T7_T9_mT8_P12ihipStream_tbDpT10_ENKUlT_T0_E_clISt17integral_constantIbLb0EES1A_EEDaS15_S16_EUlS15_E_NS1_11comp_targetILNS1_3genE4ELNS1_11target_archE910ELNS1_3gpuE8ELNS1_3repE0EEENS1_30default_config_static_selectorELNS0_4arch9wavefront6targetE1EEEvT1_ ; -- Begin function _ZN7rocprim17ROCPRIM_400000_NS6detail17trampoline_kernelINS0_14default_configENS1_25partition_config_selectorILNS1_17partition_subalgoE8EtNS0_10empty_typeEbEEZZNS1_14partition_implILS5_8ELb0ES3_jN6thrust23THRUST_200600_302600_NS6detail15normal_iteratorINSA_10device_ptrItEEEEPS6_PKS6_NS0_5tupleIJSF_S6_EEENSJ_IJSG_SG_EEENS0_18inequality_wrapperINSA_8equal_toItEEEEPmJS6_EEE10hipError_tPvRmT3_T4_T5_T6_T7_T9_mT8_P12ihipStream_tbDpT10_ENKUlT_T0_E_clISt17integral_constantIbLb0EES1A_EEDaS15_S16_EUlS15_E_NS1_11comp_targetILNS1_3genE4ELNS1_11target_archE910ELNS1_3gpuE8ELNS1_3repE0EEENS1_30default_config_static_selectorELNS0_4arch9wavefront6targetE1EEEvT1_
	.globl	_ZN7rocprim17ROCPRIM_400000_NS6detail17trampoline_kernelINS0_14default_configENS1_25partition_config_selectorILNS1_17partition_subalgoE8EtNS0_10empty_typeEbEEZZNS1_14partition_implILS5_8ELb0ES3_jN6thrust23THRUST_200600_302600_NS6detail15normal_iteratorINSA_10device_ptrItEEEEPS6_PKS6_NS0_5tupleIJSF_S6_EEENSJ_IJSG_SG_EEENS0_18inequality_wrapperINSA_8equal_toItEEEEPmJS6_EEE10hipError_tPvRmT3_T4_T5_T6_T7_T9_mT8_P12ihipStream_tbDpT10_ENKUlT_T0_E_clISt17integral_constantIbLb0EES1A_EEDaS15_S16_EUlS15_E_NS1_11comp_targetILNS1_3genE4ELNS1_11target_archE910ELNS1_3gpuE8ELNS1_3repE0EEENS1_30default_config_static_selectorELNS0_4arch9wavefront6targetE1EEEvT1_
	.p2align	8
	.type	_ZN7rocprim17ROCPRIM_400000_NS6detail17trampoline_kernelINS0_14default_configENS1_25partition_config_selectorILNS1_17partition_subalgoE8EtNS0_10empty_typeEbEEZZNS1_14partition_implILS5_8ELb0ES3_jN6thrust23THRUST_200600_302600_NS6detail15normal_iteratorINSA_10device_ptrItEEEEPS6_PKS6_NS0_5tupleIJSF_S6_EEENSJ_IJSG_SG_EEENS0_18inequality_wrapperINSA_8equal_toItEEEEPmJS6_EEE10hipError_tPvRmT3_T4_T5_T6_T7_T9_mT8_P12ihipStream_tbDpT10_ENKUlT_T0_E_clISt17integral_constantIbLb0EES1A_EEDaS15_S16_EUlS15_E_NS1_11comp_targetILNS1_3genE4ELNS1_11target_archE910ELNS1_3gpuE8ELNS1_3repE0EEENS1_30default_config_static_selectorELNS0_4arch9wavefront6targetE1EEEvT1_,@function
_ZN7rocprim17ROCPRIM_400000_NS6detail17trampoline_kernelINS0_14default_configENS1_25partition_config_selectorILNS1_17partition_subalgoE8EtNS0_10empty_typeEbEEZZNS1_14partition_implILS5_8ELb0ES3_jN6thrust23THRUST_200600_302600_NS6detail15normal_iteratorINSA_10device_ptrItEEEEPS6_PKS6_NS0_5tupleIJSF_S6_EEENSJ_IJSG_SG_EEENS0_18inequality_wrapperINSA_8equal_toItEEEEPmJS6_EEE10hipError_tPvRmT3_T4_T5_T6_T7_T9_mT8_P12ihipStream_tbDpT10_ENKUlT_T0_E_clISt17integral_constantIbLb0EES1A_EEDaS15_S16_EUlS15_E_NS1_11comp_targetILNS1_3genE4ELNS1_11target_archE910ELNS1_3gpuE8ELNS1_3repE0EEENS1_30default_config_static_selectorELNS0_4arch9wavefront6targetE1EEEvT1_: ; @_ZN7rocprim17ROCPRIM_400000_NS6detail17trampoline_kernelINS0_14default_configENS1_25partition_config_selectorILNS1_17partition_subalgoE8EtNS0_10empty_typeEbEEZZNS1_14partition_implILS5_8ELb0ES3_jN6thrust23THRUST_200600_302600_NS6detail15normal_iteratorINSA_10device_ptrItEEEEPS6_PKS6_NS0_5tupleIJSF_S6_EEENSJ_IJSG_SG_EEENS0_18inequality_wrapperINSA_8equal_toItEEEEPmJS6_EEE10hipError_tPvRmT3_T4_T5_T6_T7_T9_mT8_P12ihipStream_tbDpT10_ENKUlT_T0_E_clISt17integral_constantIbLb0EES1A_EEDaS15_S16_EUlS15_E_NS1_11comp_targetILNS1_3genE4ELNS1_11target_archE910ELNS1_3gpuE8ELNS1_3repE0EEENS1_30default_config_static_selectorELNS0_4arch9wavefront6targetE1EEEvT1_
; %bb.0:
	.section	.rodata,"a",@progbits
	.p2align	6, 0x0
	.amdhsa_kernel _ZN7rocprim17ROCPRIM_400000_NS6detail17trampoline_kernelINS0_14default_configENS1_25partition_config_selectorILNS1_17partition_subalgoE8EtNS0_10empty_typeEbEEZZNS1_14partition_implILS5_8ELb0ES3_jN6thrust23THRUST_200600_302600_NS6detail15normal_iteratorINSA_10device_ptrItEEEEPS6_PKS6_NS0_5tupleIJSF_S6_EEENSJ_IJSG_SG_EEENS0_18inequality_wrapperINSA_8equal_toItEEEEPmJS6_EEE10hipError_tPvRmT3_T4_T5_T6_T7_T9_mT8_P12ihipStream_tbDpT10_ENKUlT_T0_E_clISt17integral_constantIbLb0EES1A_EEDaS15_S16_EUlS15_E_NS1_11comp_targetILNS1_3genE4ELNS1_11target_archE910ELNS1_3gpuE8ELNS1_3repE0EEENS1_30default_config_static_selectorELNS0_4arch9wavefront6targetE1EEEvT1_
		.amdhsa_group_segment_fixed_size 0
		.amdhsa_private_segment_fixed_size 0
		.amdhsa_kernarg_size 112
		.amdhsa_user_sgpr_count 6
		.amdhsa_user_sgpr_private_segment_buffer 1
		.amdhsa_user_sgpr_dispatch_ptr 0
		.amdhsa_user_sgpr_queue_ptr 0
		.amdhsa_user_sgpr_kernarg_segment_ptr 1
		.amdhsa_user_sgpr_dispatch_id 0
		.amdhsa_user_sgpr_flat_scratch_init 0
		.amdhsa_user_sgpr_private_segment_size 0
		.amdhsa_uses_dynamic_stack 0
		.amdhsa_system_sgpr_private_segment_wavefront_offset 0
		.amdhsa_system_sgpr_workgroup_id_x 1
		.amdhsa_system_sgpr_workgroup_id_y 0
		.amdhsa_system_sgpr_workgroup_id_z 0
		.amdhsa_system_sgpr_workgroup_info 0
		.amdhsa_system_vgpr_workitem_id 0
		.amdhsa_next_free_vgpr 1
		.amdhsa_next_free_sgpr 0
		.amdhsa_reserve_vcc 0
		.amdhsa_reserve_flat_scratch 0
		.amdhsa_float_round_mode_32 0
		.amdhsa_float_round_mode_16_64 0
		.amdhsa_float_denorm_mode_32 3
		.amdhsa_float_denorm_mode_16_64 3
		.amdhsa_dx10_clamp 1
		.amdhsa_ieee_mode 1
		.amdhsa_fp16_overflow 0
		.amdhsa_exception_fp_ieee_invalid_op 0
		.amdhsa_exception_fp_denorm_src 0
		.amdhsa_exception_fp_ieee_div_zero 0
		.amdhsa_exception_fp_ieee_overflow 0
		.amdhsa_exception_fp_ieee_underflow 0
		.amdhsa_exception_fp_ieee_inexact 0
		.amdhsa_exception_int_div_zero 0
	.end_amdhsa_kernel
	.section	.text._ZN7rocprim17ROCPRIM_400000_NS6detail17trampoline_kernelINS0_14default_configENS1_25partition_config_selectorILNS1_17partition_subalgoE8EtNS0_10empty_typeEbEEZZNS1_14partition_implILS5_8ELb0ES3_jN6thrust23THRUST_200600_302600_NS6detail15normal_iteratorINSA_10device_ptrItEEEEPS6_PKS6_NS0_5tupleIJSF_S6_EEENSJ_IJSG_SG_EEENS0_18inequality_wrapperINSA_8equal_toItEEEEPmJS6_EEE10hipError_tPvRmT3_T4_T5_T6_T7_T9_mT8_P12ihipStream_tbDpT10_ENKUlT_T0_E_clISt17integral_constantIbLb0EES1A_EEDaS15_S16_EUlS15_E_NS1_11comp_targetILNS1_3genE4ELNS1_11target_archE910ELNS1_3gpuE8ELNS1_3repE0EEENS1_30default_config_static_selectorELNS0_4arch9wavefront6targetE1EEEvT1_,"axG",@progbits,_ZN7rocprim17ROCPRIM_400000_NS6detail17trampoline_kernelINS0_14default_configENS1_25partition_config_selectorILNS1_17partition_subalgoE8EtNS0_10empty_typeEbEEZZNS1_14partition_implILS5_8ELb0ES3_jN6thrust23THRUST_200600_302600_NS6detail15normal_iteratorINSA_10device_ptrItEEEEPS6_PKS6_NS0_5tupleIJSF_S6_EEENSJ_IJSG_SG_EEENS0_18inequality_wrapperINSA_8equal_toItEEEEPmJS6_EEE10hipError_tPvRmT3_T4_T5_T6_T7_T9_mT8_P12ihipStream_tbDpT10_ENKUlT_T0_E_clISt17integral_constantIbLb0EES1A_EEDaS15_S16_EUlS15_E_NS1_11comp_targetILNS1_3genE4ELNS1_11target_archE910ELNS1_3gpuE8ELNS1_3repE0EEENS1_30default_config_static_selectorELNS0_4arch9wavefront6targetE1EEEvT1_,comdat
.Lfunc_end277:
	.size	_ZN7rocprim17ROCPRIM_400000_NS6detail17trampoline_kernelINS0_14default_configENS1_25partition_config_selectorILNS1_17partition_subalgoE8EtNS0_10empty_typeEbEEZZNS1_14partition_implILS5_8ELb0ES3_jN6thrust23THRUST_200600_302600_NS6detail15normal_iteratorINSA_10device_ptrItEEEEPS6_PKS6_NS0_5tupleIJSF_S6_EEENSJ_IJSG_SG_EEENS0_18inequality_wrapperINSA_8equal_toItEEEEPmJS6_EEE10hipError_tPvRmT3_T4_T5_T6_T7_T9_mT8_P12ihipStream_tbDpT10_ENKUlT_T0_E_clISt17integral_constantIbLb0EES1A_EEDaS15_S16_EUlS15_E_NS1_11comp_targetILNS1_3genE4ELNS1_11target_archE910ELNS1_3gpuE8ELNS1_3repE0EEENS1_30default_config_static_selectorELNS0_4arch9wavefront6targetE1EEEvT1_, .Lfunc_end277-_ZN7rocprim17ROCPRIM_400000_NS6detail17trampoline_kernelINS0_14default_configENS1_25partition_config_selectorILNS1_17partition_subalgoE8EtNS0_10empty_typeEbEEZZNS1_14partition_implILS5_8ELb0ES3_jN6thrust23THRUST_200600_302600_NS6detail15normal_iteratorINSA_10device_ptrItEEEEPS6_PKS6_NS0_5tupleIJSF_S6_EEENSJ_IJSG_SG_EEENS0_18inequality_wrapperINSA_8equal_toItEEEEPmJS6_EEE10hipError_tPvRmT3_T4_T5_T6_T7_T9_mT8_P12ihipStream_tbDpT10_ENKUlT_T0_E_clISt17integral_constantIbLb0EES1A_EEDaS15_S16_EUlS15_E_NS1_11comp_targetILNS1_3genE4ELNS1_11target_archE910ELNS1_3gpuE8ELNS1_3repE0EEENS1_30default_config_static_selectorELNS0_4arch9wavefront6targetE1EEEvT1_
                                        ; -- End function
	.set _ZN7rocprim17ROCPRIM_400000_NS6detail17trampoline_kernelINS0_14default_configENS1_25partition_config_selectorILNS1_17partition_subalgoE8EtNS0_10empty_typeEbEEZZNS1_14partition_implILS5_8ELb0ES3_jN6thrust23THRUST_200600_302600_NS6detail15normal_iteratorINSA_10device_ptrItEEEEPS6_PKS6_NS0_5tupleIJSF_S6_EEENSJ_IJSG_SG_EEENS0_18inequality_wrapperINSA_8equal_toItEEEEPmJS6_EEE10hipError_tPvRmT3_T4_T5_T6_T7_T9_mT8_P12ihipStream_tbDpT10_ENKUlT_T0_E_clISt17integral_constantIbLb0EES1A_EEDaS15_S16_EUlS15_E_NS1_11comp_targetILNS1_3genE4ELNS1_11target_archE910ELNS1_3gpuE8ELNS1_3repE0EEENS1_30default_config_static_selectorELNS0_4arch9wavefront6targetE1EEEvT1_.num_vgpr, 0
	.set _ZN7rocprim17ROCPRIM_400000_NS6detail17trampoline_kernelINS0_14default_configENS1_25partition_config_selectorILNS1_17partition_subalgoE8EtNS0_10empty_typeEbEEZZNS1_14partition_implILS5_8ELb0ES3_jN6thrust23THRUST_200600_302600_NS6detail15normal_iteratorINSA_10device_ptrItEEEEPS6_PKS6_NS0_5tupleIJSF_S6_EEENSJ_IJSG_SG_EEENS0_18inequality_wrapperINSA_8equal_toItEEEEPmJS6_EEE10hipError_tPvRmT3_T4_T5_T6_T7_T9_mT8_P12ihipStream_tbDpT10_ENKUlT_T0_E_clISt17integral_constantIbLb0EES1A_EEDaS15_S16_EUlS15_E_NS1_11comp_targetILNS1_3genE4ELNS1_11target_archE910ELNS1_3gpuE8ELNS1_3repE0EEENS1_30default_config_static_selectorELNS0_4arch9wavefront6targetE1EEEvT1_.num_agpr, 0
	.set _ZN7rocprim17ROCPRIM_400000_NS6detail17trampoline_kernelINS0_14default_configENS1_25partition_config_selectorILNS1_17partition_subalgoE8EtNS0_10empty_typeEbEEZZNS1_14partition_implILS5_8ELb0ES3_jN6thrust23THRUST_200600_302600_NS6detail15normal_iteratorINSA_10device_ptrItEEEEPS6_PKS6_NS0_5tupleIJSF_S6_EEENSJ_IJSG_SG_EEENS0_18inequality_wrapperINSA_8equal_toItEEEEPmJS6_EEE10hipError_tPvRmT3_T4_T5_T6_T7_T9_mT8_P12ihipStream_tbDpT10_ENKUlT_T0_E_clISt17integral_constantIbLb0EES1A_EEDaS15_S16_EUlS15_E_NS1_11comp_targetILNS1_3genE4ELNS1_11target_archE910ELNS1_3gpuE8ELNS1_3repE0EEENS1_30default_config_static_selectorELNS0_4arch9wavefront6targetE1EEEvT1_.numbered_sgpr, 0
	.set _ZN7rocprim17ROCPRIM_400000_NS6detail17trampoline_kernelINS0_14default_configENS1_25partition_config_selectorILNS1_17partition_subalgoE8EtNS0_10empty_typeEbEEZZNS1_14partition_implILS5_8ELb0ES3_jN6thrust23THRUST_200600_302600_NS6detail15normal_iteratorINSA_10device_ptrItEEEEPS6_PKS6_NS0_5tupleIJSF_S6_EEENSJ_IJSG_SG_EEENS0_18inequality_wrapperINSA_8equal_toItEEEEPmJS6_EEE10hipError_tPvRmT3_T4_T5_T6_T7_T9_mT8_P12ihipStream_tbDpT10_ENKUlT_T0_E_clISt17integral_constantIbLb0EES1A_EEDaS15_S16_EUlS15_E_NS1_11comp_targetILNS1_3genE4ELNS1_11target_archE910ELNS1_3gpuE8ELNS1_3repE0EEENS1_30default_config_static_selectorELNS0_4arch9wavefront6targetE1EEEvT1_.num_named_barrier, 0
	.set _ZN7rocprim17ROCPRIM_400000_NS6detail17trampoline_kernelINS0_14default_configENS1_25partition_config_selectorILNS1_17partition_subalgoE8EtNS0_10empty_typeEbEEZZNS1_14partition_implILS5_8ELb0ES3_jN6thrust23THRUST_200600_302600_NS6detail15normal_iteratorINSA_10device_ptrItEEEEPS6_PKS6_NS0_5tupleIJSF_S6_EEENSJ_IJSG_SG_EEENS0_18inequality_wrapperINSA_8equal_toItEEEEPmJS6_EEE10hipError_tPvRmT3_T4_T5_T6_T7_T9_mT8_P12ihipStream_tbDpT10_ENKUlT_T0_E_clISt17integral_constantIbLb0EES1A_EEDaS15_S16_EUlS15_E_NS1_11comp_targetILNS1_3genE4ELNS1_11target_archE910ELNS1_3gpuE8ELNS1_3repE0EEENS1_30default_config_static_selectorELNS0_4arch9wavefront6targetE1EEEvT1_.private_seg_size, 0
	.set _ZN7rocprim17ROCPRIM_400000_NS6detail17trampoline_kernelINS0_14default_configENS1_25partition_config_selectorILNS1_17partition_subalgoE8EtNS0_10empty_typeEbEEZZNS1_14partition_implILS5_8ELb0ES3_jN6thrust23THRUST_200600_302600_NS6detail15normal_iteratorINSA_10device_ptrItEEEEPS6_PKS6_NS0_5tupleIJSF_S6_EEENSJ_IJSG_SG_EEENS0_18inequality_wrapperINSA_8equal_toItEEEEPmJS6_EEE10hipError_tPvRmT3_T4_T5_T6_T7_T9_mT8_P12ihipStream_tbDpT10_ENKUlT_T0_E_clISt17integral_constantIbLb0EES1A_EEDaS15_S16_EUlS15_E_NS1_11comp_targetILNS1_3genE4ELNS1_11target_archE910ELNS1_3gpuE8ELNS1_3repE0EEENS1_30default_config_static_selectorELNS0_4arch9wavefront6targetE1EEEvT1_.uses_vcc, 0
	.set _ZN7rocprim17ROCPRIM_400000_NS6detail17trampoline_kernelINS0_14default_configENS1_25partition_config_selectorILNS1_17partition_subalgoE8EtNS0_10empty_typeEbEEZZNS1_14partition_implILS5_8ELb0ES3_jN6thrust23THRUST_200600_302600_NS6detail15normal_iteratorINSA_10device_ptrItEEEEPS6_PKS6_NS0_5tupleIJSF_S6_EEENSJ_IJSG_SG_EEENS0_18inequality_wrapperINSA_8equal_toItEEEEPmJS6_EEE10hipError_tPvRmT3_T4_T5_T6_T7_T9_mT8_P12ihipStream_tbDpT10_ENKUlT_T0_E_clISt17integral_constantIbLb0EES1A_EEDaS15_S16_EUlS15_E_NS1_11comp_targetILNS1_3genE4ELNS1_11target_archE910ELNS1_3gpuE8ELNS1_3repE0EEENS1_30default_config_static_selectorELNS0_4arch9wavefront6targetE1EEEvT1_.uses_flat_scratch, 0
	.set _ZN7rocprim17ROCPRIM_400000_NS6detail17trampoline_kernelINS0_14default_configENS1_25partition_config_selectorILNS1_17partition_subalgoE8EtNS0_10empty_typeEbEEZZNS1_14partition_implILS5_8ELb0ES3_jN6thrust23THRUST_200600_302600_NS6detail15normal_iteratorINSA_10device_ptrItEEEEPS6_PKS6_NS0_5tupleIJSF_S6_EEENSJ_IJSG_SG_EEENS0_18inequality_wrapperINSA_8equal_toItEEEEPmJS6_EEE10hipError_tPvRmT3_T4_T5_T6_T7_T9_mT8_P12ihipStream_tbDpT10_ENKUlT_T0_E_clISt17integral_constantIbLb0EES1A_EEDaS15_S16_EUlS15_E_NS1_11comp_targetILNS1_3genE4ELNS1_11target_archE910ELNS1_3gpuE8ELNS1_3repE0EEENS1_30default_config_static_selectorELNS0_4arch9wavefront6targetE1EEEvT1_.has_dyn_sized_stack, 0
	.set _ZN7rocprim17ROCPRIM_400000_NS6detail17trampoline_kernelINS0_14default_configENS1_25partition_config_selectorILNS1_17partition_subalgoE8EtNS0_10empty_typeEbEEZZNS1_14partition_implILS5_8ELb0ES3_jN6thrust23THRUST_200600_302600_NS6detail15normal_iteratorINSA_10device_ptrItEEEEPS6_PKS6_NS0_5tupleIJSF_S6_EEENSJ_IJSG_SG_EEENS0_18inequality_wrapperINSA_8equal_toItEEEEPmJS6_EEE10hipError_tPvRmT3_T4_T5_T6_T7_T9_mT8_P12ihipStream_tbDpT10_ENKUlT_T0_E_clISt17integral_constantIbLb0EES1A_EEDaS15_S16_EUlS15_E_NS1_11comp_targetILNS1_3genE4ELNS1_11target_archE910ELNS1_3gpuE8ELNS1_3repE0EEENS1_30default_config_static_selectorELNS0_4arch9wavefront6targetE1EEEvT1_.has_recursion, 0
	.set _ZN7rocprim17ROCPRIM_400000_NS6detail17trampoline_kernelINS0_14default_configENS1_25partition_config_selectorILNS1_17partition_subalgoE8EtNS0_10empty_typeEbEEZZNS1_14partition_implILS5_8ELb0ES3_jN6thrust23THRUST_200600_302600_NS6detail15normal_iteratorINSA_10device_ptrItEEEEPS6_PKS6_NS0_5tupleIJSF_S6_EEENSJ_IJSG_SG_EEENS0_18inequality_wrapperINSA_8equal_toItEEEEPmJS6_EEE10hipError_tPvRmT3_T4_T5_T6_T7_T9_mT8_P12ihipStream_tbDpT10_ENKUlT_T0_E_clISt17integral_constantIbLb0EES1A_EEDaS15_S16_EUlS15_E_NS1_11comp_targetILNS1_3genE4ELNS1_11target_archE910ELNS1_3gpuE8ELNS1_3repE0EEENS1_30default_config_static_selectorELNS0_4arch9wavefront6targetE1EEEvT1_.has_indirect_call, 0
	.section	.AMDGPU.csdata,"",@progbits
; Kernel info:
; codeLenInByte = 0
; TotalNumSgprs: 4
; NumVgprs: 0
; ScratchSize: 0
; MemoryBound: 0
; FloatMode: 240
; IeeeMode: 1
; LDSByteSize: 0 bytes/workgroup (compile time only)
; SGPRBlocks: 0
; VGPRBlocks: 0
; NumSGPRsForWavesPerEU: 4
; NumVGPRsForWavesPerEU: 1
; Occupancy: 10
; WaveLimiterHint : 0
; COMPUTE_PGM_RSRC2:SCRATCH_EN: 0
; COMPUTE_PGM_RSRC2:USER_SGPR: 6
; COMPUTE_PGM_RSRC2:TRAP_HANDLER: 0
; COMPUTE_PGM_RSRC2:TGID_X_EN: 1
; COMPUTE_PGM_RSRC2:TGID_Y_EN: 0
; COMPUTE_PGM_RSRC2:TGID_Z_EN: 0
; COMPUTE_PGM_RSRC2:TIDIG_COMP_CNT: 0
	.section	.text._ZN7rocprim17ROCPRIM_400000_NS6detail17trampoline_kernelINS0_14default_configENS1_25partition_config_selectorILNS1_17partition_subalgoE8EtNS0_10empty_typeEbEEZZNS1_14partition_implILS5_8ELb0ES3_jN6thrust23THRUST_200600_302600_NS6detail15normal_iteratorINSA_10device_ptrItEEEEPS6_PKS6_NS0_5tupleIJSF_S6_EEENSJ_IJSG_SG_EEENS0_18inequality_wrapperINSA_8equal_toItEEEEPmJS6_EEE10hipError_tPvRmT3_T4_T5_T6_T7_T9_mT8_P12ihipStream_tbDpT10_ENKUlT_T0_E_clISt17integral_constantIbLb0EES1A_EEDaS15_S16_EUlS15_E_NS1_11comp_targetILNS1_3genE3ELNS1_11target_archE908ELNS1_3gpuE7ELNS1_3repE0EEENS1_30default_config_static_selectorELNS0_4arch9wavefront6targetE1EEEvT1_,"axG",@progbits,_ZN7rocprim17ROCPRIM_400000_NS6detail17trampoline_kernelINS0_14default_configENS1_25partition_config_selectorILNS1_17partition_subalgoE8EtNS0_10empty_typeEbEEZZNS1_14partition_implILS5_8ELb0ES3_jN6thrust23THRUST_200600_302600_NS6detail15normal_iteratorINSA_10device_ptrItEEEEPS6_PKS6_NS0_5tupleIJSF_S6_EEENSJ_IJSG_SG_EEENS0_18inequality_wrapperINSA_8equal_toItEEEEPmJS6_EEE10hipError_tPvRmT3_T4_T5_T6_T7_T9_mT8_P12ihipStream_tbDpT10_ENKUlT_T0_E_clISt17integral_constantIbLb0EES1A_EEDaS15_S16_EUlS15_E_NS1_11comp_targetILNS1_3genE3ELNS1_11target_archE908ELNS1_3gpuE7ELNS1_3repE0EEENS1_30default_config_static_selectorELNS0_4arch9wavefront6targetE1EEEvT1_,comdat
	.protected	_ZN7rocprim17ROCPRIM_400000_NS6detail17trampoline_kernelINS0_14default_configENS1_25partition_config_selectorILNS1_17partition_subalgoE8EtNS0_10empty_typeEbEEZZNS1_14partition_implILS5_8ELb0ES3_jN6thrust23THRUST_200600_302600_NS6detail15normal_iteratorINSA_10device_ptrItEEEEPS6_PKS6_NS0_5tupleIJSF_S6_EEENSJ_IJSG_SG_EEENS0_18inequality_wrapperINSA_8equal_toItEEEEPmJS6_EEE10hipError_tPvRmT3_T4_T5_T6_T7_T9_mT8_P12ihipStream_tbDpT10_ENKUlT_T0_E_clISt17integral_constantIbLb0EES1A_EEDaS15_S16_EUlS15_E_NS1_11comp_targetILNS1_3genE3ELNS1_11target_archE908ELNS1_3gpuE7ELNS1_3repE0EEENS1_30default_config_static_selectorELNS0_4arch9wavefront6targetE1EEEvT1_ ; -- Begin function _ZN7rocprim17ROCPRIM_400000_NS6detail17trampoline_kernelINS0_14default_configENS1_25partition_config_selectorILNS1_17partition_subalgoE8EtNS0_10empty_typeEbEEZZNS1_14partition_implILS5_8ELb0ES3_jN6thrust23THRUST_200600_302600_NS6detail15normal_iteratorINSA_10device_ptrItEEEEPS6_PKS6_NS0_5tupleIJSF_S6_EEENSJ_IJSG_SG_EEENS0_18inequality_wrapperINSA_8equal_toItEEEEPmJS6_EEE10hipError_tPvRmT3_T4_T5_T6_T7_T9_mT8_P12ihipStream_tbDpT10_ENKUlT_T0_E_clISt17integral_constantIbLb0EES1A_EEDaS15_S16_EUlS15_E_NS1_11comp_targetILNS1_3genE3ELNS1_11target_archE908ELNS1_3gpuE7ELNS1_3repE0EEENS1_30default_config_static_selectorELNS0_4arch9wavefront6targetE1EEEvT1_
	.globl	_ZN7rocprim17ROCPRIM_400000_NS6detail17trampoline_kernelINS0_14default_configENS1_25partition_config_selectorILNS1_17partition_subalgoE8EtNS0_10empty_typeEbEEZZNS1_14partition_implILS5_8ELb0ES3_jN6thrust23THRUST_200600_302600_NS6detail15normal_iteratorINSA_10device_ptrItEEEEPS6_PKS6_NS0_5tupleIJSF_S6_EEENSJ_IJSG_SG_EEENS0_18inequality_wrapperINSA_8equal_toItEEEEPmJS6_EEE10hipError_tPvRmT3_T4_T5_T6_T7_T9_mT8_P12ihipStream_tbDpT10_ENKUlT_T0_E_clISt17integral_constantIbLb0EES1A_EEDaS15_S16_EUlS15_E_NS1_11comp_targetILNS1_3genE3ELNS1_11target_archE908ELNS1_3gpuE7ELNS1_3repE0EEENS1_30default_config_static_selectorELNS0_4arch9wavefront6targetE1EEEvT1_
	.p2align	8
	.type	_ZN7rocprim17ROCPRIM_400000_NS6detail17trampoline_kernelINS0_14default_configENS1_25partition_config_selectorILNS1_17partition_subalgoE8EtNS0_10empty_typeEbEEZZNS1_14partition_implILS5_8ELb0ES3_jN6thrust23THRUST_200600_302600_NS6detail15normal_iteratorINSA_10device_ptrItEEEEPS6_PKS6_NS0_5tupleIJSF_S6_EEENSJ_IJSG_SG_EEENS0_18inequality_wrapperINSA_8equal_toItEEEEPmJS6_EEE10hipError_tPvRmT3_T4_T5_T6_T7_T9_mT8_P12ihipStream_tbDpT10_ENKUlT_T0_E_clISt17integral_constantIbLb0EES1A_EEDaS15_S16_EUlS15_E_NS1_11comp_targetILNS1_3genE3ELNS1_11target_archE908ELNS1_3gpuE7ELNS1_3repE0EEENS1_30default_config_static_selectorELNS0_4arch9wavefront6targetE1EEEvT1_,@function
_ZN7rocprim17ROCPRIM_400000_NS6detail17trampoline_kernelINS0_14default_configENS1_25partition_config_selectorILNS1_17partition_subalgoE8EtNS0_10empty_typeEbEEZZNS1_14partition_implILS5_8ELb0ES3_jN6thrust23THRUST_200600_302600_NS6detail15normal_iteratorINSA_10device_ptrItEEEEPS6_PKS6_NS0_5tupleIJSF_S6_EEENSJ_IJSG_SG_EEENS0_18inequality_wrapperINSA_8equal_toItEEEEPmJS6_EEE10hipError_tPvRmT3_T4_T5_T6_T7_T9_mT8_P12ihipStream_tbDpT10_ENKUlT_T0_E_clISt17integral_constantIbLb0EES1A_EEDaS15_S16_EUlS15_E_NS1_11comp_targetILNS1_3genE3ELNS1_11target_archE908ELNS1_3gpuE7ELNS1_3repE0EEENS1_30default_config_static_selectorELNS0_4arch9wavefront6targetE1EEEvT1_: ; @_ZN7rocprim17ROCPRIM_400000_NS6detail17trampoline_kernelINS0_14default_configENS1_25partition_config_selectorILNS1_17partition_subalgoE8EtNS0_10empty_typeEbEEZZNS1_14partition_implILS5_8ELb0ES3_jN6thrust23THRUST_200600_302600_NS6detail15normal_iteratorINSA_10device_ptrItEEEEPS6_PKS6_NS0_5tupleIJSF_S6_EEENSJ_IJSG_SG_EEENS0_18inequality_wrapperINSA_8equal_toItEEEEPmJS6_EEE10hipError_tPvRmT3_T4_T5_T6_T7_T9_mT8_P12ihipStream_tbDpT10_ENKUlT_T0_E_clISt17integral_constantIbLb0EES1A_EEDaS15_S16_EUlS15_E_NS1_11comp_targetILNS1_3genE3ELNS1_11target_archE908ELNS1_3gpuE7ELNS1_3repE0EEENS1_30default_config_static_selectorELNS0_4arch9wavefront6targetE1EEEvT1_
; %bb.0:
	.section	.rodata,"a",@progbits
	.p2align	6, 0x0
	.amdhsa_kernel _ZN7rocprim17ROCPRIM_400000_NS6detail17trampoline_kernelINS0_14default_configENS1_25partition_config_selectorILNS1_17partition_subalgoE8EtNS0_10empty_typeEbEEZZNS1_14partition_implILS5_8ELb0ES3_jN6thrust23THRUST_200600_302600_NS6detail15normal_iteratorINSA_10device_ptrItEEEEPS6_PKS6_NS0_5tupleIJSF_S6_EEENSJ_IJSG_SG_EEENS0_18inequality_wrapperINSA_8equal_toItEEEEPmJS6_EEE10hipError_tPvRmT3_T4_T5_T6_T7_T9_mT8_P12ihipStream_tbDpT10_ENKUlT_T0_E_clISt17integral_constantIbLb0EES1A_EEDaS15_S16_EUlS15_E_NS1_11comp_targetILNS1_3genE3ELNS1_11target_archE908ELNS1_3gpuE7ELNS1_3repE0EEENS1_30default_config_static_selectorELNS0_4arch9wavefront6targetE1EEEvT1_
		.amdhsa_group_segment_fixed_size 0
		.amdhsa_private_segment_fixed_size 0
		.amdhsa_kernarg_size 112
		.amdhsa_user_sgpr_count 6
		.amdhsa_user_sgpr_private_segment_buffer 1
		.amdhsa_user_sgpr_dispatch_ptr 0
		.amdhsa_user_sgpr_queue_ptr 0
		.amdhsa_user_sgpr_kernarg_segment_ptr 1
		.amdhsa_user_sgpr_dispatch_id 0
		.amdhsa_user_sgpr_flat_scratch_init 0
		.amdhsa_user_sgpr_private_segment_size 0
		.amdhsa_uses_dynamic_stack 0
		.amdhsa_system_sgpr_private_segment_wavefront_offset 0
		.amdhsa_system_sgpr_workgroup_id_x 1
		.amdhsa_system_sgpr_workgroup_id_y 0
		.amdhsa_system_sgpr_workgroup_id_z 0
		.amdhsa_system_sgpr_workgroup_info 0
		.amdhsa_system_vgpr_workitem_id 0
		.amdhsa_next_free_vgpr 1
		.amdhsa_next_free_sgpr 0
		.amdhsa_reserve_vcc 0
		.amdhsa_reserve_flat_scratch 0
		.amdhsa_float_round_mode_32 0
		.amdhsa_float_round_mode_16_64 0
		.amdhsa_float_denorm_mode_32 3
		.amdhsa_float_denorm_mode_16_64 3
		.amdhsa_dx10_clamp 1
		.amdhsa_ieee_mode 1
		.amdhsa_fp16_overflow 0
		.amdhsa_exception_fp_ieee_invalid_op 0
		.amdhsa_exception_fp_denorm_src 0
		.amdhsa_exception_fp_ieee_div_zero 0
		.amdhsa_exception_fp_ieee_overflow 0
		.amdhsa_exception_fp_ieee_underflow 0
		.amdhsa_exception_fp_ieee_inexact 0
		.amdhsa_exception_int_div_zero 0
	.end_amdhsa_kernel
	.section	.text._ZN7rocprim17ROCPRIM_400000_NS6detail17trampoline_kernelINS0_14default_configENS1_25partition_config_selectorILNS1_17partition_subalgoE8EtNS0_10empty_typeEbEEZZNS1_14partition_implILS5_8ELb0ES3_jN6thrust23THRUST_200600_302600_NS6detail15normal_iteratorINSA_10device_ptrItEEEEPS6_PKS6_NS0_5tupleIJSF_S6_EEENSJ_IJSG_SG_EEENS0_18inequality_wrapperINSA_8equal_toItEEEEPmJS6_EEE10hipError_tPvRmT3_T4_T5_T6_T7_T9_mT8_P12ihipStream_tbDpT10_ENKUlT_T0_E_clISt17integral_constantIbLb0EES1A_EEDaS15_S16_EUlS15_E_NS1_11comp_targetILNS1_3genE3ELNS1_11target_archE908ELNS1_3gpuE7ELNS1_3repE0EEENS1_30default_config_static_selectorELNS0_4arch9wavefront6targetE1EEEvT1_,"axG",@progbits,_ZN7rocprim17ROCPRIM_400000_NS6detail17trampoline_kernelINS0_14default_configENS1_25partition_config_selectorILNS1_17partition_subalgoE8EtNS0_10empty_typeEbEEZZNS1_14partition_implILS5_8ELb0ES3_jN6thrust23THRUST_200600_302600_NS6detail15normal_iteratorINSA_10device_ptrItEEEEPS6_PKS6_NS0_5tupleIJSF_S6_EEENSJ_IJSG_SG_EEENS0_18inequality_wrapperINSA_8equal_toItEEEEPmJS6_EEE10hipError_tPvRmT3_T4_T5_T6_T7_T9_mT8_P12ihipStream_tbDpT10_ENKUlT_T0_E_clISt17integral_constantIbLb0EES1A_EEDaS15_S16_EUlS15_E_NS1_11comp_targetILNS1_3genE3ELNS1_11target_archE908ELNS1_3gpuE7ELNS1_3repE0EEENS1_30default_config_static_selectorELNS0_4arch9wavefront6targetE1EEEvT1_,comdat
.Lfunc_end278:
	.size	_ZN7rocprim17ROCPRIM_400000_NS6detail17trampoline_kernelINS0_14default_configENS1_25partition_config_selectorILNS1_17partition_subalgoE8EtNS0_10empty_typeEbEEZZNS1_14partition_implILS5_8ELb0ES3_jN6thrust23THRUST_200600_302600_NS6detail15normal_iteratorINSA_10device_ptrItEEEEPS6_PKS6_NS0_5tupleIJSF_S6_EEENSJ_IJSG_SG_EEENS0_18inequality_wrapperINSA_8equal_toItEEEEPmJS6_EEE10hipError_tPvRmT3_T4_T5_T6_T7_T9_mT8_P12ihipStream_tbDpT10_ENKUlT_T0_E_clISt17integral_constantIbLb0EES1A_EEDaS15_S16_EUlS15_E_NS1_11comp_targetILNS1_3genE3ELNS1_11target_archE908ELNS1_3gpuE7ELNS1_3repE0EEENS1_30default_config_static_selectorELNS0_4arch9wavefront6targetE1EEEvT1_, .Lfunc_end278-_ZN7rocprim17ROCPRIM_400000_NS6detail17trampoline_kernelINS0_14default_configENS1_25partition_config_selectorILNS1_17partition_subalgoE8EtNS0_10empty_typeEbEEZZNS1_14partition_implILS5_8ELb0ES3_jN6thrust23THRUST_200600_302600_NS6detail15normal_iteratorINSA_10device_ptrItEEEEPS6_PKS6_NS0_5tupleIJSF_S6_EEENSJ_IJSG_SG_EEENS0_18inequality_wrapperINSA_8equal_toItEEEEPmJS6_EEE10hipError_tPvRmT3_T4_T5_T6_T7_T9_mT8_P12ihipStream_tbDpT10_ENKUlT_T0_E_clISt17integral_constantIbLb0EES1A_EEDaS15_S16_EUlS15_E_NS1_11comp_targetILNS1_3genE3ELNS1_11target_archE908ELNS1_3gpuE7ELNS1_3repE0EEENS1_30default_config_static_selectorELNS0_4arch9wavefront6targetE1EEEvT1_
                                        ; -- End function
	.set _ZN7rocprim17ROCPRIM_400000_NS6detail17trampoline_kernelINS0_14default_configENS1_25partition_config_selectorILNS1_17partition_subalgoE8EtNS0_10empty_typeEbEEZZNS1_14partition_implILS5_8ELb0ES3_jN6thrust23THRUST_200600_302600_NS6detail15normal_iteratorINSA_10device_ptrItEEEEPS6_PKS6_NS0_5tupleIJSF_S6_EEENSJ_IJSG_SG_EEENS0_18inequality_wrapperINSA_8equal_toItEEEEPmJS6_EEE10hipError_tPvRmT3_T4_T5_T6_T7_T9_mT8_P12ihipStream_tbDpT10_ENKUlT_T0_E_clISt17integral_constantIbLb0EES1A_EEDaS15_S16_EUlS15_E_NS1_11comp_targetILNS1_3genE3ELNS1_11target_archE908ELNS1_3gpuE7ELNS1_3repE0EEENS1_30default_config_static_selectorELNS0_4arch9wavefront6targetE1EEEvT1_.num_vgpr, 0
	.set _ZN7rocprim17ROCPRIM_400000_NS6detail17trampoline_kernelINS0_14default_configENS1_25partition_config_selectorILNS1_17partition_subalgoE8EtNS0_10empty_typeEbEEZZNS1_14partition_implILS5_8ELb0ES3_jN6thrust23THRUST_200600_302600_NS6detail15normal_iteratorINSA_10device_ptrItEEEEPS6_PKS6_NS0_5tupleIJSF_S6_EEENSJ_IJSG_SG_EEENS0_18inequality_wrapperINSA_8equal_toItEEEEPmJS6_EEE10hipError_tPvRmT3_T4_T5_T6_T7_T9_mT8_P12ihipStream_tbDpT10_ENKUlT_T0_E_clISt17integral_constantIbLb0EES1A_EEDaS15_S16_EUlS15_E_NS1_11comp_targetILNS1_3genE3ELNS1_11target_archE908ELNS1_3gpuE7ELNS1_3repE0EEENS1_30default_config_static_selectorELNS0_4arch9wavefront6targetE1EEEvT1_.num_agpr, 0
	.set _ZN7rocprim17ROCPRIM_400000_NS6detail17trampoline_kernelINS0_14default_configENS1_25partition_config_selectorILNS1_17partition_subalgoE8EtNS0_10empty_typeEbEEZZNS1_14partition_implILS5_8ELb0ES3_jN6thrust23THRUST_200600_302600_NS6detail15normal_iteratorINSA_10device_ptrItEEEEPS6_PKS6_NS0_5tupleIJSF_S6_EEENSJ_IJSG_SG_EEENS0_18inequality_wrapperINSA_8equal_toItEEEEPmJS6_EEE10hipError_tPvRmT3_T4_T5_T6_T7_T9_mT8_P12ihipStream_tbDpT10_ENKUlT_T0_E_clISt17integral_constantIbLb0EES1A_EEDaS15_S16_EUlS15_E_NS1_11comp_targetILNS1_3genE3ELNS1_11target_archE908ELNS1_3gpuE7ELNS1_3repE0EEENS1_30default_config_static_selectorELNS0_4arch9wavefront6targetE1EEEvT1_.numbered_sgpr, 0
	.set _ZN7rocprim17ROCPRIM_400000_NS6detail17trampoline_kernelINS0_14default_configENS1_25partition_config_selectorILNS1_17partition_subalgoE8EtNS0_10empty_typeEbEEZZNS1_14partition_implILS5_8ELb0ES3_jN6thrust23THRUST_200600_302600_NS6detail15normal_iteratorINSA_10device_ptrItEEEEPS6_PKS6_NS0_5tupleIJSF_S6_EEENSJ_IJSG_SG_EEENS0_18inequality_wrapperINSA_8equal_toItEEEEPmJS6_EEE10hipError_tPvRmT3_T4_T5_T6_T7_T9_mT8_P12ihipStream_tbDpT10_ENKUlT_T0_E_clISt17integral_constantIbLb0EES1A_EEDaS15_S16_EUlS15_E_NS1_11comp_targetILNS1_3genE3ELNS1_11target_archE908ELNS1_3gpuE7ELNS1_3repE0EEENS1_30default_config_static_selectorELNS0_4arch9wavefront6targetE1EEEvT1_.num_named_barrier, 0
	.set _ZN7rocprim17ROCPRIM_400000_NS6detail17trampoline_kernelINS0_14default_configENS1_25partition_config_selectorILNS1_17partition_subalgoE8EtNS0_10empty_typeEbEEZZNS1_14partition_implILS5_8ELb0ES3_jN6thrust23THRUST_200600_302600_NS6detail15normal_iteratorINSA_10device_ptrItEEEEPS6_PKS6_NS0_5tupleIJSF_S6_EEENSJ_IJSG_SG_EEENS0_18inequality_wrapperINSA_8equal_toItEEEEPmJS6_EEE10hipError_tPvRmT3_T4_T5_T6_T7_T9_mT8_P12ihipStream_tbDpT10_ENKUlT_T0_E_clISt17integral_constantIbLb0EES1A_EEDaS15_S16_EUlS15_E_NS1_11comp_targetILNS1_3genE3ELNS1_11target_archE908ELNS1_3gpuE7ELNS1_3repE0EEENS1_30default_config_static_selectorELNS0_4arch9wavefront6targetE1EEEvT1_.private_seg_size, 0
	.set _ZN7rocprim17ROCPRIM_400000_NS6detail17trampoline_kernelINS0_14default_configENS1_25partition_config_selectorILNS1_17partition_subalgoE8EtNS0_10empty_typeEbEEZZNS1_14partition_implILS5_8ELb0ES3_jN6thrust23THRUST_200600_302600_NS6detail15normal_iteratorINSA_10device_ptrItEEEEPS6_PKS6_NS0_5tupleIJSF_S6_EEENSJ_IJSG_SG_EEENS0_18inequality_wrapperINSA_8equal_toItEEEEPmJS6_EEE10hipError_tPvRmT3_T4_T5_T6_T7_T9_mT8_P12ihipStream_tbDpT10_ENKUlT_T0_E_clISt17integral_constantIbLb0EES1A_EEDaS15_S16_EUlS15_E_NS1_11comp_targetILNS1_3genE3ELNS1_11target_archE908ELNS1_3gpuE7ELNS1_3repE0EEENS1_30default_config_static_selectorELNS0_4arch9wavefront6targetE1EEEvT1_.uses_vcc, 0
	.set _ZN7rocprim17ROCPRIM_400000_NS6detail17trampoline_kernelINS0_14default_configENS1_25partition_config_selectorILNS1_17partition_subalgoE8EtNS0_10empty_typeEbEEZZNS1_14partition_implILS5_8ELb0ES3_jN6thrust23THRUST_200600_302600_NS6detail15normal_iteratorINSA_10device_ptrItEEEEPS6_PKS6_NS0_5tupleIJSF_S6_EEENSJ_IJSG_SG_EEENS0_18inequality_wrapperINSA_8equal_toItEEEEPmJS6_EEE10hipError_tPvRmT3_T4_T5_T6_T7_T9_mT8_P12ihipStream_tbDpT10_ENKUlT_T0_E_clISt17integral_constantIbLb0EES1A_EEDaS15_S16_EUlS15_E_NS1_11comp_targetILNS1_3genE3ELNS1_11target_archE908ELNS1_3gpuE7ELNS1_3repE0EEENS1_30default_config_static_selectorELNS0_4arch9wavefront6targetE1EEEvT1_.uses_flat_scratch, 0
	.set _ZN7rocprim17ROCPRIM_400000_NS6detail17trampoline_kernelINS0_14default_configENS1_25partition_config_selectorILNS1_17partition_subalgoE8EtNS0_10empty_typeEbEEZZNS1_14partition_implILS5_8ELb0ES3_jN6thrust23THRUST_200600_302600_NS6detail15normal_iteratorINSA_10device_ptrItEEEEPS6_PKS6_NS0_5tupleIJSF_S6_EEENSJ_IJSG_SG_EEENS0_18inequality_wrapperINSA_8equal_toItEEEEPmJS6_EEE10hipError_tPvRmT3_T4_T5_T6_T7_T9_mT8_P12ihipStream_tbDpT10_ENKUlT_T0_E_clISt17integral_constantIbLb0EES1A_EEDaS15_S16_EUlS15_E_NS1_11comp_targetILNS1_3genE3ELNS1_11target_archE908ELNS1_3gpuE7ELNS1_3repE0EEENS1_30default_config_static_selectorELNS0_4arch9wavefront6targetE1EEEvT1_.has_dyn_sized_stack, 0
	.set _ZN7rocprim17ROCPRIM_400000_NS6detail17trampoline_kernelINS0_14default_configENS1_25partition_config_selectorILNS1_17partition_subalgoE8EtNS0_10empty_typeEbEEZZNS1_14partition_implILS5_8ELb0ES3_jN6thrust23THRUST_200600_302600_NS6detail15normal_iteratorINSA_10device_ptrItEEEEPS6_PKS6_NS0_5tupleIJSF_S6_EEENSJ_IJSG_SG_EEENS0_18inequality_wrapperINSA_8equal_toItEEEEPmJS6_EEE10hipError_tPvRmT3_T4_T5_T6_T7_T9_mT8_P12ihipStream_tbDpT10_ENKUlT_T0_E_clISt17integral_constantIbLb0EES1A_EEDaS15_S16_EUlS15_E_NS1_11comp_targetILNS1_3genE3ELNS1_11target_archE908ELNS1_3gpuE7ELNS1_3repE0EEENS1_30default_config_static_selectorELNS0_4arch9wavefront6targetE1EEEvT1_.has_recursion, 0
	.set _ZN7rocprim17ROCPRIM_400000_NS6detail17trampoline_kernelINS0_14default_configENS1_25partition_config_selectorILNS1_17partition_subalgoE8EtNS0_10empty_typeEbEEZZNS1_14partition_implILS5_8ELb0ES3_jN6thrust23THRUST_200600_302600_NS6detail15normal_iteratorINSA_10device_ptrItEEEEPS6_PKS6_NS0_5tupleIJSF_S6_EEENSJ_IJSG_SG_EEENS0_18inequality_wrapperINSA_8equal_toItEEEEPmJS6_EEE10hipError_tPvRmT3_T4_T5_T6_T7_T9_mT8_P12ihipStream_tbDpT10_ENKUlT_T0_E_clISt17integral_constantIbLb0EES1A_EEDaS15_S16_EUlS15_E_NS1_11comp_targetILNS1_3genE3ELNS1_11target_archE908ELNS1_3gpuE7ELNS1_3repE0EEENS1_30default_config_static_selectorELNS0_4arch9wavefront6targetE1EEEvT1_.has_indirect_call, 0
	.section	.AMDGPU.csdata,"",@progbits
; Kernel info:
; codeLenInByte = 0
; TotalNumSgprs: 4
; NumVgprs: 0
; ScratchSize: 0
; MemoryBound: 0
; FloatMode: 240
; IeeeMode: 1
; LDSByteSize: 0 bytes/workgroup (compile time only)
; SGPRBlocks: 0
; VGPRBlocks: 0
; NumSGPRsForWavesPerEU: 4
; NumVGPRsForWavesPerEU: 1
; Occupancy: 10
; WaveLimiterHint : 0
; COMPUTE_PGM_RSRC2:SCRATCH_EN: 0
; COMPUTE_PGM_RSRC2:USER_SGPR: 6
; COMPUTE_PGM_RSRC2:TRAP_HANDLER: 0
; COMPUTE_PGM_RSRC2:TGID_X_EN: 1
; COMPUTE_PGM_RSRC2:TGID_Y_EN: 0
; COMPUTE_PGM_RSRC2:TGID_Z_EN: 0
; COMPUTE_PGM_RSRC2:TIDIG_COMP_CNT: 0
	.section	.text._ZN7rocprim17ROCPRIM_400000_NS6detail17trampoline_kernelINS0_14default_configENS1_25partition_config_selectorILNS1_17partition_subalgoE8EtNS0_10empty_typeEbEEZZNS1_14partition_implILS5_8ELb0ES3_jN6thrust23THRUST_200600_302600_NS6detail15normal_iteratorINSA_10device_ptrItEEEEPS6_PKS6_NS0_5tupleIJSF_S6_EEENSJ_IJSG_SG_EEENS0_18inequality_wrapperINSA_8equal_toItEEEEPmJS6_EEE10hipError_tPvRmT3_T4_T5_T6_T7_T9_mT8_P12ihipStream_tbDpT10_ENKUlT_T0_E_clISt17integral_constantIbLb0EES1A_EEDaS15_S16_EUlS15_E_NS1_11comp_targetILNS1_3genE2ELNS1_11target_archE906ELNS1_3gpuE6ELNS1_3repE0EEENS1_30default_config_static_selectorELNS0_4arch9wavefront6targetE1EEEvT1_,"axG",@progbits,_ZN7rocprim17ROCPRIM_400000_NS6detail17trampoline_kernelINS0_14default_configENS1_25partition_config_selectorILNS1_17partition_subalgoE8EtNS0_10empty_typeEbEEZZNS1_14partition_implILS5_8ELb0ES3_jN6thrust23THRUST_200600_302600_NS6detail15normal_iteratorINSA_10device_ptrItEEEEPS6_PKS6_NS0_5tupleIJSF_S6_EEENSJ_IJSG_SG_EEENS0_18inequality_wrapperINSA_8equal_toItEEEEPmJS6_EEE10hipError_tPvRmT3_T4_T5_T6_T7_T9_mT8_P12ihipStream_tbDpT10_ENKUlT_T0_E_clISt17integral_constantIbLb0EES1A_EEDaS15_S16_EUlS15_E_NS1_11comp_targetILNS1_3genE2ELNS1_11target_archE906ELNS1_3gpuE6ELNS1_3repE0EEENS1_30default_config_static_selectorELNS0_4arch9wavefront6targetE1EEEvT1_,comdat
	.protected	_ZN7rocprim17ROCPRIM_400000_NS6detail17trampoline_kernelINS0_14default_configENS1_25partition_config_selectorILNS1_17partition_subalgoE8EtNS0_10empty_typeEbEEZZNS1_14partition_implILS5_8ELb0ES3_jN6thrust23THRUST_200600_302600_NS6detail15normal_iteratorINSA_10device_ptrItEEEEPS6_PKS6_NS0_5tupleIJSF_S6_EEENSJ_IJSG_SG_EEENS0_18inequality_wrapperINSA_8equal_toItEEEEPmJS6_EEE10hipError_tPvRmT3_T4_T5_T6_T7_T9_mT8_P12ihipStream_tbDpT10_ENKUlT_T0_E_clISt17integral_constantIbLb0EES1A_EEDaS15_S16_EUlS15_E_NS1_11comp_targetILNS1_3genE2ELNS1_11target_archE906ELNS1_3gpuE6ELNS1_3repE0EEENS1_30default_config_static_selectorELNS0_4arch9wavefront6targetE1EEEvT1_ ; -- Begin function _ZN7rocprim17ROCPRIM_400000_NS6detail17trampoline_kernelINS0_14default_configENS1_25partition_config_selectorILNS1_17partition_subalgoE8EtNS0_10empty_typeEbEEZZNS1_14partition_implILS5_8ELb0ES3_jN6thrust23THRUST_200600_302600_NS6detail15normal_iteratorINSA_10device_ptrItEEEEPS6_PKS6_NS0_5tupleIJSF_S6_EEENSJ_IJSG_SG_EEENS0_18inequality_wrapperINSA_8equal_toItEEEEPmJS6_EEE10hipError_tPvRmT3_T4_T5_T6_T7_T9_mT8_P12ihipStream_tbDpT10_ENKUlT_T0_E_clISt17integral_constantIbLb0EES1A_EEDaS15_S16_EUlS15_E_NS1_11comp_targetILNS1_3genE2ELNS1_11target_archE906ELNS1_3gpuE6ELNS1_3repE0EEENS1_30default_config_static_selectorELNS0_4arch9wavefront6targetE1EEEvT1_
	.globl	_ZN7rocprim17ROCPRIM_400000_NS6detail17trampoline_kernelINS0_14default_configENS1_25partition_config_selectorILNS1_17partition_subalgoE8EtNS0_10empty_typeEbEEZZNS1_14partition_implILS5_8ELb0ES3_jN6thrust23THRUST_200600_302600_NS6detail15normal_iteratorINSA_10device_ptrItEEEEPS6_PKS6_NS0_5tupleIJSF_S6_EEENSJ_IJSG_SG_EEENS0_18inequality_wrapperINSA_8equal_toItEEEEPmJS6_EEE10hipError_tPvRmT3_T4_T5_T6_T7_T9_mT8_P12ihipStream_tbDpT10_ENKUlT_T0_E_clISt17integral_constantIbLb0EES1A_EEDaS15_S16_EUlS15_E_NS1_11comp_targetILNS1_3genE2ELNS1_11target_archE906ELNS1_3gpuE6ELNS1_3repE0EEENS1_30default_config_static_selectorELNS0_4arch9wavefront6targetE1EEEvT1_
	.p2align	8
	.type	_ZN7rocprim17ROCPRIM_400000_NS6detail17trampoline_kernelINS0_14default_configENS1_25partition_config_selectorILNS1_17partition_subalgoE8EtNS0_10empty_typeEbEEZZNS1_14partition_implILS5_8ELb0ES3_jN6thrust23THRUST_200600_302600_NS6detail15normal_iteratorINSA_10device_ptrItEEEEPS6_PKS6_NS0_5tupleIJSF_S6_EEENSJ_IJSG_SG_EEENS0_18inequality_wrapperINSA_8equal_toItEEEEPmJS6_EEE10hipError_tPvRmT3_T4_T5_T6_T7_T9_mT8_P12ihipStream_tbDpT10_ENKUlT_T0_E_clISt17integral_constantIbLb0EES1A_EEDaS15_S16_EUlS15_E_NS1_11comp_targetILNS1_3genE2ELNS1_11target_archE906ELNS1_3gpuE6ELNS1_3repE0EEENS1_30default_config_static_selectorELNS0_4arch9wavefront6targetE1EEEvT1_,@function
_ZN7rocprim17ROCPRIM_400000_NS6detail17trampoline_kernelINS0_14default_configENS1_25partition_config_selectorILNS1_17partition_subalgoE8EtNS0_10empty_typeEbEEZZNS1_14partition_implILS5_8ELb0ES3_jN6thrust23THRUST_200600_302600_NS6detail15normal_iteratorINSA_10device_ptrItEEEEPS6_PKS6_NS0_5tupleIJSF_S6_EEENSJ_IJSG_SG_EEENS0_18inequality_wrapperINSA_8equal_toItEEEEPmJS6_EEE10hipError_tPvRmT3_T4_T5_T6_T7_T9_mT8_P12ihipStream_tbDpT10_ENKUlT_T0_E_clISt17integral_constantIbLb0EES1A_EEDaS15_S16_EUlS15_E_NS1_11comp_targetILNS1_3genE2ELNS1_11target_archE906ELNS1_3gpuE6ELNS1_3repE0EEENS1_30default_config_static_selectorELNS0_4arch9wavefront6targetE1EEEvT1_: ; @_ZN7rocprim17ROCPRIM_400000_NS6detail17trampoline_kernelINS0_14default_configENS1_25partition_config_selectorILNS1_17partition_subalgoE8EtNS0_10empty_typeEbEEZZNS1_14partition_implILS5_8ELb0ES3_jN6thrust23THRUST_200600_302600_NS6detail15normal_iteratorINSA_10device_ptrItEEEEPS6_PKS6_NS0_5tupleIJSF_S6_EEENSJ_IJSG_SG_EEENS0_18inequality_wrapperINSA_8equal_toItEEEEPmJS6_EEE10hipError_tPvRmT3_T4_T5_T6_T7_T9_mT8_P12ihipStream_tbDpT10_ENKUlT_T0_E_clISt17integral_constantIbLb0EES1A_EEDaS15_S16_EUlS15_E_NS1_11comp_targetILNS1_3genE2ELNS1_11target_archE906ELNS1_3gpuE6ELNS1_3repE0EEENS1_30default_config_static_selectorELNS0_4arch9wavefront6targetE1EEEvT1_
; %bb.0:
	s_load_dwordx4 s[0:3], s[4:5], 0x8
	s_load_dwordx4 s[40:43], s[4:5], 0x40
	s_load_dwordx2 s[8:9], s[4:5], 0x50
	s_load_dword s7, s[4:5], 0x68
	v_lshlrev_b32_e32 v47, 1, v0
	s_waitcnt lgkmcnt(0)
	s_lshl_b64 s[10:11], s[2:3], 1
	s_add_u32 s12, s0, s10
	s_addc_u32 s13, s1, s11
	s_mul_i32 s0, s7, 0xd80
	s_add_i32 s1, s0, s2
	s_add_i32 s14, s7, -1
	s_sub_i32 s7, s8, s1
	s_add_u32 s0, s2, s0
	s_addc_u32 s1, s3, 0
	v_mov_b32_e32 v2, s1
	v_mov_b32_e32 v1, s0
	v_cmp_le_u64_e32 vcc, s[8:9], v[1:2]
	s_cmp_eq_u32 s6, s14
	s_load_dwordx2 s[42:43], s[42:43], 0x0
	s_cselect_b64 s[44:45], -1, 0
	s_mul_i32 s10, s6, 0xd80
	s_mov_b32 s11, 0
	s_and_b64 s[48:49], s[44:45], vcc
	s_xor_b64 s[46:47], s[48:49], -1
	s_lshl_b64 s[8:9], s[10:11], 1
	s_add_u32 s8, s12, s8
	s_mov_b64 s[0:1], -1
	s_addc_u32 s9, s13, s9
	s_and_b64 vcc, exec, s[46:47]
	s_cbranch_vccz .LBB279_2
; %bb.1:
	v_lshlrev_b32_e32 v5, 1, v0
	v_mov_b32_e32 v2, s9
	v_add_co_u32_e32 v1, vcc, s8, v5
	v_addc_co_u32_e32 v2, vcc, 0, v2, vcc
	s_movk_i32 s0, 0x1000
	v_add_co_u32_e32 v3, vcc, s0, v1
	flat_load_ushort v6, v[1:2]
	flat_load_ushort v7, v[1:2] offset:384
	flat_load_ushort v8, v[1:2] offset:768
	;; [unrolled: 1-line block ×7, first 2 shown]
	v_addc_co_u32_e32 v4, vcc, 0, v2, vcc
	flat_load_ushort v14, v[1:2] offset:3072
	flat_load_ushort v15, v[1:2] offset:3456
	;; [unrolled: 1-line block ×10, first 2 shown]
	s_mov_b64 s[0:1], 0
	s_waitcnt vmcnt(0) lgkmcnt(0)
	ds_write_b16 v5, v6
	ds_write_b16 v5, v7 offset:384
	ds_write_b16 v5, v8 offset:768
	;; [unrolled: 1-line block ×17, first 2 shown]
	s_waitcnt lgkmcnt(0)
	s_barrier
.LBB279_2:
	s_andn2_b64 vcc, exec, s[0:1]
	s_addk_i32 s7, 0xd80
	s_cbranch_vccnz .LBB279_40
; %bb.3:
	v_mov_b32_e32 v1, 0
	v_cmp_gt_u32_e32 vcc, s7, v0
	v_mov_b32_e32 v2, v1
	v_mov_b32_e32 v3, v1
	;; [unrolled: 1-line block ×8, first 2 shown]
	s_and_saveexec_b64 s[0:1], vcc
	s_cbranch_execz .LBB279_5
; %bb.4:
	v_lshlrev_b32_e32 v2, 1, v0
	v_mov_b32_e32 v3, s9
	v_add_co_u32_e32 v2, vcc, s8, v2
	v_addc_co_u32_e32 v3, vcc, 0, v3, vcc
	flat_load_ushort v10, v[2:3]
	v_mov_b32_e32 v2, v1
	v_mov_b32_e32 v3, v1
	;; [unrolled: 1-line block ×8, first 2 shown]
	s_waitcnt vmcnt(0) lgkmcnt(0)
	v_and_b32_e32 v1, 0xffff, v10
.LBB279_5:
	s_or_b64 exec, exec, s[0:1]
	v_add_u32_e32 v10, 0xc0, v0
	v_cmp_gt_u32_e32 vcc, s7, v10
	s_and_saveexec_b64 s[0:1], vcc
	s_cbranch_execz .LBB279_7
; %bb.6:
	v_lshlrev_b32_e32 v10, 1, v0
	v_mov_b32_e32 v11, s9
	v_add_co_u32_e32 v10, vcc, s8, v10
	v_addc_co_u32_e32 v11, vcc, 0, v11, vcc
	flat_load_ushort v10, v[10:11] offset:384
	s_mov_b32 s10, 0x5040100
	s_waitcnt vmcnt(0) lgkmcnt(0)
	v_perm_b32 v1, v10, v1, s10
.LBB279_7:
	s_or_b64 exec, exec, s[0:1]
	v_add_u32_e32 v10, 0x180, v0
	v_cmp_gt_u32_e32 vcc, s7, v10
	s_and_saveexec_b64 s[0:1], vcc
	s_cbranch_execz .LBB279_9
; %bb.8:
	v_lshlrev_b32_e32 v10, 1, v0
	v_mov_b32_e32 v11, s9
	v_add_co_u32_e32 v10, vcc, s8, v10
	v_addc_co_u32_e32 v11, vcc, 0, v11, vcc
	flat_load_ushort v10, v[10:11] offset:768
	s_mov_b32 s10, 0xffff
	s_waitcnt vmcnt(0) lgkmcnt(0)
	v_bfi_b32 v2, s10, v10, v2
.LBB279_9:
	s_or_b64 exec, exec, s[0:1]
	v_add_u32_e32 v10, 0x240, v0
	v_cmp_gt_u32_e32 vcc, s7, v10
	s_and_saveexec_b64 s[0:1], vcc
	s_cbranch_execz .LBB279_11
; %bb.10:
	v_lshlrev_b32_e32 v10, 1, v0
	v_mov_b32_e32 v11, s9
	v_add_co_u32_e32 v10, vcc, s8, v10
	v_addc_co_u32_e32 v11, vcc, 0, v11, vcc
	flat_load_ushort v10, v[10:11] offset:1152
	s_mov_b32 s10, 0x5040100
	s_waitcnt vmcnt(0) lgkmcnt(0)
	v_perm_b32 v2, v10, v2, s10
.LBB279_11:
	s_or_b64 exec, exec, s[0:1]
	v_or_b32_e32 v10, 0x300, v0
	v_cmp_gt_u32_e32 vcc, s7, v10
	s_and_saveexec_b64 s[0:1], vcc
	s_cbranch_execz .LBB279_13
; %bb.12:
	v_lshlrev_b32_e32 v10, 1, v0
	v_mov_b32_e32 v11, s9
	v_add_co_u32_e32 v10, vcc, s8, v10
	v_addc_co_u32_e32 v11, vcc, 0, v11, vcc
	flat_load_ushort v10, v[10:11] offset:1536
	s_mov_b32 s10, 0xffff
	s_waitcnt vmcnt(0) lgkmcnt(0)
	v_bfi_b32 v3, s10, v10, v3
.LBB279_13:
	s_or_b64 exec, exec, s[0:1]
	v_add_u32_e32 v10, 0x3c0, v0
	v_cmp_gt_u32_e32 vcc, s7, v10
	s_and_saveexec_b64 s[0:1], vcc
	s_cbranch_execz .LBB279_15
; %bb.14:
	v_lshlrev_b32_e32 v10, 1, v0
	v_mov_b32_e32 v11, s9
	v_add_co_u32_e32 v10, vcc, s8, v10
	v_addc_co_u32_e32 v11, vcc, 0, v11, vcc
	flat_load_ushort v10, v[10:11] offset:1920
	s_mov_b32 s10, 0x5040100
	s_waitcnt vmcnt(0) lgkmcnt(0)
	v_perm_b32 v3, v10, v3, s10
.LBB279_15:
	s_or_b64 exec, exec, s[0:1]
	v_add_u32_e32 v10, 0x480, v0
	v_cmp_gt_u32_e32 vcc, s7, v10
	s_and_saveexec_b64 s[0:1], vcc
	s_cbranch_execz .LBB279_17
; %bb.16:
	v_lshlrev_b32_e32 v10, 1, v0
	v_mov_b32_e32 v11, s9
	v_add_co_u32_e32 v10, vcc, s8, v10
	v_addc_co_u32_e32 v11, vcc, 0, v11, vcc
	flat_load_ushort v10, v[10:11] offset:2304
	s_mov_b32 s10, 0xffff
	s_waitcnt vmcnt(0) lgkmcnt(0)
	v_bfi_b32 v4, s10, v10, v4
.LBB279_17:
	s_or_b64 exec, exec, s[0:1]
	v_add_u32_e32 v10, 0x540, v0
	v_cmp_gt_u32_e32 vcc, s7, v10
	s_and_saveexec_b64 s[0:1], vcc
	s_cbranch_execz .LBB279_19
; %bb.18:
	v_lshlrev_b32_e32 v10, 1, v0
	v_mov_b32_e32 v11, s9
	v_add_co_u32_e32 v10, vcc, s8, v10
	v_addc_co_u32_e32 v11, vcc, 0, v11, vcc
	flat_load_ushort v10, v[10:11] offset:2688
	s_mov_b32 s10, 0x5040100
	s_waitcnt vmcnt(0) lgkmcnt(0)
	v_perm_b32 v4, v10, v4, s10
.LBB279_19:
	s_or_b64 exec, exec, s[0:1]
	v_or_b32_e32 v10, 0x600, v0
	v_cmp_gt_u32_e32 vcc, s7, v10
	s_and_saveexec_b64 s[0:1], vcc
	s_cbranch_execz .LBB279_21
; %bb.20:
	v_lshlrev_b32_e32 v10, 1, v0
	v_mov_b32_e32 v11, s9
	v_add_co_u32_e32 v10, vcc, s8, v10
	v_addc_co_u32_e32 v11, vcc, 0, v11, vcc
	flat_load_ushort v10, v[10:11] offset:3072
	s_mov_b32 s10, 0xffff
	s_waitcnt vmcnt(0) lgkmcnt(0)
	v_bfi_b32 v5, s10, v10, v5
.LBB279_21:
	s_or_b64 exec, exec, s[0:1]
	v_add_u32_e32 v10, 0x6c0, v0
	v_cmp_gt_u32_e32 vcc, s7, v10
	s_and_saveexec_b64 s[0:1], vcc
	s_cbranch_execz .LBB279_23
; %bb.22:
	v_lshlrev_b32_e32 v10, 1, v0
	v_mov_b32_e32 v11, s9
	v_add_co_u32_e32 v10, vcc, s8, v10
	v_addc_co_u32_e32 v11, vcc, 0, v11, vcc
	flat_load_ushort v10, v[10:11] offset:3456
	s_mov_b32 s10, 0x5040100
	s_waitcnt vmcnt(0) lgkmcnt(0)
	v_perm_b32 v5, v10, v5, s10
.LBB279_23:
	s_or_b64 exec, exec, s[0:1]
	v_add_u32_e32 v10, 0x780, v0
	v_cmp_gt_u32_e32 vcc, s7, v10
	s_and_saveexec_b64 s[0:1], vcc
	s_cbranch_execz .LBB279_25
; %bb.24:
	v_lshlrev_b32_e32 v10, 1, v0
	v_mov_b32_e32 v11, s9
	v_add_co_u32_e32 v10, vcc, s8, v10
	v_addc_co_u32_e32 v11, vcc, 0, v11, vcc
	flat_load_ushort v10, v[10:11] offset:3840
	s_mov_b32 s10, 0xffff
	s_waitcnt vmcnt(0) lgkmcnt(0)
	v_bfi_b32 v6, s10, v10, v6
.LBB279_25:
	s_or_b64 exec, exec, s[0:1]
	v_add_u32_e32 v10, 0x840, v0
	v_cmp_gt_u32_e32 vcc, s7, v10
	s_and_saveexec_b64 s[0:1], vcc
	s_cbranch_execz .LBB279_27
; %bb.26:
	v_lshlrev_b32_e32 v10, 1, v10
	v_mov_b32_e32 v11, s9
	v_add_co_u32_e32 v10, vcc, s8, v10
	v_addc_co_u32_e32 v11, vcc, 0, v11, vcc
	flat_load_ushort v10, v[10:11]
	s_mov_b32 s10, 0x5040100
	s_waitcnt vmcnt(0) lgkmcnt(0)
	v_perm_b32 v6, v10, v6, s10
.LBB279_27:
	s_or_b64 exec, exec, s[0:1]
	v_or_b32_e32 v10, 0x900, v0
	v_cmp_gt_u32_e32 vcc, s7, v10
	s_and_saveexec_b64 s[0:1], vcc
	s_cbranch_execz .LBB279_29
; %bb.28:
	v_lshlrev_b32_e32 v10, 1, v10
	v_mov_b32_e32 v11, s9
	v_add_co_u32_e32 v10, vcc, s8, v10
	v_addc_co_u32_e32 v11, vcc, 0, v11, vcc
	flat_load_ushort v10, v[10:11]
	s_mov_b32 s10, 0xffff
	s_waitcnt vmcnt(0) lgkmcnt(0)
	v_bfi_b32 v7, s10, v10, v7
.LBB279_29:
	s_or_b64 exec, exec, s[0:1]
	v_add_u32_e32 v10, 0x9c0, v0
	v_cmp_gt_u32_e32 vcc, s7, v10
	s_and_saveexec_b64 s[0:1], vcc
	s_cbranch_execz .LBB279_31
; %bb.30:
	v_lshlrev_b32_e32 v10, 1, v10
	v_mov_b32_e32 v11, s9
	v_add_co_u32_e32 v10, vcc, s8, v10
	v_addc_co_u32_e32 v11, vcc, 0, v11, vcc
	flat_load_ushort v10, v[10:11]
	s_mov_b32 s10, 0x5040100
	s_waitcnt vmcnt(0) lgkmcnt(0)
	v_perm_b32 v7, v10, v7, s10
.LBB279_31:
	s_or_b64 exec, exec, s[0:1]
	v_add_u32_e32 v10, 0xa80, v0
	v_cmp_gt_u32_e32 vcc, s7, v10
	s_and_saveexec_b64 s[0:1], vcc
	s_cbranch_execz .LBB279_33
; %bb.32:
	v_lshlrev_b32_e32 v10, 1, v10
	v_mov_b32_e32 v11, s9
	v_add_co_u32_e32 v10, vcc, s8, v10
	v_addc_co_u32_e32 v11, vcc, 0, v11, vcc
	flat_load_ushort v10, v[10:11]
	s_mov_b32 s10, 0xffff
	s_waitcnt vmcnt(0) lgkmcnt(0)
	v_bfi_b32 v8, s10, v10, v8
.LBB279_33:
	s_or_b64 exec, exec, s[0:1]
	v_add_u32_e32 v10, 0xb40, v0
	v_cmp_gt_u32_e32 vcc, s7, v10
	s_and_saveexec_b64 s[0:1], vcc
	s_cbranch_execz .LBB279_35
; %bb.34:
	v_lshlrev_b32_e32 v10, 1, v10
	v_mov_b32_e32 v11, s9
	v_add_co_u32_e32 v10, vcc, s8, v10
	v_addc_co_u32_e32 v11, vcc, 0, v11, vcc
	flat_load_ushort v10, v[10:11]
	s_mov_b32 s10, 0x5040100
	s_waitcnt vmcnt(0) lgkmcnt(0)
	v_perm_b32 v8, v10, v8, s10
.LBB279_35:
	s_or_b64 exec, exec, s[0:1]
	v_or_b32_e32 v10, 0xc00, v0
	v_cmp_gt_u32_e32 vcc, s7, v10
	s_and_saveexec_b64 s[0:1], vcc
	s_cbranch_execz .LBB279_37
; %bb.36:
	v_lshlrev_b32_e32 v10, 1, v10
	v_mov_b32_e32 v11, s9
	v_add_co_u32_e32 v10, vcc, s8, v10
	v_addc_co_u32_e32 v11, vcc, 0, v11, vcc
	flat_load_ushort v10, v[10:11]
	s_mov_b32 s10, 0xffff
	s_waitcnt vmcnt(0) lgkmcnt(0)
	v_bfi_b32 v9, s10, v10, v9
.LBB279_37:
	s_or_b64 exec, exec, s[0:1]
	v_add_u32_e32 v10, 0xcc0, v0
	v_cmp_gt_u32_e32 vcc, s7, v10
	s_and_saveexec_b64 s[0:1], vcc
	s_cbranch_execz .LBB279_39
; %bb.38:
	v_lshlrev_b32_e32 v10, 1, v10
	v_mov_b32_e32 v11, s9
	v_add_co_u32_e32 v10, vcc, s8, v10
	v_addc_co_u32_e32 v11, vcc, 0, v11, vcc
	flat_load_ushort v10, v[10:11]
	s_mov_b32 s10, 0x5040100
	s_waitcnt vmcnt(0) lgkmcnt(0)
	v_perm_b32 v9, v10, v9, s10
.LBB279_39:
	s_or_b64 exec, exec, s[0:1]
	v_lshlrev_b32_e32 v10, 1, v0
	ds_write_b16 v10, v1
	ds_write_b16_d16_hi v10, v1 offset:384
	ds_write_b16 v10, v2 offset:768
	ds_write_b16_d16_hi v10, v2 offset:1152
	ds_write_b16 v10, v3 offset:1536
	ds_write_b16_d16_hi v10, v3 offset:1920
	ds_write_b16 v10, v4 offset:2304
	ds_write_b16_d16_hi v10, v4 offset:2688
	ds_write_b16 v10, v5 offset:3072
	ds_write_b16_d16_hi v10, v5 offset:3456
	ds_write_b16 v10, v6 offset:3840
	ds_write_b16_d16_hi v10, v6 offset:4224
	ds_write_b16 v10, v7 offset:4608
	ds_write_b16_d16_hi v10, v7 offset:4992
	ds_write_b16 v10, v8 offset:5376
	ds_write_b16_d16_hi v10, v8 offset:5760
	ds_write_b16 v10, v9 offset:6144
	ds_write_b16_d16_hi v10, v9 offset:6528
	s_waitcnt lgkmcnt(0)
	s_barrier
.LBB279_40:
	v_mul_u32_u24_e32 v9, 18, v0
	v_lshlrev_b32_e32 v10, 1, v9
	s_waitcnt lgkmcnt(0)
	ds_read2_b32 v[7:8], v10 offset1:1
	ds_read2_b32 v[5:6], v10 offset0:2 offset1:3
	ds_read2_b32 v[3:4], v10 offset0:4 offset1:5
	;; [unrolled: 1-line block ×3, first 2 shown]
	ds_read_b32 v49, v10 offset:32
	s_cmp_lg_u32 s6, 0
	s_cselect_b64 s[50:51], -1, 0
	s_cmp_lg_u64 s[2:3], 0
	s_cselect_b64 s[0:1], -1, 0
	s_or_b64 s[0:1], s[50:51], s[0:1]
	s_waitcnt lgkmcnt(4)
	v_lshrrev_b32_e32 v57, 16, v7
	v_lshrrev_b32_e32 v56, 16, v8
	s_waitcnt lgkmcnt(3)
	v_lshrrev_b32_e32 v55, 16, v5
	v_lshrrev_b32_e32 v54, 16, v6
	;; [unrolled: 3-line block ×4, first 2 shown]
	s_waitcnt lgkmcnt(0)
	v_lshrrev_b32_e32 v48, 16, v49
	s_mov_b64 s[54:55], 0
	s_and_b64 vcc, exec, s[0:1]
	s_barrier
	s_cbranch_vccz .LBB279_45
; %bb.41:
	v_mov_b32_e32 v12, s9
	v_add_co_u32_e64 v11, vcc, -2, s8
	v_addc_co_u32_e32 v12, vcc, -1, v12, vcc
	flat_load_ushort v11, v[11:12]
	v_lshlrev_b32_e32 v12, 1, v0
	s_and_b64 vcc, exec, s[46:47]
	ds_write_b16 v12, v48
	s_cbranch_vccz .LBB279_46
; %bb.42:
	v_cmp_ne_u32_e32 vcc, 0, v0
	s_waitcnt vmcnt(0) lgkmcnt(0)
	v_mov_b32_e32 v13, v11
	s_barrier
	s_and_saveexec_b64 s[0:1], vcc
; %bb.43:
	v_add_u32_e32 v13, -2, v12
	ds_read_u16 v13, v13
; %bb.44:
	s_or_b64 exec, exec, s[0:1]
	v_cmp_ne_u16_e32 vcc, v49, v48
	v_cndmask_b32_e64 v58, 0, 1, vcc
	v_cmp_ne_u16_e32 vcc, v50, v49
	v_cndmask_b32_e64 v59, 0, 1, vcc
	;; [unrolled: 2-line block ×17, first 2 shown]
	s_waitcnt lgkmcnt(0)
	v_cmp_ne_u16_e64 s[52:53], v13, v7
	s_branch .LBB279_50
.LBB279_45:
                                        ; implicit-def: $sgpr52_sgpr53
                                        ; implicit-def: $vgpr58
                                        ; implicit-def: $vgpr59
                                        ; implicit-def: $vgpr60
                                        ; implicit-def: $vgpr61
                                        ; implicit-def: $vgpr62
                                        ; implicit-def: $vgpr63
                                        ; implicit-def: $vgpr64
                                        ; implicit-def: $vgpr65
                                        ; implicit-def: $vgpr66
                                        ; implicit-def: $vgpr74
                                        ; implicit-def: $vgpr73
                                        ; implicit-def: $vgpr72
                                        ; implicit-def: $vgpr71
                                        ; implicit-def: $vgpr70
                                        ; implicit-def: $vgpr69
                                        ; implicit-def: $vgpr68
                                        ; implicit-def: $vgpr67
	s_branch .LBB279_51
.LBB279_46:
                                        ; implicit-def: $sgpr52_sgpr53
                                        ; implicit-def: $vgpr58
                                        ; implicit-def: $vgpr59
                                        ; implicit-def: $vgpr60
                                        ; implicit-def: $vgpr61
                                        ; implicit-def: $vgpr62
                                        ; implicit-def: $vgpr63
                                        ; implicit-def: $vgpr64
                                        ; implicit-def: $vgpr65
                                        ; implicit-def: $vgpr66
                                        ; implicit-def: $vgpr74
                                        ; implicit-def: $vgpr73
                                        ; implicit-def: $vgpr72
                                        ; implicit-def: $vgpr71
                                        ; implicit-def: $vgpr70
                                        ; implicit-def: $vgpr69
                                        ; implicit-def: $vgpr68
                                        ; implicit-def: $vgpr67
	s_cbranch_execz .LBB279_50
; %bb.47:
	v_cmp_ne_u32_e32 vcc, 0, v0
	s_waitcnt vmcnt(0) lgkmcnt(0)
	s_barrier
	s_and_saveexec_b64 s[0:1], vcc
; %bb.48:
	v_add_u32_e32 v11, -2, v12
	ds_read_u16 v11, v11
; %bb.49:
	s_or_b64 exec, exec, s[0:1]
	v_add_u32_e32 v12, 17, v9
	v_cmp_gt_u32_e32 vcc, s7, v12
	v_cmp_ne_u16_e64 s[0:1], v49, v48
	s_and_b64 s[0:1], vcc, s[0:1]
	v_add_u32_e32 v12, 16, v9
	v_cndmask_b32_e64 v58, 0, 1, s[0:1]
	v_cmp_gt_u32_e32 vcc, s7, v12
	v_cmp_ne_u16_e64 s[0:1], v50, v49
	s_and_b64 s[0:1], vcc, s[0:1]
	v_add_u32_e32 v12, 15, v9
	v_cndmask_b32_e64 v59, 0, 1, s[0:1]
	;; [unrolled: 5-line block ×15, first 2 shown]
	v_cmp_gt_u32_e32 vcc, s7, v12
	v_cmp_ne_u16_e64 s[0:1], v57, v8
	s_and_b64 s[0:1], vcc, s[0:1]
	v_or_b32_e32 v12, 1, v9
	v_cndmask_b32_e64 v73, 0, 1, s[0:1]
	v_cmp_gt_u32_e32 vcc, s7, v12
	v_cmp_ne_u16_e64 s[0:1], v7, v57
	s_and_b64 s[0:1], vcc, s[0:1]
	v_cndmask_b32_e64 v74, 0, 1, s[0:1]
	v_cmp_gt_u32_e32 vcc, s7, v9
	s_waitcnt lgkmcnt(0)
	v_cmp_ne_u16_e64 s[0:1], v11, v7
	s_and_b64 s[52:53], vcc, s[0:1]
.LBB279_50:
	s_mov_b64 s[54:55], -1
	s_cbranch_execnz .LBB279_59
.LBB279_51:
	s_movk_i32 s0, 0xffde
	v_mad_i32_i24 v10, v0, s0, v10
	s_and_b64 vcc, exec, s[46:47]
	v_cmp_ne_u16_e64 s[0:1], v49, v48
	v_cmp_ne_u16_e64 s[2:3], v50, v49
	;; [unrolled: 1-line block ×17, first 2 shown]
	ds_write_b16 v10, v48
	s_cbranch_vccz .LBB279_55
; %bb.52:
	v_cmp_ne_u32_e32 vcc, 0, v0
	s_waitcnt vmcnt(0) lgkmcnt(0)
	s_barrier
                                        ; implicit-def: $sgpr52_sgpr53
	s_and_saveexec_b64 s[56:57], vcc
	s_xor_b64 s[56:57], exec, s[56:57]
	s_cbranch_execz .LBB279_54
; %bb.53:
	v_add_u32_e32 v11, -2, v10
	ds_read_u16 v11, v11
	s_or_b64 s[54:55], s[54:55], exec
	s_waitcnt lgkmcnt(0)
	v_cmp_ne_u16_e64 s[52:53], v11, v7
.LBB279_54:
	s_or_b64 exec, exec, s[56:57]
	v_cndmask_b32_e64 v58, 0, 1, s[0:1]
	v_cndmask_b32_e64 v59, 0, 1, s[2:3]
	;; [unrolled: 1-line block ×17, first 2 shown]
	s_branch .LBB279_59
.LBB279_55:
                                        ; implicit-def: $sgpr52_sgpr53
                                        ; implicit-def: $vgpr58
                                        ; implicit-def: $vgpr59
                                        ; implicit-def: $vgpr60
                                        ; implicit-def: $vgpr61
                                        ; implicit-def: $vgpr62
                                        ; implicit-def: $vgpr63
                                        ; implicit-def: $vgpr64
                                        ; implicit-def: $vgpr65
                                        ; implicit-def: $vgpr66
                                        ; implicit-def: $vgpr74
                                        ; implicit-def: $vgpr73
                                        ; implicit-def: $vgpr72
                                        ; implicit-def: $vgpr71
                                        ; implicit-def: $vgpr70
                                        ; implicit-def: $vgpr69
                                        ; implicit-def: $vgpr68
                                        ; implicit-def: $vgpr67
	s_cbranch_execz .LBB279_59
; %bb.56:
	s_waitcnt vmcnt(0) lgkmcnt(0)
	v_add_u32_e32 v11, 17, v9
	v_cmp_gt_u32_e32 vcc, s7, v11
	v_cmp_ne_u16_e64 s[0:1], v49, v48
	v_add_u32_e32 v11, 16, v9
	s_and_b64 s[2:3], vcc, s[0:1]
	v_cmp_gt_u32_e32 vcc, s7, v11
	v_cmp_ne_u16_e64 s[0:1], v50, v49
	v_add_u32_e32 v11, 15, v9
	s_and_b64 s[8:9], vcc, s[0:1]
	;; [unrolled: 4-line block ×15, first 2 shown]
	v_cmp_gt_u32_e32 vcc, s7, v11
	v_cmp_ne_u16_e64 s[0:1], v57, v8
	v_or_b32_e32 v11, 1, v9
	s_and_b64 s[38:39], vcc, s[0:1]
	v_cmp_gt_u32_e32 vcc, s7, v11
	v_cmp_ne_u16_e64 s[0:1], v7, v57
	s_and_b64 s[56:57], vcc, s[0:1]
	v_cmp_ne_u32_e32 vcc, 0, v0
	s_barrier
                                        ; implicit-def: $sgpr52_sgpr53
	s_and_saveexec_b64 s[58:59], vcc
	s_cbranch_execz .LBB279_58
; %bb.57:
	v_add_u32_e32 v10, -2, v10
	ds_read_u16 v10, v10
	v_cmp_gt_u32_e32 vcc, s7, v9
	s_or_b64 s[54:55], s[54:55], exec
	s_waitcnt lgkmcnt(0)
	v_cmp_ne_u16_e64 s[0:1], v10, v7
	s_and_b64 s[52:53], vcc, s[0:1]
.LBB279_58:
	s_or_b64 exec, exec, s[58:59]
	v_cndmask_b32_e64 v58, 0, 1, s[2:3]
	v_cndmask_b32_e64 v59, 0, 1, s[8:9]
	;; [unrolled: 1-line block ×17, first 2 shown]
.LBB279_59:
	v_mov_b32_e32 v20, 1
	s_and_saveexec_b64 s[0:1], s[54:55]
; %bb.60:
	v_cndmask_b32_e64 v20, 0, 1, s[52:53]
; %bb.61:
	s_or_b64 exec, exec, s[0:1]
	s_load_dwordx2 s[22:23], s[4:5], 0x60
	s_andn2_b64 vcc, exec, s[48:49]
	s_cbranch_vccnz .LBB279_63
; %bb.62:
	v_cmp_gt_u32_e32 vcc, s7, v9
	v_or_b32_e32 v10, 1, v9
	v_cndmask_b32_e32 v20, 0, v20, vcc
	v_cmp_gt_u32_e32 vcc, s7, v10
	v_add_u32_e32 v10, 2, v9
	v_cndmask_b32_e32 v74, 0, v74, vcc
	v_cmp_gt_u32_e32 vcc, s7, v10
	v_add_u32_e32 v10, 3, v9
	;; [unrolled: 3-line block ×16, first 2 shown]
	v_cndmask_b32_e32 v59, 0, v59, vcc
	v_cmp_gt_u32_e32 vcc, s7, v9
	v_cndmask_b32_e32 v58, 0, v58, vcc
.LBB279_63:
	v_and_b32_e32 v33, 0xff, v70
	v_and_b32_e32 v34, 0xff, v69
	v_add_u32_sdwa v10, v68, v67 dst_sel:DWORD dst_unused:UNUSED_PAD src0_sel:BYTE_0 src1_sel:BYTE_0
	v_and_b32_e32 v29, 0xff, v72
	v_and_b32_e32 v31, 0xff, v71
	v_add3_u32 v10, v10, v34, v33
	v_and_b32_e32 v25, 0xff, v74
	v_and_b32_e32 v27, 0xff, v73
	v_add3_u32 v10, v10, v31, v29
	;; [unrolled: 3-line block ×7, first 2 shown]
	v_add3_u32 v37, v10, v32, v9
	v_mbcnt_lo_u32_b32 v9, -1, 0
	v_mbcnt_hi_u32_b32 v35, -1, v9
	v_and_b32_e32 v9, 15, v35
	v_cmp_eq_u32_e64 s[14:15], 0, v9
	v_cmp_lt_u32_e64 s[12:13], 1, v9
	v_cmp_lt_u32_e64 s[10:11], 3, v9
	;; [unrolled: 1-line block ×3, first 2 shown]
	v_and_b32_e32 v9, 16, v35
	v_cmp_eq_u32_e64 s[2:3], 0, v9
	v_and_b32_e32 v9, 0xc0, v0
	v_min_u32_e32 v9, 0x80, v9
	v_or_b32_e32 v9, 63, v9
	v_cmp_lt_u32_e64 s[0:1], 31, v35
	v_lshrrev_b32_e32 v36, 6, v0
	v_cmp_eq_u32_e64 s[18:19], v0, v9
	s_and_b64 vcc, exec, s[50:51]
	s_waitcnt vmcnt(0) lgkmcnt(0)
	s_barrier
	s_cbranch_vccz .LBB279_85
; %bb.64:
	v_mov_b32_dpp v9, v37 row_shr:1 row_mask:0xf bank_mask:0xf
	v_cndmask_b32_e64 v9, v9, 0, s[14:15]
	v_add_u32_e32 v9, v9, v37
	s_nop 1
	v_mov_b32_dpp v10, v9 row_shr:2 row_mask:0xf bank_mask:0xf
	v_cndmask_b32_e64 v10, 0, v10, s[12:13]
	v_add_u32_e32 v9, v9, v10
	s_nop 1
	;; [unrolled: 4-line block ×4, first 2 shown]
	v_mov_b32_dpp v10, v9 row_bcast:15 row_mask:0xf bank_mask:0xf
	v_cndmask_b32_e64 v10, v10, 0, s[2:3]
	v_add_u32_e32 v9, v9, v10
	s_nop 1
	v_mov_b32_dpp v10, v9 row_bcast:31 row_mask:0xf bank_mask:0xf
	v_cndmask_b32_e64 v10, 0, v10, s[0:1]
	v_add_u32_e32 v9, v9, v10
	s_and_saveexec_b64 s[16:17], s[18:19]
; %bb.65:
	v_lshlrev_b32_e32 v10, 2, v36
	ds_write_b32 v10, v9
; %bb.66:
	s_or_b64 exec, exec, s[16:17]
	v_cmp_gt_u32_e32 vcc, 3, v0
	s_waitcnt lgkmcnt(0)
	s_barrier
	s_and_saveexec_b64 s[16:17], vcc
	s_cbranch_execz .LBB279_68
; %bb.67:
	v_lshlrev_b32_e32 v10, 2, v0
	ds_read_b32 v11, v10
	v_and_b32_e32 v12, 3, v35
	v_cmp_ne_u32_e32 vcc, 0, v12
	s_waitcnt lgkmcnt(0)
	v_mov_b32_dpp v13, v11 row_shr:1 row_mask:0xf bank_mask:0xf
	v_cndmask_b32_e32 v13, 0, v13, vcc
	v_add_u32_e32 v11, v13, v11
	v_cmp_lt_u32_e32 vcc, 1, v12
	s_nop 0
	v_mov_b32_dpp v13, v11 row_shr:2 row_mask:0xf bank_mask:0xf
	v_cndmask_b32_e32 v12, 0, v13, vcc
	v_add_u32_e32 v11, v11, v12
	ds_write_b32 v10, v11
.LBB279_68:
	s_or_b64 exec, exec, s[16:17]
	v_cmp_gt_u32_e32 vcc, 64, v0
	v_cmp_lt_u32_e64 s[16:17], 63, v0
	s_waitcnt lgkmcnt(0)
	s_barrier
                                        ; implicit-def: $vgpr38
	s_and_saveexec_b64 s[20:21], s[16:17]
	s_cbranch_execz .LBB279_70
; %bb.69:
	v_lshl_add_u32 v10, v36, 2, -4
	ds_read_b32 v38, v10
	s_waitcnt lgkmcnt(0)
	v_add_u32_e32 v9, v38, v9
.LBB279_70:
	s_or_b64 exec, exec, s[20:21]
	v_subrev_co_u32_e64 v10, s[16:17], 1, v35
	v_and_b32_e32 v11, 64, v35
	v_cmp_lt_i32_e64 s[20:21], v10, v11
	v_cndmask_b32_e64 v10, v10, v35, s[20:21]
	v_lshlrev_b32_e32 v10, 2, v10
	ds_bpermute_b32 v39, v10, v9
	s_and_saveexec_b64 s[20:21], vcc
	s_cbranch_execz .LBB279_90
; %bb.71:
	v_mov_b32_e32 v15, 0
	ds_read_b32 v9, v15 offset:8
	s_and_saveexec_b64 s[24:25], s[16:17]
	s_cbranch_execz .LBB279_73
; %bb.72:
	s_add_i32 s26, s6, 64
	s_mov_b32 s27, 0
	s_lshl_b64 s[26:27], s[26:27], 3
	s_add_u32 s26, s22, s26
	v_mov_b32_e32 v10, 1
	s_addc_u32 s27, s23, s27
	s_waitcnt lgkmcnt(0)
	global_store_dwordx2 v15, v[9:10], s[26:27]
.LBB279_73:
	s_or_b64 exec, exec, s[24:25]
	v_xad_u32 v11, v35, -1, s6
	v_add_u32_e32 v14, 64, v11
	v_lshlrev_b64 v[12:13], 3, v[14:15]
	v_mov_b32_e32 v10, s23
	v_add_co_u32_e32 v16, vcc, s22, v12
	v_addc_co_u32_e32 v17, vcc, v10, v13, vcc
	global_load_dwordx2 v[13:14], v[16:17], off glc
	s_waitcnt vmcnt(0)
	v_cmp_eq_u16_sdwa s[26:27], v14, v15 src0_sel:BYTE_0 src1_sel:DWORD
	s_and_saveexec_b64 s[24:25], s[26:27]
	s_cbranch_execz .LBB279_77
; %bb.74:
	s_mov_b64 s[26:27], 0
	v_mov_b32_e32 v10, 0
.LBB279_75:                             ; =>This Inner Loop Header: Depth=1
	global_load_dwordx2 v[13:14], v[16:17], off glc
	s_waitcnt vmcnt(0)
	v_cmp_ne_u16_sdwa s[28:29], v14, v10 src0_sel:BYTE_0 src1_sel:DWORD
	s_or_b64 s[26:27], s[28:29], s[26:27]
	s_andn2_b64 exec, exec, s[26:27]
	s_cbranch_execnz .LBB279_75
; %bb.76:
	s_or_b64 exec, exec, s[26:27]
.LBB279_77:
	s_or_b64 exec, exec, s[24:25]
	v_and_b32_e32 v41, 63, v35
	v_mov_b32_e32 v40, 2
	v_lshlrev_b64 v[15:16], v35, -1
	v_cmp_ne_u32_e32 vcc, 63, v41
	v_cmp_eq_u16_sdwa s[24:25], v14, v40 src0_sel:BYTE_0 src1_sel:DWORD
	v_addc_co_u32_e32 v17, vcc, 0, v35, vcc
	v_and_b32_e32 v10, s25, v16
	v_lshlrev_b32_e32 v42, 2, v17
	v_or_b32_e32 v10, 0x80000000, v10
	ds_bpermute_b32 v17, v42, v13
	v_and_b32_e32 v12, s24, v15
	v_ffbl_b32_e32 v10, v10
	v_add_u32_e32 v10, 32, v10
	v_ffbl_b32_e32 v12, v12
	v_min_u32_e32 v10, v12, v10
	v_cmp_lt_u32_e32 vcc, v41, v10
	s_waitcnt lgkmcnt(0)
	v_cndmask_b32_e32 v12, 0, v17, vcc
	v_cmp_gt_u32_e32 vcc, 62, v41
	v_add_u32_e32 v12, v12, v13
	v_cndmask_b32_e64 v13, 0, 2, vcc
	v_add_lshl_u32 v43, v13, v35, 2
	ds_bpermute_b32 v13, v43, v12
	v_add_u32_e32 v44, 2, v41
	v_cmp_le_u32_e32 vcc, v44, v10
	v_add_u32_e32 v46, 4, v41
	v_add_u32_e32 v76, 8, v41
	s_waitcnt lgkmcnt(0)
	v_cndmask_b32_e32 v13, 0, v13, vcc
	v_cmp_gt_u32_e32 vcc, 60, v41
	v_add_u32_e32 v12, v12, v13
	v_cndmask_b32_e64 v13, 0, 4, vcc
	v_add_lshl_u32 v45, v13, v35, 2
	ds_bpermute_b32 v13, v45, v12
	v_cmp_le_u32_e32 vcc, v46, v10
	v_add_u32_e32 v78, 16, v41
	v_add_u32_e32 v80, 32, v41
	s_waitcnt lgkmcnt(0)
	v_cndmask_b32_e32 v13, 0, v13, vcc
	v_cmp_gt_u32_e32 vcc, 56, v41
	v_add_u32_e32 v12, v12, v13
	v_cndmask_b32_e64 v13, 0, 8, vcc
	v_add_lshl_u32 v75, v13, v35, 2
	ds_bpermute_b32 v13, v75, v12
	v_cmp_le_u32_e32 vcc, v76, v10
	s_waitcnt lgkmcnt(0)
	v_cndmask_b32_e32 v13, 0, v13, vcc
	v_cmp_gt_u32_e32 vcc, 48, v41
	v_add_u32_e32 v12, v12, v13
	v_cndmask_b32_e64 v13, 0, 16, vcc
	v_add_lshl_u32 v77, v13, v35, 2
	ds_bpermute_b32 v13, v77, v12
	v_cmp_le_u32_e32 vcc, v78, v10
	s_waitcnt lgkmcnt(0)
	v_cndmask_b32_e32 v13, 0, v13, vcc
	v_add_u32_e32 v12, v12, v13
	v_mov_b32_e32 v13, 0x80
	v_lshl_or_b32 v79, v35, 2, v13
	ds_bpermute_b32 v13, v79, v12
	v_cmp_le_u32_e32 vcc, v80, v10
	s_waitcnt lgkmcnt(0)
	v_cndmask_b32_e32 v10, 0, v13, vcc
	v_add_u32_e32 v13, v12, v10
	v_mov_b32_e32 v12, 0
	s_branch .LBB279_80
.LBB279_78:                             ;   in Loop: Header=BB279_80 Depth=1
	s_or_b64 exec, exec, s[24:25]
	v_cmp_eq_u16_sdwa s[24:25], v14, v40 src0_sel:BYTE_0 src1_sel:DWORD
	v_and_b32_e32 v17, s25, v16
	v_or_b32_e32 v17, 0x80000000, v17
	ds_bpermute_b32 v81, v42, v13
	v_and_b32_e32 v18, s24, v15
	v_ffbl_b32_e32 v17, v17
	v_add_u32_e32 v17, 32, v17
	v_ffbl_b32_e32 v18, v18
	v_min_u32_e32 v17, v18, v17
	v_cmp_lt_u32_e32 vcc, v41, v17
	s_waitcnt lgkmcnt(0)
	v_cndmask_b32_e32 v18, 0, v81, vcc
	v_add_u32_e32 v13, v18, v13
	ds_bpermute_b32 v18, v43, v13
	v_cmp_le_u32_e32 vcc, v44, v17
	v_subrev_u32_e32 v11, 64, v11
	s_mov_b64 s[24:25], 0
	s_waitcnt lgkmcnt(0)
	v_cndmask_b32_e32 v18, 0, v18, vcc
	v_add_u32_e32 v13, v13, v18
	ds_bpermute_b32 v18, v45, v13
	v_cmp_le_u32_e32 vcc, v46, v17
	s_waitcnt lgkmcnt(0)
	v_cndmask_b32_e32 v18, 0, v18, vcc
	v_add_u32_e32 v13, v13, v18
	ds_bpermute_b32 v18, v75, v13
	v_cmp_le_u32_e32 vcc, v76, v17
	;; [unrolled: 5-line block ×4, first 2 shown]
	s_waitcnt lgkmcnt(0)
	v_cndmask_b32_e32 v17, 0, v18, vcc
	v_add3_u32 v13, v17, v10, v13
.LBB279_79:                             ;   in Loop: Header=BB279_80 Depth=1
	s_and_b64 vcc, exec, s[24:25]
	s_cbranch_vccnz .LBB279_86
.LBB279_80:                             ; =>This Loop Header: Depth=1
                                        ;     Child Loop BB279_83 Depth 2
	v_cmp_ne_u16_sdwa s[24:25], v14, v40 src0_sel:BYTE_0 src1_sel:DWORD
	v_mov_b32_e32 v10, v13
	s_cmp_lg_u64 s[24:25], exec
	s_mov_b64 s[24:25], -1
                                        ; implicit-def: $vgpr13
                                        ; implicit-def: $vgpr14
	s_cbranch_scc1 .LBB279_79
; %bb.81:                               ;   in Loop: Header=BB279_80 Depth=1
	v_lshlrev_b64 v[13:14], 3, v[11:12]
	v_mov_b32_e32 v18, s23
	v_add_co_u32_e32 v17, vcc, s22, v13
	v_addc_co_u32_e32 v18, vcc, v18, v14, vcc
	global_load_dwordx2 v[13:14], v[17:18], off glc
	s_waitcnt vmcnt(0)
	v_cmp_eq_u16_sdwa s[26:27], v14, v12 src0_sel:BYTE_0 src1_sel:DWORD
	s_and_saveexec_b64 s[24:25], s[26:27]
	s_cbranch_execz .LBB279_78
; %bb.82:                               ;   in Loop: Header=BB279_80 Depth=1
	s_mov_b64 s[26:27], 0
.LBB279_83:                             ;   Parent Loop BB279_80 Depth=1
                                        ; =>  This Inner Loop Header: Depth=2
	global_load_dwordx2 v[13:14], v[17:18], off glc
	s_waitcnt vmcnt(0)
	v_cmp_ne_u16_sdwa s[28:29], v14, v12 src0_sel:BYTE_0 src1_sel:DWORD
	s_or_b64 s[26:27], s[28:29], s[26:27]
	s_andn2_b64 exec, exec, s[26:27]
	s_cbranch_execnz .LBB279_83
; %bb.84:                               ;   in Loop: Header=BB279_80 Depth=1
	s_or_b64 exec, exec, s[26:27]
	s_branch .LBB279_78
.LBB279_85:
                                        ; implicit-def: $vgpr10
                                        ; implicit-def: $vgpr9
                                        ; implicit-def: $vgpr39
	s_load_dwordx2 s[4:5], s[4:5], 0x28
	s_cbranch_execnz .LBB279_91
	s_branch .LBB279_100
.LBB279_86:
	s_and_saveexec_b64 s[24:25], s[16:17]
	s_cbranch_execz .LBB279_88
; %bb.87:
	s_add_i32 s6, s6, 64
	s_mov_b32 s7, 0
	s_lshl_b64 s[6:7], s[6:7], 3
	s_add_u32 s6, s22, s6
	v_add_u32_e32 v11, v10, v9
	v_mov_b32_e32 v12, 2
	s_addc_u32 s7, s23, s7
	v_mov_b32_e32 v13, 0
	global_store_dwordx2 v13, v[11:12], s[6:7]
	ds_write_b64 v13, v[9:10] offset:6912
.LBB279_88:
	s_or_b64 exec, exec, s[24:25]
	v_cmp_eq_u32_e32 vcc, 0, v0
	s_and_b64 exec, exec, vcc
; %bb.89:
	v_mov_b32_e32 v9, 0
	ds_write_b32 v9, v10 offset:8
.LBB279_90:
	s_or_b64 exec, exec, s[20:21]
	v_mov_b32_e32 v9, 0
	s_waitcnt vmcnt(0) lgkmcnt(0)
	s_barrier
	ds_read_b32 v12, v9 offset:8
	s_waitcnt lgkmcnt(0)
	s_barrier
	ds_read_b64 v[9:10], v9 offset:6912
	v_cndmask_b32_e64 v11, v39, v38, s[16:17]
	v_cmp_ne_u32_e32 vcc, 0, v0
	v_cndmask_b32_e32 v11, 0, v11, vcc
	v_add_u32_e32 v39, v12, v11
	s_load_dwordx2 s[4:5], s[4:5], 0x28
	s_branch .LBB279_100
.LBB279_91:
	s_waitcnt lgkmcnt(0)
	v_mov_b32_dpp v9, v37 row_shr:1 row_mask:0xf bank_mask:0xf
	v_cndmask_b32_e64 v9, v9, 0, s[14:15]
	v_add_u32_e32 v9, v9, v37
	s_nop 1
	v_mov_b32_dpp v10, v9 row_shr:2 row_mask:0xf bank_mask:0xf
	v_cndmask_b32_e64 v10, 0, v10, s[12:13]
	v_add_u32_e32 v9, v9, v10
	s_nop 1
	;; [unrolled: 4-line block ×4, first 2 shown]
	v_mov_b32_dpp v10, v9 row_bcast:15 row_mask:0xf bank_mask:0xf
	v_cndmask_b32_e64 v10, v10, 0, s[2:3]
	v_add_u32_e32 v9, v9, v10
	s_nop 1
	v_mov_b32_dpp v10, v9 row_bcast:31 row_mask:0xf bank_mask:0xf
	v_cndmask_b32_e64 v10, 0, v10, s[0:1]
	v_add_u32_e32 v9, v9, v10
	s_and_saveexec_b64 s[0:1], s[18:19]
; %bb.92:
	v_lshlrev_b32_e32 v10, 2, v36
	ds_write_b32 v10, v9
; %bb.93:
	s_or_b64 exec, exec, s[0:1]
	v_cmp_gt_u32_e32 vcc, 3, v0
	s_waitcnt lgkmcnt(0)
	s_barrier
	s_and_saveexec_b64 s[0:1], vcc
	s_cbranch_execz .LBB279_95
; %bb.94:
	v_lshlrev_b32_e32 v10, 2, v0
	ds_read_b32 v11, v10
	v_and_b32_e32 v12, 3, v35
	v_cmp_ne_u32_e32 vcc, 0, v12
	s_waitcnt lgkmcnt(0)
	v_mov_b32_dpp v13, v11 row_shr:1 row_mask:0xf bank_mask:0xf
	v_cndmask_b32_e32 v13, 0, v13, vcc
	v_add_u32_e32 v11, v13, v11
	v_cmp_lt_u32_e32 vcc, 1, v12
	s_nop 0
	v_mov_b32_dpp v13, v11 row_shr:2 row_mask:0xf bank_mask:0xf
	v_cndmask_b32_e32 v12, 0, v13, vcc
	v_add_u32_e32 v11, v11, v12
	ds_write_b32 v10, v11
.LBB279_95:
	s_or_b64 exec, exec, s[0:1]
	v_cmp_lt_u32_e32 vcc, 63, v0
	v_mov_b32_e32 v10, 0
	v_mov_b32_e32 v11, 0
	s_waitcnt lgkmcnt(0)
	s_barrier
	s_and_saveexec_b64 s[0:1], vcc
; %bb.96:
	v_lshl_add_u32 v11, v36, 2, -4
	ds_read_b32 v11, v11
; %bb.97:
	s_or_b64 exec, exec, s[0:1]
	v_subrev_co_u32_e32 v12, vcc, 1, v35
	v_and_b32_e32 v13, 64, v35
	v_cmp_lt_i32_e64 s[0:1], v12, v13
	v_cndmask_b32_e64 v12, v12, v35, s[0:1]
	s_waitcnt lgkmcnt(0)
	v_add_u32_e32 v9, v11, v9
	v_lshlrev_b32_e32 v12, 2, v12
	ds_bpermute_b32 v12, v12, v9
	ds_read_b32 v9, v10 offset:8
	v_cmp_eq_u32_e64 s[0:1], 0, v0
	s_and_saveexec_b64 s[2:3], s[0:1]
	s_cbranch_execz .LBB279_99
; %bb.98:
	v_mov_b32_e32 v13, 0
	v_mov_b32_e32 v10, 2
	s_waitcnt lgkmcnt(0)
	global_store_dwordx2 v13, v[9:10], s[22:23] offset:512
.LBB279_99:
	s_or_b64 exec, exec, s[2:3]
	s_waitcnt lgkmcnt(1)
	v_cndmask_b32_e32 v10, v12, v11, vcc
	v_cndmask_b32_e64 v39, v10, 0, s[0:1]
	s_waitcnt vmcnt(0) lgkmcnt(0)
	s_barrier
	v_mov_b32_e32 v10, 0
.LBB279_100:
	v_add_u32_e32 v45, v39, v23
	v_add_u32_e32 v43, v45, v25
	;; [unrolled: 1-line block ×7, first 2 shown]
	v_add_u32_sdwa v29, v31, v68 dst_sel:DWORD dst_unused:UNUSED_PAD src0_sel:DWORD src1_sel:BYTE_0
	v_add_u32_sdwa v27, v29, v67 dst_sel:DWORD dst_unused:UNUSED_PAD src0_sel:DWORD src1_sel:BYTE_0
	v_add_u32_e32 v25, v27, v19
	v_add_u32_e32 v23, v25, v21
	;; [unrolled: 1-line block ×6, first 2 shown]
	s_movk_i32 s2, 0xc1
	v_add_u32_e32 v13, v15, v30
	s_waitcnt lgkmcnt(0)
	v_cmp_gt_u32_e32 vcc, s2, v9
	v_add_u32_e32 v11, v13, v32
	s_mov_b64 s[0:1], -1
	v_and_b32_e32 v75, 1, v20
	s_cbranch_vccnz .LBB279_104
; %bb.101:
	s_and_b64 vcc, exec, s[0:1]
	s_cbranch_vccnz .LBB279_141
.LBB279_102:
	v_cmp_eq_u32_e32 vcc, 0, v0
	s_and_b64 s[0:1], vcc, s[44:45]
	s_and_saveexec_b64 s[2:3], s[0:1]
	s_cbranch_execnz .LBB279_180
.LBB279_103:
	s_endpgm
.LBB279_104:
	v_add_u32_e32 v12, v10, v9
	s_lshl_b64 s[0:1], s[42:43], 1
	s_add_u32 s2, s4, s0
	v_cmp_lt_u32_e32 vcc, v39, v12
	s_addc_u32 s3, s5, s1
	s_or_b64 s[0:1], s[46:47], vcc
	v_cmp_eq_u32_e32 vcc, 1, v75
	s_and_b64 s[6:7], s[0:1], vcc
	s_and_saveexec_b64 s[0:1], s[6:7]
	s_cbranch_execz .LBB279_106
; %bb.105:
	v_mov_b32_e32 v40, 0
	v_lshlrev_b64 v[76:77], 1, v[39:40]
	v_mov_b32_e32 v14, s3
	v_add_co_u32_e32 v76, vcc, s2, v76
	v_addc_co_u32_e32 v77, vcc, v14, v77, vcc
	global_store_short v[76:77], v7, off
.LBB279_106:
	s_or_b64 exec, exec, s[0:1]
	v_cmp_lt_u32_e32 vcc, v45, v12
	v_and_b32_e32 v14, 1, v74
	s_or_b64 s[0:1], s[46:47], vcc
	v_cmp_eq_u32_e32 vcc, 1, v14
	s_and_b64 s[6:7], s[0:1], vcc
	s_and_saveexec_b64 s[0:1], s[6:7]
	s_cbranch_execz .LBB279_108
; %bb.107:
	v_mov_b32_e32 v46, 0
	v_lshlrev_b64 v[76:77], 1, v[45:46]
	v_mov_b32_e32 v14, s3
	v_add_co_u32_e32 v76, vcc, s2, v76
	v_addc_co_u32_e32 v77, vcc, v14, v77, vcc
	global_store_short v[76:77], v57, off
.LBB279_108:
	s_or_b64 exec, exec, s[0:1]
	v_cmp_lt_u32_e32 vcc, v43, v12
	v_and_b32_e32 v14, 1, v73
	;; [unrolled: 16-line block ×17, first 2 shown]
	s_or_b64 s[0:1], s[46:47], vcc
	v_cmp_eq_u32_e32 vcc, 1, v12
	s_and_b64 s[6:7], s[0:1], vcc
	s_and_saveexec_b64 s[0:1], s[6:7]
	s_cbranch_execz .LBB279_140
; %bb.139:
	v_mov_b32_e32 v12, 0
	v_lshlrev_b64 v[76:77], 1, v[11:12]
	v_mov_b32_e32 v12, s3
	v_add_co_u32_e32 v76, vcc, s2, v76
	v_addc_co_u32_e32 v77, vcc, v12, v77, vcc
	global_store_short v[76:77], v48, off
.LBB279_140:
	s_or_b64 exec, exec, s[0:1]
	s_branch .LBB279_102
.LBB279_141:
	v_cmp_eq_u32_e32 vcc, 1, v75
	s_and_saveexec_b64 s[0:1], vcc
; %bb.142:
	v_sub_u32_e32 v12, v39, v10
	v_lshlrev_b32_e32 v12, 1, v12
	ds_write_b16 v12, v7
; %bb.143:
	s_or_b64 exec, exec, s[0:1]
	v_and_b32_e32 v7, 1, v74
	v_cmp_eq_u32_e32 vcc, 1, v7
	s_and_saveexec_b64 s[0:1], vcc
; %bb.144:
	v_sub_u32_e32 v7, v45, v10
	v_lshlrev_b32_e32 v7, 1, v7
	ds_write_b16 v7, v57
; %bb.145:
	s_or_b64 exec, exec, s[0:1]
	v_and_b32_e32 v7, 1, v73
	;; [unrolled: 9-line block ×17, first 2 shown]
	v_cmp_eq_u32_e32 vcc, 1, v1
	s_and_saveexec_b64 s[0:1], vcc
; %bb.176:
	v_sub_u32_e32 v1, v11, v10
	v_lshlrev_b32_e32 v1, 1, v1
	ds_write_b16 v1, v48
; %bb.177:
	s_or_b64 exec, exec, s[0:1]
	v_mov_b32_e32 v2, 0
	v_mov_b32_e32 v11, v2
	s_lshl_b64 s[0:1], s[42:43], 1
	s_add_u32 s0, s4, s0
	v_lshlrev_b64 v[3:4], 1, v[10:11]
	s_addc_u32 s1, s5, s1
	v_mov_b32_e32 v1, s1
	v_add_co_u32_e32 v3, vcc, s0, v3
	v_addc_co_u32_e32 v4, vcc, v1, v4, vcc
	s_mov_b64 s[2:3], 0
	v_mov_b32_e32 v1, v0
	s_waitcnt vmcnt(0) lgkmcnt(0)
	s_barrier
.LBB279_178:                            ; =>This Inner Loop Header: Depth=1
	ds_read_u16 v7, v47
	v_lshlrev_b64 v[5:6], 1, v[1:2]
	v_add_u32_e32 v1, 0xc0, v1
	v_cmp_ge_u32_e32 vcc, v1, v9
	v_add_co_u32_e64 v5, s[0:1], v3, v5
	v_add_u32_e32 v47, 0x180, v47
	v_addc_co_u32_e64 v6, s[0:1], v4, v6, s[0:1]
	s_or_b64 s[2:3], vcc, s[2:3]
	s_waitcnt lgkmcnt(0)
	global_store_short v[5:6], v7, off
	s_andn2_b64 exec, exec, s[2:3]
	s_cbranch_execnz .LBB279_178
; %bb.179:
	s_or_b64 exec, exec, s[2:3]
	v_cmp_eq_u32_e32 vcc, 0, v0
	s_and_b64 s[0:1], vcc, s[44:45]
	s_and_saveexec_b64 s[2:3], s[0:1]
	s_cbranch_execz .LBB279_103
.LBB279_180:
	v_mov_b32_e32 v0, s43
	v_add_co_u32_e32 v1, vcc, s42, v9
	v_addc_co_u32_e32 v3, vcc, 0, v0, vcc
	v_add_co_u32_e32 v0, vcc, v1, v10
	v_mov_b32_e32 v2, 0
	v_addc_co_u32_e32 v1, vcc, 0, v3, vcc
	global_store_dwordx2 v2, v[0:1], s[40:41]
	s_endpgm
	.section	.rodata,"a",@progbits
	.p2align	6, 0x0
	.amdhsa_kernel _ZN7rocprim17ROCPRIM_400000_NS6detail17trampoline_kernelINS0_14default_configENS1_25partition_config_selectorILNS1_17partition_subalgoE8EtNS0_10empty_typeEbEEZZNS1_14partition_implILS5_8ELb0ES3_jN6thrust23THRUST_200600_302600_NS6detail15normal_iteratorINSA_10device_ptrItEEEEPS6_PKS6_NS0_5tupleIJSF_S6_EEENSJ_IJSG_SG_EEENS0_18inequality_wrapperINSA_8equal_toItEEEEPmJS6_EEE10hipError_tPvRmT3_T4_T5_T6_T7_T9_mT8_P12ihipStream_tbDpT10_ENKUlT_T0_E_clISt17integral_constantIbLb0EES1A_EEDaS15_S16_EUlS15_E_NS1_11comp_targetILNS1_3genE2ELNS1_11target_archE906ELNS1_3gpuE6ELNS1_3repE0EEENS1_30default_config_static_selectorELNS0_4arch9wavefront6targetE1EEEvT1_
		.amdhsa_group_segment_fixed_size 6920
		.amdhsa_private_segment_fixed_size 0
		.amdhsa_kernarg_size 112
		.amdhsa_user_sgpr_count 6
		.amdhsa_user_sgpr_private_segment_buffer 1
		.amdhsa_user_sgpr_dispatch_ptr 0
		.amdhsa_user_sgpr_queue_ptr 0
		.amdhsa_user_sgpr_kernarg_segment_ptr 1
		.amdhsa_user_sgpr_dispatch_id 0
		.amdhsa_user_sgpr_flat_scratch_init 0
		.amdhsa_user_sgpr_private_segment_size 0
		.amdhsa_uses_dynamic_stack 0
		.amdhsa_system_sgpr_private_segment_wavefront_offset 0
		.amdhsa_system_sgpr_workgroup_id_x 1
		.amdhsa_system_sgpr_workgroup_id_y 0
		.amdhsa_system_sgpr_workgroup_id_z 0
		.amdhsa_system_sgpr_workgroup_info 0
		.amdhsa_system_vgpr_workitem_id 0
		.amdhsa_next_free_vgpr 82
		.amdhsa_next_free_sgpr 77
		.amdhsa_reserve_vcc 1
		.amdhsa_reserve_flat_scratch 0
		.amdhsa_float_round_mode_32 0
		.amdhsa_float_round_mode_16_64 0
		.amdhsa_float_denorm_mode_32 3
		.amdhsa_float_denorm_mode_16_64 3
		.amdhsa_dx10_clamp 1
		.amdhsa_ieee_mode 1
		.amdhsa_fp16_overflow 0
		.amdhsa_exception_fp_ieee_invalid_op 0
		.amdhsa_exception_fp_denorm_src 0
		.amdhsa_exception_fp_ieee_div_zero 0
		.amdhsa_exception_fp_ieee_overflow 0
		.amdhsa_exception_fp_ieee_underflow 0
		.amdhsa_exception_fp_ieee_inexact 0
		.amdhsa_exception_int_div_zero 0
	.end_amdhsa_kernel
	.section	.text._ZN7rocprim17ROCPRIM_400000_NS6detail17trampoline_kernelINS0_14default_configENS1_25partition_config_selectorILNS1_17partition_subalgoE8EtNS0_10empty_typeEbEEZZNS1_14partition_implILS5_8ELb0ES3_jN6thrust23THRUST_200600_302600_NS6detail15normal_iteratorINSA_10device_ptrItEEEEPS6_PKS6_NS0_5tupleIJSF_S6_EEENSJ_IJSG_SG_EEENS0_18inequality_wrapperINSA_8equal_toItEEEEPmJS6_EEE10hipError_tPvRmT3_T4_T5_T6_T7_T9_mT8_P12ihipStream_tbDpT10_ENKUlT_T0_E_clISt17integral_constantIbLb0EES1A_EEDaS15_S16_EUlS15_E_NS1_11comp_targetILNS1_3genE2ELNS1_11target_archE906ELNS1_3gpuE6ELNS1_3repE0EEENS1_30default_config_static_selectorELNS0_4arch9wavefront6targetE1EEEvT1_,"axG",@progbits,_ZN7rocprim17ROCPRIM_400000_NS6detail17trampoline_kernelINS0_14default_configENS1_25partition_config_selectorILNS1_17partition_subalgoE8EtNS0_10empty_typeEbEEZZNS1_14partition_implILS5_8ELb0ES3_jN6thrust23THRUST_200600_302600_NS6detail15normal_iteratorINSA_10device_ptrItEEEEPS6_PKS6_NS0_5tupleIJSF_S6_EEENSJ_IJSG_SG_EEENS0_18inequality_wrapperINSA_8equal_toItEEEEPmJS6_EEE10hipError_tPvRmT3_T4_T5_T6_T7_T9_mT8_P12ihipStream_tbDpT10_ENKUlT_T0_E_clISt17integral_constantIbLb0EES1A_EEDaS15_S16_EUlS15_E_NS1_11comp_targetILNS1_3genE2ELNS1_11target_archE906ELNS1_3gpuE6ELNS1_3repE0EEENS1_30default_config_static_selectorELNS0_4arch9wavefront6targetE1EEEvT1_,comdat
.Lfunc_end279:
	.size	_ZN7rocprim17ROCPRIM_400000_NS6detail17trampoline_kernelINS0_14default_configENS1_25partition_config_selectorILNS1_17partition_subalgoE8EtNS0_10empty_typeEbEEZZNS1_14partition_implILS5_8ELb0ES3_jN6thrust23THRUST_200600_302600_NS6detail15normal_iteratorINSA_10device_ptrItEEEEPS6_PKS6_NS0_5tupleIJSF_S6_EEENSJ_IJSG_SG_EEENS0_18inequality_wrapperINSA_8equal_toItEEEEPmJS6_EEE10hipError_tPvRmT3_T4_T5_T6_T7_T9_mT8_P12ihipStream_tbDpT10_ENKUlT_T0_E_clISt17integral_constantIbLb0EES1A_EEDaS15_S16_EUlS15_E_NS1_11comp_targetILNS1_3genE2ELNS1_11target_archE906ELNS1_3gpuE6ELNS1_3repE0EEENS1_30default_config_static_selectorELNS0_4arch9wavefront6targetE1EEEvT1_, .Lfunc_end279-_ZN7rocprim17ROCPRIM_400000_NS6detail17trampoline_kernelINS0_14default_configENS1_25partition_config_selectorILNS1_17partition_subalgoE8EtNS0_10empty_typeEbEEZZNS1_14partition_implILS5_8ELb0ES3_jN6thrust23THRUST_200600_302600_NS6detail15normal_iteratorINSA_10device_ptrItEEEEPS6_PKS6_NS0_5tupleIJSF_S6_EEENSJ_IJSG_SG_EEENS0_18inequality_wrapperINSA_8equal_toItEEEEPmJS6_EEE10hipError_tPvRmT3_T4_T5_T6_T7_T9_mT8_P12ihipStream_tbDpT10_ENKUlT_T0_E_clISt17integral_constantIbLb0EES1A_EEDaS15_S16_EUlS15_E_NS1_11comp_targetILNS1_3genE2ELNS1_11target_archE906ELNS1_3gpuE6ELNS1_3repE0EEENS1_30default_config_static_selectorELNS0_4arch9wavefront6targetE1EEEvT1_
                                        ; -- End function
	.set _ZN7rocprim17ROCPRIM_400000_NS6detail17trampoline_kernelINS0_14default_configENS1_25partition_config_selectorILNS1_17partition_subalgoE8EtNS0_10empty_typeEbEEZZNS1_14partition_implILS5_8ELb0ES3_jN6thrust23THRUST_200600_302600_NS6detail15normal_iteratorINSA_10device_ptrItEEEEPS6_PKS6_NS0_5tupleIJSF_S6_EEENSJ_IJSG_SG_EEENS0_18inequality_wrapperINSA_8equal_toItEEEEPmJS6_EEE10hipError_tPvRmT3_T4_T5_T6_T7_T9_mT8_P12ihipStream_tbDpT10_ENKUlT_T0_E_clISt17integral_constantIbLb0EES1A_EEDaS15_S16_EUlS15_E_NS1_11comp_targetILNS1_3genE2ELNS1_11target_archE906ELNS1_3gpuE6ELNS1_3repE0EEENS1_30default_config_static_selectorELNS0_4arch9wavefront6targetE1EEEvT1_.num_vgpr, 82
	.set _ZN7rocprim17ROCPRIM_400000_NS6detail17trampoline_kernelINS0_14default_configENS1_25partition_config_selectorILNS1_17partition_subalgoE8EtNS0_10empty_typeEbEEZZNS1_14partition_implILS5_8ELb0ES3_jN6thrust23THRUST_200600_302600_NS6detail15normal_iteratorINSA_10device_ptrItEEEEPS6_PKS6_NS0_5tupleIJSF_S6_EEENSJ_IJSG_SG_EEENS0_18inequality_wrapperINSA_8equal_toItEEEEPmJS6_EEE10hipError_tPvRmT3_T4_T5_T6_T7_T9_mT8_P12ihipStream_tbDpT10_ENKUlT_T0_E_clISt17integral_constantIbLb0EES1A_EEDaS15_S16_EUlS15_E_NS1_11comp_targetILNS1_3genE2ELNS1_11target_archE906ELNS1_3gpuE6ELNS1_3repE0EEENS1_30default_config_static_selectorELNS0_4arch9wavefront6targetE1EEEvT1_.num_agpr, 0
	.set _ZN7rocprim17ROCPRIM_400000_NS6detail17trampoline_kernelINS0_14default_configENS1_25partition_config_selectorILNS1_17partition_subalgoE8EtNS0_10empty_typeEbEEZZNS1_14partition_implILS5_8ELb0ES3_jN6thrust23THRUST_200600_302600_NS6detail15normal_iteratorINSA_10device_ptrItEEEEPS6_PKS6_NS0_5tupleIJSF_S6_EEENSJ_IJSG_SG_EEENS0_18inequality_wrapperINSA_8equal_toItEEEEPmJS6_EEE10hipError_tPvRmT3_T4_T5_T6_T7_T9_mT8_P12ihipStream_tbDpT10_ENKUlT_T0_E_clISt17integral_constantIbLb0EES1A_EEDaS15_S16_EUlS15_E_NS1_11comp_targetILNS1_3genE2ELNS1_11target_archE906ELNS1_3gpuE6ELNS1_3repE0EEENS1_30default_config_static_selectorELNS0_4arch9wavefront6targetE1EEEvT1_.numbered_sgpr, 60
	.set _ZN7rocprim17ROCPRIM_400000_NS6detail17trampoline_kernelINS0_14default_configENS1_25partition_config_selectorILNS1_17partition_subalgoE8EtNS0_10empty_typeEbEEZZNS1_14partition_implILS5_8ELb0ES3_jN6thrust23THRUST_200600_302600_NS6detail15normal_iteratorINSA_10device_ptrItEEEEPS6_PKS6_NS0_5tupleIJSF_S6_EEENSJ_IJSG_SG_EEENS0_18inequality_wrapperINSA_8equal_toItEEEEPmJS6_EEE10hipError_tPvRmT3_T4_T5_T6_T7_T9_mT8_P12ihipStream_tbDpT10_ENKUlT_T0_E_clISt17integral_constantIbLb0EES1A_EEDaS15_S16_EUlS15_E_NS1_11comp_targetILNS1_3genE2ELNS1_11target_archE906ELNS1_3gpuE6ELNS1_3repE0EEENS1_30default_config_static_selectorELNS0_4arch9wavefront6targetE1EEEvT1_.num_named_barrier, 0
	.set _ZN7rocprim17ROCPRIM_400000_NS6detail17trampoline_kernelINS0_14default_configENS1_25partition_config_selectorILNS1_17partition_subalgoE8EtNS0_10empty_typeEbEEZZNS1_14partition_implILS5_8ELb0ES3_jN6thrust23THRUST_200600_302600_NS6detail15normal_iteratorINSA_10device_ptrItEEEEPS6_PKS6_NS0_5tupleIJSF_S6_EEENSJ_IJSG_SG_EEENS0_18inequality_wrapperINSA_8equal_toItEEEEPmJS6_EEE10hipError_tPvRmT3_T4_T5_T6_T7_T9_mT8_P12ihipStream_tbDpT10_ENKUlT_T0_E_clISt17integral_constantIbLb0EES1A_EEDaS15_S16_EUlS15_E_NS1_11comp_targetILNS1_3genE2ELNS1_11target_archE906ELNS1_3gpuE6ELNS1_3repE0EEENS1_30default_config_static_selectorELNS0_4arch9wavefront6targetE1EEEvT1_.private_seg_size, 0
	.set _ZN7rocprim17ROCPRIM_400000_NS6detail17trampoline_kernelINS0_14default_configENS1_25partition_config_selectorILNS1_17partition_subalgoE8EtNS0_10empty_typeEbEEZZNS1_14partition_implILS5_8ELb0ES3_jN6thrust23THRUST_200600_302600_NS6detail15normal_iteratorINSA_10device_ptrItEEEEPS6_PKS6_NS0_5tupleIJSF_S6_EEENSJ_IJSG_SG_EEENS0_18inequality_wrapperINSA_8equal_toItEEEEPmJS6_EEE10hipError_tPvRmT3_T4_T5_T6_T7_T9_mT8_P12ihipStream_tbDpT10_ENKUlT_T0_E_clISt17integral_constantIbLb0EES1A_EEDaS15_S16_EUlS15_E_NS1_11comp_targetILNS1_3genE2ELNS1_11target_archE906ELNS1_3gpuE6ELNS1_3repE0EEENS1_30default_config_static_selectorELNS0_4arch9wavefront6targetE1EEEvT1_.uses_vcc, 1
	.set _ZN7rocprim17ROCPRIM_400000_NS6detail17trampoline_kernelINS0_14default_configENS1_25partition_config_selectorILNS1_17partition_subalgoE8EtNS0_10empty_typeEbEEZZNS1_14partition_implILS5_8ELb0ES3_jN6thrust23THRUST_200600_302600_NS6detail15normal_iteratorINSA_10device_ptrItEEEEPS6_PKS6_NS0_5tupleIJSF_S6_EEENSJ_IJSG_SG_EEENS0_18inequality_wrapperINSA_8equal_toItEEEEPmJS6_EEE10hipError_tPvRmT3_T4_T5_T6_T7_T9_mT8_P12ihipStream_tbDpT10_ENKUlT_T0_E_clISt17integral_constantIbLb0EES1A_EEDaS15_S16_EUlS15_E_NS1_11comp_targetILNS1_3genE2ELNS1_11target_archE906ELNS1_3gpuE6ELNS1_3repE0EEENS1_30default_config_static_selectorELNS0_4arch9wavefront6targetE1EEEvT1_.uses_flat_scratch, 0
	.set _ZN7rocprim17ROCPRIM_400000_NS6detail17trampoline_kernelINS0_14default_configENS1_25partition_config_selectorILNS1_17partition_subalgoE8EtNS0_10empty_typeEbEEZZNS1_14partition_implILS5_8ELb0ES3_jN6thrust23THRUST_200600_302600_NS6detail15normal_iteratorINSA_10device_ptrItEEEEPS6_PKS6_NS0_5tupleIJSF_S6_EEENSJ_IJSG_SG_EEENS0_18inequality_wrapperINSA_8equal_toItEEEEPmJS6_EEE10hipError_tPvRmT3_T4_T5_T6_T7_T9_mT8_P12ihipStream_tbDpT10_ENKUlT_T0_E_clISt17integral_constantIbLb0EES1A_EEDaS15_S16_EUlS15_E_NS1_11comp_targetILNS1_3genE2ELNS1_11target_archE906ELNS1_3gpuE6ELNS1_3repE0EEENS1_30default_config_static_selectorELNS0_4arch9wavefront6targetE1EEEvT1_.has_dyn_sized_stack, 0
	.set _ZN7rocprim17ROCPRIM_400000_NS6detail17trampoline_kernelINS0_14default_configENS1_25partition_config_selectorILNS1_17partition_subalgoE8EtNS0_10empty_typeEbEEZZNS1_14partition_implILS5_8ELb0ES3_jN6thrust23THRUST_200600_302600_NS6detail15normal_iteratorINSA_10device_ptrItEEEEPS6_PKS6_NS0_5tupleIJSF_S6_EEENSJ_IJSG_SG_EEENS0_18inequality_wrapperINSA_8equal_toItEEEEPmJS6_EEE10hipError_tPvRmT3_T4_T5_T6_T7_T9_mT8_P12ihipStream_tbDpT10_ENKUlT_T0_E_clISt17integral_constantIbLb0EES1A_EEDaS15_S16_EUlS15_E_NS1_11comp_targetILNS1_3genE2ELNS1_11target_archE906ELNS1_3gpuE6ELNS1_3repE0EEENS1_30default_config_static_selectorELNS0_4arch9wavefront6targetE1EEEvT1_.has_recursion, 0
	.set _ZN7rocprim17ROCPRIM_400000_NS6detail17trampoline_kernelINS0_14default_configENS1_25partition_config_selectorILNS1_17partition_subalgoE8EtNS0_10empty_typeEbEEZZNS1_14partition_implILS5_8ELb0ES3_jN6thrust23THRUST_200600_302600_NS6detail15normal_iteratorINSA_10device_ptrItEEEEPS6_PKS6_NS0_5tupleIJSF_S6_EEENSJ_IJSG_SG_EEENS0_18inequality_wrapperINSA_8equal_toItEEEEPmJS6_EEE10hipError_tPvRmT3_T4_T5_T6_T7_T9_mT8_P12ihipStream_tbDpT10_ENKUlT_T0_E_clISt17integral_constantIbLb0EES1A_EEDaS15_S16_EUlS15_E_NS1_11comp_targetILNS1_3genE2ELNS1_11target_archE906ELNS1_3gpuE6ELNS1_3repE0EEENS1_30default_config_static_selectorELNS0_4arch9wavefront6targetE1EEEvT1_.has_indirect_call, 0
	.section	.AMDGPU.csdata,"",@progbits
; Kernel info:
; codeLenInByte = 8220
; TotalNumSgprs: 64
; NumVgprs: 82
; ScratchSize: 0
; MemoryBound: 0
; FloatMode: 240
; IeeeMode: 1
; LDSByteSize: 6920 bytes/workgroup (compile time only)
; SGPRBlocks: 10
; VGPRBlocks: 20
; NumSGPRsForWavesPerEU: 81
; NumVGPRsForWavesPerEU: 82
; Occupancy: 3
; WaveLimiterHint : 1
; COMPUTE_PGM_RSRC2:SCRATCH_EN: 0
; COMPUTE_PGM_RSRC2:USER_SGPR: 6
; COMPUTE_PGM_RSRC2:TRAP_HANDLER: 0
; COMPUTE_PGM_RSRC2:TGID_X_EN: 1
; COMPUTE_PGM_RSRC2:TGID_Y_EN: 0
; COMPUTE_PGM_RSRC2:TGID_Z_EN: 0
; COMPUTE_PGM_RSRC2:TIDIG_COMP_CNT: 0
	.section	.text._ZN7rocprim17ROCPRIM_400000_NS6detail17trampoline_kernelINS0_14default_configENS1_25partition_config_selectorILNS1_17partition_subalgoE8EtNS0_10empty_typeEbEEZZNS1_14partition_implILS5_8ELb0ES3_jN6thrust23THRUST_200600_302600_NS6detail15normal_iteratorINSA_10device_ptrItEEEEPS6_PKS6_NS0_5tupleIJSF_S6_EEENSJ_IJSG_SG_EEENS0_18inequality_wrapperINSA_8equal_toItEEEEPmJS6_EEE10hipError_tPvRmT3_T4_T5_T6_T7_T9_mT8_P12ihipStream_tbDpT10_ENKUlT_T0_E_clISt17integral_constantIbLb0EES1A_EEDaS15_S16_EUlS15_E_NS1_11comp_targetILNS1_3genE10ELNS1_11target_archE1200ELNS1_3gpuE4ELNS1_3repE0EEENS1_30default_config_static_selectorELNS0_4arch9wavefront6targetE1EEEvT1_,"axG",@progbits,_ZN7rocprim17ROCPRIM_400000_NS6detail17trampoline_kernelINS0_14default_configENS1_25partition_config_selectorILNS1_17partition_subalgoE8EtNS0_10empty_typeEbEEZZNS1_14partition_implILS5_8ELb0ES3_jN6thrust23THRUST_200600_302600_NS6detail15normal_iteratorINSA_10device_ptrItEEEEPS6_PKS6_NS0_5tupleIJSF_S6_EEENSJ_IJSG_SG_EEENS0_18inequality_wrapperINSA_8equal_toItEEEEPmJS6_EEE10hipError_tPvRmT3_T4_T5_T6_T7_T9_mT8_P12ihipStream_tbDpT10_ENKUlT_T0_E_clISt17integral_constantIbLb0EES1A_EEDaS15_S16_EUlS15_E_NS1_11comp_targetILNS1_3genE10ELNS1_11target_archE1200ELNS1_3gpuE4ELNS1_3repE0EEENS1_30default_config_static_selectorELNS0_4arch9wavefront6targetE1EEEvT1_,comdat
	.protected	_ZN7rocprim17ROCPRIM_400000_NS6detail17trampoline_kernelINS0_14default_configENS1_25partition_config_selectorILNS1_17partition_subalgoE8EtNS0_10empty_typeEbEEZZNS1_14partition_implILS5_8ELb0ES3_jN6thrust23THRUST_200600_302600_NS6detail15normal_iteratorINSA_10device_ptrItEEEEPS6_PKS6_NS0_5tupleIJSF_S6_EEENSJ_IJSG_SG_EEENS0_18inequality_wrapperINSA_8equal_toItEEEEPmJS6_EEE10hipError_tPvRmT3_T4_T5_T6_T7_T9_mT8_P12ihipStream_tbDpT10_ENKUlT_T0_E_clISt17integral_constantIbLb0EES1A_EEDaS15_S16_EUlS15_E_NS1_11comp_targetILNS1_3genE10ELNS1_11target_archE1200ELNS1_3gpuE4ELNS1_3repE0EEENS1_30default_config_static_selectorELNS0_4arch9wavefront6targetE1EEEvT1_ ; -- Begin function _ZN7rocprim17ROCPRIM_400000_NS6detail17trampoline_kernelINS0_14default_configENS1_25partition_config_selectorILNS1_17partition_subalgoE8EtNS0_10empty_typeEbEEZZNS1_14partition_implILS5_8ELb0ES3_jN6thrust23THRUST_200600_302600_NS6detail15normal_iteratorINSA_10device_ptrItEEEEPS6_PKS6_NS0_5tupleIJSF_S6_EEENSJ_IJSG_SG_EEENS0_18inequality_wrapperINSA_8equal_toItEEEEPmJS6_EEE10hipError_tPvRmT3_T4_T5_T6_T7_T9_mT8_P12ihipStream_tbDpT10_ENKUlT_T0_E_clISt17integral_constantIbLb0EES1A_EEDaS15_S16_EUlS15_E_NS1_11comp_targetILNS1_3genE10ELNS1_11target_archE1200ELNS1_3gpuE4ELNS1_3repE0EEENS1_30default_config_static_selectorELNS0_4arch9wavefront6targetE1EEEvT1_
	.globl	_ZN7rocprim17ROCPRIM_400000_NS6detail17trampoline_kernelINS0_14default_configENS1_25partition_config_selectorILNS1_17partition_subalgoE8EtNS0_10empty_typeEbEEZZNS1_14partition_implILS5_8ELb0ES3_jN6thrust23THRUST_200600_302600_NS6detail15normal_iteratorINSA_10device_ptrItEEEEPS6_PKS6_NS0_5tupleIJSF_S6_EEENSJ_IJSG_SG_EEENS0_18inequality_wrapperINSA_8equal_toItEEEEPmJS6_EEE10hipError_tPvRmT3_T4_T5_T6_T7_T9_mT8_P12ihipStream_tbDpT10_ENKUlT_T0_E_clISt17integral_constantIbLb0EES1A_EEDaS15_S16_EUlS15_E_NS1_11comp_targetILNS1_3genE10ELNS1_11target_archE1200ELNS1_3gpuE4ELNS1_3repE0EEENS1_30default_config_static_selectorELNS0_4arch9wavefront6targetE1EEEvT1_
	.p2align	8
	.type	_ZN7rocprim17ROCPRIM_400000_NS6detail17trampoline_kernelINS0_14default_configENS1_25partition_config_selectorILNS1_17partition_subalgoE8EtNS0_10empty_typeEbEEZZNS1_14partition_implILS5_8ELb0ES3_jN6thrust23THRUST_200600_302600_NS6detail15normal_iteratorINSA_10device_ptrItEEEEPS6_PKS6_NS0_5tupleIJSF_S6_EEENSJ_IJSG_SG_EEENS0_18inequality_wrapperINSA_8equal_toItEEEEPmJS6_EEE10hipError_tPvRmT3_T4_T5_T6_T7_T9_mT8_P12ihipStream_tbDpT10_ENKUlT_T0_E_clISt17integral_constantIbLb0EES1A_EEDaS15_S16_EUlS15_E_NS1_11comp_targetILNS1_3genE10ELNS1_11target_archE1200ELNS1_3gpuE4ELNS1_3repE0EEENS1_30default_config_static_selectorELNS0_4arch9wavefront6targetE1EEEvT1_,@function
_ZN7rocprim17ROCPRIM_400000_NS6detail17trampoline_kernelINS0_14default_configENS1_25partition_config_selectorILNS1_17partition_subalgoE8EtNS0_10empty_typeEbEEZZNS1_14partition_implILS5_8ELb0ES3_jN6thrust23THRUST_200600_302600_NS6detail15normal_iteratorINSA_10device_ptrItEEEEPS6_PKS6_NS0_5tupleIJSF_S6_EEENSJ_IJSG_SG_EEENS0_18inequality_wrapperINSA_8equal_toItEEEEPmJS6_EEE10hipError_tPvRmT3_T4_T5_T6_T7_T9_mT8_P12ihipStream_tbDpT10_ENKUlT_T0_E_clISt17integral_constantIbLb0EES1A_EEDaS15_S16_EUlS15_E_NS1_11comp_targetILNS1_3genE10ELNS1_11target_archE1200ELNS1_3gpuE4ELNS1_3repE0EEENS1_30default_config_static_selectorELNS0_4arch9wavefront6targetE1EEEvT1_: ; @_ZN7rocprim17ROCPRIM_400000_NS6detail17trampoline_kernelINS0_14default_configENS1_25partition_config_selectorILNS1_17partition_subalgoE8EtNS0_10empty_typeEbEEZZNS1_14partition_implILS5_8ELb0ES3_jN6thrust23THRUST_200600_302600_NS6detail15normal_iteratorINSA_10device_ptrItEEEEPS6_PKS6_NS0_5tupleIJSF_S6_EEENSJ_IJSG_SG_EEENS0_18inequality_wrapperINSA_8equal_toItEEEEPmJS6_EEE10hipError_tPvRmT3_T4_T5_T6_T7_T9_mT8_P12ihipStream_tbDpT10_ENKUlT_T0_E_clISt17integral_constantIbLb0EES1A_EEDaS15_S16_EUlS15_E_NS1_11comp_targetILNS1_3genE10ELNS1_11target_archE1200ELNS1_3gpuE4ELNS1_3repE0EEENS1_30default_config_static_selectorELNS0_4arch9wavefront6targetE1EEEvT1_
; %bb.0:
	.section	.rodata,"a",@progbits
	.p2align	6, 0x0
	.amdhsa_kernel _ZN7rocprim17ROCPRIM_400000_NS6detail17trampoline_kernelINS0_14default_configENS1_25partition_config_selectorILNS1_17partition_subalgoE8EtNS0_10empty_typeEbEEZZNS1_14partition_implILS5_8ELb0ES3_jN6thrust23THRUST_200600_302600_NS6detail15normal_iteratorINSA_10device_ptrItEEEEPS6_PKS6_NS0_5tupleIJSF_S6_EEENSJ_IJSG_SG_EEENS0_18inequality_wrapperINSA_8equal_toItEEEEPmJS6_EEE10hipError_tPvRmT3_T4_T5_T6_T7_T9_mT8_P12ihipStream_tbDpT10_ENKUlT_T0_E_clISt17integral_constantIbLb0EES1A_EEDaS15_S16_EUlS15_E_NS1_11comp_targetILNS1_3genE10ELNS1_11target_archE1200ELNS1_3gpuE4ELNS1_3repE0EEENS1_30default_config_static_selectorELNS0_4arch9wavefront6targetE1EEEvT1_
		.amdhsa_group_segment_fixed_size 0
		.amdhsa_private_segment_fixed_size 0
		.amdhsa_kernarg_size 112
		.amdhsa_user_sgpr_count 6
		.amdhsa_user_sgpr_private_segment_buffer 1
		.amdhsa_user_sgpr_dispatch_ptr 0
		.amdhsa_user_sgpr_queue_ptr 0
		.amdhsa_user_sgpr_kernarg_segment_ptr 1
		.amdhsa_user_sgpr_dispatch_id 0
		.amdhsa_user_sgpr_flat_scratch_init 0
		.amdhsa_user_sgpr_private_segment_size 0
		.amdhsa_uses_dynamic_stack 0
		.amdhsa_system_sgpr_private_segment_wavefront_offset 0
		.amdhsa_system_sgpr_workgroup_id_x 1
		.amdhsa_system_sgpr_workgroup_id_y 0
		.amdhsa_system_sgpr_workgroup_id_z 0
		.amdhsa_system_sgpr_workgroup_info 0
		.amdhsa_system_vgpr_workitem_id 0
		.amdhsa_next_free_vgpr 1
		.amdhsa_next_free_sgpr 0
		.amdhsa_reserve_vcc 0
		.amdhsa_reserve_flat_scratch 0
		.amdhsa_float_round_mode_32 0
		.amdhsa_float_round_mode_16_64 0
		.amdhsa_float_denorm_mode_32 3
		.amdhsa_float_denorm_mode_16_64 3
		.amdhsa_dx10_clamp 1
		.amdhsa_ieee_mode 1
		.amdhsa_fp16_overflow 0
		.amdhsa_exception_fp_ieee_invalid_op 0
		.amdhsa_exception_fp_denorm_src 0
		.amdhsa_exception_fp_ieee_div_zero 0
		.amdhsa_exception_fp_ieee_overflow 0
		.amdhsa_exception_fp_ieee_underflow 0
		.amdhsa_exception_fp_ieee_inexact 0
		.amdhsa_exception_int_div_zero 0
	.end_amdhsa_kernel
	.section	.text._ZN7rocprim17ROCPRIM_400000_NS6detail17trampoline_kernelINS0_14default_configENS1_25partition_config_selectorILNS1_17partition_subalgoE8EtNS0_10empty_typeEbEEZZNS1_14partition_implILS5_8ELb0ES3_jN6thrust23THRUST_200600_302600_NS6detail15normal_iteratorINSA_10device_ptrItEEEEPS6_PKS6_NS0_5tupleIJSF_S6_EEENSJ_IJSG_SG_EEENS0_18inequality_wrapperINSA_8equal_toItEEEEPmJS6_EEE10hipError_tPvRmT3_T4_T5_T6_T7_T9_mT8_P12ihipStream_tbDpT10_ENKUlT_T0_E_clISt17integral_constantIbLb0EES1A_EEDaS15_S16_EUlS15_E_NS1_11comp_targetILNS1_3genE10ELNS1_11target_archE1200ELNS1_3gpuE4ELNS1_3repE0EEENS1_30default_config_static_selectorELNS0_4arch9wavefront6targetE1EEEvT1_,"axG",@progbits,_ZN7rocprim17ROCPRIM_400000_NS6detail17trampoline_kernelINS0_14default_configENS1_25partition_config_selectorILNS1_17partition_subalgoE8EtNS0_10empty_typeEbEEZZNS1_14partition_implILS5_8ELb0ES3_jN6thrust23THRUST_200600_302600_NS6detail15normal_iteratorINSA_10device_ptrItEEEEPS6_PKS6_NS0_5tupleIJSF_S6_EEENSJ_IJSG_SG_EEENS0_18inequality_wrapperINSA_8equal_toItEEEEPmJS6_EEE10hipError_tPvRmT3_T4_T5_T6_T7_T9_mT8_P12ihipStream_tbDpT10_ENKUlT_T0_E_clISt17integral_constantIbLb0EES1A_EEDaS15_S16_EUlS15_E_NS1_11comp_targetILNS1_3genE10ELNS1_11target_archE1200ELNS1_3gpuE4ELNS1_3repE0EEENS1_30default_config_static_selectorELNS0_4arch9wavefront6targetE1EEEvT1_,comdat
.Lfunc_end280:
	.size	_ZN7rocprim17ROCPRIM_400000_NS6detail17trampoline_kernelINS0_14default_configENS1_25partition_config_selectorILNS1_17partition_subalgoE8EtNS0_10empty_typeEbEEZZNS1_14partition_implILS5_8ELb0ES3_jN6thrust23THRUST_200600_302600_NS6detail15normal_iteratorINSA_10device_ptrItEEEEPS6_PKS6_NS0_5tupleIJSF_S6_EEENSJ_IJSG_SG_EEENS0_18inequality_wrapperINSA_8equal_toItEEEEPmJS6_EEE10hipError_tPvRmT3_T4_T5_T6_T7_T9_mT8_P12ihipStream_tbDpT10_ENKUlT_T0_E_clISt17integral_constantIbLb0EES1A_EEDaS15_S16_EUlS15_E_NS1_11comp_targetILNS1_3genE10ELNS1_11target_archE1200ELNS1_3gpuE4ELNS1_3repE0EEENS1_30default_config_static_selectorELNS0_4arch9wavefront6targetE1EEEvT1_, .Lfunc_end280-_ZN7rocprim17ROCPRIM_400000_NS6detail17trampoline_kernelINS0_14default_configENS1_25partition_config_selectorILNS1_17partition_subalgoE8EtNS0_10empty_typeEbEEZZNS1_14partition_implILS5_8ELb0ES3_jN6thrust23THRUST_200600_302600_NS6detail15normal_iteratorINSA_10device_ptrItEEEEPS6_PKS6_NS0_5tupleIJSF_S6_EEENSJ_IJSG_SG_EEENS0_18inequality_wrapperINSA_8equal_toItEEEEPmJS6_EEE10hipError_tPvRmT3_T4_T5_T6_T7_T9_mT8_P12ihipStream_tbDpT10_ENKUlT_T0_E_clISt17integral_constantIbLb0EES1A_EEDaS15_S16_EUlS15_E_NS1_11comp_targetILNS1_3genE10ELNS1_11target_archE1200ELNS1_3gpuE4ELNS1_3repE0EEENS1_30default_config_static_selectorELNS0_4arch9wavefront6targetE1EEEvT1_
                                        ; -- End function
	.set _ZN7rocprim17ROCPRIM_400000_NS6detail17trampoline_kernelINS0_14default_configENS1_25partition_config_selectorILNS1_17partition_subalgoE8EtNS0_10empty_typeEbEEZZNS1_14partition_implILS5_8ELb0ES3_jN6thrust23THRUST_200600_302600_NS6detail15normal_iteratorINSA_10device_ptrItEEEEPS6_PKS6_NS0_5tupleIJSF_S6_EEENSJ_IJSG_SG_EEENS0_18inequality_wrapperINSA_8equal_toItEEEEPmJS6_EEE10hipError_tPvRmT3_T4_T5_T6_T7_T9_mT8_P12ihipStream_tbDpT10_ENKUlT_T0_E_clISt17integral_constantIbLb0EES1A_EEDaS15_S16_EUlS15_E_NS1_11comp_targetILNS1_3genE10ELNS1_11target_archE1200ELNS1_3gpuE4ELNS1_3repE0EEENS1_30default_config_static_selectorELNS0_4arch9wavefront6targetE1EEEvT1_.num_vgpr, 0
	.set _ZN7rocprim17ROCPRIM_400000_NS6detail17trampoline_kernelINS0_14default_configENS1_25partition_config_selectorILNS1_17partition_subalgoE8EtNS0_10empty_typeEbEEZZNS1_14partition_implILS5_8ELb0ES3_jN6thrust23THRUST_200600_302600_NS6detail15normal_iteratorINSA_10device_ptrItEEEEPS6_PKS6_NS0_5tupleIJSF_S6_EEENSJ_IJSG_SG_EEENS0_18inequality_wrapperINSA_8equal_toItEEEEPmJS6_EEE10hipError_tPvRmT3_T4_T5_T6_T7_T9_mT8_P12ihipStream_tbDpT10_ENKUlT_T0_E_clISt17integral_constantIbLb0EES1A_EEDaS15_S16_EUlS15_E_NS1_11comp_targetILNS1_3genE10ELNS1_11target_archE1200ELNS1_3gpuE4ELNS1_3repE0EEENS1_30default_config_static_selectorELNS0_4arch9wavefront6targetE1EEEvT1_.num_agpr, 0
	.set _ZN7rocprim17ROCPRIM_400000_NS6detail17trampoline_kernelINS0_14default_configENS1_25partition_config_selectorILNS1_17partition_subalgoE8EtNS0_10empty_typeEbEEZZNS1_14partition_implILS5_8ELb0ES3_jN6thrust23THRUST_200600_302600_NS6detail15normal_iteratorINSA_10device_ptrItEEEEPS6_PKS6_NS0_5tupleIJSF_S6_EEENSJ_IJSG_SG_EEENS0_18inequality_wrapperINSA_8equal_toItEEEEPmJS6_EEE10hipError_tPvRmT3_T4_T5_T6_T7_T9_mT8_P12ihipStream_tbDpT10_ENKUlT_T0_E_clISt17integral_constantIbLb0EES1A_EEDaS15_S16_EUlS15_E_NS1_11comp_targetILNS1_3genE10ELNS1_11target_archE1200ELNS1_3gpuE4ELNS1_3repE0EEENS1_30default_config_static_selectorELNS0_4arch9wavefront6targetE1EEEvT1_.numbered_sgpr, 0
	.set _ZN7rocprim17ROCPRIM_400000_NS6detail17trampoline_kernelINS0_14default_configENS1_25partition_config_selectorILNS1_17partition_subalgoE8EtNS0_10empty_typeEbEEZZNS1_14partition_implILS5_8ELb0ES3_jN6thrust23THRUST_200600_302600_NS6detail15normal_iteratorINSA_10device_ptrItEEEEPS6_PKS6_NS0_5tupleIJSF_S6_EEENSJ_IJSG_SG_EEENS0_18inequality_wrapperINSA_8equal_toItEEEEPmJS6_EEE10hipError_tPvRmT3_T4_T5_T6_T7_T9_mT8_P12ihipStream_tbDpT10_ENKUlT_T0_E_clISt17integral_constantIbLb0EES1A_EEDaS15_S16_EUlS15_E_NS1_11comp_targetILNS1_3genE10ELNS1_11target_archE1200ELNS1_3gpuE4ELNS1_3repE0EEENS1_30default_config_static_selectorELNS0_4arch9wavefront6targetE1EEEvT1_.num_named_barrier, 0
	.set _ZN7rocprim17ROCPRIM_400000_NS6detail17trampoline_kernelINS0_14default_configENS1_25partition_config_selectorILNS1_17partition_subalgoE8EtNS0_10empty_typeEbEEZZNS1_14partition_implILS5_8ELb0ES3_jN6thrust23THRUST_200600_302600_NS6detail15normal_iteratorINSA_10device_ptrItEEEEPS6_PKS6_NS0_5tupleIJSF_S6_EEENSJ_IJSG_SG_EEENS0_18inequality_wrapperINSA_8equal_toItEEEEPmJS6_EEE10hipError_tPvRmT3_T4_T5_T6_T7_T9_mT8_P12ihipStream_tbDpT10_ENKUlT_T0_E_clISt17integral_constantIbLb0EES1A_EEDaS15_S16_EUlS15_E_NS1_11comp_targetILNS1_3genE10ELNS1_11target_archE1200ELNS1_3gpuE4ELNS1_3repE0EEENS1_30default_config_static_selectorELNS0_4arch9wavefront6targetE1EEEvT1_.private_seg_size, 0
	.set _ZN7rocprim17ROCPRIM_400000_NS6detail17trampoline_kernelINS0_14default_configENS1_25partition_config_selectorILNS1_17partition_subalgoE8EtNS0_10empty_typeEbEEZZNS1_14partition_implILS5_8ELb0ES3_jN6thrust23THRUST_200600_302600_NS6detail15normal_iteratorINSA_10device_ptrItEEEEPS6_PKS6_NS0_5tupleIJSF_S6_EEENSJ_IJSG_SG_EEENS0_18inequality_wrapperINSA_8equal_toItEEEEPmJS6_EEE10hipError_tPvRmT3_T4_T5_T6_T7_T9_mT8_P12ihipStream_tbDpT10_ENKUlT_T0_E_clISt17integral_constantIbLb0EES1A_EEDaS15_S16_EUlS15_E_NS1_11comp_targetILNS1_3genE10ELNS1_11target_archE1200ELNS1_3gpuE4ELNS1_3repE0EEENS1_30default_config_static_selectorELNS0_4arch9wavefront6targetE1EEEvT1_.uses_vcc, 0
	.set _ZN7rocprim17ROCPRIM_400000_NS6detail17trampoline_kernelINS0_14default_configENS1_25partition_config_selectorILNS1_17partition_subalgoE8EtNS0_10empty_typeEbEEZZNS1_14partition_implILS5_8ELb0ES3_jN6thrust23THRUST_200600_302600_NS6detail15normal_iteratorINSA_10device_ptrItEEEEPS6_PKS6_NS0_5tupleIJSF_S6_EEENSJ_IJSG_SG_EEENS0_18inequality_wrapperINSA_8equal_toItEEEEPmJS6_EEE10hipError_tPvRmT3_T4_T5_T6_T7_T9_mT8_P12ihipStream_tbDpT10_ENKUlT_T0_E_clISt17integral_constantIbLb0EES1A_EEDaS15_S16_EUlS15_E_NS1_11comp_targetILNS1_3genE10ELNS1_11target_archE1200ELNS1_3gpuE4ELNS1_3repE0EEENS1_30default_config_static_selectorELNS0_4arch9wavefront6targetE1EEEvT1_.uses_flat_scratch, 0
	.set _ZN7rocprim17ROCPRIM_400000_NS6detail17trampoline_kernelINS0_14default_configENS1_25partition_config_selectorILNS1_17partition_subalgoE8EtNS0_10empty_typeEbEEZZNS1_14partition_implILS5_8ELb0ES3_jN6thrust23THRUST_200600_302600_NS6detail15normal_iteratorINSA_10device_ptrItEEEEPS6_PKS6_NS0_5tupleIJSF_S6_EEENSJ_IJSG_SG_EEENS0_18inequality_wrapperINSA_8equal_toItEEEEPmJS6_EEE10hipError_tPvRmT3_T4_T5_T6_T7_T9_mT8_P12ihipStream_tbDpT10_ENKUlT_T0_E_clISt17integral_constantIbLb0EES1A_EEDaS15_S16_EUlS15_E_NS1_11comp_targetILNS1_3genE10ELNS1_11target_archE1200ELNS1_3gpuE4ELNS1_3repE0EEENS1_30default_config_static_selectorELNS0_4arch9wavefront6targetE1EEEvT1_.has_dyn_sized_stack, 0
	.set _ZN7rocprim17ROCPRIM_400000_NS6detail17trampoline_kernelINS0_14default_configENS1_25partition_config_selectorILNS1_17partition_subalgoE8EtNS0_10empty_typeEbEEZZNS1_14partition_implILS5_8ELb0ES3_jN6thrust23THRUST_200600_302600_NS6detail15normal_iteratorINSA_10device_ptrItEEEEPS6_PKS6_NS0_5tupleIJSF_S6_EEENSJ_IJSG_SG_EEENS0_18inequality_wrapperINSA_8equal_toItEEEEPmJS6_EEE10hipError_tPvRmT3_T4_T5_T6_T7_T9_mT8_P12ihipStream_tbDpT10_ENKUlT_T0_E_clISt17integral_constantIbLb0EES1A_EEDaS15_S16_EUlS15_E_NS1_11comp_targetILNS1_3genE10ELNS1_11target_archE1200ELNS1_3gpuE4ELNS1_3repE0EEENS1_30default_config_static_selectorELNS0_4arch9wavefront6targetE1EEEvT1_.has_recursion, 0
	.set _ZN7rocprim17ROCPRIM_400000_NS6detail17trampoline_kernelINS0_14default_configENS1_25partition_config_selectorILNS1_17partition_subalgoE8EtNS0_10empty_typeEbEEZZNS1_14partition_implILS5_8ELb0ES3_jN6thrust23THRUST_200600_302600_NS6detail15normal_iteratorINSA_10device_ptrItEEEEPS6_PKS6_NS0_5tupleIJSF_S6_EEENSJ_IJSG_SG_EEENS0_18inequality_wrapperINSA_8equal_toItEEEEPmJS6_EEE10hipError_tPvRmT3_T4_T5_T6_T7_T9_mT8_P12ihipStream_tbDpT10_ENKUlT_T0_E_clISt17integral_constantIbLb0EES1A_EEDaS15_S16_EUlS15_E_NS1_11comp_targetILNS1_3genE10ELNS1_11target_archE1200ELNS1_3gpuE4ELNS1_3repE0EEENS1_30default_config_static_selectorELNS0_4arch9wavefront6targetE1EEEvT1_.has_indirect_call, 0
	.section	.AMDGPU.csdata,"",@progbits
; Kernel info:
; codeLenInByte = 0
; TotalNumSgprs: 4
; NumVgprs: 0
; ScratchSize: 0
; MemoryBound: 0
; FloatMode: 240
; IeeeMode: 1
; LDSByteSize: 0 bytes/workgroup (compile time only)
; SGPRBlocks: 0
; VGPRBlocks: 0
; NumSGPRsForWavesPerEU: 4
; NumVGPRsForWavesPerEU: 1
; Occupancy: 10
; WaveLimiterHint : 0
; COMPUTE_PGM_RSRC2:SCRATCH_EN: 0
; COMPUTE_PGM_RSRC2:USER_SGPR: 6
; COMPUTE_PGM_RSRC2:TRAP_HANDLER: 0
; COMPUTE_PGM_RSRC2:TGID_X_EN: 1
; COMPUTE_PGM_RSRC2:TGID_Y_EN: 0
; COMPUTE_PGM_RSRC2:TGID_Z_EN: 0
; COMPUTE_PGM_RSRC2:TIDIG_COMP_CNT: 0
	.section	.text._ZN7rocprim17ROCPRIM_400000_NS6detail17trampoline_kernelINS0_14default_configENS1_25partition_config_selectorILNS1_17partition_subalgoE8EtNS0_10empty_typeEbEEZZNS1_14partition_implILS5_8ELb0ES3_jN6thrust23THRUST_200600_302600_NS6detail15normal_iteratorINSA_10device_ptrItEEEEPS6_PKS6_NS0_5tupleIJSF_S6_EEENSJ_IJSG_SG_EEENS0_18inequality_wrapperINSA_8equal_toItEEEEPmJS6_EEE10hipError_tPvRmT3_T4_T5_T6_T7_T9_mT8_P12ihipStream_tbDpT10_ENKUlT_T0_E_clISt17integral_constantIbLb0EES1A_EEDaS15_S16_EUlS15_E_NS1_11comp_targetILNS1_3genE9ELNS1_11target_archE1100ELNS1_3gpuE3ELNS1_3repE0EEENS1_30default_config_static_selectorELNS0_4arch9wavefront6targetE1EEEvT1_,"axG",@progbits,_ZN7rocprim17ROCPRIM_400000_NS6detail17trampoline_kernelINS0_14default_configENS1_25partition_config_selectorILNS1_17partition_subalgoE8EtNS0_10empty_typeEbEEZZNS1_14partition_implILS5_8ELb0ES3_jN6thrust23THRUST_200600_302600_NS6detail15normal_iteratorINSA_10device_ptrItEEEEPS6_PKS6_NS0_5tupleIJSF_S6_EEENSJ_IJSG_SG_EEENS0_18inequality_wrapperINSA_8equal_toItEEEEPmJS6_EEE10hipError_tPvRmT3_T4_T5_T6_T7_T9_mT8_P12ihipStream_tbDpT10_ENKUlT_T0_E_clISt17integral_constantIbLb0EES1A_EEDaS15_S16_EUlS15_E_NS1_11comp_targetILNS1_3genE9ELNS1_11target_archE1100ELNS1_3gpuE3ELNS1_3repE0EEENS1_30default_config_static_selectorELNS0_4arch9wavefront6targetE1EEEvT1_,comdat
	.protected	_ZN7rocprim17ROCPRIM_400000_NS6detail17trampoline_kernelINS0_14default_configENS1_25partition_config_selectorILNS1_17partition_subalgoE8EtNS0_10empty_typeEbEEZZNS1_14partition_implILS5_8ELb0ES3_jN6thrust23THRUST_200600_302600_NS6detail15normal_iteratorINSA_10device_ptrItEEEEPS6_PKS6_NS0_5tupleIJSF_S6_EEENSJ_IJSG_SG_EEENS0_18inequality_wrapperINSA_8equal_toItEEEEPmJS6_EEE10hipError_tPvRmT3_T4_T5_T6_T7_T9_mT8_P12ihipStream_tbDpT10_ENKUlT_T0_E_clISt17integral_constantIbLb0EES1A_EEDaS15_S16_EUlS15_E_NS1_11comp_targetILNS1_3genE9ELNS1_11target_archE1100ELNS1_3gpuE3ELNS1_3repE0EEENS1_30default_config_static_selectorELNS0_4arch9wavefront6targetE1EEEvT1_ ; -- Begin function _ZN7rocprim17ROCPRIM_400000_NS6detail17trampoline_kernelINS0_14default_configENS1_25partition_config_selectorILNS1_17partition_subalgoE8EtNS0_10empty_typeEbEEZZNS1_14partition_implILS5_8ELb0ES3_jN6thrust23THRUST_200600_302600_NS6detail15normal_iteratorINSA_10device_ptrItEEEEPS6_PKS6_NS0_5tupleIJSF_S6_EEENSJ_IJSG_SG_EEENS0_18inequality_wrapperINSA_8equal_toItEEEEPmJS6_EEE10hipError_tPvRmT3_T4_T5_T6_T7_T9_mT8_P12ihipStream_tbDpT10_ENKUlT_T0_E_clISt17integral_constantIbLb0EES1A_EEDaS15_S16_EUlS15_E_NS1_11comp_targetILNS1_3genE9ELNS1_11target_archE1100ELNS1_3gpuE3ELNS1_3repE0EEENS1_30default_config_static_selectorELNS0_4arch9wavefront6targetE1EEEvT1_
	.globl	_ZN7rocprim17ROCPRIM_400000_NS6detail17trampoline_kernelINS0_14default_configENS1_25partition_config_selectorILNS1_17partition_subalgoE8EtNS0_10empty_typeEbEEZZNS1_14partition_implILS5_8ELb0ES3_jN6thrust23THRUST_200600_302600_NS6detail15normal_iteratorINSA_10device_ptrItEEEEPS6_PKS6_NS0_5tupleIJSF_S6_EEENSJ_IJSG_SG_EEENS0_18inequality_wrapperINSA_8equal_toItEEEEPmJS6_EEE10hipError_tPvRmT3_T4_T5_T6_T7_T9_mT8_P12ihipStream_tbDpT10_ENKUlT_T0_E_clISt17integral_constantIbLb0EES1A_EEDaS15_S16_EUlS15_E_NS1_11comp_targetILNS1_3genE9ELNS1_11target_archE1100ELNS1_3gpuE3ELNS1_3repE0EEENS1_30default_config_static_selectorELNS0_4arch9wavefront6targetE1EEEvT1_
	.p2align	8
	.type	_ZN7rocprim17ROCPRIM_400000_NS6detail17trampoline_kernelINS0_14default_configENS1_25partition_config_selectorILNS1_17partition_subalgoE8EtNS0_10empty_typeEbEEZZNS1_14partition_implILS5_8ELb0ES3_jN6thrust23THRUST_200600_302600_NS6detail15normal_iteratorINSA_10device_ptrItEEEEPS6_PKS6_NS0_5tupleIJSF_S6_EEENSJ_IJSG_SG_EEENS0_18inequality_wrapperINSA_8equal_toItEEEEPmJS6_EEE10hipError_tPvRmT3_T4_T5_T6_T7_T9_mT8_P12ihipStream_tbDpT10_ENKUlT_T0_E_clISt17integral_constantIbLb0EES1A_EEDaS15_S16_EUlS15_E_NS1_11comp_targetILNS1_3genE9ELNS1_11target_archE1100ELNS1_3gpuE3ELNS1_3repE0EEENS1_30default_config_static_selectorELNS0_4arch9wavefront6targetE1EEEvT1_,@function
_ZN7rocprim17ROCPRIM_400000_NS6detail17trampoline_kernelINS0_14default_configENS1_25partition_config_selectorILNS1_17partition_subalgoE8EtNS0_10empty_typeEbEEZZNS1_14partition_implILS5_8ELb0ES3_jN6thrust23THRUST_200600_302600_NS6detail15normal_iteratorINSA_10device_ptrItEEEEPS6_PKS6_NS0_5tupleIJSF_S6_EEENSJ_IJSG_SG_EEENS0_18inequality_wrapperINSA_8equal_toItEEEEPmJS6_EEE10hipError_tPvRmT3_T4_T5_T6_T7_T9_mT8_P12ihipStream_tbDpT10_ENKUlT_T0_E_clISt17integral_constantIbLb0EES1A_EEDaS15_S16_EUlS15_E_NS1_11comp_targetILNS1_3genE9ELNS1_11target_archE1100ELNS1_3gpuE3ELNS1_3repE0EEENS1_30default_config_static_selectorELNS0_4arch9wavefront6targetE1EEEvT1_: ; @_ZN7rocprim17ROCPRIM_400000_NS6detail17trampoline_kernelINS0_14default_configENS1_25partition_config_selectorILNS1_17partition_subalgoE8EtNS0_10empty_typeEbEEZZNS1_14partition_implILS5_8ELb0ES3_jN6thrust23THRUST_200600_302600_NS6detail15normal_iteratorINSA_10device_ptrItEEEEPS6_PKS6_NS0_5tupleIJSF_S6_EEENSJ_IJSG_SG_EEENS0_18inequality_wrapperINSA_8equal_toItEEEEPmJS6_EEE10hipError_tPvRmT3_T4_T5_T6_T7_T9_mT8_P12ihipStream_tbDpT10_ENKUlT_T0_E_clISt17integral_constantIbLb0EES1A_EEDaS15_S16_EUlS15_E_NS1_11comp_targetILNS1_3genE9ELNS1_11target_archE1100ELNS1_3gpuE3ELNS1_3repE0EEENS1_30default_config_static_selectorELNS0_4arch9wavefront6targetE1EEEvT1_
; %bb.0:
	.section	.rodata,"a",@progbits
	.p2align	6, 0x0
	.amdhsa_kernel _ZN7rocprim17ROCPRIM_400000_NS6detail17trampoline_kernelINS0_14default_configENS1_25partition_config_selectorILNS1_17partition_subalgoE8EtNS0_10empty_typeEbEEZZNS1_14partition_implILS5_8ELb0ES3_jN6thrust23THRUST_200600_302600_NS6detail15normal_iteratorINSA_10device_ptrItEEEEPS6_PKS6_NS0_5tupleIJSF_S6_EEENSJ_IJSG_SG_EEENS0_18inequality_wrapperINSA_8equal_toItEEEEPmJS6_EEE10hipError_tPvRmT3_T4_T5_T6_T7_T9_mT8_P12ihipStream_tbDpT10_ENKUlT_T0_E_clISt17integral_constantIbLb0EES1A_EEDaS15_S16_EUlS15_E_NS1_11comp_targetILNS1_3genE9ELNS1_11target_archE1100ELNS1_3gpuE3ELNS1_3repE0EEENS1_30default_config_static_selectorELNS0_4arch9wavefront6targetE1EEEvT1_
		.amdhsa_group_segment_fixed_size 0
		.amdhsa_private_segment_fixed_size 0
		.amdhsa_kernarg_size 112
		.amdhsa_user_sgpr_count 6
		.amdhsa_user_sgpr_private_segment_buffer 1
		.amdhsa_user_sgpr_dispatch_ptr 0
		.amdhsa_user_sgpr_queue_ptr 0
		.amdhsa_user_sgpr_kernarg_segment_ptr 1
		.amdhsa_user_sgpr_dispatch_id 0
		.amdhsa_user_sgpr_flat_scratch_init 0
		.amdhsa_user_sgpr_private_segment_size 0
		.amdhsa_uses_dynamic_stack 0
		.amdhsa_system_sgpr_private_segment_wavefront_offset 0
		.amdhsa_system_sgpr_workgroup_id_x 1
		.amdhsa_system_sgpr_workgroup_id_y 0
		.amdhsa_system_sgpr_workgroup_id_z 0
		.amdhsa_system_sgpr_workgroup_info 0
		.amdhsa_system_vgpr_workitem_id 0
		.amdhsa_next_free_vgpr 1
		.amdhsa_next_free_sgpr 0
		.amdhsa_reserve_vcc 0
		.amdhsa_reserve_flat_scratch 0
		.amdhsa_float_round_mode_32 0
		.amdhsa_float_round_mode_16_64 0
		.amdhsa_float_denorm_mode_32 3
		.amdhsa_float_denorm_mode_16_64 3
		.amdhsa_dx10_clamp 1
		.amdhsa_ieee_mode 1
		.amdhsa_fp16_overflow 0
		.amdhsa_exception_fp_ieee_invalid_op 0
		.amdhsa_exception_fp_denorm_src 0
		.amdhsa_exception_fp_ieee_div_zero 0
		.amdhsa_exception_fp_ieee_overflow 0
		.amdhsa_exception_fp_ieee_underflow 0
		.amdhsa_exception_fp_ieee_inexact 0
		.amdhsa_exception_int_div_zero 0
	.end_amdhsa_kernel
	.section	.text._ZN7rocprim17ROCPRIM_400000_NS6detail17trampoline_kernelINS0_14default_configENS1_25partition_config_selectorILNS1_17partition_subalgoE8EtNS0_10empty_typeEbEEZZNS1_14partition_implILS5_8ELb0ES3_jN6thrust23THRUST_200600_302600_NS6detail15normal_iteratorINSA_10device_ptrItEEEEPS6_PKS6_NS0_5tupleIJSF_S6_EEENSJ_IJSG_SG_EEENS0_18inequality_wrapperINSA_8equal_toItEEEEPmJS6_EEE10hipError_tPvRmT3_T4_T5_T6_T7_T9_mT8_P12ihipStream_tbDpT10_ENKUlT_T0_E_clISt17integral_constantIbLb0EES1A_EEDaS15_S16_EUlS15_E_NS1_11comp_targetILNS1_3genE9ELNS1_11target_archE1100ELNS1_3gpuE3ELNS1_3repE0EEENS1_30default_config_static_selectorELNS0_4arch9wavefront6targetE1EEEvT1_,"axG",@progbits,_ZN7rocprim17ROCPRIM_400000_NS6detail17trampoline_kernelINS0_14default_configENS1_25partition_config_selectorILNS1_17partition_subalgoE8EtNS0_10empty_typeEbEEZZNS1_14partition_implILS5_8ELb0ES3_jN6thrust23THRUST_200600_302600_NS6detail15normal_iteratorINSA_10device_ptrItEEEEPS6_PKS6_NS0_5tupleIJSF_S6_EEENSJ_IJSG_SG_EEENS0_18inequality_wrapperINSA_8equal_toItEEEEPmJS6_EEE10hipError_tPvRmT3_T4_T5_T6_T7_T9_mT8_P12ihipStream_tbDpT10_ENKUlT_T0_E_clISt17integral_constantIbLb0EES1A_EEDaS15_S16_EUlS15_E_NS1_11comp_targetILNS1_3genE9ELNS1_11target_archE1100ELNS1_3gpuE3ELNS1_3repE0EEENS1_30default_config_static_selectorELNS0_4arch9wavefront6targetE1EEEvT1_,comdat
.Lfunc_end281:
	.size	_ZN7rocprim17ROCPRIM_400000_NS6detail17trampoline_kernelINS0_14default_configENS1_25partition_config_selectorILNS1_17partition_subalgoE8EtNS0_10empty_typeEbEEZZNS1_14partition_implILS5_8ELb0ES3_jN6thrust23THRUST_200600_302600_NS6detail15normal_iteratorINSA_10device_ptrItEEEEPS6_PKS6_NS0_5tupleIJSF_S6_EEENSJ_IJSG_SG_EEENS0_18inequality_wrapperINSA_8equal_toItEEEEPmJS6_EEE10hipError_tPvRmT3_T4_T5_T6_T7_T9_mT8_P12ihipStream_tbDpT10_ENKUlT_T0_E_clISt17integral_constantIbLb0EES1A_EEDaS15_S16_EUlS15_E_NS1_11comp_targetILNS1_3genE9ELNS1_11target_archE1100ELNS1_3gpuE3ELNS1_3repE0EEENS1_30default_config_static_selectorELNS0_4arch9wavefront6targetE1EEEvT1_, .Lfunc_end281-_ZN7rocprim17ROCPRIM_400000_NS6detail17trampoline_kernelINS0_14default_configENS1_25partition_config_selectorILNS1_17partition_subalgoE8EtNS0_10empty_typeEbEEZZNS1_14partition_implILS5_8ELb0ES3_jN6thrust23THRUST_200600_302600_NS6detail15normal_iteratorINSA_10device_ptrItEEEEPS6_PKS6_NS0_5tupleIJSF_S6_EEENSJ_IJSG_SG_EEENS0_18inequality_wrapperINSA_8equal_toItEEEEPmJS6_EEE10hipError_tPvRmT3_T4_T5_T6_T7_T9_mT8_P12ihipStream_tbDpT10_ENKUlT_T0_E_clISt17integral_constantIbLb0EES1A_EEDaS15_S16_EUlS15_E_NS1_11comp_targetILNS1_3genE9ELNS1_11target_archE1100ELNS1_3gpuE3ELNS1_3repE0EEENS1_30default_config_static_selectorELNS0_4arch9wavefront6targetE1EEEvT1_
                                        ; -- End function
	.set _ZN7rocprim17ROCPRIM_400000_NS6detail17trampoline_kernelINS0_14default_configENS1_25partition_config_selectorILNS1_17partition_subalgoE8EtNS0_10empty_typeEbEEZZNS1_14partition_implILS5_8ELb0ES3_jN6thrust23THRUST_200600_302600_NS6detail15normal_iteratorINSA_10device_ptrItEEEEPS6_PKS6_NS0_5tupleIJSF_S6_EEENSJ_IJSG_SG_EEENS0_18inequality_wrapperINSA_8equal_toItEEEEPmJS6_EEE10hipError_tPvRmT3_T4_T5_T6_T7_T9_mT8_P12ihipStream_tbDpT10_ENKUlT_T0_E_clISt17integral_constantIbLb0EES1A_EEDaS15_S16_EUlS15_E_NS1_11comp_targetILNS1_3genE9ELNS1_11target_archE1100ELNS1_3gpuE3ELNS1_3repE0EEENS1_30default_config_static_selectorELNS0_4arch9wavefront6targetE1EEEvT1_.num_vgpr, 0
	.set _ZN7rocprim17ROCPRIM_400000_NS6detail17trampoline_kernelINS0_14default_configENS1_25partition_config_selectorILNS1_17partition_subalgoE8EtNS0_10empty_typeEbEEZZNS1_14partition_implILS5_8ELb0ES3_jN6thrust23THRUST_200600_302600_NS6detail15normal_iteratorINSA_10device_ptrItEEEEPS6_PKS6_NS0_5tupleIJSF_S6_EEENSJ_IJSG_SG_EEENS0_18inequality_wrapperINSA_8equal_toItEEEEPmJS6_EEE10hipError_tPvRmT3_T4_T5_T6_T7_T9_mT8_P12ihipStream_tbDpT10_ENKUlT_T0_E_clISt17integral_constantIbLb0EES1A_EEDaS15_S16_EUlS15_E_NS1_11comp_targetILNS1_3genE9ELNS1_11target_archE1100ELNS1_3gpuE3ELNS1_3repE0EEENS1_30default_config_static_selectorELNS0_4arch9wavefront6targetE1EEEvT1_.num_agpr, 0
	.set _ZN7rocprim17ROCPRIM_400000_NS6detail17trampoline_kernelINS0_14default_configENS1_25partition_config_selectorILNS1_17partition_subalgoE8EtNS0_10empty_typeEbEEZZNS1_14partition_implILS5_8ELb0ES3_jN6thrust23THRUST_200600_302600_NS6detail15normal_iteratorINSA_10device_ptrItEEEEPS6_PKS6_NS0_5tupleIJSF_S6_EEENSJ_IJSG_SG_EEENS0_18inequality_wrapperINSA_8equal_toItEEEEPmJS6_EEE10hipError_tPvRmT3_T4_T5_T6_T7_T9_mT8_P12ihipStream_tbDpT10_ENKUlT_T0_E_clISt17integral_constantIbLb0EES1A_EEDaS15_S16_EUlS15_E_NS1_11comp_targetILNS1_3genE9ELNS1_11target_archE1100ELNS1_3gpuE3ELNS1_3repE0EEENS1_30default_config_static_selectorELNS0_4arch9wavefront6targetE1EEEvT1_.numbered_sgpr, 0
	.set _ZN7rocprim17ROCPRIM_400000_NS6detail17trampoline_kernelINS0_14default_configENS1_25partition_config_selectorILNS1_17partition_subalgoE8EtNS0_10empty_typeEbEEZZNS1_14partition_implILS5_8ELb0ES3_jN6thrust23THRUST_200600_302600_NS6detail15normal_iteratorINSA_10device_ptrItEEEEPS6_PKS6_NS0_5tupleIJSF_S6_EEENSJ_IJSG_SG_EEENS0_18inequality_wrapperINSA_8equal_toItEEEEPmJS6_EEE10hipError_tPvRmT3_T4_T5_T6_T7_T9_mT8_P12ihipStream_tbDpT10_ENKUlT_T0_E_clISt17integral_constantIbLb0EES1A_EEDaS15_S16_EUlS15_E_NS1_11comp_targetILNS1_3genE9ELNS1_11target_archE1100ELNS1_3gpuE3ELNS1_3repE0EEENS1_30default_config_static_selectorELNS0_4arch9wavefront6targetE1EEEvT1_.num_named_barrier, 0
	.set _ZN7rocprim17ROCPRIM_400000_NS6detail17trampoline_kernelINS0_14default_configENS1_25partition_config_selectorILNS1_17partition_subalgoE8EtNS0_10empty_typeEbEEZZNS1_14partition_implILS5_8ELb0ES3_jN6thrust23THRUST_200600_302600_NS6detail15normal_iteratorINSA_10device_ptrItEEEEPS6_PKS6_NS0_5tupleIJSF_S6_EEENSJ_IJSG_SG_EEENS0_18inequality_wrapperINSA_8equal_toItEEEEPmJS6_EEE10hipError_tPvRmT3_T4_T5_T6_T7_T9_mT8_P12ihipStream_tbDpT10_ENKUlT_T0_E_clISt17integral_constantIbLb0EES1A_EEDaS15_S16_EUlS15_E_NS1_11comp_targetILNS1_3genE9ELNS1_11target_archE1100ELNS1_3gpuE3ELNS1_3repE0EEENS1_30default_config_static_selectorELNS0_4arch9wavefront6targetE1EEEvT1_.private_seg_size, 0
	.set _ZN7rocprim17ROCPRIM_400000_NS6detail17trampoline_kernelINS0_14default_configENS1_25partition_config_selectorILNS1_17partition_subalgoE8EtNS0_10empty_typeEbEEZZNS1_14partition_implILS5_8ELb0ES3_jN6thrust23THRUST_200600_302600_NS6detail15normal_iteratorINSA_10device_ptrItEEEEPS6_PKS6_NS0_5tupleIJSF_S6_EEENSJ_IJSG_SG_EEENS0_18inequality_wrapperINSA_8equal_toItEEEEPmJS6_EEE10hipError_tPvRmT3_T4_T5_T6_T7_T9_mT8_P12ihipStream_tbDpT10_ENKUlT_T0_E_clISt17integral_constantIbLb0EES1A_EEDaS15_S16_EUlS15_E_NS1_11comp_targetILNS1_3genE9ELNS1_11target_archE1100ELNS1_3gpuE3ELNS1_3repE0EEENS1_30default_config_static_selectorELNS0_4arch9wavefront6targetE1EEEvT1_.uses_vcc, 0
	.set _ZN7rocprim17ROCPRIM_400000_NS6detail17trampoline_kernelINS0_14default_configENS1_25partition_config_selectorILNS1_17partition_subalgoE8EtNS0_10empty_typeEbEEZZNS1_14partition_implILS5_8ELb0ES3_jN6thrust23THRUST_200600_302600_NS6detail15normal_iteratorINSA_10device_ptrItEEEEPS6_PKS6_NS0_5tupleIJSF_S6_EEENSJ_IJSG_SG_EEENS0_18inequality_wrapperINSA_8equal_toItEEEEPmJS6_EEE10hipError_tPvRmT3_T4_T5_T6_T7_T9_mT8_P12ihipStream_tbDpT10_ENKUlT_T0_E_clISt17integral_constantIbLb0EES1A_EEDaS15_S16_EUlS15_E_NS1_11comp_targetILNS1_3genE9ELNS1_11target_archE1100ELNS1_3gpuE3ELNS1_3repE0EEENS1_30default_config_static_selectorELNS0_4arch9wavefront6targetE1EEEvT1_.uses_flat_scratch, 0
	.set _ZN7rocprim17ROCPRIM_400000_NS6detail17trampoline_kernelINS0_14default_configENS1_25partition_config_selectorILNS1_17partition_subalgoE8EtNS0_10empty_typeEbEEZZNS1_14partition_implILS5_8ELb0ES3_jN6thrust23THRUST_200600_302600_NS6detail15normal_iteratorINSA_10device_ptrItEEEEPS6_PKS6_NS0_5tupleIJSF_S6_EEENSJ_IJSG_SG_EEENS0_18inequality_wrapperINSA_8equal_toItEEEEPmJS6_EEE10hipError_tPvRmT3_T4_T5_T6_T7_T9_mT8_P12ihipStream_tbDpT10_ENKUlT_T0_E_clISt17integral_constantIbLb0EES1A_EEDaS15_S16_EUlS15_E_NS1_11comp_targetILNS1_3genE9ELNS1_11target_archE1100ELNS1_3gpuE3ELNS1_3repE0EEENS1_30default_config_static_selectorELNS0_4arch9wavefront6targetE1EEEvT1_.has_dyn_sized_stack, 0
	.set _ZN7rocprim17ROCPRIM_400000_NS6detail17trampoline_kernelINS0_14default_configENS1_25partition_config_selectorILNS1_17partition_subalgoE8EtNS0_10empty_typeEbEEZZNS1_14partition_implILS5_8ELb0ES3_jN6thrust23THRUST_200600_302600_NS6detail15normal_iteratorINSA_10device_ptrItEEEEPS6_PKS6_NS0_5tupleIJSF_S6_EEENSJ_IJSG_SG_EEENS0_18inequality_wrapperINSA_8equal_toItEEEEPmJS6_EEE10hipError_tPvRmT3_T4_T5_T6_T7_T9_mT8_P12ihipStream_tbDpT10_ENKUlT_T0_E_clISt17integral_constantIbLb0EES1A_EEDaS15_S16_EUlS15_E_NS1_11comp_targetILNS1_3genE9ELNS1_11target_archE1100ELNS1_3gpuE3ELNS1_3repE0EEENS1_30default_config_static_selectorELNS0_4arch9wavefront6targetE1EEEvT1_.has_recursion, 0
	.set _ZN7rocprim17ROCPRIM_400000_NS6detail17trampoline_kernelINS0_14default_configENS1_25partition_config_selectorILNS1_17partition_subalgoE8EtNS0_10empty_typeEbEEZZNS1_14partition_implILS5_8ELb0ES3_jN6thrust23THRUST_200600_302600_NS6detail15normal_iteratorINSA_10device_ptrItEEEEPS6_PKS6_NS0_5tupleIJSF_S6_EEENSJ_IJSG_SG_EEENS0_18inequality_wrapperINSA_8equal_toItEEEEPmJS6_EEE10hipError_tPvRmT3_T4_T5_T6_T7_T9_mT8_P12ihipStream_tbDpT10_ENKUlT_T0_E_clISt17integral_constantIbLb0EES1A_EEDaS15_S16_EUlS15_E_NS1_11comp_targetILNS1_3genE9ELNS1_11target_archE1100ELNS1_3gpuE3ELNS1_3repE0EEENS1_30default_config_static_selectorELNS0_4arch9wavefront6targetE1EEEvT1_.has_indirect_call, 0
	.section	.AMDGPU.csdata,"",@progbits
; Kernel info:
; codeLenInByte = 0
; TotalNumSgprs: 4
; NumVgprs: 0
; ScratchSize: 0
; MemoryBound: 0
; FloatMode: 240
; IeeeMode: 1
; LDSByteSize: 0 bytes/workgroup (compile time only)
; SGPRBlocks: 0
; VGPRBlocks: 0
; NumSGPRsForWavesPerEU: 4
; NumVGPRsForWavesPerEU: 1
; Occupancy: 10
; WaveLimiterHint : 0
; COMPUTE_PGM_RSRC2:SCRATCH_EN: 0
; COMPUTE_PGM_RSRC2:USER_SGPR: 6
; COMPUTE_PGM_RSRC2:TRAP_HANDLER: 0
; COMPUTE_PGM_RSRC2:TGID_X_EN: 1
; COMPUTE_PGM_RSRC2:TGID_Y_EN: 0
; COMPUTE_PGM_RSRC2:TGID_Z_EN: 0
; COMPUTE_PGM_RSRC2:TIDIG_COMP_CNT: 0
	.section	.text._ZN7rocprim17ROCPRIM_400000_NS6detail17trampoline_kernelINS0_14default_configENS1_25partition_config_selectorILNS1_17partition_subalgoE8EtNS0_10empty_typeEbEEZZNS1_14partition_implILS5_8ELb0ES3_jN6thrust23THRUST_200600_302600_NS6detail15normal_iteratorINSA_10device_ptrItEEEEPS6_PKS6_NS0_5tupleIJSF_S6_EEENSJ_IJSG_SG_EEENS0_18inequality_wrapperINSA_8equal_toItEEEEPmJS6_EEE10hipError_tPvRmT3_T4_T5_T6_T7_T9_mT8_P12ihipStream_tbDpT10_ENKUlT_T0_E_clISt17integral_constantIbLb0EES1A_EEDaS15_S16_EUlS15_E_NS1_11comp_targetILNS1_3genE8ELNS1_11target_archE1030ELNS1_3gpuE2ELNS1_3repE0EEENS1_30default_config_static_selectorELNS0_4arch9wavefront6targetE1EEEvT1_,"axG",@progbits,_ZN7rocprim17ROCPRIM_400000_NS6detail17trampoline_kernelINS0_14default_configENS1_25partition_config_selectorILNS1_17partition_subalgoE8EtNS0_10empty_typeEbEEZZNS1_14partition_implILS5_8ELb0ES3_jN6thrust23THRUST_200600_302600_NS6detail15normal_iteratorINSA_10device_ptrItEEEEPS6_PKS6_NS0_5tupleIJSF_S6_EEENSJ_IJSG_SG_EEENS0_18inequality_wrapperINSA_8equal_toItEEEEPmJS6_EEE10hipError_tPvRmT3_T4_T5_T6_T7_T9_mT8_P12ihipStream_tbDpT10_ENKUlT_T0_E_clISt17integral_constantIbLb0EES1A_EEDaS15_S16_EUlS15_E_NS1_11comp_targetILNS1_3genE8ELNS1_11target_archE1030ELNS1_3gpuE2ELNS1_3repE0EEENS1_30default_config_static_selectorELNS0_4arch9wavefront6targetE1EEEvT1_,comdat
	.protected	_ZN7rocprim17ROCPRIM_400000_NS6detail17trampoline_kernelINS0_14default_configENS1_25partition_config_selectorILNS1_17partition_subalgoE8EtNS0_10empty_typeEbEEZZNS1_14partition_implILS5_8ELb0ES3_jN6thrust23THRUST_200600_302600_NS6detail15normal_iteratorINSA_10device_ptrItEEEEPS6_PKS6_NS0_5tupleIJSF_S6_EEENSJ_IJSG_SG_EEENS0_18inequality_wrapperINSA_8equal_toItEEEEPmJS6_EEE10hipError_tPvRmT3_T4_T5_T6_T7_T9_mT8_P12ihipStream_tbDpT10_ENKUlT_T0_E_clISt17integral_constantIbLb0EES1A_EEDaS15_S16_EUlS15_E_NS1_11comp_targetILNS1_3genE8ELNS1_11target_archE1030ELNS1_3gpuE2ELNS1_3repE0EEENS1_30default_config_static_selectorELNS0_4arch9wavefront6targetE1EEEvT1_ ; -- Begin function _ZN7rocprim17ROCPRIM_400000_NS6detail17trampoline_kernelINS0_14default_configENS1_25partition_config_selectorILNS1_17partition_subalgoE8EtNS0_10empty_typeEbEEZZNS1_14partition_implILS5_8ELb0ES3_jN6thrust23THRUST_200600_302600_NS6detail15normal_iteratorINSA_10device_ptrItEEEEPS6_PKS6_NS0_5tupleIJSF_S6_EEENSJ_IJSG_SG_EEENS0_18inequality_wrapperINSA_8equal_toItEEEEPmJS6_EEE10hipError_tPvRmT3_T4_T5_T6_T7_T9_mT8_P12ihipStream_tbDpT10_ENKUlT_T0_E_clISt17integral_constantIbLb0EES1A_EEDaS15_S16_EUlS15_E_NS1_11comp_targetILNS1_3genE8ELNS1_11target_archE1030ELNS1_3gpuE2ELNS1_3repE0EEENS1_30default_config_static_selectorELNS0_4arch9wavefront6targetE1EEEvT1_
	.globl	_ZN7rocprim17ROCPRIM_400000_NS6detail17trampoline_kernelINS0_14default_configENS1_25partition_config_selectorILNS1_17partition_subalgoE8EtNS0_10empty_typeEbEEZZNS1_14partition_implILS5_8ELb0ES3_jN6thrust23THRUST_200600_302600_NS6detail15normal_iteratorINSA_10device_ptrItEEEEPS6_PKS6_NS0_5tupleIJSF_S6_EEENSJ_IJSG_SG_EEENS0_18inequality_wrapperINSA_8equal_toItEEEEPmJS6_EEE10hipError_tPvRmT3_T4_T5_T6_T7_T9_mT8_P12ihipStream_tbDpT10_ENKUlT_T0_E_clISt17integral_constantIbLb0EES1A_EEDaS15_S16_EUlS15_E_NS1_11comp_targetILNS1_3genE8ELNS1_11target_archE1030ELNS1_3gpuE2ELNS1_3repE0EEENS1_30default_config_static_selectorELNS0_4arch9wavefront6targetE1EEEvT1_
	.p2align	8
	.type	_ZN7rocprim17ROCPRIM_400000_NS6detail17trampoline_kernelINS0_14default_configENS1_25partition_config_selectorILNS1_17partition_subalgoE8EtNS0_10empty_typeEbEEZZNS1_14partition_implILS5_8ELb0ES3_jN6thrust23THRUST_200600_302600_NS6detail15normal_iteratorINSA_10device_ptrItEEEEPS6_PKS6_NS0_5tupleIJSF_S6_EEENSJ_IJSG_SG_EEENS0_18inequality_wrapperINSA_8equal_toItEEEEPmJS6_EEE10hipError_tPvRmT3_T4_T5_T6_T7_T9_mT8_P12ihipStream_tbDpT10_ENKUlT_T0_E_clISt17integral_constantIbLb0EES1A_EEDaS15_S16_EUlS15_E_NS1_11comp_targetILNS1_3genE8ELNS1_11target_archE1030ELNS1_3gpuE2ELNS1_3repE0EEENS1_30default_config_static_selectorELNS0_4arch9wavefront6targetE1EEEvT1_,@function
_ZN7rocprim17ROCPRIM_400000_NS6detail17trampoline_kernelINS0_14default_configENS1_25partition_config_selectorILNS1_17partition_subalgoE8EtNS0_10empty_typeEbEEZZNS1_14partition_implILS5_8ELb0ES3_jN6thrust23THRUST_200600_302600_NS6detail15normal_iteratorINSA_10device_ptrItEEEEPS6_PKS6_NS0_5tupleIJSF_S6_EEENSJ_IJSG_SG_EEENS0_18inequality_wrapperINSA_8equal_toItEEEEPmJS6_EEE10hipError_tPvRmT3_T4_T5_T6_T7_T9_mT8_P12ihipStream_tbDpT10_ENKUlT_T0_E_clISt17integral_constantIbLb0EES1A_EEDaS15_S16_EUlS15_E_NS1_11comp_targetILNS1_3genE8ELNS1_11target_archE1030ELNS1_3gpuE2ELNS1_3repE0EEENS1_30default_config_static_selectorELNS0_4arch9wavefront6targetE1EEEvT1_: ; @_ZN7rocprim17ROCPRIM_400000_NS6detail17trampoline_kernelINS0_14default_configENS1_25partition_config_selectorILNS1_17partition_subalgoE8EtNS0_10empty_typeEbEEZZNS1_14partition_implILS5_8ELb0ES3_jN6thrust23THRUST_200600_302600_NS6detail15normal_iteratorINSA_10device_ptrItEEEEPS6_PKS6_NS0_5tupleIJSF_S6_EEENSJ_IJSG_SG_EEENS0_18inequality_wrapperINSA_8equal_toItEEEEPmJS6_EEE10hipError_tPvRmT3_T4_T5_T6_T7_T9_mT8_P12ihipStream_tbDpT10_ENKUlT_T0_E_clISt17integral_constantIbLb0EES1A_EEDaS15_S16_EUlS15_E_NS1_11comp_targetILNS1_3genE8ELNS1_11target_archE1030ELNS1_3gpuE2ELNS1_3repE0EEENS1_30default_config_static_selectorELNS0_4arch9wavefront6targetE1EEEvT1_
; %bb.0:
	.section	.rodata,"a",@progbits
	.p2align	6, 0x0
	.amdhsa_kernel _ZN7rocprim17ROCPRIM_400000_NS6detail17trampoline_kernelINS0_14default_configENS1_25partition_config_selectorILNS1_17partition_subalgoE8EtNS0_10empty_typeEbEEZZNS1_14partition_implILS5_8ELb0ES3_jN6thrust23THRUST_200600_302600_NS6detail15normal_iteratorINSA_10device_ptrItEEEEPS6_PKS6_NS0_5tupleIJSF_S6_EEENSJ_IJSG_SG_EEENS0_18inequality_wrapperINSA_8equal_toItEEEEPmJS6_EEE10hipError_tPvRmT3_T4_T5_T6_T7_T9_mT8_P12ihipStream_tbDpT10_ENKUlT_T0_E_clISt17integral_constantIbLb0EES1A_EEDaS15_S16_EUlS15_E_NS1_11comp_targetILNS1_3genE8ELNS1_11target_archE1030ELNS1_3gpuE2ELNS1_3repE0EEENS1_30default_config_static_selectorELNS0_4arch9wavefront6targetE1EEEvT1_
		.amdhsa_group_segment_fixed_size 0
		.amdhsa_private_segment_fixed_size 0
		.amdhsa_kernarg_size 112
		.amdhsa_user_sgpr_count 6
		.amdhsa_user_sgpr_private_segment_buffer 1
		.amdhsa_user_sgpr_dispatch_ptr 0
		.amdhsa_user_sgpr_queue_ptr 0
		.amdhsa_user_sgpr_kernarg_segment_ptr 1
		.amdhsa_user_sgpr_dispatch_id 0
		.amdhsa_user_sgpr_flat_scratch_init 0
		.amdhsa_user_sgpr_private_segment_size 0
		.amdhsa_uses_dynamic_stack 0
		.amdhsa_system_sgpr_private_segment_wavefront_offset 0
		.amdhsa_system_sgpr_workgroup_id_x 1
		.amdhsa_system_sgpr_workgroup_id_y 0
		.amdhsa_system_sgpr_workgroup_id_z 0
		.amdhsa_system_sgpr_workgroup_info 0
		.amdhsa_system_vgpr_workitem_id 0
		.amdhsa_next_free_vgpr 1
		.amdhsa_next_free_sgpr 0
		.amdhsa_reserve_vcc 0
		.amdhsa_reserve_flat_scratch 0
		.amdhsa_float_round_mode_32 0
		.amdhsa_float_round_mode_16_64 0
		.amdhsa_float_denorm_mode_32 3
		.amdhsa_float_denorm_mode_16_64 3
		.amdhsa_dx10_clamp 1
		.amdhsa_ieee_mode 1
		.amdhsa_fp16_overflow 0
		.amdhsa_exception_fp_ieee_invalid_op 0
		.amdhsa_exception_fp_denorm_src 0
		.amdhsa_exception_fp_ieee_div_zero 0
		.amdhsa_exception_fp_ieee_overflow 0
		.amdhsa_exception_fp_ieee_underflow 0
		.amdhsa_exception_fp_ieee_inexact 0
		.amdhsa_exception_int_div_zero 0
	.end_amdhsa_kernel
	.section	.text._ZN7rocprim17ROCPRIM_400000_NS6detail17trampoline_kernelINS0_14default_configENS1_25partition_config_selectorILNS1_17partition_subalgoE8EtNS0_10empty_typeEbEEZZNS1_14partition_implILS5_8ELb0ES3_jN6thrust23THRUST_200600_302600_NS6detail15normal_iteratorINSA_10device_ptrItEEEEPS6_PKS6_NS0_5tupleIJSF_S6_EEENSJ_IJSG_SG_EEENS0_18inequality_wrapperINSA_8equal_toItEEEEPmJS6_EEE10hipError_tPvRmT3_T4_T5_T6_T7_T9_mT8_P12ihipStream_tbDpT10_ENKUlT_T0_E_clISt17integral_constantIbLb0EES1A_EEDaS15_S16_EUlS15_E_NS1_11comp_targetILNS1_3genE8ELNS1_11target_archE1030ELNS1_3gpuE2ELNS1_3repE0EEENS1_30default_config_static_selectorELNS0_4arch9wavefront6targetE1EEEvT1_,"axG",@progbits,_ZN7rocprim17ROCPRIM_400000_NS6detail17trampoline_kernelINS0_14default_configENS1_25partition_config_selectorILNS1_17partition_subalgoE8EtNS0_10empty_typeEbEEZZNS1_14partition_implILS5_8ELb0ES3_jN6thrust23THRUST_200600_302600_NS6detail15normal_iteratorINSA_10device_ptrItEEEEPS6_PKS6_NS0_5tupleIJSF_S6_EEENSJ_IJSG_SG_EEENS0_18inequality_wrapperINSA_8equal_toItEEEEPmJS6_EEE10hipError_tPvRmT3_T4_T5_T6_T7_T9_mT8_P12ihipStream_tbDpT10_ENKUlT_T0_E_clISt17integral_constantIbLb0EES1A_EEDaS15_S16_EUlS15_E_NS1_11comp_targetILNS1_3genE8ELNS1_11target_archE1030ELNS1_3gpuE2ELNS1_3repE0EEENS1_30default_config_static_selectorELNS0_4arch9wavefront6targetE1EEEvT1_,comdat
.Lfunc_end282:
	.size	_ZN7rocprim17ROCPRIM_400000_NS6detail17trampoline_kernelINS0_14default_configENS1_25partition_config_selectorILNS1_17partition_subalgoE8EtNS0_10empty_typeEbEEZZNS1_14partition_implILS5_8ELb0ES3_jN6thrust23THRUST_200600_302600_NS6detail15normal_iteratorINSA_10device_ptrItEEEEPS6_PKS6_NS0_5tupleIJSF_S6_EEENSJ_IJSG_SG_EEENS0_18inequality_wrapperINSA_8equal_toItEEEEPmJS6_EEE10hipError_tPvRmT3_T4_T5_T6_T7_T9_mT8_P12ihipStream_tbDpT10_ENKUlT_T0_E_clISt17integral_constantIbLb0EES1A_EEDaS15_S16_EUlS15_E_NS1_11comp_targetILNS1_3genE8ELNS1_11target_archE1030ELNS1_3gpuE2ELNS1_3repE0EEENS1_30default_config_static_selectorELNS0_4arch9wavefront6targetE1EEEvT1_, .Lfunc_end282-_ZN7rocprim17ROCPRIM_400000_NS6detail17trampoline_kernelINS0_14default_configENS1_25partition_config_selectorILNS1_17partition_subalgoE8EtNS0_10empty_typeEbEEZZNS1_14partition_implILS5_8ELb0ES3_jN6thrust23THRUST_200600_302600_NS6detail15normal_iteratorINSA_10device_ptrItEEEEPS6_PKS6_NS0_5tupleIJSF_S6_EEENSJ_IJSG_SG_EEENS0_18inequality_wrapperINSA_8equal_toItEEEEPmJS6_EEE10hipError_tPvRmT3_T4_T5_T6_T7_T9_mT8_P12ihipStream_tbDpT10_ENKUlT_T0_E_clISt17integral_constantIbLb0EES1A_EEDaS15_S16_EUlS15_E_NS1_11comp_targetILNS1_3genE8ELNS1_11target_archE1030ELNS1_3gpuE2ELNS1_3repE0EEENS1_30default_config_static_selectorELNS0_4arch9wavefront6targetE1EEEvT1_
                                        ; -- End function
	.set _ZN7rocprim17ROCPRIM_400000_NS6detail17trampoline_kernelINS0_14default_configENS1_25partition_config_selectorILNS1_17partition_subalgoE8EtNS0_10empty_typeEbEEZZNS1_14partition_implILS5_8ELb0ES3_jN6thrust23THRUST_200600_302600_NS6detail15normal_iteratorINSA_10device_ptrItEEEEPS6_PKS6_NS0_5tupleIJSF_S6_EEENSJ_IJSG_SG_EEENS0_18inequality_wrapperINSA_8equal_toItEEEEPmJS6_EEE10hipError_tPvRmT3_T4_T5_T6_T7_T9_mT8_P12ihipStream_tbDpT10_ENKUlT_T0_E_clISt17integral_constantIbLb0EES1A_EEDaS15_S16_EUlS15_E_NS1_11comp_targetILNS1_3genE8ELNS1_11target_archE1030ELNS1_3gpuE2ELNS1_3repE0EEENS1_30default_config_static_selectorELNS0_4arch9wavefront6targetE1EEEvT1_.num_vgpr, 0
	.set _ZN7rocprim17ROCPRIM_400000_NS6detail17trampoline_kernelINS0_14default_configENS1_25partition_config_selectorILNS1_17partition_subalgoE8EtNS0_10empty_typeEbEEZZNS1_14partition_implILS5_8ELb0ES3_jN6thrust23THRUST_200600_302600_NS6detail15normal_iteratorINSA_10device_ptrItEEEEPS6_PKS6_NS0_5tupleIJSF_S6_EEENSJ_IJSG_SG_EEENS0_18inequality_wrapperINSA_8equal_toItEEEEPmJS6_EEE10hipError_tPvRmT3_T4_T5_T6_T7_T9_mT8_P12ihipStream_tbDpT10_ENKUlT_T0_E_clISt17integral_constantIbLb0EES1A_EEDaS15_S16_EUlS15_E_NS1_11comp_targetILNS1_3genE8ELNS1_11target_archE1030ELNS1_3gpuE2ELNS1_3repE0EEENS1_30default_config_static_selectorELNS0_4arch9wavefront6targetE1EEEvT1_.num_agpr, 0
	.set _ZN7rocprim17ROCPRIM_400000_NS6detail17trampoline_kernelINS0_14default_configENS1_25partition_config_selectorILNS1_17partition_subalgoE8EtNS0_10empty_typeEbEEZZNS1_14partition_implILS5_8ELb0ES3_jN6thrust23THRUST_200600_302600_NS6detail15normal_iteratorINSA_10device_ptrItEEEEPS6_PKS6_NS0_5tupleIJSF_S6_EEENSJ_IJSG_SG_EEENS0_18inequality_wrapperINSA_8equal_toItEEEEPmJS6_EEE10hipError_tPvRmT3_T4_T5_T6_T7_T9_mT8_P12ihipStream_tbDpT10_ENKUlT_T0_E_clISt17integral_constantIbLb0EES1A_EEDaS15_S16_EUlS15_E_NS1_11comp_targetILNS1_3genE8ELNS1_11target_archE1030ELNS1_3gpuE2ELNS1_3repE0EEENS1_30default_config_static_selectorELNS0_4arch9wavefront6targetE1EEEvT1_.numbered_sgpr, 0
	.set _ZN7rocprim17ROCPRIM_400000_NS6detail17trampoline_kernelINS0_14default_configENS1_25partition_config_selectorILNS1_17partition_subalgoE8EtNS0_10empty_typeEbEEZZNS1_14partition_implILS5_8ELb0ES3_jN6thrust23THRUST_200600_302600_NS6detail15normal_iteratorINSA_10device_ptrItEEEEPS6_PKS6_NS0_5tupleIJSF_S6_EEENSJ_IJSG_SG_EEENS0_18inequality_wrapperINSA_8equal_toItEEEEPmJS6_EEE10hipError_tPvRmT3_T4_T5_T6_T7_T9_mT8_P12ihipStream_tbDpT10_ENKUlT_T0_E_clISt17integral_constantIbLb0EES1A_EEDaS15_S16_EUlS15_E_NS1_11comp_targetILNS1_3genE8ELNS1_11target_archE1030ELNS1_3gpuE2ELNS1_3repE0EEENS1_30default_config_static_selectorELNS0_4arch9wavefront6targetE1EEEvT1_.num_named_barrier, 0
	.set _ZN7rocprim17ROCPRIM_400000_NS6detail17trampoline_kernelINS0_14default_configENS1_25partition_config_selectorILNS1_17partition_subalgoE8EtNS0_10empty_typeEbEEZZNS1_14partition_implILS5_8ELb0ES3_jN6thrust23THRUST_200600_302600_NS6detail15normal_iteratorINSA_10device_ptrItEEEEPS6_PKS6_NS0_5tupleIJSF_S6_EEENSJ_IJSG_SG_EEENS0_18inequality_wrapperINSA_8equal_toItEEEEPmJS6_EEE10hipError_tPvRmT3_T4_T5_T6_T7_T9_mT8_P12ihipStream_tbDpT10_ENKUlT_T0_E_clISt17integral_constantIbLb0EES1A_EEDaS15_S16_EUlS15_E_NS1_11comp_targetILNS1_3genE8ELNS1_11target_archE1030ELNS1_3gpuE2ELNS1_3repE0EEENS1_30default_config_static_selectorELNS0_4arch9wavefront6targetE1EEEvT1_.private_seg_size, 0
	.set _ZN7rocprim17ROCPRIM_400000_NS6detail17trampoline_kernelINS0_14default_configENS1_25partition_config_selectorILNS1_17partition_subalgoE8EtNS0_10empty_typeEbEEZZNS1_14partition_implILS5_8ELb0ES3_jN6thrust23THRUST_200600_302600_NS6detail15normal_iteratorINSA_10device_ptrItEEEEPS6_PKS6_NS0_5tupleIJSF_S6_EEENSJ_IJSG_SG_EEENS0_18inequality_wrapperINSA_8equal_toItEEEEPmJS6_EEE10hipError_tPvRmT3_T4_T5_T6_T7_T9_mT8_P12ihipStream_tbDpT10_ENKUlT_T0_E_clISt17integral_constantIbLb0EES1A_EEDaS15_S16_EUlS15_E_NS1_11comp_targetILNS1_3genE8ELNS1_11target_archE1030ELNS1_3gpuE2ELNS1_3repE0EEENS1_30default_config_static_selectorELNS0_4arch9wavefront6targetE1EEEvT1_.uses_vcc, 0
	.set _ZN7rocprim17ROCPRIM_400000_NS6detail17trampoline_kernelINS0_14default_configENS1_25partition_config_selectorILNS1_17partition_subalgoE8EtNS0_10empty_typeEbEEZZNS1_14partition_implILS5_8ELb0ES3_jN6thrust23THRUST_200600_302600_NS6detail15normal_iteratorINSA_10device_ptrItEEEEPS6_PKS6_NS0_5tupleIJSF_S6_EEENSJ_IJSG_SG_EEENS0_18inequality_wrapperINSA_8equal_toItEEEEPmJS6_EEE10hipError_tPvRmT3_T4_T5_T6_T7_T9_mT8_P12ihipStream_tbDpT10_ENKUlT_T0_E_clISt17integral_constantIbLb0EES1A_EEDaS15_S16_EUlS15_E_NS1_11comp_targetILNS1_3genE8ELNS1_11target_archE1030ELNS1_3gpuE2ELNS1_3repE0EEENS1_30default_config_static_selectorELNS0_4arch9wavefront6targetE1EEEvT1_.uses_flat_scratch, 0
	.set _ZN7rocprim17ROCPRIM_400000_NS6detail17trampoline_kernelINS0_14default_configENS1_25partition_config_selectorILNS1_17partition_subalgoE8EtNS0_10empty_typeEbEEZZNS1_14partition_implILS5_8ELb0ES3_jN6thrust23THRUST_200600_302600_NS6detail15normal_iteratorINSA_10device_ptrItEEEEPS6_PKS6_NS0_5tupleIJSF_S6_EEENSJ_IJSG_SG_EEENS0_18inequality_wrapperINSA_8equal_toItEEEEPmJS6_EEE10hipError_tPvRmT3_T4_T5_T6_T7_T9_mT8_P12ihipStream_tbDpT10_ENKUlT_T0_E_clISt17integral_constantIbLb0EES1A_EEDaS15_S16_EUlS15_E_NS1_11comp_targetILNS1_3genE8ELNS1_11target_archE1030ELNS1_3gpuE2ELNS1_3repE0EEENS1_30default_config_static_selectorELNS0_4arch9wavefront6targetE1EEEvT1_.has_dyn_sized_stack, 0
	.set _ZN7rocprim17ROCPRIM_400000_NS6detail17trampoline_kernelINS0_14default_configENS1_25partition_config_selectorILNS1_17partition_subalgoE8EtNS0_10empty_typeEbEEZZNS1_14partition_implILS5_8ELb0ES3_jN6thrust23THRUST_200600_302600_NS6detail15normal_iteratorINSA_10device_ptrItEEEEPS6_PKS6_NS0_5tupleIJSF_S6_EEENSJ_IJSG_SG_EEENS0_18inequality_wrapperINSA_8equal_toItEEEEPmJS6_EEE10hipError_tPvRmT3_T4_T5_T6_T7_T9_mT8_P12ihipStream_tbDpT10_ENKUlT_T0_E_clISt17integral_constantIbLb0EES1A_EEDaS15_S16_EUlS15_E_NS1_11comp_targetILNS1_3genE8ELNS1_11target_archE1030ELNS1_3gpuE2ELNS1_3repE0EEENS1_30default_config_static_selectorELNS0_4arch9wavefront6targetE1EEEvT1_.has_recursion, 0
	.set _ZN7rocprim17ROCPRIM_400000_NS6detail17trampoline_kernelINS0_14default_configENS1_25partition_config_selectorILNS1_17partition_subalgoE8EtNS0_10empty_typeEbEEZZNS1_14partition_implILS5_8ELb0ES3_jN6thrust23THRUST_200600_302600_NS6detail15normal_iteratorINSA_10device_ptrItEEEEPS6_PKS6_NS0_5tupleIJSF_S6_EEENSJ_IJSG_SG_EEENS0_18inequality_wrapperINSA_8equal_toItEEEEPmJS6_EEE10hipError_tPvRmT3_T4_T5_T6_T7_T9_mT8_P12ihipStream_tbDpT10_ENKUlT_T0_E_clISt17integral_constantIbLb0EES1A_EEDaS15_S16_EUlS15_E_NS1_11comp_targetILNS1_3genE8ELNS1_11target_archE1030ELNS1_3gpuE2ELNS1_3repE0EEENS1_30default_config_static_selectorELNS0_4arch9wavefront6targetE1EEEvT1_.has_indirect_call, 0
	.section	.AMDGPU.csdata,"",@progbits
; Kernel info:
; codeLenInByte = 0
; TotalNumSgprs: 4
; NumVgprs: 0
; ScratchSize: 0
; MemoryBound: 0
; FloatMode: 240
; IeeeMode: 1
; LDSByteSize: 0 bytes/workgroup (compile time only)
; SGPRBlocks: 0
; VGPRBlocks: 0
; NumSGPRsForWavesPerEU: 4
; NumVGPRsForWavesPerEU: 1
; Occupancy: 10
; WaveLimiterHint : 0
; COMPUTE_PGM_RSRC2:SCRATCH_EN: 0
; COMPUTE_PGM_RSRC2:USER_SGPR: 6
; COMPUTE_PGM_RSRC2:TRAP_HANDLER: 0
; COMPUTE_PGM_RSRC2:TGID_X_EN: 1
; COMPUTE_PGM_RSRC2:TGID_Y_EN: 0
; COMPUTE_PGM_RSRC2:TGID_Z_EN: 0
; COMPUTE_PGM_RSRC2:TIDIG_COMP_CNT: 0
	.section	.text._ZN7rocprim17ROCPRIM_400000_NS6detail17trampoline_kernelINS0_14default_configENS1_25partition_config_selectorILNS1_17partition_subalgoE8EtNS0_10empty_typeEbEEZZNS1_14partition_implILS5_8ELb0ES3_jN6thrust23THRUST_200600_302600_NS6detail15normal_iteratorINSA_10device_ptrItEEEEPS6_PKS6_NS0_5tupleIJSF_S6_EEENSJ_IJSG_SG_EEENS0_18inequality_wrapperINSA_8equal_toItEEEEPmJS6_EEE10hipError_tPvRmT3_T4_T5_T6_T7_T9_mT8_P12ihipStream_tbDpT10_ENKUlT_T0_E_clISt17integral_constantIbLb1EES1A_EEDaS15_S16_EUlS15_E_NS1_11comp_targetILNS1_3genE0ELNS1_11target_archE4294967295ELNS1_3gpuE0ELNS1_3repE0EEENS1_30default_config_static_selectorELNS0_4arch9wavefront6targetE1EEEvT1_,"axG",@progbits,_ZN7rocprim17ROCPRIM_400000_NS6detail17trampoline_kernelINS0_14default_configENS1_25partition_config_selectorILNS1_17partition_subalgoE8EtNS0_10empty_typeEbEEZZNS1_14partition_implILS5_8ELb0ES3_jN6thrust23THRUST_200600_302600_NS6detail15normal_iteratorINSA_10device_ptrItEEEEPS6_PKS6_NS0_5tupleIJSF_S6_EEENSJ_IJSG_SG_EEENS0_18inequality_wrapperINSA_8equal_toItEEEEPmJS6_EEE10hipError_tPvRmT3_T4_T5_T6_T7_T9_mT8_P12ihipStream_tbDpT10_ENKUlT_T0_E_clISt17integral_constantIbLb1EES1A_EEDaS15_S16_EUlS15_E_NS1_11comp_targetILNS1_3genE0ELNS1_11target_archE4294967295ELNS1_3gpuE0ELNS1_3repE0EEENS1_30default_config_static_selectorELNS0_4arch9wavefront6targetE1EEEvT1_,comdat
	.protected	_ZN7rocprim17ROCPRIM_400000_NS6detail17trampoline_kernelINS0_14default_configENS1_25partition_config_selectorILNS1_17partition_subalgoE8EtNS0_10empty_typeEbEEZZNS1_14partition_implILS5_8ELb0ES3_jN6thrust23THRUST_200600_302600_NS6detail15normal_iteratorINSA_10device_ptrItEEEEPS6_PKS6_NS0_5tupleIJSF_S6_EEENSJ_IJSG_SG_EEENS0_18inequality_wrapperINSA_8equal_toItEEEEPmJS6_EEE10hipError_tPvRmT3_T4_T5_T6_T7_T9_mT8_P12ihipStream_tbDpT10_ENKUlT_T0_E_clISt17integral_constantIbLb1EES1A_EEDaS15_S16_EUlS15_E_NS1_11comp_targetILNS1_3genE0ELNS1_11target_archE4294967295ELNS1_3gpuE0ELNS1_3repE0EEENS1_30default_config_static_selectorELNS0_4arch9wavefront6targetE1EEEvT1_ ; -- Begin function _ZN7rocprim17ROCPRIM_400000_NS6detail17trampoline_kernelINS0_14default_configENS1_25partition_config_selectorILNS1_17partition_subalgoE8EtNS0_10empty_typeEbEEZZNS1_14partition_implILS5_8ELb0ES3_jN6thrust23THRUST_200600_302600_NS6detail15normal_iteratorINSA_10device_ptrItEEEEPS6_PKS6_NS0_5tupleIJSF_S6_EEENSJ_IJSG_SG_EEENS0_18inequality_wrapperINSA_8equal_toItEEEEPmJS6_EEE10hipError_tPvRmT3_T4_T5_T6_T7_T9_mT8_P12ihipStream_tbDpT10_ENKUlT_T0_E_clISt17integral_constantIbLb1EES1A_EEDaS15_S16_EUlS15_E_NS1_11comp_targetILNS1_3genE0ELNS1_11target_archE4294967295ELNS1_3gpuE0ELNS1_3repE0EEENS1_30default_config_static_selectorELNS0_4arch9wavefront6targetE1EEEvT1_
	.globl	_ZN7rocprim17ROCPRIM_400000_NS6detail17trampoline_kernelINS0_14default_configENS1_25partition_config_selectorILNS1_17partition_subalgoE8EtNS0_10empty_typeEbEEZZNS1_14partition_implILS5_8ELb0ES3_jN6thrust23THRUST_200600_302600_NS6detail15normal_iteratorINSA_10device_ptrItEEEEPS6_PKS6_NS0_5tupleIJSF_S6_EEENSJ_IJSG_SG_EEENS0_18inequality_wrapperINSA_8equal_toItEEEEPmJS6_EEE10hipError_tPvRmT3_T4_T5_T6_T7_T9_mT8_P12ihipStream_tbDpT10_ENKUlT_T0_E_clISt17integral_constantIbLb1EES1A_EEDaS15_S16_EUlS15_E_NS1_11comp_targetILNS1_3genE0ELNS1_11target_archE4294967295ELNS1_3gpuE0ELNS1_3repE0EEENS1_30default_config_static_selectorELNS0_4arch9wavefront6targetE1EEEvT1_
	.p2align	8
	.type	_ZN7rocprim17ROCPRIM_400000_NS6detail17trampoline_kernelINS0_14default_configENS1_25partition_config_selectorILNS1_17partition_subalgoE8EtNS0_10empty_typeEbEEZZNS1_14partition_implILS5_8ELb0ES3_jN6thrust23THRUST_200600_302600_NS6detail15normal_iteratorINSA_10device_ptrItEEEEPS6_PKS6_NS0_5tupleIJSF_S6_EEENSJ_IJSG_SG_EEENS0_18inequality_wrapperINSA_8equal_toItEEEEPmJS6_EEE10hipError_tPvRmT3_T4_T5_T6_T7_T9_mT8_P12ihipStream_tbDpT10_ENKUlT_T0_E_clISt17integral_constantIbLb1EES1A_EEDaS15_S16_EUlS15_E_NS1_11comp_targetILNS1_3genE0ELNS1_11target_archE4294967295ELNS1_3gpuE0ELNS1_3repE0EEENS1_30default_config_static_selectorELNS0_4arch9wavefront6targetE1EEEvT1_,@function
_ZN7rocprim17ROCPRIM_400000_NS6detail17trampoline_kernelINS0_14default_configENS1_25partition_config_selectorILNS1_17partition_subalgoE8EtNS0_10empty_typeEbEEZZNS1_14partition_implILS5_8ELb0ES3_jN6thrust23THRUST_200600_302600_NS6detail15normal_iteratorINSA_10device_ptrItEEEEPS6_PKS6_NS0_5tupleIJSF_S6_EEENSJ_IJSG_SG_EEENS0_18inequality_wrapperINSA_8equal_toItEEEEPmJS6_EEE10hipError_tPvRmT3_T4_T5_T6_T7_T9_mT8_P12ihipStream_tbDpT10_ENKUlT_T0_E_clISt17integral_constantIbLb1EES1A_EEDaS15_S16_EUlS15_E_NS1_11comp_targetILNS1_3genE0ELNS1_11target_archE4294967295ELNS1_3gpuE0ELNS1_3repE0EEENS1_30default_config_static_selectorELNS0_4arch9wavefront6targetE1EEEvT1_: ; @_ZN7rocprim17ROCPRIM_400000_NS6detail17trampoline_kernelINS0_14default_configENS1_25partition_config_selectorILNS1_17partition_subalgoE8EtNS0_10empty_typeEbEEZZNS1_14partition_implILS5_8ELb0ES3_jN6thrust23THRUST_200600_302600_NS6detail15normal_iteratorINSA_10device_ptrItEEEEPS6_PKS6_NS0_5tupleIJSF_S6_EEENSJ_IJSG_SG_EEENS0_18inequality_wrapperINSA_8equal_toItEEEEPmJS6_EEE10hipError_tPvRmT3_T4_T5_T6_T7_T9_mT8_P12ihipStream_tbDpT10_ENKUlT_T0_E_clISt17integral_constantIbLb1EES1A_EEDaS15_S16_EUlS15_E_NS1_11comp_targetILNS1_3genE0ELNS1_11target_archE4294967295ELNS1_3gpuE0ELNS1_3repE0EEENS1_30default_config_static_selectorELNS0_4arch9wavefront6targetE1EEEvT1_
; %bb.0:
	.section	.rodata,"a",@progbits
	.p2align	6, 0x0
	.amdhsa_kernel _ZN7rocprim17ROCPRIM_400000_NS6detail17trampoline_kernelINS0_14default_configENS1_25partition_config_selectorILNS1_17partition_subalgoE8EtNS0_10empty_typeEbEEZZNS1_14partition_implILS5_8ELb0ES3_jN6thrust23THRUST_200600_302600_NS6detail15normal_iteratorINSA_10device_ptrItEEEEPS6_PKS6_NS0_5tupleIJSF_S6_EEENSJ_IJSG_SG_EEENS0_18inequality_wrapperINSA_8equal_toItEEEEPmJS6_EEE10hipError_tPvRmT3_T4_T5_T6_T7_T9_mT8_P12ihipStream_tbDpT10_ENKUlT_T0_E_clISt17integral_constantIbLb1EES1A_EEDaS15_S16_EUlS15_E_NS1_11comp_targetILNS1_3genE0ELNS1_11target_archE4294967295ELNS1_3gpuE0ELNS1_3repE0EEENS1_30default_config_static_selectorELNS0_4arch9wavefront6targetE1EEEvT1_
		.amdhsa_group_segment_fixed_size 0
		.amdhsa_private_segment_fixed_size 0
		.amdhsa_kernarg_size 128
		.amdhsa_user_sgpr_count 6
		.amdhsa_user_sgpr_private_segment_buffer 1
		.amdhsa_user_sgpr_dispatch_ptr 0
		.amdhsa_user_sgpr_queue_ptr 0
		.amdhsa_user_sgpr_kernarg_segment_ptr 1
		.amdhsa_user_sgpr_dispatch_id 0
		.amdhsa_user_sgpr_flat_scratch_init 0
		.amdhsa_user_sgpr_private_segment_size 0
		.amdhsa_uses_dynamic_stack 0
		.amdhsa_system_sgpr_private_segment_wavefront_offset 0
		.amdhsa_system_sgpr_workgroup_id_x 1
		.amdhsa_system_sgpr_workgroup_id_y 0
		.amdhsa_system_sgpr_workgroup_id_z 0
		.amdhsa_system_sgpr_workgroup_info 0
		.amdhsa_system_vgpr_workitem_id 0
		.amdhsa_next_free_vgpr 1
		.amdhsa_next_free_sgpr 0
		.amdhsa_reserve_vcc 0
		.amdhsa_reserve_flat_scratch 0
		.amdhsa_float_round_mode_32 0
		.amdhsa_float_round_mode_16_64 0
		.amdhsa_float_denorm_mode_32 3
		.amdhsa_float_denorm_mode_16_64 3
		.amdhsa_dx10_clamp 1
		.amdhsa_ieee_mode 1
		.amdhsa_fp16_overflow 0
		.amdhsa_exception_fp_ieee_invalid_op 0
		.amdhsa_exception_fp_denorm_src 0
		.amdhsa_exception_fp_ieee_div_zero 0
		.amdhsa_exception_fp_ieee_overflow 0
		.amdhsa_exception_fp_ieee_underflow 0
		.amdhsa_exception_fp_ieee_inexact 0
		.amdhsa_exception_int_div_zero 0
	.end_amdhsa_kernel
	.section	.text._ZN7rocprim17ROCPRIM_400000_NS6detail17trampoline_kernelINS0_14default_configENS1_25partition_config_selectorILNS1_17partition_subalgoE8EtNS0_10empty_typeEbEEZZNS1_14partition_implILS5_8ELb0ES3_jN6thrust23THRUST_200600_302600_NS6detail15normal_iteratorINSA_10device_ptrItEEEEPS6_PKS6_NS0_5tupleIJSF_S6_EEENSJ_IJSG_SG_EEENS0_18inequality_wrapperINSA_8equal_toItEEEEPmJS6_EEE10hipError_tPvRmT3_T4_T5_T6_T7_T9_mT8_P12ihipStream_tbDpT10_ENKUlT_T0_E_clISt17integral_constantIbLb1EES1A_EEDaS15_S16_EUlS15_E_NS1_11comp_targetILNS1_3genE0ELNS1_11target_archE4294967295ELNS1_3gpuE0ELNS1_3repE0EEENS1_30default_config_static_selectorELNS0_4arch9wavefront6targetE1EEEvT1_,"axG",@progbits,_ZN7rocprim17ROCPRIM_400000_NS6detail17trampoline_kernelINS0_14default_configENS1_25partition_config_selectorILNS1_17partition_subalgoE8EtNS0_10empty_typeEbEEZZNS1_14partition_implILS5_8ELb0ES3_jN6thrust23THRUST_200600_302600_NS6detail15normal_iteratorINSA_10device_ptrItEEEEPS6_PKS6_NS0_5tupleIJSF_S6_EEENSJ_IJSG_SG_EEENS0_18inequality_wrapperINSA_8equal_toItEEEEPmJS6_EEE10hipError_tPvRmT3_T4_T5_T6_T7_T9_mT8_P12ihipStream_tbDpT10_ENKUlT_T0_E_clISt17integral_constantIbLb1EES1A_EEDaS15_S16_EUlS15_E_NS1_11comp_targetILNS1_3genE0ELNS1_11target_archE4294967295ELNS1_3gpuE0ELNS1_3repE0EEENS1_30default_config_static_selectorELNS0_4arch9wavefront6targetE1EEEvT1_,comdat
.Lfunc_end283:
	.size	_ZN7rocprim17ROCPRIM_400000_NS6detail17trampoline_kernelINS0_14default_configENS1_25partition_config_selectorILNS1_17partition_subalgoE8EtNS0_10empty_typeEbEEZZNS1_14partition_implILS5_8ELb0ES3_jN6thrust23THRUST_200600_302600_NS6detail15normal_iteratorINSA_10device_ptrItEEEEPS6_PKS6_NS0_5tupleIJSF_S6_EEENSJ_IJSG_SG_EEENS0_18inequality_wrapperINSA_8equal_toItEEEEPmJS6_EEE10hipError_tPvRmT3_T4_T5_T6_T7_T9_mT8_P12ihipStream_tbDpT10_ENKUlT_T0_E_clISt17integral_constantIbLb1EES1A_EEDaS15_S16_EUlS15_E_NS1_11comp_targetILNS1_3genE0ELNS1_11target_archE4294967295ELNS1_3gpuE0ELNS1_3repE0EEENS1_30default_config_static_selectorELNS0_4arch9wavefront6targetE1EEEvT1_, .Lfunc_end283-_ZN7rocprim17ROCPRIM_400000_NS6detail17trampoline_kernelINS0_14default_configENS1_25partition_config_selectorILNS1_17partition_subalgoE8EtNS0_10empty_typeEbEEZZNS1_14partition_implILS5_8ELb0ES3_jN6thrust23THRUST_200600_302600_NS6detail15normal_iteratorINSA_10device_ptrItEEEEPS6_PKS6_NS0_5tupleIJSF_S6_EEENSJ_IJSG_SG_EEENS0_18inequality_wrapperINSA_8equal_toItEEEEPmJS6_EEE10hipError_tPvRmT3_T4_T5_T6_T7_T9_mT8_P12ihipStream_tbDpT10_ENKUlT_T0_E_clISt17integral_constantIbLb1EES1A_EEDaS15_S16_EUlS15_E_NS1_11comp_targetILNS1_3genE0ELNS1_11target_archE4294967295ELNS1_3gpuE0ELNS1_3repE0EEENS1_30default_config_static_selectorELNS0_4arch9wavefront6targetE1EEEvT1_
                                        ; -- End function
	.set _ZN7rocprim17ROCPRIM_400000_NS6detail17trampoline_kernelINS0_14default_configENS1_25partition_config_selectorILNS1_17partition_subalgoE8EtNS0_10empty_typeEbEEZZNS1_14partition_implILS5_8ELb0ES3_jN6thrust23THRUST_200600_302600_NS6detail15normal_iteratorINSA_10device_ptrItEEEEPS6_PKS6_NS0_5tupleIJSF_S6_EEENSJ_IJSG_SG_EEENS0_18inequality_wrapperINSA_8equal_toItEEEEPmJS6_EEE10hipError_tPvRmT3_T4_T5_T6_T7_T9_mT8_P12ihipStream_tbDpT10_ENKUlT_T0_E_clISt17integral_constantIbLb1EES1A_EEDaS15_S16_EUlS15_E_NS1_11comp_targetILNS1_3genE0ELNS1_11target_archE4294967295ELNS1_3gpuE0ELNS1_3repE0EEENS1_30default_config_static_selectorELNS0_4arch9wavefront6targetE1EEEvT1_.num_vgpr, 0
	.set _ZN7rocprim17ROCPRIM_400000_NS6detail17trampoline_kernelINS0_14default_configENS1_25partition_config_selectorILNS1_17partition_subalgoE8EtNS0_10empty_typeEbEEZZNS1_14partition_implILS5_8ELb0ES3_jN6thrust23THRUST_200600_302600_NS6detail15normal_iteratorINSA_10device_ptrItEEEEPS6_PKS6_NS0_5tupleIJSF_S6_EEENSJ_IJSG_SG_EEENS0_18inequality_wrapperINSA_8equal_toItEEEEPmJS6_EEE10hipError_tPvRmT3_T4_T5_T6_T7_T9_mT8_P12ihipStream_tbDpT10_ENKUlT_T0_E_clISt17integral_constantIbLb1EES1A_EEDaS15_S16_EUlS15_E_NS1_11comp_targetILNS1_3genE0ELNS1_11target_archE4294967295ELNS1_3gpuE0ELNS1_3repE0EEENS1_30default_config_static_selectorELNS0_4arch9wavefront6targetE1EEEvT1_.num_agpr, 0
	.set _ZN7rocprim17ROCPRIM_400000_NS6detail17trampoline_kernelINS0_14default_configENS1_25partition_config_selectorILNS1_17partition_subalgoE8EtNS0_10empty_typeEbEEZZNS1_14partition_implILS5_8ELb0ES3_jN6thrust23THRUST_200600_302600_NS6detail15normal_iteratorINSA_10device_ptrItEEEEPS6_PKS6_NS0_5tupleIJSF_S6_EEENSJ_IJSG_SG_EEENS0_18inequality_wrapperINSA_8equal_toItEEEEPmJS6_EEE10hipError_tPvRmT3_T4_T5_T6_T7_T9_mT8_P12ihipStream_tbDpT10_ENKUlT_T0_E_clISt17integral_constantIbLb1EES1A_EEDaS15_S16_EUlS15_E_NS1_11comp_targetILNS1_3genE0ELNS1_11target_archE4294967295ELNS1_3gpuE0ELNS1_3repE0EEENS1_30default_config_static_selectorELNS0_4arch9wavefront6targetE1EEEvT1_.numbered_sgpr, 0
	.set _ZN7rocprim17ROCPRIM_400000_NS6detail17trampoline_kernelINS0_14default_configENS1_25partition_config_selectorILNS1_17partition_subalgoE8EtNS0_10empty_typeEbEEZZNS1_14partition_implILS5_8ELb0ES3_jN6thrust23THRUST_200600_302600_NS6detail15normal_iteratorINSA_10device_ptrItEEEEPS6_PKS6_NS0_5tupleIJSF_S6_EEENSJ_IJSG_SG_EEENS0_18inequality_wrapperINSA_8equal_toItEEEEPmJS6_EEE10hipError_tPvRmT3_T4_T5_T6_T7_T9_mT8_P12ihipStream_tbDpT10_ENKUlT_T0_E_clISt17integral_constantIbLb1EES1A_EEDaS15_S16_EUlS15_E_NS1_11comp_targetILNS1_3genE0ELNS1_11target_archE4294967295ELNS1_3gpuE0ELNS1_3repE0EEENS1_30default_config_static_selectorELNS0_4arch9wavefront6targetE1EEEvT1_.num_named_barrier, 0
	.set _ZN7rocprim17ROCPRIM_400000_NS6detail17trampoline_kernelINS0_14default_configENS1_25partition_config_selectorILNS1_17partition_subalgoE8EtNS0_10empty_typeEbEEZZNS1_14partition_implILS5_8ELb0ES3_jN6thrust23THRUST_200600_302600_NS6detail15normal_iteratorINSA_10device_ptrItEEEEPS6_PKS6_NS0_5tupleIJSF_S6_EEENSJ_IJSG_SG_EEENS0_18inequality_wrapperINSA_8equal_toItEEEEPmJS6_EEE10hipError_tPvRmT3_T4_T5_T6_T7_T9_mT8_P12ihipStream_tbDpT10_ENKUlT_T0_E_clISt17integral_constantIbLb1EES1A_EEDaS15_S16_EUlS15_E_NS1_11comp_targetILNS1_3genE0ELNS1_11target_archE4294967295ELNS1_3gpuE0ELNS1_3repE0EEENS1_30default_config_static_selectorELNS0_4arch9wavefront6targetE1EEEvT1_.private_seg_size, 0
	.set _ZN7rocprim17ROCPRIM_400000_NS6detail17trampoline_kernelINS0_14default_configENS1_25partition_config_selectorILNS1_17partition_subalgoE8EtNS0_10empty_typeEbEEZZNS1_14partition_implILS5_8ELb0ES3_jN6thrust23THRUST_200600_302600_NS6detail15normal_iteratorINSA_10device_ptrItEEEEPS6_PKS6_NS0_5tupleIJSF_S6_EEENSJ_IJSG_SG_EEENS0_18inequality_wrapperINSA_8equal_toItEEEEPmJS6_EEE10hipError_tPvRmT3_T4_T5_T6_T7_T9_mT8_P12ihipStream_tbDpT10_ENKUlT_T0_E_clISt17integral_constantIbLb1EES1A_EEDaS15_S16_EUlS15_E_NS1_11comp_targetILNS1_3genE0ELNS1_11target_archE4294967295ELNS1_3gpuE0ELNS1_3repE0EEENS1_30default_config_static_selectorELNS0_4arch9wavefront6targetE1EEEvT1_.uses_vcc, 0
	.set _ZN7rocprim17ROCPRIM_400000_NS6detail17trampoline_kernelINS0_14default_configENS1_25partition_config_selectorILNS1_17partition_subalgoE8EtNS0_10empty_typeEbEEZZNS1_14partition_implILS5_8ELb0ES3_jN6thrust23THRUST_200600_302600_NS6detail15normal_iteratorINSA_10device_ptrItEEEEPS6_PKS6_NS0_5tupleIJSF_S6_EEENSJ_IJSG_SG_EEENS0_18inequality_wrapperINSA_8equal_toItEEEEPmJS6_EEE10hipError_tPvRmT3_T4_T5_T6_T7_T9_mT8_P12ihipStream_tbDpT10_ENKUlT_T0_E_clISt17integral_constantIbLb1EES1A_EEDaS15_S16_EUlS15_E_NS1_11comp_targetILNS1_3genE0ELNS1_11target_archE4294967295ELNS1_3gpuE0ELNS1_3repE0EEENS1_30default_config_static_selectorELNS0_4arch9wavefront6targetE1EEEvT1_.uses_flat_scratch, 0
	.set _ZN7rocprim17ROCPRIM_400000_NS6detail17trampoline_kernelINS0_14default_configENS1_25partition_config_selectorILNS1_17partition_subalgoE8EtNS0_10empty_typeEbEEZZNS1_14partition_implILS5_8ELb0ES3_jN6thrust23THRUST_200600_302600_NS6detail15normal_iteratorINSA_10device_ptrItEEEEPS6_PKS6_NS0_5tupleIJSF_S6_EEENSJ_IJSG_SG_EEENS0_18inequality_wrapperINSA_8equal_toItEEEEPmJS6_EEE10hipError_tPvRmT3_T4_T5_T6_T7_T9_mT8_P12ihipStream_tbDpT10_ENKUlT_T0_E_clISt17integral_constantIbLb1EES1A_EEDaS15_S16_EUlS15_E_NS1_11comp_targetILNS1_3genE0ELNS1_11target_archE4294967295ELNS1_3gpuE0ELNS1_3repE0EEENS1_30default_config_static_selectorELNS0_4arch9wavefront6targetE1EEEvT1_.has_dyn_sized_stack, 0
	.set _ZN7rocprim17ROCPRIM_400000_NS6detail17trampoline_kernelINS0_14default_configENS1_25partition_config_selectorILNS1_17partition_subalgoE8EtNS0_10empty_typeEbEEZZNS1_14partition_implILS5_8ELb0ES3_jN6thrust23THRUST_200600_302600_NS6detail15normal_iteratorINSA_10device_ptrItEEEEPS6_PKS6_NS0_5tupleIJSF_S6_EEENSJ_IJSG_SG_EEENS0_18inequality_wrapperINSA_8equal_toItEEEEPmJS6_EEE10hipError_tPvRmT3_T4_T5_T6_T7_T9_mT8_P12ihipStream_tbDpT10_ENKUlT_T0_E_clISt17integral_constantIbLb1EES1A_EEDaS15_S16_EUlS15_E_NS1_11comp_targetILNS1_3genE0ELNS1_11target_archE4294967295ELNS1_3gpuE0ELNS1_3repE0EEENS1_30default_config_static_selectorELNS0_4arch9wavefront6targetE1EEEvT1_.has_recursion, 0
	.set _ZN7rocprim17ROCPRIM_400000_NS6detail17trampoline_kernelINS0_14default_configENS1_25partition_config_selectorILNS1_17partition_subalgoE8EtNS0_10empty_typeEbEEZZNS1_14partition_implILS5_8ELb0ES3_jN6thrust23THRUST_200600_302600_NS6detail15normal_iteratorINSA_10device_ptrItEEEEPS6_PKS6_NS0_5tupleIJSF_S6_EEENSJ_IJSG_SG_EEENS0_18inequality_wrapperINSA_8equal_toItEEEEPmJS6_EEE10hipError_tPvRmT3_T4_T5_T6_T7_T9_mT8_P12ihipStream_tbDpT10_ENKUlT_T0_E_clISt17integral_constantIbLb1EES1A_EEDaS15_S16_EUlS15_E_NS1_11comp_targetILNS1_3genE0ELNS1_11target_archE4294967295ELNS1_3gpuE0ELNS1_3repE0EEENS1_30default_config_static_selectorELNS0_4arch9wavefront6targetE1EEEvT1_.has_indirect_call, 0
	.section	.AMDGPU.csdata,"",@progbits
; Kernel info:
; codeLenInByte = 0
; TotalNumSgprs: 4
; NumVgprs: 0
; ScratchSize: 0
; MemoryBound: 0
; FloatMode: 240
; IeeeMode: 1
; LDSByteSize: 0 bytes/workgroup (compile time only)
; SGPRBlocks: 0
; VGPRBlocks: 0
; NumSGPRsForWavesPerEU: 4
; NumVGPRsForWavesPerEU: 1
; Occupancy: 10
; WaveLimiterHint : 0
; COMPUTE_PGM_RSRC2:SCRATCH_EN: 0
; COMPUTE_PGM_RSRC2:USER_SGPR: 6
; COMPUTE_PGM_RSRC2:TRAP_HANDLER: 0
; COMPUTE_PGM_RSRC2:TGID_X_EN: 1
; COMPUTE_PGM_RSRC2:TGID_Y_EN: 0
; COMPUTE_PGM_RSRC2:TGID_Z_EN: 0
; COMPUTE_PGM_RSRC2:TIDIG_COMP_CNT: 0
	.section	.text._ZN7rocprim17ROCPRIM_400000_NS6detail17trampoline_kernelINS0_14default_configENS1_25partition_config_selectorILNS1_17partition_subalgoE8EtNS0_10empty_typeEbEEZZNS1_14partition_implILS5_8ELb0ES3_jN6thrust23THRUST_200600_302600_NS6detail15normal_iteratorINSA_10device_ptrItEEEEPS6_PKS6_NS0_5tupleIJSF_S6_EEENSJ_IJSG_SG_EEENS0_18inequality_wrapperINSA_8equal_toItEEEEPmJS6_EEE10hipError_tPvRmT3_T4_T5_T6_T7_T9_mT8_P12ihipStream_tbDpT10_ENKUlT_T0_E_clISt17integral_constantIbLb1EES1A_EEDaS15_S16_EUlS15_E_NS1_11comp_targetILNS1_3genE5ELNS1_11target_archE942ELNS1_3gpuE9ELNS1_3repE0EEENS1_30default_config_static_selectorELNS0_4arch9wavefront6targetE1EEEvT1_,"axG",@progbits,_ZN7rocprim17ROCPRIM_400000_NS6detail17trampoline_kernelINS0_14default_configENS1_25partition_config_selectorILNS1_17partition_subalgoE8EtNS0_10empty_typeEbEEZZNS1_14partition_implILS5_8ELb0ES3_jN6thrust23THRUST_200600_302600_NS6detail15normal_iteratorINSA_10device_ptrItEEEEPS6_PKS6_NS0_5tupleIJSF_S6_EEENSJ_IJSG_SG_EEENS0_18inequality_wrapperINSA_8equal_toItEEEEPmJS6_EEE10hipError_tPvRmT3_T4_T5_T6_T7_T9_mT8_P12ihipStream_tbDpT10_ENKUlT_T0_E_clISt17integral_constantIbLb1EES1A_EEDaS15_S16_EUlS15_E_NS1_11comp_targetILNS1_3genE5ELNS1_11target_archE942ELNS1_3gpuE9ELNS1_3repE0EEENS1_30default_config_static_selectorELNS0_4arch9wavefront6targetE1EEEvT1_,comdat
	.protected	_ZN7rocprim17ROCPRIM_400000_NS6detail17trampoline_kernelINS0_14default_configENS1_25partition_config_selectorILNS1_17partition_subalgoE8EtNS0_10empty_typeEbEEZZNS1_14partition_implILS5_8ELb0ES3_jN6thrust23THRUST_200600_302600_NS6detail15normal_iteratorINSA_10device_ptrItEEEEPS6_PKS6_NS0_5tupleIJSF_S6_EEENSJ_IJSG_SG_EEENS0_18inequality_wrapperINSA_8equal_toItEEEEPmJS6_EEE10hipError_tPvRmT3_T4_T5_T6_T7_T9_mT8_P12ihipStream_tbDpT10_ENKUlT_T0_E_clISt17integral_constantIbLb1EES1A_EEDaS15_S16_EUlS15_E_NS1_11comp_targetILNS1_3genE5ELNS1_11target_archE942ELNS1_3gpuE9ELNS1_3repE0EEENS1_30default_config_static_selectorELNS0_4arch9wavefront6targetE1EEEvT1_ ; -- Begin function _ZN7rocprim17ROCPRIM_400000_NS6detail17trampoline_kernelINS0_14default_configENS1_25partition_config_selectorILNS1_17partition_subalgoE8EtNS0_10empty_typeEbEEZZNS1_14partition_implILS5_8ELb0ES3_jN6thrust23THRUST_200600_302600_NS6detail15normal_iteratorINSA_10device_ptrItEEEEPS6_PKS6_NS0_5tupleIJSF_S6_EEENSJ_IJSG_SG_EEENS0_18inequality_wrapperINSA_8equal_toItEEEEPmJS6_EEE10hipError_tPvRmT3_T4_T5_T6_T7_T9_mT8_P12ihipStream_tbDpT10_ENKUlT_T0_E_clISt17integral_constantIbLb1EES1A_EEDaS15_S16_EUlS15_E_NS1_11comp_targetILNS1_3genE5ELNS1_11target_archE942ELNS1_3gpuE9ELNS1_3repE0EEENS1_30default_config_static_selectorELNS0_4arch9wavefront6targetE1EEEvT1_
	.globl	_ZN7rocprim17ROCPRIM_400000_NS6detail17trampoline_kernelINS0_14default_configENS1_25partition_config_selectorILNS1_17partition_subalgoE8EtNS0_10empty_typeEbEEZZNS1_14partition_implILS5_8ELb0ES3_jN6thrust23THRUST_200600_302600_NS6detail15normal_iteratorINSA_10device_ptrItEEEEPS6_PKS6_NS0_5tupleIJSF_S6_EEENSJ_IJSG_SG_EEENS0_18inequality_wrapperINSA_8equal_toItEEEEPmJS6_EEE10hipError_tPvRmT3_T4_T5_T6_T7_T9_mT8_P12ihipStream_tbDpT10_ENKUlT_T0_E_clISt17integral_constantIbLb1EES1A_EEDaS15_S16_EUlS15_E_NS1_11comp_targetILNS1_3genE5ELNS1_11target_archE942ELNS1_3gpuE9ELNS1_3repE0EEENS1_30default_config_static_selectorELNS0_4arch9wavefront6targetE1EEEvT1_
	.p2align	8
	.type	_ZN7rocprim17ROCPRIM_400000_NS6detail17trampoline_kernelINS0_14default_configENS1_25partition_config_selectorILNS1_17partition_subalgoE8EtNS0_10empty_typeEbEEZZNS1_14partition_implILS5_8ELb0ES3_jN6thrust23THRUST_200600_302600_NS6detail15normal_iteratorINSA_10device_ptrItEEEEPS6_PKS6_NS0_5tupleIJSF_S6_EEENSJ_IJSG_SG_EEENS0_18inequality_wrapperINSA_8equal_toItEEEEPmJS6_EEE10hipError_tPvRmT3_T4_T5_T6_T7_T9_mT8_P12ihipStream_tbDpT10_ENKUlT_T0_E_clISt17integral_constantIbLb1EES1A_EEDaS15_S16_EUlS15_E_NS1_11comp_targetILNS1_3genE5ELNS1_11target_archE942ELNS1_3gpuE9ELNS1_3repE0EEENS1_30default_config_static_selectorELNS0_4arch9wavefront6targetE1EEEvT1_,@function
_ZN7rocprim17ROCPRIM_400000_NS6detail17trampoline_kernelINS0_14default_configENS1_25partition_config_selectorILNS1_17partition_subalgoE8EtNS0_10empty_typeEbEEZZNS1_14partition_implILS5_8ELb0ES3_jN6thrust23THRUST_200600_302600_NS6detail15normal_iteratorINSA_10device_ptrItEEEEPS6_PKS6_NS0_5tupleIJSF_S6_EEENSJ_IJSG_SG_EEENS0_18inequality_wrapperINSA_8equal_toItEEEEPmJS6_EEE10hipError_tPvRmT3_T4_T5_T6_T7_T9_mT8_P12ihipStream_tbDpT10_ENKUlT_T0_E_clISt17integral_constantIbLb1EES1A_EEDaS15_S16_EUlS15_E_NS1_11comp_targetILNS1_3genE5ELNS1_11target_archE942ELNS1_3gpuE9ELNS1_3repE0EEENS1_30default_config_static_selectorELNS0_4arch9wavefront6targetE1EEEvT1_: ; @_ZN7rocprim17ROCPRIM_400000_NS6detail17trampoline_kernelINS0_14default_configENS1_25partition_config_selectorILNS1_17partition_subalgoE8EtNS0_10empty_typeEbEEZZNS1_14partition_implILS5_8ELb0ES3_jN6thrust23THRUST_200600_302600_NS6detail15normal_iteratorINSA_10device_ptrItEEEEPS6_PKS6_NS0_5tupleIJSF_S6_EEENSJ_IJSG_SG_EEENS0_18inequality_wrapperINSA_8equal_toItEEEEPmJS6_EEE10hipError_tPvRmT3_T4_T5_T6_T7_T9_mT8_P12ihipStream_tbDpT10_ENKUlT_T0_E_clISt17integral_constantIbLb1EES1A_EEDaS15_S16_EUlS15_E_NS1_11comp_targetILNS1_3genE5ELNS1_11target_archE942ELNS1_3gpuE9ELNS1_3repE0EEENS1_30default_config_static_selectorELNS0_4arch9wavefront6targetE1EEEvT1_
; %bb.0:
	.section	.rodata,"a",@progbits
	.p2align	6, 0x0
	.amdhsa_kernel _ZN7rocprim17ROCPRIM_400000_NS6detail17trampoline_kernelINS0_14default_configENS1_25partition_config_selectorILNS1_17partition_subalgoE8EtNS0_10empty_typeEbEEZZNS1_14partition_implILS5_8ELb0ES3_jN6thrust23THRUST_200600_302600_NS6detail15normal_iteratorINSA_10device_ptrItEEEEPS6_PKS6_NS0_5tupleIJSF_S6_EEENSJ_IJSG_SG_EEENS0_18inequality_wrapperINSA_8equal_toItEEEEPmJS6_EEE10hipError_tPvRmT3_T4_T5_T6_T7_T9_mT8_P12ihipStream_tbDpT10_ENKUlT_T0_E_clISt17integral_constantIbLb1EES1A_EEDaS15_S16_EUlS15_E_NS1_11comp_targetILNS1_3genE5ELNS1_11target_archE942ELNS1_3gpuE9ELNS1_3repE0EEENS1_30default_config_static_selectorELNS0_4arch9wavefront6targetE1EEEvT1_
		.amdhsa_group_segment_fixed_size 0
		.amdhsa_private_segment_fixed_size 0
		.amdhsa_kernarg_size 128
		.amdhsa_user_sgpr_count 6
		.amdhsa_user_sgpr_private_segment_buffer 1
		.amdhsa_user_sgpr_dispatch_ptr 0
		.amdhsa_user_sgpr_queue_ptr 0
		.amdhsa_user_sgpr_kernarg_segment_ptr 1
		.amdhsa_user_sgpr_dispatch_id 0
		.amdhsa_user_sgpr_flat_scratch_init 0
		.amdhsa_user_sgpr_private_segment_size 0
		.amdhsa_uses_dynamic_stack 0
		.amdhsa_system_sgpr_private_segment_wavefront_offset 0
		.amdhsa_system_sgpr_workgroup_id_x 1
		.amdhsa_system_sgpr_workgroup_id_y 0
		.amdhsa_system_sgpr_workgroup_id_z 0
		.amdhsa_system_sgpr_workgroup_info 0
		.amdhsa_system_vgpr_workitem_id 0
		.amdhsa_next_free_vgpr 1
		.amdhsa_next_free_sgpr 0
		.amdhsa_reserve_vcc 0
		.amdhsa_reserve_flat_scratch 0
		.amdhsa_float_round_mode_32 0
		.amdhsa_float_round_mode_16_64 0
		.amdhsa_float_denorm_mode_32 3
		.amdhsa_float_denorm_mode_16_64 3
		.amdhsa_dx10_clamp 1
		.amdhsa_ieee_mode 1
		.amdhsa_fp16_overflow 0
		.amdhsa_exception_fp_ieee_invalid_op 0
		.amdhsa_exception_fp_denorm_src 0
		.amdhsa_exception_fp_ieee_div_zero 0
		.amdhsa_exception_fp_ieee_overflow 0
		.amdhsa_exception_fp_ieee_underflow 0
		.amdhsa_exception_fp_ieee_inexact 0
		.amdhsa_exception_int_div_zero 0
	.end_amdhsa_kernel
	.section	.text._ZN7rocprim17ROCPRIM_400000_NS6detail17trampoline_kernelINS0_14default_configENS1_25partition_config_selectorILNS1_17partition_subalgoE8EtNS0_10empty_typeEbEEZZNS1_14partition_implILS5_8ELb0ES3_jN6thrust23THRUST_200600_302600_NS6detail15normal_iteratorINSA_10device_ptrItEEEEPS6_PKS6_NS0_5tupleIJSF_S6_EEENSJ_IJSG_SG_EEENS0_18inequality_wrapperINSA_8equal_toItEEEEPmJS6_EEE10hipError_tPvRmT3_T4_T5_T6_T7_T9_mT8_P12ihipStream_tbDpT10_ENKUlT_T0_E_clISt17integral_constantIbLb1EES1A_EEDaS15_S16_EUlS15_E_NS1_11comp_targetILNS1_3genE5ELNS1_11target_archE942ELNS1_3gpuE9ELNS1_3repE0EEENS1_30default_config_static_selectorELNS0_4arch9wavefront6targetE1EEEvT1_,"axG",@progbits,_ZN7rocprim17ROCPRIM_400000_NS6detail17trampoline_kernelINS0_14default_configENS1_25partition_config_selectorILNS1_17partition_subalgoE8EtNS0_10empty_typeEbEEZZNS1_14partition_implILS5_8ELb0ES3_jN6thrust23THRUST_200600_302600_NS6detail15normal_iteratorINSA_10device_ptrItEEEEPS6_PKS6_NS0_5tupleIJSF_S6_EEENSJ_IJSG_SG_EEENS0_18inequality_wrapperINSA_8equal_toItEEEEPmJS6_EEE10hipError_tPvRmT3_T4_T5_T6_T7_T9_mT8_P12ihipStream_tbDpT10_ENKUlT_T0_E_clISt17integral_constantIbLb1EES1A_EEDaS15_S16_EUlS15_E_NS1_11comp_targetILNS1_3genE5ELNS1_11target_archE942ELNS1_3gpuE9ELNS1_3repE0EEENS1_30default_config_static_selectorELNS0_4arch9wavefront6targetE1EEEvT1_,comdat
.Lfunc_end284:
	.size	_ZN7rocprim17ROCPRIM_400000_NS6detail17trampoline_kernelINS0_14default_configENS1_25partition_config_selectorILNS1_17partition_subalgoE8EtNS0_10empty_typeEbEEZZNS1_14partition_implILS5_8ELb0ES3_jN6thrust23THRUST_200600_302600_NS6detail15normal_iteratorINSA_10device_ptrItEEEEPS6_PKS6_NS0_5tupleIJSF_S6_EEENSJ_IJSG_SG_EEENS0_18inequality_wrapperINSA_8equal_toItEEEEPmJS6_EEE10hipError_tPvRmT3_T4_T5_T6_T7_T9_mT8_P12ihipStream_tbDpT10_ENKUlT_T0_E_clISt17integral_constantIbLb1EES1A_EEDaS15_S16_EUlS15_E_NS1_11comp_targetILNS1_3genE5ELNS1_11target_archE942ELNS1_3gpuE9ELNS1_3repE0EEENS1_30default_config_static_selectorELNS0_4arch9wavefront6targetE1EEEvT1_, .Lfunc_end284-_ZN7rocprim17ROCPRIM_400000_NS6detail17trampoline_kernelINS0_14default_configENS1_25partition_config_selectorILNS1_17partition_subalgoE8EtNS0_10empty_typeEbEEZZNS1_14partition_implILS5_8ELb0ES3_jN6thrust23THRUST_200600_302600_NS6detail15normal_iteratorINSA_10device_ptrItEEEEPS6_PKS6_NS0_5tupleIJSF_S6_EEENSJ_IJSG_SG_EEENS0_18inequality_wrapperINSA_8equal_toItEEEEPmJS6_EEE10hipError_tPvRmT3_T4_T5_T6_T7_T9_mT8_P12ihipStream_tbDpT10_ENKUlT_T0_E_clISt17integral_constantIbLb1EES1A_EEDaS15_S16_EUlS15_E_NS1_11comp_targetILNS1_3genE5ELNS1_11target_archE942ELNS1_3gpuE9ELNS1_3repE0EEENS1_30default_config_static_selectorELNS0_4arch9wavefront6targetE1EEEvT1_
                                        ; -- End function
	.set _ZN7rocprim17ROCPRIM_400000_NS6detail17trampoline_kernelINS0_14default_configENS1_25partition_config_selectorILNS1_17partition_subalgoE8EtNS0_10empty_typeEbEEZZNS1_14partition_implILS5_8ELb0ES3_jN6thrust23THRUST_200600_302600_NS6detail15normal_iteratorINSA_10device_ptrItEEEEPS6_PKS6_NS0_5tupleIJSF_S6_EEENSJ_IJSG_SG_EEENS0_18inequality_wrapperINSA_8equal_toItEEEEPmJS6_EEE10hipError_tPvRmT3_T4_T5_T6_T7_T9_mT8_P12ihipStream_tbDpT10_ENKUlT_T0_E_clISt17integral_constantIbLb1EES1A_EEDaS15_S16_EUlS15_E_NS1_11comp_targetILNS1_3genE5ELNS1_11target_archE942ELNS1_3gpuE9ELNS1_3repE0EEENS1_30default_config_static_selectorELNS0_4arch9wavefront6targetE1EEEvT1_.num_vgpr, 0
	.set _ZN7rocprim17ROCPRIM_400000_NS6detail17trampoline_kernelINS0_14default_configENS1_25partition_config_selectorILNS1_17partition_subalgoE8EtNS0_10empty_typeEbEEZZNS1_14partition_implILS5_8ELb0ES3_jN6thrust23THRUST_200600_302600_NS6detail15normal_iteratorINSA_10device_ptrItEEEEPS6_PKS6_NS0_5tupleIJSF_S6_EEENSJ_IJSG_SG_EEENS0_18inequality_wrapperINSA_8equal_toItEEEEPmJS6_EEE10hipError_tPvRmT3_T4_T5_T6_T7_T9_mT8_P12ihipStream_tbDpT10_ENKUlT_T0_E_clISt17integral_constantIbLb1EES1A_EEDaS15_S16_EUlS15_E_NS1_11comp_targetILNS1_3genE5ELNS1_11target_archE942ELNS1_3gpuE9ELNS1_3repE0EEENS1_30default_config_static_selectorELNS0_4arch9wavefront6targetE1EEEvT1_.num_agpr, 0
	.set _ZN7rocprim17ROCPRIM_400000_NS6detail17trampoline_kernelINS0_14default_configENS1_25partition_config_selectorILNS1_17partition_subalgoE8EtNS0_10empty_typeEbEEZZNS1_14partition_implILS5_8ELb0ES3_jN6thrust23THRUST_200600_302600_NS6detail15normal_iteratorINSA_10device_ptrItEEEEPS6_PKS6_NS0_5tupleIJSF_S6_EEENSJ_IJSG_SG_EEENS0_18inequality_wrapperINSA_8equal_toItEEEEPmJS6_EEE10hipError_tPvRmT3_T4_T5_T6_T7_T9_mT8_P12ihipStream_tbDpT10_ENKUlT_T0_E_clISt17integral_constantIbLb1EES1A_EEDaS15_S16_EUlS15_E_NS1_11comp_targetILNS1_3genE5ELNS1_11target_archE942ELNS1_3gpuE9ELNS1_3repE0EEENS1_30default_config_static_selectorELNS0_4arch9wavefront6targetE1EEEvT1_.numbered_sgpr, 0
	.set _ZN7rocprim17ROCPRIM_400000_NS6detail17trampoline_kernelINS0_14default_configENS1_25partition_config_selectorILNS1_17partition_subalgoE8EtNS0_10empty_typeEbEEZZNS1_14partition_implILS5_8ELb0ES3_jN6thrust23THRUST_200600_302600_NS6detail15normal_iteratorINSA_10device_ptrItEEEEPS6_PKS6_NS0_5tupleIJSF_S6_EEENSJ_IJSG_SG_EEENS0_18inequality_wrapperINSA_8equal_toItEEEEPmJS6_EEE10hipError_tPvRmT3_T4_T5_T6_T7_T9_mT8_P12ihipStream_tbDpT10_ENKUlT_T0_E_clISt17integral_constantIbLb1EES1A_EEDaS15_S16_EUlS15_E_NS1_11comp_targetILNS1_3genE5ELNS1_11target_archE942ELNS1_3gpuE9ELNS1_3repE0EEENS1_30default_config_static_selectorELNS0_4arch9wavefront6targetE1EEEvT1_.num_named_barrier, 0
	.set _ZN7rocprim17ROCPRIM_400000_NS6detail17trampoline_kernelINS0_14default_configENS1_25partition_config_selectorILNS1_17partition_subalgoE8EtNS0_10empty_typeEbEEZZNS1_14partition_implILS5_8ELb0ES3_jN6thrust23THRUST_200600_302600_NS6detail15normal_iteratorINSA_10device_ptrItEEEEPS6_PKS6_NS0_5tupleIJSF_S6_EEENSJ_IJSG_SG_EEENS0_18inequality_wrapperINSA_8equal_toItEEEEPmJS6_EEE10hipError_tPvRmT3_T4_T5_T6_T7_T9_mT8_P12ihipStream_tbDpT10_ENKUlT_T0_E_clISt17integral_constantIbLb1EES1A_EEDaS15_S16_EUlS15_E_NS1_11comp_targetILNS1_3genE5ELNS1_11target_archE942ELNS1_3gpuE9ELNS1_3repE0EEENS1_30default_config_static_selectorELNS0_4arch9wavefront6targetE1EEEvT1_.private_seg_size, 0
	.set _ZN7rocprim17ROCPRIM_400000_NS6detail17trampoline_kernelINS0_14default_configENS1_25partition_config_selectorILNS1_17partition_subalgoE8EtNS0_10empty_typeEbEEZZNS1_14partition_implILS5_8ELb0ES3_jN6thrust23THRUST_200600_302600_NS6detail15normal_iteratorINSA_10device_ptrItEEEEPS6_PKS6_NS0_5tupleIJSF_S6_EEENSJ_IJSG_SG_EEENS0_18inequality_wrapperINSA_8equal_toItEEEEPmJS6_EEE10hipError_tPvRmT3_T4_T5_T6_T7_T9_mT8_P12ihipStream_tbDpT10_ENKUlT_T0_E_clISt17integral_constantIbLb1EES1A_EEDaS15_S16_EUlS15_E_NS1_11comp_targetILNS1_3genE5ELNS1_11target_archE942ELNS1_3gpuE9ELNS1_3repE0EEENS1_30default_config_static_selectorELNS0_4arch9wavefront6targetE1EEEvT1_.uses_vcc, 0
	.set _ZN7rocprim17ROCPRIM_400000_NS6detail17trampoline_kernelINS0_14default_configENS1_25partition_config_selectorILNS1_17partition_subalgoE8EtNS0_10empty_typeEbEEZZNS1_14partition_implILS5_8ELb0ES3_jN6thrust23THRUST_200600_302600_NS6detail15normal_iteratorINSA_10device_ptrItEEEEPS6_PKS6_NS0_5tupleIJSF_S6_EEENSJ_IJSG_SG_EEENS0_18inequality_wrapperINSA_8equal_toItEEEEPmJS6_EEE10hipError_tPvRmT3_T4_T5_T6_T7_T9_mT8_P12ihipStream_tbDpT10_ENKUlT_T0_E_clISt17integral_constantIbLb1EES1A_EEDaS15_S16_EUlS15_E_NS1_11comp_targetILNS1_3genE5ELNS1_11target_archE942ELNS1_3gpuE9ELNS1_3repE0EEENS1_30default_config_static_selectorELNS0_4arch9wavefront6targetE1EEEvT1_.uses_flat_scratch, 0
	.set _ZN7rocprim17ROCPRIM_400000_NS6detail17trampoline_kernelINS0_14default_configENS1_25partition_config_selectorILNS1_17partition_subalgoE8EtNS0_10empty_typeEbEEZZNS1_14partition_implILS5_8ELb0ES3_jN6thrust23THRUST_200600_302600_NS6detail15normal_iteratorINSA_10device_ptrItEEEEPS6_PKS6_NS0_5tupleIJSF_S6_EEENSJ_IJSG_SG_EEENS0_18inequality_wrapperINSA_8equal_toItEEEEPmJS6_EEE10hipError_tPvRmT3_T4_T5_T6_T7_T9_mT8_P12ihipStream_tbDpT10_ENKUlT_T0_E_clISt17integral_constantIbLb1EES1A_EEDaS15_S16_EUlS15_E_NS1_11comp_targetILNS1_3genE5ELNS1_11target_archE942ELNS1_3gpuE9ELNS1_3repE0EEENS1_30default_config_static_selectorELNS0_4arch9wavefront6targetE1EEEvT1_.has_dyn_sized_stack, 0
	.set _ZN7rocprim17ROCPRIM_400000_NS6detail17trampoline_kernelINS0_14default_configENS1_25partition_config_selectorILNS1_17partition_subalgoE8EtNS0_10empty_typeEbEEZZNS1_14partition_implILS5_8ELb0ES3_jN6thrust23THRUST_200600_302600_NS6detail15normal_iteratorINSA_10device_ptrItEEEEPS6_PKS6_NS0_5tupleIJSF_S6_EEENSJ_IJSG_SG_EEENS0_18inequality_wrapperINSA_8equal_toItEEEEPmJS6_EEE10hipError_tPvRmT3_T4_T5_T6_T7_T9_mT8_P12ihipStream_tbDpT10_ENKUlT_T0_E_clISt17integral_constantIbLb1EES1A_EEDaS15_S16_EUlS15_E_NS1_11comp_targetILNS1_3genE5ELNS1_11target_archE942ELNS1_3gpuE9ELNS1_3repE0EEENS1_30default_config_static_selectorELNS0_4arch9wavefront6targetE1EEEvT1_.has_recursion, 0
	.set _ZN7rocprim17ROCPRIM_400000_NS6detail17trampoline_kernelINS0_14default_configENS1_25partition_config_selectorILNS1_17partition_subalgoE8EtNS0_10empty_typeEbEEZZNS1_14partition_implILS5_8ELb0ES3_jN6thrust23THRUST_200600_302600_NS6detail15normal_iteratorINSA_10device_ptrItEEEEPS6_PKS6_NS0_5tupleIJSF_S6_EEENSJ_IJSG_SG_EEENS0_18inequality_wrapperINSA_8equal_toItEEEEPmJS6_EEE10hipError_tPvRmT3_T4_T5_T6_T7_T9_mT8_P12ihipStream_tbDpT10_ENKUlT_T0_E_clISt17integral_constantIbLb1EES1A_EEDaS15_S16_EUlS15_E_NS1_11comp_targetILNS1_3genE5ELNS1_11target_archE942ELNS1_3gpuE9ELNS1_3repE0EEENS1_30default_config_static_selectorELNS0_4arch9wavefront6targetE1EEEvT1_.has_indirect_call, 0
	.section	.AMDGPU.csdata,"",@progbits
; Kernel info:
; codeLenInByte = 0
; TotalNumSgprs: 4
; NumVgprs: 0
; ScratchSize: 0
; MemoryBound: 0
; FloatMode: 240
; IeeeMode: 1
; LDSByteSize: 0 bytes/workgroup (compile time only)
; SGPRBlocks: 0
; VGPRBlocks: 0
; NumSGPRsForWavesPerEU: 4
; NumVGPRsForWavesPerEU: 1
; Occupancy: 10
; WaveLimiterHint : 0
; COMPUTE_PGM_RSRC2:SCRATCH_EN: 0
; COMPUTE_PGM_RSRC2:USER_SGPR: 6
; COMPUTE_PGM_RSRC2:TRAP_HANDLER: 0
; COMPUTE_PGM_RSRC2:TGID_X_EN: 1
; COMPUTE_PGM_RSRC2:TGID_Y_EN: 0
; COMPUTE_PGM_RSRC2:TGID_Z_EN: 0
; COMPUTE_PGM_RSRC2:TIDIG_COMP_CNT: 0
	.section	.text._ZN7rocprim17ROCPRIM_400000_NS6detail17trampoline_kernelINS0_14default_configENS1_25partition_config_selectorILNS1_17partition_subalgoE8EtNS0_10empty_typeEbEEZZNS1_14partition_implILS5_8ELb0ES3_jN6thrust23THRUST_200600_302600_NS6detail15normal_iteratorINSA_10device_ptrItEEEEPS6_PKS6_NS0_5tupleIJSF_S6_EEENSJ_IJSG_SG_EEENS0_18inequality_wrapperINSA_8equal_toItEEEEPmJS6_EEE10hipError_tPvRmT3_T4_T5_T6_T7_T9_mT8_P12ihipStream_tbDpT10_ENKUlT_T0_E_clISt17integral_constantIbLb1EES1A_EEDaS15_S16_EUlS15_E_NS1_11comp_targetILNS1_3genE4ELNS1_11target_archE910ELNS1_3gpuE8ELNS1_3repE0EEENS1_30default_config_static_selectorELNS0_4arch9wavefront6targetE1EEEvT1_,"axG",@progbits,_ZN7rocprim17ROCPRIM_400000_NS6detail17trampoline_kernelINS0_14default_configENS1_25partition_config_selectorILNS1_17partition_subalgoE8EtNS0_10empty_typeEbEEZZNS1_14partition_implILS5_8ELb0ES3_jN6thrust23THRUST_200600_302600_NS6detail15normal_iteratorINSA_10device_ptrItEEEEPS6_PKS6_NS0_5tupleIJSF_S6_EEENSJ_IJSG_SG_EEENS0_18inequality_wrapperINSA_8equal_toItEEEEPmJS6_EEE10hipError_tPvRmT3_T4_T5_T6_T7_T9_mT8_P12ihipStream_tbDpT10_ENKUlT_T0_E_clISt17integral_constantIbLb1EES1A_EEDaS15_S16_EUlS15_E_NS1_11comp_targetILNS1_3genE4ELNS1_11target_archE910ELNS1_3gpuE8ELNS1_3repE0EEENS1_30default_config_static_selectorELNS0_4arch9wavefront6targetE1EEEvT1_,comdat
	.protected	_ZN7rocprim17ROCPRIM_400000_NS6detail17trampoline_kernelINS0_14default_configENS1_25partition_config_selectorILNS1_17partition_subalgoE8EtNS0_10empty_typeEbEEZZNS1_14partition_implILS5_8ELb0ES3_jN6thrust23THRUST_200600_302600_NS6detail15normal_iteratorINSA_10device_ptrItEEEEPS6_PKS6_NS0_5tupleIJSF_S6_EEENSJ_IJSG_SG_EEENS0_18inequality_wrapperINSA_8equal_toItEEEEPmJS6_EEE10hipError_tPvRmT3_T4_T5_T6_T7_T9_mT8_P12ihipStream_tbDpT10_ENKUlT_T0_E_clISt17integral_constantIbLb1EES1A_EEDaS15_S16_EUlS15_E_NS1_11comp_targetILNS1_3genE4ELNS1_11target_archE910ELNS1_3gpuE8ELNS1_3repE0EEENS1_30default_config_static_selectorELNS0_4arch9wavefront6targetE1EEEvT1_ ; -- Begin function _ZN7rocprim17ROCPRIM_400000_NS6detail17trampoline_kernelINS0_14default_configENS1_25partition_config_selectorILNS1_17partition_subalgoE8EtNS0_10empty_typeEbEEZZNS1_14partition_implILS5_8ELb0ES3_jN6thrust23THRUST_200600_302600_NS6detail15normal_iteratorINSA_10device_ptrItEEEEPS6_PKS6_NS0_5tupleIJSF_S6_EEENSJ_IJSG_SG_EEENS0_18inequality_wrapperINSA_8equal_toItEEEEPmJS6_EEE10hipError_tPvRmT3_T4_T5_T6_T7_T9_mT8_P12ihipStream_tbDpT10_ENKUlT_T0_E_clISt17integral_constantIbLb1EES1A_EEDaS15_S16_EUlS15_E_NS1_11comp_targetILNS1_3genE4ELNS1_11target_archE910ELNS1_3gpuE8ELNS1_3repE0EEENS1_30default_config_static_selectorELNS0_4arch9wavefront6targetE1EEEvT1_
	.globl	_ZN7rocprim17ROCPRIM_400000_NS6detail17trampoline_kernelINS0_14default_configENS1_25partition_config_selectorILNS1_17partition_subalgoE8EtNS0_10empty_typeEbEEZZNS1_14partition_implILS5_8ELb0ES3_jN6thrust23THRUST_200600_302600_NS6detail15normal_iteratorINSA_10device_ptrItEEEEPS6_PKS6_NS0_5tupleIJSF_S6_EEENSJ_IJSG_SG_EEENS0_18inequality_wrapperINSA_8equal_toItEEEEPmJS6_EEE10hipError_tPvRmT3_T4_T5_T6_T7_T9_mT8_P12ihipStream_tbDpT10_ENKUlT_T0_E_clISt17integral_constantIbLb1EES1A_EEDaS15_S16_EUlS15_E_NS1_11comp_targetILNS1_3genE4ELNS1_11target_archE910ELNS1_3gpuE8ELNS1_3repE0EEENS1_30default_config_static_selectorELNS0_4arch9wavefront6targetE1EEEvT1_
	.p2align	8
	.type	_ZN7rocprim17ROCPRIM_400000_NS6detail17trampoline_kernelINS0_14default_configENS1_25partition_config_selectorILNS1_17partition_subalgoE8EtNS0_10empty_typeEbEEZZNS1_14partition_implILS5_8ELb0ES3_jN6thrust23THRUST_200600_302600_NS6detail15normal_iteratorINSA_10device_ptrItEEEEPS6_PKS6_NS0_5tupleIJSF_S6_EEENSJ_IJSG_SG_EEENS0_18inequality_wrapperINSA_8equal_toItEEEEPmJS6_EEE10hipError_tPvRmT3_T4_T5_T6_T7_T9_mT8_P12ihipStream_tbDpT10_ENKUlT_T0_E_clISt17integral_constantIbLb1EES1A_EEDaS15_S16_EUlS15_E_NS1_11comp_targetILNS1_3genE4ELNS1_11target_archE910ELNS1_3gpuE8ELNS1_3repE0EEENS1_30default_config_static_selectorELNS0_4arch9wavefront6targetE1EEEvT1_,@function
_ZN7rocprim17ROCPRIM_400000_NS6detail17trampoline_kernelINS0_14default_configENS1_25partition_config_selectorILNS1_17partition_subalgoE8EtNS0_10empty_typeEbEEZZNS1_14partition_implILS5_8ELb0ES3_jN6thrust23THRUST_200600_302600_NS6detail15normal_iteratorINSA_10device_ptrItEEEEPS6_PKS6_NS0_5tupleIJSF_S6_EEENSJ_IJSG_SG_EEENS0_18inequality_wrapperINSA_8equal_toItEEEEPmJS6_EEE10hipError_tPvRmT3_T4_T5_T6_T7_T9_mT8_P12ihipStream_tbDpT10_ENKUlT_T0_E_clISt17integral_constantIbLb1EES1A_EEDaS15_S16_EUlS15_E_NS1_11comp_targetILNS1_3genE4ELNS1_11target_archE910ELNS1_3gpuE8ELNS1_3repE0EEENS1_30default_config_static_selectorELNS0_4arch9wavefront6targetE1EEEvT1_: ; @_ZN7rocprim17ROCPRIM_400000_NS6detail17trampoline_kernelINS0_14default_configENS1_25partition_config_selectorILNS1_17partition_subalgoE8EtNS0_10empty_typeEbEEZZNS1_14partition_implILS5_8ELb0ES3_jN6thrust23THRUST_200600_302600_NS6detail15normal_iteratorINSA_10device_ptrItEEEEPS6_PKS6_NS0_5tupleIJSF_S6_EEENSJ_IJSG_SG_EEENS0_18inequality_wrapperINSA_8equal_toItEEEEPmJS6_EEE10hipError_tPvRmT3_T4_T5_T6_T7_T9_mT8_P12ihipStream_tbDpT10_ENKUlT_T0_E_clISt17integral_constantIbLb1EES1A_EEDaS15_S16_EUlS15_E_NS1_11comp_targetILNS1_3genE4ELNS1_11target_archE910ELNS1_3gpuE8ELNS1_3repE0EEENS1_30default_config_static_selectorELNS0_4arch9wavefront6targetE1EEEvT1_
; %bb.0:
	.section	.rodata,"a",@progbits
	.p2align	6, 0x0
	.amdhsa_kernel _ZN7rocprim17ROCPRIM_400000_NS6detail17trampoline_kernelINS0_14default_configENS1_25partition_config_selectorILNS1_17partition_subalgoE8EtNS0_10empty_typeEbEEZZNS1_14partition_implILS5_8ELb0ES3_jN6thrust23THRUST_200600_302600_NS6detail15normal_iteratorINSA_10device_ptrItEEEEPS6_PKS6_NS0_5tupleIJSF_S6_EEENSJ_IJSG_SG_EEENS0_18inequality_wrapperINSA_8equal_toItEEEEPmJS6_EEE10hipError_tPvRmT3_T4_T5_T6_T7_T9_mT8_P12ihipStream_tbDpT10_ENKUlT_T0_E_clISt17integral_constantIbLb1EES1A_EEDaS15_S16_EUlS15_E_NS1_11comp_targetILNS1_3genE4ELNS1_11target_archE910ELNS1_3gpuE8ELNS1_3repE0EEENS1_30default_config_static_selectorELNS0_4arch9wavefront6targetE1EEEvT1_
		.amdhsa_group_segment_fixed_size 0
		.amdhsa_private_segment_fixed_size 0
		.amdhsa_kernarg_size 128
		.amdhsa_user_sgpr_count 6
		.amdhsa_user_sgpr_private_segment_buffer 1
		.amdhsa_user_sgpr_dispatch_ptr 0
		.amdhsa_user_sgpr_queue_ptr 0
		.amdhsa_user_sgpr_kernarg_segment_ptr 1
		.amdhsa_user_sgpr_dispatch_id 0
		.amdhsa_user_sgpr_flat_scratch_init 0
		.amdhsa_user_sgpr_private_segment_size 0
		.amdhsa_uses_dynamic_stack 0
		.amdhsa_system_sgpr_private_segment_wavefront_offset 0
		.amdhsa_system_sgpr_workgroup_id_x 1
		.amdhsa_system_sgpr_workgroup_id_y 0
		.amdhsa_system_sgpr_workgroup_id_z 0
		.amdhsa_system_sgpr_workgroup_info 0
		.amdhsa_system_vgpr_workitem_id 0
		.amdhsa_next_free_vgpr 1
		.amdhsa_next_free_sgpr 0
		.amdhsa_reserve_vcc 0
		.amdhsa_reserve_flat_scratch 0
		.amdhsa_float_round_mode_32 0
		.amdhsa_float_round_mode_16_64 0
		.amdhsa_float_denorm_mode_32 3
		.amdhsa_float_denorm_mode_16_64 3
		.amdhsa_dx10_clamp 1
		.amdhsa_ieee_mode 1
		.amdhsa_fp16_overflow 0
		.amdhsa_exception_fp_ieee_invalid_op 0
		.amdhsa_exception_fp_denorm_src 0
		.amdhsa_exception_fp_ieee_div_zero 0
		.amdhsa_exception_fp_ieee_overflow 0
		.amdhsa_exception_fp_ieee_underflow 0
		.amdhsa_exception_fp_ieee_inexact 0
		.amdhsa_exception_int_div_zero 0
	.end_amdhsa_kernel
	.section	.text._ZN7rocprim17ROCPRIM_400000_NS6detail17trampoline_kernelINS0_14default_configENS1_25partition_config_selectorILNS1_17partition_subalgoE8EtNS0_10empty_typeEbEEZZNS1_14partition_implILS5_8ELb0ES3_jN6thrust23THRUST_200600_302600_NS6detail15normal_iteratorINSA_10device_ptrItEEEEPS6_PKS6_NS0_5tupleIJSF_S6_EEENSJ_IJSG_SG_EEENS0_18inequality_wrapperINSA_8equal_toItEEEEPmJS6_EEE10hipError_tPvRmT3_T4_T5_T6_T7_T9_mT8_P12ihipStream_tbDpT10_ENKUlT_T0_E_clISt17integral_constantIbLb1EES1A_EEDaS15_S16_EUlS15_E_NS1_11comp_targetILNS1_3genE4ELNS1_11target_archE910ELNS1_3gpuE8ELNS1_3repE0EEENS1_30default_config_static_selectorELNS0_4arch9wavefront6targetE1EEEvT1_,"axG",@progbits,_ZN7rocprim17ROCPRIM_400000_NS6detail17trampoline_kernelINS0_14default_configENS1_25partition_config_selectorILNS1_17partition_subalgoE8EtNS0_10empty_typeEbEEZZNS1_14partition_implILS5_8ELb0ES3_jN6thrust23THRUST_200600_302600_NS6detail15normal_iteratorINSA_10device_ptrItEEEEPS6_PKS6_NS0_5tupleIJSF_S6_EEENSJ_IJSG_SG_EEENS0_18inequality_wrapperINSA_8equal_toItEEEEPmJS6_EEE10hipError_tPvRmT3_T4_T5_T6_T7_T9_mT8_P12ihipStream_tbDpT10_ENKUlT_T0_E_clISt17integral_constantIbLb1EES1A_EEDaS15_S16_EUlS15_E_NS1_11comp_targetILNS1_3genE4ELNS1_11target_archE910ELNS1_3gpuE8ELNS1_3repE0EEENS1_30default_config_static_selectorELNS0_4arch9wavefront6targetE1EEEvT1_,comdat
.Lfunc_end285:
	.size	_ZN7rocprim17ROCPRIM_400000_NS6detail17trampoline_kernelINS0_14default_configENS1_25partition_config_selectorILNS1_17partition_subalgoE8EtNS0_10empty_typeEbEEZZNS1_14partition_implILS5_8ELb0ES3_jN6thrust23THRUST_200600_302600_NS6detail15normal_iteratorINSA_10device_ptrItEEEEPS6_PKS6_NS0_5tupleIJSF_S6_EEENSJ_IJSG_SG_EEENS0_18inequality_wrapperINSA_8equal_toItEEEEPmJS6_EEE10hipError_tPvRmT3_T4_T5_T6_T7_T9_mT8_P12ihipStream_tbDpT10_ENKUlT_T0_E_clISt17integral_constantIbLb1EES1A_EEDaS15_S16_EUlS15_E_NS1_11comp_targetILNS1_3genE4ELNS1_11target_archE910ELNS1_3gpuE8ELNS1_3repE0EEENS1_30default_config_static_selectorELNS0_4arch9wavefront6targetE1EEEvT1_, .Lfunc_end285-_ZN7rocprim17ROCPRIM_400000_NS6detail17trampoline_kernelINS0_14default_configENS1_25partition_config_selectorILNS1_17partition_subalgoE8EtNS0_10empty_typeEbEEZZNS1_14partition_implILS5_8ELb0ES3_jN6thrust23THRUST_200600_302600_NS6detail15normal_iteratorINSA_10device_ptrItEEEEPS6_PKS6_NS0_5tupleIJSF_S6_EEENSJ_IJSG_SG_EEENS0_18inequality_wrapperINSA_8equal_toItEEEEPmJS6_EEE10hipError_tPvRmT3_T4_T5_T6_T7_T9_mT8_P12ihipStream_tbDpT10_ENKUlT_T0_E_clISt17integral_constantIbLb1EES1A_EEDaS15_S16_EUlS15_E_NS1_11comp_targetILNS1_3genE4ELNS1_11target_archE910ELNS1_3gpuE8ELNS1_3repE0EEENS1_30default_config_static_selectorELNS0_4arch9wavefront6targetE1EEEvT1_
                                        ; -- End function
	.set _ZN7rocprim17ROCPRIM_400000_NS6detail17trampoline_kernelINS0_14default_configENS1_25partition_config_selectorILNS1_17partition_subalgoE8EtNS0_10empty_typeEbEEZZNS1_14partition_implILS5_8ELb0ES3_jN6thrust23THRUST_200600_302600_NS6detail15normal_iteratorINSA_10device_ptrItEEEEPS6_PKS6_NS0_5tupleIJSF_S6_EEENSJ_IJSG_SG_EEENS0_18inequality_wrapperINSA_8equal_toItEEEEPmJS6_EEE10hipError_tPvRmT3_T4_T5_T6_T7_T9_mT8_P12ihipStream_tbDpT10_ENKUlT_T0_E_clISt17integral_constantIbLb1EES1A_EEDaS15_S16_EUlS15_E_NS1_11comp_targetILNS1_3genE4ELNS1_11target_archE910ELNS1_3gpuE8ELNS1_3repE0EEENS1_30default_config_static_selectorELNS0_4arch9wavefront6targetE1EEEvT1_.num_vgpr, 0
	.set _ZN7rocprim17ROCPRIM_400000_NS6detail17trampoline_kernelINS0_14default_configENS1_25partition_config_selectorILNS1_17partition_subalgoE8EtNS0_10empty_typeEbEEZZNS1_14partition_implILS5_8ELb0ES3_jN6thrust23THRUST_200600_302600_NS6detail15normal_iteratorINSA_10device_ptrItEEEEPS6_PKS6_NS0_5tupleIJSF_S6_EEENSJ_IJSG_SG_EEENS0_18inequality_wrapperINSA_8equal_toItEEEEPmJS6_EEE10hipError_tPvRmT3_T4_T5_T6_T7_T9_mT8_P12ihipStream_tbDpT10_ENKUlT_T0_E_clISt17integral_constantIbLb1EES1A_EEDaS15_S16_EUlS15_E_NS1_11comp_targetILNS1_3genE4ELNS1_11target_archE910ELNS1_3gpuE8ELNS1_3repE0EEENS1_30default_config_static_selectorELNS0_4arch9wavefront6targetE1EEEvT1_.num_agpr, 0
	.set _ZN7rocprim17ROCPRIM_400000_NS6detail17trampoline_kernelINS0_14default_configENS1_25partition_config_selectorILNS1_17partition_subalgoE8EtNS0_10empty_typeEbEEZZNS1_14partition_implILS5_8ELb0ES3_jN6thrust23THRUST_200600_302600_NS6detail15normal_iteratorINSA_10device_ptrItEEEEPS6_PKS6_NS0_5tupleIJSF_S6_EEENSJ_IJSG_SG_EEENS0_18inequality_wrapperINSA_8equal_toItEEEEPmJS6_EEE10hipError_tPvRmT3_T4_T5_T6_T7_T9_mT8_P12ihipStream_tbDpT10_ENKUlT_T0_E_clISt17integral_constantIbLb1EES1A_EEDaS15_S16_EUlS15_E_NS1_11comp_targetILNS1_3genE4ELNS1_11target_archE910ELNS1_3gpuE8ELNS1_3repE0EEENS1_30default_config_static_selectorELNS0_4arch9wavefront6targetE1EEEvT1_.numbered_sgpr, 0
	.set _ZN7rocprim17ROCPRIM_400000_NS6detail17trampoline_kernelINS0_14default_configENS1_25partition_config_selectorILNS1_17partition_subalgoE8EtNS0_10empty_typeEbEEZZNS1_14partition_implILS5_8ELb0ES3_jN6thrust23THRUST_200600_302600_NS6detail15normal_iteratorINSA_10device_ptrItEEEEPS6_PKS6_NS0_5tupleIJSF_S6_EEENSJ_IJSG_SG_EEENS0_18inequality_wrapperINSA_8equal_toItEEEEPmJS6_EEE10hipError_tPvRmT3_T4_T5_T6_T7_T9_mT8_P12ihipStream_tbDpT10_ENKUlT_T0_E_clISt17integral_constantIbLb1EES1A_EEDaS15_S16_EUlS15_E_NS1_11comp_targetILNS1_3genE4ELNS1_11target_archE910ELNS1_3gpuE8ELNS1_3repE0EEENS1_30default_config_static_selectorELNS0_4arch9wavefront6targetE1EEEvT1_.num_named_barrier, 0
	.set _ZN7rocprim17ROCPRIM_400000_NS6detail17trampoline_kernelINS0_14default_configENS1_25partition_config_selectorILNS1_17partition_subalgoE8EtNS0_10empty_typeEbEEZZNS1_14partition_implILS5_8ELb0ES3_jN6thrust23THRUST_200600_302600_NS6detail15normal_iteratorINSA_10device_ptrItEEEEPS6_PKS6_NS0_5tupleIJSF_S6_EEENSJ_IJSG_SG_EEENS0_18inequality_wrapperINSA_8equal_toItEEEEPmJS6_EEE10hipError_tPvRmT3_T4_T5_T6_T7_T9_mT8_P12ihipStream_tbDpT10_ENKUlT_T0_E_clISt17integral_constantIbLb1EES1A_EEDaS15_S16_EUlS15_E_NS1_11comp_targetILNS1_3genE4ELNS1_11target_archE910ELNS1_3gpuE8ELNS1_3repE0EEENS1_30default_config_static_selectorELNS0_4arch9wavefront6targetE1EEEvT1_.private_seg_size, 0
	.set _ZN7rocprim17ROCPRIM_400000_NS6detail17trampoline_kernelINS0_14default_configENS1_25partition_config_selectorILNS1_17partition_subalgoE8EtNS0_10empty_typeEbEEZZNS1_14partition_implILS5_8ELb0ES3_jN6thrust23THRUST_200600_302600_NS6detail15normal_iteratorINSA_10device_ptrItEEEEPS6_PKS6_NS0_5tupleIJSF_S6_EEENSJ_IJSG_SG_EEENS0_18inequality_wrapperINSA_8equal_toItEEEEPmJS6_EEE10hipError_tPvRmT3_T4_T5_T6_T7_T9_mT8_P12ihipStream_tbDpT10_ENKUlT_T0_E_clISt17integral_constantIbLb1EES1A_EEDaS15_S16_EUlS15_E_NS1_11comp_targetILNS1_3genE4ELNS1_11target_archE910ELNS1_3gpuE8ELNS1_3repE0EEENS1_30default_config_static_selectorELNS0_4arch9wavefront6targetE1EEEvT1_.uses_vcc, 0
	.set _ZN7rocprim17ROCPRIM_400000_NS6detail17trampoline_kernelINS0_14default_configENS1_25partition_config_selectorILNS1_17partition_subalgoE8EtNS0_10empty_typeEbEEZZNS1_14partition_implILS5_8ELb0ES3_jN6thrust23THRUST_200600_302600_NS6detail15normal_iteratorINSA_10device_ptrItEEEEPS6_PKS6_NS0_5tupleIJSF_S6_EEENSJ_IJSG_SG_EEENS0_18inequality_wrapperINSA_8equal_toItEEEEPmJS6_EEE10hipError_tPvRmT3_T4_T5_T6_T7_T9_mT8_P12ihipStream_tbDpT10_ENKUlT_T0_E_clISt17integral_constantIbLb1EES1A_EEDaS15_S16_EUlS15_E_NS1_11comp_targetILNS1_3genE4ELNS1_11target_archE910ELNS1_3gpuE8ELNS1_3repE0EEENS1_30default_config_static_selectorELNS0_4arch9wavefront6targetE1EEEvT1_.uses_flat_scratch, 0
	.set _ZN7rocprim17ROCPRIM_400000_NS6detail17trampoline_kernelINS0_14default_configENS1_25partition_config_selectorILNS1_17partition_subalgoE8EtNS0_10empty_typeEbEEZZNS1_14partition_implILS5_8ELb0ES3_jN6thrust23THRUST_200600_302600_NS6detail15normal_iteratorINSA_10device_ptrItEEEEPS6_PKS6_NS0_5tupleIJSF_S6_EEENSJ_IJSG_SG_EEENS0_18inequality_wrapperINSA_8equal_toItEEEEPmJS6_EEE10hipError_tPvRmT3_T4_T5_T6_T7_T9_mT8_P12ihipStream_tbDpT10_ENKUlT_T0_E_clISt17integral_constantIbLb1EES1A_EEDaS15_S16_EUlS15_E_NS1_11comp_targetILNS1_3genE4ELNS1_11target_archE910ELNS1_3gpuE8ELNS1_3repE0EEENS1_30default_config_static_selectorELNS0_4arch9wavefront6targetE1EEEvT1_.has_dyn_sized_stack, 0
	.set _ZN7rocprim17ROCPRIM_400000_NS6detail17trampoline_kernelINS0_14default_configENS1_25partition_config_selectorILNS1_17partition_subalgoE8EtNS0_10empty_typeEbEEZZNS1_14partition_implILS5_8ELb0ES3_jN6thrust23THRUST_200600_302600_NS6detail15normal_iteratorINSA_10device_ptrItEEEEPS6_PKS6_NS0_5tupleIJSF_S6_EEENSJ_IJSG_SG_EEENS0_18inequality_wrapperINSA_8equal_toItEEEEPmJS6_EEE10hipError_tPvRmT3_T4_T5_T6_T7_T9_mT8_P12ihipStream_tbDpT10_ENKUlT_T0_E_clISt17integral_constantIbLb1EES1A_EEDaS15_S16_EUlS15_E_NS1_11comp_targetILNS1_3genE4ELNS1_11target_archE910ELNS1_3gpuE8ELNS1_3repE0EEENS1_30default_config_static_selectorELNS0_4arch9wavefront6targetE1EEEvT1_.has_recursion, 0
	.set _ZN7rocprim17ROCPRIM_400000_NS6detail17trampoline_kernelINS0_14default_configENS1_25partition_config_selectorILNS1_17partition_subalgoE8EtNS0_10empty_typeEbEEZZNS1_14partition_implILS5_8ELb0ES3_jN6thrust23THRUST_200600_302600_NS6detail15normal_iteratorINSA_10device_ptrItEEEEPS6_PKS6_NS0_5tupleIJSF_S6_EEENSJ_IJSG_SG_EEENS0_18inequality_wrapperINSA_8equal_toItEEEEPmJS6_EEE10hipError_tPvRmT3_T4_T5_T6_T7_T9_mT8_P12ihipStream_tbDpT10_ENKUlT_T0_E_clISt17integral_constantIbLb1EES1A_EEDaS15_S16_EUlS15_E_NS1_11comp_targetILNS1_3genE4ELNS1_11target_archE910ELNS1_3gpuE8ELNS1_3repE0EEENS1_30default_config_static_selectorELNS0_4arch9wavefront6targetE1EEEvT1_.has_indirect_call, 0
	.section	.AMDGPU.csdata,"",@progbits
; Kernel info:
; codeLenInByte = 0
; TotalNumSgprs: 4
; NumVgprs: 0
; ScratchSize: 0
; MemoryBound: 0
; FloatMode: 240
; IeeeMode: 1
; LDSByteSize: 0 bytes/workgroup (compile time only)
; SGPRBlocks: 0
; VGPRBlocks: 0
; NumSGPRsForWavesPerEU: 4
; NumVGPRsForWavesPerEU: 1
; Occupancy: 10
; WaveLimiterHint : 0
; COMPUTE_PGM_RSRC2:SCRATCH_EN: 0
; COMPUTE_PGM_RSRC2:USER_SGPR: 6
; COMPUTE_PGM_RSRC2:TRAP_HANDLER: 0
; COMPUTE_PGM_RSRC2:TGID_X_EN: 1
; COMPUTE_PGM_RSRC2:TGID_Y_EN: 0
; COMPUTE_PGM_RSRC2:TGID_Z_EN: 0
; COMPUTE_PGM_RSRC2:TIDIG_COMP_CNT: 0
	.section	.text._ZN7rocprim17ROCPRIM_400000_NS6detail17trampoline_kernelINS0_14default_configENS1_25partition_config_selectorILNS1_17partition_subalgoE8EtNS0_10empty_typeEbEEZZNS1_14partition_implILS5_8ELb0ES3_jN6thrust23THRUST_200600_302600_NS6detail15normal_iteratorINSA_10device_ptrItEEEEPS6_PKS6_NS0_5tupleIJSF_S6_EEENSJ_IJSG_SG_EEENS0_18inequality_wrapperINSA_8equal_toItEEEEPmJS6_EEE10hipError_tPvRmT3_T4_T5_T6_T7_T9_mT8_P12ihipStream_tbDpT10_ENKUlT_T0_E_clISt17integral_constantIbLb1EES1A_EEDaS15_S16_EUlS15_E_NS1_11comp_targetILNS1_3genE3ELNS1_11target_archE908ELNS1_3gpuE7ELNS1_3repE0EEENS1_30default_config_static_selectorELNS0_4arch9wavefront6targetE1EEEvT1_,"axG",@progbits,_ZN7rocprim17ROCPRIM_400000_NS6detail17trampoline_kernelINS0_14default_configENS1_25partition_config_selectorILNS1_17partition_subalgoE8EtNS0_10empty_typeEbEEZZNS1_14partition_implILS5_8ELb0ES3_jN6thrust23THRUST_200600_302600_NS6detail15normal_iteratorINSA_10device_ptrItEEEEPS6_PKS6_NS0_5tupleIJSF_S6_EEENSJ_IJSG_SG_EEENS0_18inequality_wrapperINSA_8equal_toItEEEEPmJS6_EEE10hipError_tPvRmT3_T4_T5_T6_T7_T9_mT8_P12ihipStream_tbDpT10_ENKUlT_T0_E_clISt17integral_constantIbLb1EES1A_EEDaS15_S16_EUlS15_E_NS1_11comp_targetILNS1_3genE3ELNS1_11target_archE908ELNS1_3gpuE7ELNS1_3repE0EEENS1_30default_config_static_selectorELNS0_4arch9wavefront6targetE1EEEvT1_,comdat
	.protected	_ZN7rocprim17ROCPRIM_400000_NS6detail17trampoline_kernelINS0_14default_configENS1_25partition_config_selectorILNS1_17partition_subalgoE8EtNS0_10empty_typeEbEEZZNS1_14partition_implILS5_8ELb0ES3_jN6thrust23THRUST_200600_302600_NS6detail15normal_iteratorINSA_10device_ptrItEEEEPS6_PKS6_NS0_5tupleIJSF_S6_EEENSJ_IJSG_SG_EEENS0_18inequality_wrapperINSA_8equal_toItEEEEPmJS6_EEE10hipError_tPvRmT3_T4_T5_T6_T7_T9_mT8_P12ihipStream_tbDpT10_ENKUlT_T0_E_clISt17integral_constantIbLb1EES1A_EEDaS15_S16_EUlS15_E_NS1_11comp_targetILNS1_3genE3ELNS1_11target_archE908ELNS1_3gpuE7ELNS1_3repE0EEENS1_30default_config_static_selectorELNS0_4arch9wavefront6targetE1EEEvT1_ ; -- Begin function _ZN7rocprim17ROCPRIM_400000_NS6detail17trampoline_kernelINS0_14default_configENS1_25partition_config_selectorILNS1_17partition_subalgoE8EtNS0_10empty_typeEbEEZZNS1_14partition_implILS5_8ELb0ES3_jN6thrust23THRUST_200600_302600_NS6detail15normal_iteratorINSA_10device_ptrItEEEEPS6_PKS6_NS0_5tupleIJSF_S6_EEENSJ_IJSG_SG_EEENS0_18inequality_wrapperINSA_8equal_toItEEEEPmJS6_EEE10hipError_tPvRmT3_T4_T5_T6_T7_T9_mT8_P12ihipStream_tbDpT10_ENKUlT_T0_E_clISt17integral_constantIbLb1EES1A_EEDaS15_S16_EUlS15_E_NS1_11comp_targetILNS1_3genE3ELNS1_11target_archE908ELNS1_3gpuE7ELNS1_3repE0EEENS1_30default_config_static_selectorELNS0_4arch9wavefront6targetE1EEEvT1_
	.globl	_ZN7rocprim17ROCPRIM_400000_NS6detail17trampoline_kernelINS0_14default_configENS1_25partition_config_selectorILNS1_17partition_subalgoE8EtNS0_10empty_typeEbEEZZNS1_14partition_implILS5_8ELb0ES3_jN6thrust23THRUST_200600_302600_NS6detail15normal_iteratorINSA_10device_ptrItEEEEPS6_PKS6_NS0_5tupleIJSF_S6_EEENSJ_IJSG_SG_EEENS0_18inequality_wrapperINSA_8equal_toItEEEEPmJS6_EEE10hipError_tPvRmT3_T4_T5_T6_T7_T9_mT8_P12ihipStream_tbDpT10_ENKUlT_T0_E_clISt17integral_constantIbLb1EES1A_EEDaS15_S16_EUlS15_E_NS1_11comp_targetILNS1_3genE3ELNS1_11target_archE908ELNS1_3gpuE7ELNS1_3repE0EEENS1_30default_config_static_selectorELNS0_4arch9wavefront6targetE1EEEvT1_
	.p2align	8
	.type	_ZN7rocprim17ROCPRIM_400000_NS6detail17trampoline_kernelINS0_14default_configENS1_25partition_config_selectorILNS1_17partition_subalgoE8EtNS0_10empty_typeEbEEZZNS1_14partition_implILS5_8ELb0ES3_jN6thrust23THRUST_200600_302600_NS6detail15normal_iteratorINSA_10device_ptrItEEEEPS6_PKS6_NS0_5tupleIJSF_S6_EEENSJ_IJSG_SG_EEENS0_18inequality_wrapperINSA_8equal_toItEEEEPmJS6_EEE10hipError_tPvRmT3_T4_T5_T6_T7_T9_mT8_P12ihipStream_tbDpT10_ENKUlT_T0_E_clISt17integral_constantIbLb1EES1A_EEDaS15_S16_EUlS15_E_NS1_11comp_targetILNS1_3genE3ELNS1_11target_archE908ELNS1_3gpuE7ELNS1_3repE0EEENS1_30default_config_static_selectorELNS0_4arch9wavefront6targetE1EEEvT1_,@function
_ZN7rocprim17ROCPRIM_400000_NS6detail17trampoline_kernelINS0_14default_configENS1_25partition_config_selectorILNS1_17partition_subalgoE8EtNS0_10empty_typeEbEEZZNS1_14partition_implILS5_8ELb0ES3_jN6thrust23THRUST_200600_302600_NS6detail15normal_iteratorINSA_10device_ptrItEEEEPS6_PKS6_NS0_5tupleIJSF_S6_EEENSJ_IJSG_SG_EEENS0_18inequality_wrapperINSA_8equal_toItEEEEPmJS6_EEE10hipError_tPvRmT3_T4_T5_T6_T7_T9_mT8_P12ihipStream_tbDpT10_ENKUlT_T0_E_clISt17integral_constantIbLb1EES1A_EEDaS15_S16_EUlS15_E_NS1_11comp_targetILNS1_3genE3ELNS1_11target_archE908ELNS1_3gpuE7ELNS1_3repE0EEENS1_30default_config_static_selectorELNS0_4arch9wavefront6targetE1EEEvT1_: ; @_ZN7rocprim17ROCPRIM_400000_NS6detail17trampoline_kernelINS0_14default_configENS1_25partition_config_selectorILNS1_17partition_subalgoE8EtNS0_10empty_typeEbEEZZNS1_14partition_implILS5_8ELb0ES3_jN6thrust23THRUST_200600_302600_NS6detail15normal_iteratorINSA_10device_ptrItEEEEPS6_PKS6_NS0_5tupleIJSF_S6_EEENSJ_IJSG_SG_EEENS0_18inequality_wrapperINSA_8equal_toItEEEEPmJS6_EEE10hipError_tPvRmT3_T4_T5_T6_T7_T9_mT8_P12ihipStream_tbDpT10_ENKUlT_T0_E_clISt17integral_constantIbLb1EES1A_EEDaS15_S16_EUlS15_E_NS1_11comp_targetILNS1_3genE3ELNS1_11target_archE908ELNS1_3gpuE7ELNS1_3repE0EEENS1_30default_config_static_selectorELNS0_4arch9wavefront6targetE1EEEvT1_
; %bb.0:
	.section	.rodata,"a",@progbits
	.p2align	6, 0x0
	.amdhsa_kernel _ZN7rocprim17ROCPRIM_400000_NS6detail17trampoline_kernelINS0_14default_configENS1_25partition_config_selectorILNS1_17partition_subalgoE8EtNS0_10empty_typeEbEEZZNS1_14partition_implILS5_8ELb0ES3_jN6thrust23THRUST_200600_302600_NS6detail15normal_iteratorINSA_10device_ptrItEEEEPS6_PKS6_NS0_5tupleIJSF_S6_EEENSJ_IJSG_SG_EEENS0_18inequality_wrapperINSA_8equal_toItEEEEPmJS6_EEE10hipError_tPvRmT3_T4_T5_T6_T7_T9_mT8_P12ihipStream_tbDpT10_ENKUlT_T0_E_clISt17integral_constantIbLb1EES1A_EEDaS15_S16_EUlS15_E_NS1_11comp_targetILNS1_3genE3ELNS1_11target_archE908ELNS1_3gpuE7ELNS1_3repE0EEENS1_30default_config_static_selectorELNS0_4arch9wavefront6targetE1EEEvT1_
		.amdhsa_group_segment_fixed_size 0
		.amdhsa_private_segment_fixed_size 0
		.amdhsa_kernarg_size 128
		.amdhsa_user_sgpr_count 6
		.amdhsa_user_sgpr_private_segment_buffer 1
		.amdhsa_user_sgpr_dispatch_ptr 0
		.amdhsa_user_sgpr_queue_ptr 0
		.amdhsa_user_sgpr_kernarg_segment_ptr 1
		.amdhsa_user_sgpr_dispatch_id 0
		.amdhsa_user_sgpr_flat_scratch_init 0
		.amdhsa_user_sgpr_private_segment_size 0
		.amdhsa_uses_dynamic_stack 0
		.amdhsa_system_sgpr_private_segment_wavefront_offset 0
		.amdhsa_system_sgpr_workgroup_id_x 1
		.amdhsa_system_sgpr_workgroup_id_y 0
		.amdhsa_system_sgpr_workgroup_id_z 0
		.amdhsa_system_sgpr_workgroup_info 0
		.amdhsa_system_vgpr_workitem_id 0
		.amdhsa_next_free_vgpr 1
		.amdhsa_next_free_sgpr 0
		.amdhsa_reserve_vcc 0
		.amdhsa_reserve_flat_scratch 0
		.amdhsa_float_round_mode_32 0
		.amdhsa_float_round_mode_16_64 0
		.amdhsa_float_denorm_mode_32 3
		.amdhsa_float_denorm_mode_16_64 3
		.amdhsa_dx10_clamp 1
		.amdhsa_ieee_mode 1
		.amdhsa_fp16_overflow 0
		.amdhsa_exception_fp_ieee_invalid_op 0
		.amdhsa_exception_fp_denorm_src 0
		.amdhsa_exception_fp_ieee_div_zero 0
		.amdhsa_exception_fp_ieee_overflow 0
		.amdhsa_exception_fp_ieee_underflow 0
		.amdhsa_exception_fp_ieee_inexact 0
		.amdhsa_exception_int_div_zero 0
	.end_amdhsa_kernel
	.section	.text._ZN7rocprim17ROCPRIM_400000_NS6detail17trampoline_kernelINS0_14default_configENS1_25partition_config_selectorILNS1_17partition_subalgoE8EtNS0_10empty_typeEbEEZZNS1_14partition_implILS5_8ELb0ES3_jN6thrust23THRUST_200600_302600_NS6detail15normal_iteratorINSA_10device_ptrItEEEEPS6_PKS6_NS0_5tupleIJSF_S6_EEENSJ_IJSG_SG_EEENS0_18inequality_wrapperINSA_8equal_toItEEEEPmJS6_EEE10hipError_tPvRmT3_T4_T5_T6_T7_T9_mT8_P12ihipStream_tbDpT10_ENKUlT_T0_E_clISt17integral_constantIbLb1EES1A_EEDaS15_S16_EUlS15_E_NS1_11comp_targetILNS1_3genE3ELNS1_11target_archE908ELNS1_3gpuE7ELNS1_3repE0EEENS1_30default_config_static_selectorELNS0_4arch9wavefront6targetE1EEEvT1_,"axG",@progbits,_ZN7rocprim17ROCPRIM_400000_NS6detail17trampoline_kernelINS0_14default_configENS1_25partition_config_selectorILNS1_17partition_subalgoE8EtNS0_10empty_typeEbEEZZNS1_14partition_implILS5_8ELb0ES3_jN6thrust23THRUST_200600_302600_NS6detail15normal_iteratorINSA_10device_ptrItEEEEPS6_PKS6_NS0_5tupleIJSF_S6_EEENSJ_IJSG_SG_EEENS0_18inequality_wrapperINSA_8equal_toItEEEEPmJS6_EEE10hipError_tPvRmT3_T4_T5_T6_T7_T9_mT8_P12ihipStream_tbDpT10_ENKUlT_T0_E_clISt17integral_constantIbLb1EES1A_EEDaS15_S16_EUlS15_E_NS1_11comp_targetILNS1_3genE3ELNS1_11target_archE908ELNS1_3gpuE7ELNS1_3repE0EEENS1_30default_config_static_selectorELNS0_4arch9wavefront6targetE1EEEvT1_,comdat
.Lfunc_end286:
	.size	_ZN7rocprim17ROCPRIM_400000_NS6detail17trampoline_kernelINS0_14default_configENS1_25partition_config_selectorILNS1_17partition_subalgoE8EtNS0_10empty_typeEbEEZZNS1_14partition_implILS5_8ELb0ES3_jN6thrust23THRUST_200600_302600_NS6detail15normal_iteratorINSA_10device_ptrItEEEEPS6_PKS6_NS0_5tupleIJSF_S6_EEENSJ_IJSG_SG_EEENS0_18inequality_wrapperINSA_8equal_toItEEEEPmJS6_EEE10hipError_tPvRmT3_T4_T5_T6_T7_T9_mT8_P12ihipStream_tbDpT10_ENKUlT_T0_E_clISt17integral_constantIbLb1EES1A_EEDaS15_S16_EUlS15_E_NS1_11comp_targetILNS1_3genE3ELNS1_11target_archE908ELNS1_3gpuE7ELNS1_3repE0EEENS1_30default_config_static_selectorELNS0_4arch9wavefront6targetE1EEEvT1_, .Lfunc_end286-_ZN7rocprim17ROCPRIM_400000_NS6detail17trampoline_kernelINS0_14default_configENS1_25partition_config_selectorILNS1_17partition_subalgoE8EtNS0_10empty_typeEbEEZZNS1_14partition_implILS5_8ELb0ES3_jN6thrust23THRUST_200600_302600_NS6detail15normal_iteratorINSA_10device_ptrItEEEEPS6_PKS6_NS0_5tupleIJSF_S6_EEENSJ_IJSG_SG_EEENS0_18inequality_wrapperINSA_8equal_toItEEEEPmJS6_EEE10hipError_tPvRmT3_T4_T5_T6_T7_T9_mT8_P12ihipStream_tbDpT10_ENKUlT_T0_E_clISt17integral_constantIbLb1EES1A_EEDaS15_S16_EUlS15_E_NS1_11comp_targetILNS1_3genE3ELNS1_11target_archE908ELNS1_3gpuE7ELNS1_3repE0EEENS1_30default_config_static_selectorELNS0_4arch9wavefront6targetE1EEEvT1_
                                        ; -- End function
	.set _ZN7rocprim17ROCPRIM_400000_NS6detail17trampoline_kernelINS0_14default_configENS1_25partition_config_selectorILNS1_17partition_subalgoE8EtNS0_10empty_typeEbEEZZNS1_14partition_implILS5_8ELb0ES3_jN6thrust23THRUST_200600_302600_NS6detail15normal_iteratorINSA_10device_ptrItEEEEPS6_PKS6_NS0_5tupleIJSF_S6_EEENSJ_IJSG_SG_EEENS0_18inequality_wrapperINSA_8equal_toItEEEEPmJS6_EEE10hipError_tPvRmT3_T4_T5_T6_T7_T9_mT8_P12ihipStream_tbDpT10_ENKUlT_T0_E_clISt17integral_constantIbLb1EES1A_EEDaS15_S16_EUlS15_E_NS1_11comp_targetILNS1_3genE3ELNS1_11target_archE908ELNS1_3gpuE7ELNS1_3repE0EEENS1_30default_config_static_selectorELNS0_4arch9wavefront6targetE1EEEvT1_.num_vgpr, 0
	.set _ZN7rocprim17ROCPRIM_400000_NS6detail17trampoline_kernelINS0_14default_configENS1_25partition_config_selectorILNS1_17partition_subalgoE8EtNS0_10empty_typeEbEEZZNS1_14partition_implILS5_8ELb0ES3_jN6thrust23THRUST_200600_302600_NS6detail15normal_iteratorINSA_10device_ptrItEEEEPS6_PKS6_NS0_5tupleIJSF_S6_EEENSJ_IJSG_SG_EEENS0_18inequality_wrapperINSA_8equal_toItEEEEPmJS6_EEE10hipError_tPvRmT3_T4_T5_T6_T7_T9_mT8_P12ihipStream_tbDpT10_ENKUlT_T0_E_clISt17integral_constantIbLb1EES1A_EEDaS15_S16_EUlS15_E_NS1_11comp_targetILNS1_3genE3ELNS1_11target_archE908ELNS1_3gpuE7ELNS1_3repE0EEENS1_30default_config_static_selectorELNS0_4arch9wavefront6targetE1EEEvT1_.num_agpr, 0
	.set _ZN7rocprim17ROCPRIM_400000_NS6detail17trampoline_kernelINS0_14default_configENS1_25partition_config_selectorILNS1_17partition_subalgoE8EtNS0_10empty_typeEbEEZZNS1_14partition_implILS5_8ELb0ES3_jN6thrust23THRUST_200600_302600_NS6detail15normal_iteratorINSA_10device_ptrItEEEEPS6_PKS6_NS0_5tupleIJSF_S6_EEENSJ_IJSG_SG_EEENS0_18inequality_wrapperINSA_8equal_toItEEEEPmJS6_EEE10hipError_tPvRmT3_T4_T5_T6_T7_T9_mT8_P12ihipStream_tbDpT10_ENKUlT_T0_E_clISt17integral_constantIbLb1EES1A_EEDaS15_S16_EUlS15_E_NS1_11comp_targetILNS1_3genE3ELNS1_11target_archE908ELNS1_3gpuE7ELNS1_3repE0EEENS1_30default_config_static_selectorELNS0_4arch9wavefront6targetE1EEEvT1_.numbered_sgpr, 0
	.set _ZN7rocprim17ROCPRIM_400000_NS6detail17trampoline_kernelINS0_14default_configENS1_25partition_config_selectorILNS1_17partition_subalgoE8EtNS0_10empty_typeEbEEZZNS1_14partition_implILS5_8ELb0ES3_jN6thrust23THRUST_200600_302600_NS6detail15normal_iteratorINSA_10device_ptrItEEEEPS6_PKS6_NS0_5tupleIJSF_S6_EEENSJ_IJSG_SG_EEENS0_18inequality_wrapperINSA_8equal_toItEEEEPmJS6_EEE10hipError_tPvRmT3_T4_T5_T6_T7_T9_mT8_P12ihipStream_tbDpT10_ENKUlT_T0_E_clISt17integral_constantIbLb1EES1A_EEDaS15_S16_EUlS15_E_NS1_11comp_targetILNS1_3genE3ELNS1_11target_archE908ELNS1_3gpuE7ELNS1_3repE0EEENS1_30default_config_static_selectorELNS0_4arch9wavefront6targetE1EEEvT1_.num_named_barrier, 0
	.set _ZN7rocprim17ROCPRIM_400000_NS6detail17trampoline_kernelINS0_14default_configENS1_25partition_config_selectorILNS1_17partition_subalgoE8EtNS0_10empty_typeEbEEZZNS1_14partition_implILS5_8ELb0ES3_jN6thrust23THRUST_200600_302600_NS6detail15normal_iteratorINSA_10device_ptrItEEEEPS6_PKS6_NS0_5tupleIJSF_S6_EEENSJ_IJSG_SG_EEENS0_18inequality_wrapperINSA_8equal_toItEEEEPmJS6_EEE10hipError_tPvRmT3_T4_T5_T6_T7_T9_mT8_P12ihipStream_tbDpT10_ENKUlT_T0_E_clISt17integral_constantIbLb1EES1A_EEDaS15_S16_EUlS15_E_NS1_11comp_targetILNS1_3genE3ELNS1_11target_archE908ELNS1_3gpuE7ELNS1_3repE0EEENS1_30default_config_static_selectorELNS0_4arch9wavefront6targetE1EEEvT1_.private_seg_size, 0
	.set _ZN7rocprim17ROCPRIM_400000_NS6detail17trampoline_kernelINS0_14default_configENS1_25partition_config_selectorILNS1_17partition_subalgoE8EtNS0_10empty_typeEbEEZZNS1_14partition_implILS5_8ELb0ES3_jN6thrust23THRUST_200600_302600_NS6detail15normal_iteratorINSA_10device_ptrItEEEEPS6_PKS6_NS0_5tupleIJSF_S6_EEENSJ_IJSG_SG_EEENS0_18inequality_wrapperINSA_8equal_toItEEEEPmJS6_EEE10hipError_tPvRmT3_T4_T5_T6_T7_T9_mT8_P12ihipStream_tbDpT10_ENKUlT_T0_E_clISt17integral_constantIbLb1EES1A_EEDaS15_S16_EUlS15_E_NS1_11comp_targetILNS1_3genE3ELNS1_11target_archE908ELNS1_3gpuE7ELNS1_3repE0EEENS1_30default_config_static_selectorELNS0_4arch9wavefront6targetE1EEEvT1_.uses_vcc, 0
	.set _ZN7rocprim17ROCPRIM_400000_NS6detail17trampoline_kernelINS0_14default_configENS1_25partition_config_selectorILNS1_17partition_subalgoE8EtNS0_10empty_typeEbEEZZNS1_14partition_implILS5_8ELb0ES3_jN6thrust23THRUST_200600_302600_NS6detail15normal_iteratorINSA_10device_ptrItEEEEPS6_PKS6_NS0_5tupleIJSF_S6_EEENSJ_IJSG_SG_EEENS0_18inequality_wrapperINSA_8equal_toItEEEEPmJS6_EEE10hipError_tPvRmT3_T4_T5_T6_T7_T9_mT8_P12ihipStream_tbDpT10_ENKUlT_T0_E_clISt17integral_constantIbLb1EES1A_EEDaS15_S16_EUlS15_E_NS1_11comp_targetILNS1_3genE3ELNS1_11target_archE908ELNS1_3gpuE7ELNS1_3repE0EEENS1_30default_config_static_selectorELNS0_4arch9wavefront6targetE1EEEvT1_.uses_flat_scratch, 0
	.set _ZN7rocprim17ROCPRIM_400000_NS6detail17trampoline_kernelINS0_14default_configENS1_25partition_config_selectorILNS1_17partition_subalgoE8EtNS0_10empty_typeEbEEZZNS1_14partition_implILS5_8ELb0ES3_jN6thrust23THRUST_200600_302600_NS6detail15normal_iteratorINSA_10device_ptrItEEEEPS6_PKS6_NS0_5tupleIJSF_S6_EEENSJ_IJSG_SG_EEENS0_18inequality_wrapperINSA_8equal_toItEEEEPmJS6_EEE10hipError_tPvRmT3_T4_T5_T6_T7_T9_mT8_P12ihipStream_tbDpT10_ENKUlT_T0_E_clISt17integral_constantIbLb1EES1A_EEDaS15_S16_EUlS15_E_NS1_11comp_targetILNS1_3genE3ELNS1_11target_archE908ELNS1_3gpuE7ELNS1_3repE0EEENS1_30default_config_static_selectorELNS0_4arch9wavefront6targetE1EEEvT1_.has_dyn_sized_stack, 0
	.set _ZN7rocprim17ROCPRIM_400000_NS6detail17trampoline_kernelINS0_14default_configENS1_25partition_config_selectorILNS1_17partition_subalgoE8EtNS0_10empty_typeEbEEZZNS1_14partition_implILS5_8ELb0ES3_jN6thrust23THRUST_200600_302600_NS6detail15normal_iteratorINSA_10device_ptrItEEEEPS6_PKS6_NS0_5tupleIJSF_S6_EEENSJ_IJSG_SG_EEENS0_18inequality_wrapperINSA_8equal_toItEEEEPmJS6_EEE10hipError_tPvRmT3_T4_T5_T6_T7_T9_mT8_P12ihipStream_tbDpT10_ENKUlT_T0_E_clISt17integral_constantIbLb1EES1A_EEDaS15_S16_EUlS15_E_NS1_11comp_targetILNS1_3genE3ELNS1_11target_archE908ELNS1_3gpuE7ELNS1_3repE0EEENS1_30default_config_static_selectorELNS0_4arch9wavefront6targetE1EEEvT1_.has_recursion, 0
	.set _ZN7rocprim17ROCPRIM_400000_NS6detail17trampoline_kernelINS0_14default_configENS1_25partition_config_selectorILNS1_17partition_subalgoE8EtNS0_10empty_typeEbEEZZNS1_14partition_implILS5_8ELb0ES3_jN6thrust23THRUST_200600_302600_NS6detail15normal_iteratorINSA_10device_ptrItEEEEPS6_PKS6_NS0_5tupleIJSF_S6_EEENSJ_IJSG_SG_EEENS0_18inequality_wrapperINSA_8equal_toItEEEEPmJS6_EEE10hipError_tPvRmT3_T4_T5_T6_T7_T9_mT8_P12ihipStream_tbDpT10_ENKUlT_T0_E_clISt17integral_constantIbLb1EES1A_EEDaS15_S16_EUlS15_E_NS1_11comp_targetILNS1_3genE3ELNS1_11target_archE908ELNS1_3gpuE7ELNS1_3repE0EEENS1_30default_config_static_selectorELNS0_4arch9wavefront6targetE1EEEvT1_.has_indirect_call, 0
	.section	.AMDGPU.csdata,"",@progbits
; Kernel info:
; codeLenInByte = 0
; TotalNumSgprs: 4
; NumVgprs: 0
; ScratchSize: 0
; MemoryBound: 0
; FloatMode: 240
; IeeeMode: 1
; LDSByteSize: 0 bytes/workgroup (compile time only)
; SGPRBlocks: 0
; VGPRBlocks: 0
; NumSGPRsForWavesPerEU: 4
; NumVGPRsForWavesPerEU: 1
; Occupancy: 10
; WaveLimiterHint : 0
; COMPUTE_PGM_RSRC2:SCRATCH_EN: 0
; COMPUTE_PGM_RSRC2:USER_SGPR: 6
; COMPUTE_PGM_RSRC2:TRAP_HANDLER: 0
; COMPUTE_PGM_RSRC2:TGID_X_EN: 1
; COMPUTE_PGM_RSRC2:TGID_Y_EN: 0
; COMPUTE_PGM_RSRC2:TGID_Z_EN: 0
; COMPUTE_PGM_RSRC2:TIDIG_COMP_CNT: 0
	.section	.text._ZN7rocprim17ROCPRIM_400000_NS6detail17trampoline_kernelINS0_14default_configENS1_25partition_config_selectorILNS1_17partition_subalgoE8EtNS0_10empty_typeEbEEZZNS1_14partition_implILS5_8ELb0ES3_jN6thrust23THRUST_200600_302600_NS6detail15normal_iteratorINSA_10device_ptrItEEEEPS6_PKS6_NS0_5tupleIJSF_S6_EEENSJ_IJSG_SG_EEENS0_18inequality_wrapperINSA_8equal_toItEEEEPmJS6_EEE10hipError_tPvRmT3_T4_T5_T6_T7_T9_mT8_P12ihipStream_tbDpT10_ENKUlT_T0_E_clISt17integral_constantIbLb1EES1A_EEDaS15_S16_EUlS15_E_NS1_11comp_targetILNS1_3genE2ELNS1_11target_archE906ELNS1_3gpuE6ELNS1_3repE0EEENS1_30default_config_static_selectorELNS0_4arch9wavefront6targetE1EEEvT1_,"axG",@progbits,_ZN7rocprim17ROCPRIM_400000_NS6detail17trampoline_kernelINS0_14default_configENS1_25partition_config_selectorILNS1_17partition_subalgoE8EtNS0_10empty_typeEbEEZZNS1_14partition_implILS5_8ELb0ES3_jN6thrust23THRUST_200600_302600_NS6detail15normal_iteratorINSA_10device_ptrItEEEEPS6_PKS6_NS0_5tupleIJSF_S6_EEENSJ_IJSG_SG_EEENS0_18inequality_wrapperINSA_8equal_toItEEEEPmJS6_EEE10hipError_tPvRmT3_T4_T5_T6_T7_T9_mT8_P12ihipStream_tbDpT10_ENKUlT_T0_E_clISt17integral_constantIbLb1EES1A_EEDaS15_S16_EUlS15_E_NS1_11comp_targetILNS1_3genE2ELNS1_11target_archE906ELNS1_3gpuE6ELNS1_3repE0EEENS1_30default_config_static_selectorELNS0_4arch9wavefront6targetE1EEEvT1_,comdat
	.protected	_ZN7rocprim17ROCPRIM_400000_NS6detail17trampoline_kernelINS0_14default_configENS1_25partition_config_selectorILNS1_17partition_subalgoE8EtNS0_10empty_typeEbEEZZNS1_14partition_implILS5_8ELb0ES3_jN6thrust23THRUST_200600_302600_NS6detail15normal_iteratorINSA_10device_ptrItEEEEPS6_PKS6_NS0_5tupleIJSF_S6_EEENSJ_IJSG_SG_EEENS0_18inequality_wrapperINSA_8equal_toItEEEEPmJS6_EEE10hipError_tPvRmT3_T4_T5_T6_T7_T9_mT8_P12ihipStream_tbDpT10_ENKUlT_T0_E_clISt17integral_constantIbLb1EES1A_EEDaS15_S16_EUlS15_E_NS1_11comp_targetILNS1_3genE2ELNS1_11target_archE906ELNS1_3gpuE6ELNS1_3repE0EEENS1_30default_config_static_selectorELNS0_4arch9wavefront6targetE1EEEvT1_ ; -- Begin function _ZN7rocprim17ROCPRIM_400000_NS6detail17trampoline_kernelINS0_14default_configENS1_25partition_config_selectorILNS1_17partition_subalgoE8EtNS0_10empty_typeEbEEZZNS1_14partition_implILS5_8ELb0ES3_jN6thrust23THRUST_200600_302600_NS6detail15normal_iteratorINSA_10device_ptrItEEEEPS6_PKS6_NS0_5tupleIJSF_S6_EEENSJ_IJSG_SG_EEENS0_18inequality_wrapperINSA_8equal_toItEEEEPmJS6_EEE10hipError_tPvRmT3_T4_T5_T6_T7_T9_mT8_P12ihipStream_tbDpT10_ENKUlT_T0_E_clISt17integral_constantIbLb1EES1A_EEDaS15_S16_EUlS15_E_NS1_11comp_targetILNS1_3genE2ELNS1_11target_archE906ELNS1_3gpuE6ELNS1_3repE0EEENS1_30default_config_static_selectorELNS0_4arch9wavefront6targetE1EEEvT1_
	.globl	_ZN7rocprim17ROCPRIM_400000_NS6detail17trampoline_kernelINS0_14default_configENS1_25partition_config_selectorILNS1_17partition_subalgoE8EtNS0_10empty_typeEbEEZZNS1_14partition_implILS5_8ELb0ES3_jN6thrust23THRUST_200600_302600_NS6detail15normal_iteratorINSA_10device_ptrItEEEEPS6_PKS6_NS0_5tupleIJSF_S6_EEENSJ_IJSG_SG_EEENS0_18inequality_wrapperINSA_8equal_toItEEEEPmJS6_EEE10hipError_tPvRmT3_T4_T5_T6_T7_T9_mT8_P12ihipStream_tbDpT10_ENKUlT_T0_E_clISt17integral_constantIbLb1EES1A_EEDaS15_S16_EUlS15_E_NS1_11comp_targetILNS1_3genE2ELNS1_11target_archE906ELNS1_3gpuE6ELNS1_3repE0EEENS1_30default_config_static_selectorELNS0_4arch9wavefront6targetE1EEEvT1_
	.p2align	8
	.type	_ZN7rocprim17ROCPRIM_400000_NS6detail17trampoline_kernelINS0_14default_configENS1_25partition_config_selectorILNS1_17partition_subalgoE8EtNS0_10empty_typeEbEEZZNS1_14partition_implILS5_8ELb0ES3_jN6thrust23THRUST_200600_302600_NS6detail15normal_iteratorINSA_10device_ptrItEEEEPS6_PKS6_NS0_5tupleIJSF_S6_EEENSJ_IJSG_SG_EEENS0_18inequality_wrapperINSA_8equal_toItEEEEPmJS6_EEE10hipError_tPvRmT3_T4_T5_T6_T7_T9_mT8_P12ihipStream_tbDpT10_ENKUlT_T0_E_clISt17integral_constantIbLb1EES1A_EEDaS15_S16_EUlS15_E_NS1_11comp_targetILNS1_3genE2ELNS1_11target_archE906ELNS1_3gpuE6ELNS1_3repE0EEENS1_30default_config_static_selectorELNS0_4arch9wavefront6targetE1EEEvT1_,@function
_ZN7rocprim17ROCPRIM_400000_NS6detail17trampoline_kernelINS0_14default_configENS1_25partition_config_selectorILNS1_17partition_subalgoE8EtNS0_10empty_typeEbEEZZNS1_14partition_implILS5_8ELb0ES3_jN6thrust23THRUST_200600_302600_NS6detail15normal_iteratorINSA_10device_ptrItEEEEPS6_PKS6_NS0_5tupleIJSF_S6_EEENSJ_IJSG_SG_EEENS0_18inequality_wrapperINSA_8equal_toItEEEEPmJS6_EEE10hipError_tPvRmT3_T4_T5_T6_T7_T9_mT8_P12ihipStream_tbDpT10_ENKUlT_T0_E_clISt17integral_constantIbLb1EES1A_EEDaS15_S16_EUlS15_E_NS1_11comp_targetILNS1_3genE2ELNS1_11target_archE906ELNS1_3gpuE6ELNS1_3repE0EEENS1_30default_config_static_selectorELNS0_4arch9wavefront6targetE1EEEvT1_: ; @_ZN7rocprim17ROCPRIM_400000_NS6detail17trampoline_kernelINS0_14default_configENS1_25partition_config_selectorILNS1_17partition_subalgoE8EtNS0_10empty_typeEbEEZZNS1_14partition_implILS5_8ELb0ES3_jN6thrust23THRUST_200600_302600_NS6detail15normal_iteratorINSA_10device_ptrItEEEEPS6_PKS6_NS0_5tupleIJSF_S6_EEENSJ_IJSG_SG_EEENS0_18inequality_wrapperINSA_8equal_toItEEEEPmJS6_EEE10hipError_tPvRmT3_T4_T5_T6_T7_T9_mT8_P12ihipStream_tbDpT10_ENKUlT_T0_E_clISt17integral_constantIbLb1EES1A_EEDaS15_S16_EUlS15_E_NS1_11comp_targetILNS1_3genE2ELNS1_11target_archE906ELNS1_3gpuE6ELNS1_3repE0EEENS1_30default_config_static_selectorELNS0_4arch9wavefront6targetE1EEEvT1_
; %bb.0:
	s_endpgm
	.section	.rodata,"a",@progbits
	.p2align	6, 0x0
	.amdhsa_kernel _ZN7rocprim17ROCPRIM_400000_NS6detail17trampoline_kernelINS0_14default_configENS1_25partition_config_selectorILNS1_17partition_subalgoE8EtNS0_10empty_typeEbEEZZNS1_14partition_implILS5_8ELb0ES3_jN6thrust23THRUST_200600_302600_NS6detail15normal_iteratorINSA_10device_ptrItEEEEPS6_PKS6_NS0_5tupleIJSF_S6_EEENSJ_IJSG_SG_EEENS0_18inequality_wrapperINSA_8equal_toItEEEEPmJS6_EEE10hipError_tPvRmT3_T4_T5_T6_T7_T9_mT8_P12ihipStream_tbDpT10_ENKUlT_T0_E_clISt17integral_constantIbLb1EES1A_EEDaS15_S16_EUlS15_E_NS1_11comp_targetILNS1_3genE2ELNS1_11target_archE906ELNS1_3gpuE6ELNS1_3repE0EEENS1_30default_config_static_selectorELNS0_4arch9wavefront6targetE1EEEvT1_
		.amdhsa_group_segment_fixed_size 0
		.amdhsa_private_segment_fixed_size 0
		.amdhsa_kernarg_size 128
		.amdhsa_user_sgpr_count 6
		.amdhsa_user_sgpr_private_segment_buffer 1
		.amdhsa_user_sgpr_dispatch_ptr 0
		.amdhsa_user_sgpr_queue_ptr 0
		.amdhsa_user_sgpr_kernarg_segment_ptr 1
		.amdhsa_user_sgpr_dispatch_id 0
		.amdhsa_user_sgpr_flat_scratch_init 0
		.amdhsa_user_sgpr_private_segment_size 0
		.amdhsa_uses_dynamic_stack 0
		.amdhsa_system_sgpr_private_segment_wavefront_offset 0
		.amdhsa_system_sgpr_workgroup_id_x 1
		.amdhsa_system_sgpr_workgroup_id_y 0
		.amdhsa_system_sgpr_workgroup_id_z 0
		.amdhsa_system_sgpr_workgroup_info 0
		.amdhsa_system_vgpr_workitem_id 0
		.amdhsa_next_free_vgpr 1
		.amdhsa_next_free_sgpr 0
		.amdhsa_reserve_vcc 0
		.amdhsa_reserve_flat_scratch 0
		.amdhsa_float_round_mode_32 0
		.amdhsa_float_round_mode_16_64 0
		.amdhsa_float_denorm_mode_32 3
		.amdhsa_float_denorm_mode_16_64 3
		.amdhsa_dx10_clamp 1
		.amdhsa_ieee_mode 1
		.amdhsa_fp16_overflow 0
		.amdhsa_exception_fp_ieee_invalid_op 0
		.amdhsa_exception_fp_denorm_src 0
		.amdhsa_exception_fp_ieee_div_zero 0
		.amdhsa_exception_fp_ieee_overflow 0
		.amdhsa_exception_fp_ieee_underflow 0
		.amdhsa_exception_fp_ieee_inexact 0
		.amdhsa_exception_int_div_zero 0
	.end_amdhsa_kernel
	.section	.text._ZN7rocprim17ROCPRIM_400000_NS6detail17trampoline_kernelINS0_14default_configENS1_25partition_config_selectorILNS1_17partition_subalgoE8EtNS0_10empty_typeEbEEZZNS1_14partition_implILS5_8ELb0ES3_jN6thrust23THRUST_200600_302600_NS6detail15normal_iteratorINSA_10device_ptrItEEEEPS6_PKS6_NS0_5tupleIJSF_S6_EEENSJ_IJSG_SG_EEENS0_18inequality_wrapperINSA_8equal_toItEEEEPmJS6_EEE10hipError_tPvRmT3_T4_T5_T6_T7_T9_mT8_P12ihipStream_tbDpT10_ENKUlT_T0_E_clISt17integral_constantIbLb1EES1A_EEDaS15_S16_EUlS15_E_NS1_11comp_targetILNS1_3genE2ELNS1_11target_archE906ELNS1_3gpuE6ELNS1_3repE0EEENS1_30default_config_static_selectorELNS0_4arch9wavefront6targetE1EEEvT1_,"axG",@progbits,_ZN7rocprim17ROCPRIM_400000_NS6detail17trampoline_kernelINS0_14default_configENS1_25partition_config_selectorILNS1_17partition_subalgoE8EtNS0_10empty_typeEbEEZZNS1_14partition_implILS5_8ELb0ES3_jN6thrust23THRUST_200600_302600_NS6detail15normal_iteratorINSA_10device_ptrItEEEEPS6_PKS6_NS0_5tupleIJSF_S6_EEENSJ_IJSG_SG_EEENS0_18inequality_wrapperINSA_8equal_toItEEEEPmJS6_EEE10hipError_tPvRmT3_T4_T5_T6_T7_T9_mT8_P12ihipStream_tbDpT10_ENKUlT_T0_E_clISt17integral_constantIbLb1EES1A_EEDaS15_S16_EUlS15_E_NS1_11comp_targetILNS1_3genE2ELNS1_11target_archE906ELNS1_3gpuE6ELNS1_3repE0EEENS1_30default_config_static_selectorELNS0_4arch9wavefront6targetE1EEEvT1_,comdat
.Lfunc_end287:
	.size	_ZN7rocprim17ROCPRIM_400000_NS6detail17trampoline_kernelINS0_14default_configENS1_25partition_config_selectorILNS1_17partition_subalgoE8EtNS0_10empty_typeEbEEZZNS1_14partition_implILS5_8ELb0ES3_jN6thrust23THRUST_200600_302600_NS6detail15normal_iteratorINSA_10device_ptrItEEEEPS6_PKS6_NS0_5tupleIJSF_S6_EEENSJ_IJSG_SG_EEENS0_18inequality_wrapperINSA_8equal_toItEEEEPmJS6_EEE10hipError_tPvRmT3_T4_T5_T6_T7_T9_mT8_P12ihipStream_tbDpT10_ENKUlT_T0_E_clISt17integral_constantIbLb1EES1A_EEDaS15_S16_EUlS15_E_NS1_11comp_targetILNS1_3genE2ELNS1_11target_archE906ELNS1_3gpuE6ELNS1_3repE0EEENS1_30default_config_static_selectorELNS0_4arch9wavefront6targetE1EEEvT1_, .Lfunc_end287-_ZN7rocprim17ROCPRIM_400000_NS6detail17trampoline_kernelINS0_14default_configENS1_25partition_config_selectorILNS1_17partition_subalgoE8EtNS0_10empty_typeEbEEZZNS1_14partition_implILS5_8ELb0ES3_jN6thrust23THRUST_200600_302600_NS6detail15normal_iteratorINSA_10device_ptrItEEEEPS6_PKS6_NS0_5tupleIJSF_S6_EEENSJ_IJSG_SG_EEENS0_18inequality_wrapperINSA_8equal_toItEEEEPmJS6_EEE10hipError_tPvRmT3_T4_T5_T6_T7_T9_mT8_P12ihipStream_tbDpT10_ENKUlT_T0_E_clISt17integral_constantIbLb1EES1A_EEDaS15_S16_EUlS15_E_NS1_11comp_targetILNS1_3genE2ELNS1_11target_archE906ELNS1_3gpuE6ELNS1_3repE0EEENS1_30default_config_static_selectorELNS0_4arch9wavefront6targetE1EEEvT1_
                                        ; -- End function
	.set _ZN7rocprim17ROCPRIM_400000_NS6detail17trampoline_kernelINS0_14default_configENS1_25partition_config_selectorILNS1_17partition_subalgoE8EtNS0_10empty_typeEbEEZZNS1_14partition_implILS5_8ELb0ES3_jN6thrust23THRUST_200600_302600_NS6detail15normal_iteratorINSA_10device_ptrItEEEEPS6_PKS6_NS0_5tupleIJSF_S6_EEENSJ_IJSG_SG_EEENS0_18inequality_wrapperINSA_8equal_toItEEEEPmJS6_EEE10hipError_tPvRmT3_T4_T5_T6_T7_T9_mT8_P12ihipStream_tbDpT10_ENKUlT_T0_E_clISt17integral_constantIbLb1EES1A_EEDaS15_S16_EUlS15_E_NS1_11comp_targetILNS1_3genE2ELNS1_11target_archE906ELNS1_3gpuE6ELNS1_3repE0EEENS1_30default_config_static_selectorELNS0_4arch9wavefront6targetE1EEEvT1_.num_vgpr, 0
	.set _ZN7rocprim17ROCPRIM_400000_NS6detail17trampoline_kernelINS0_14default_configENS1_25partition_config_selectorILNS1_17partition_subalgoE8EtNS0_10empty_typeEbEEZZNS1_14partition_implILS5_8ELb0ES3_jN6thrust23THRUST_200600_302600_NS6detail15normal_iteratorINSA_10device_ptrItEEEEPS6_PKS6_NS0_5tupleIJSF_S6_EEENSJ_IJSG_SG_EEENS0_18inequality_wrapperINSA_8equal_toItEEEEPmJS6_EEE10hipError_tPvRmT3_T4_T5_T6_T7_T9_mT8_P12ihipStream_tbDpT10_ENKUlT_T0_E_clISt17integral_constantIbLb1EES1A_EEDaS15_S16_EUlS15_E_NS1_11comp_targetILNS1_3genE2ELNS1_11target_archE906ELNS1_3gpuE6ELNS1_3repE0EEENS1_30default_config_static_selectorELNS0_4arch9wavefront6targetE1EEEvT1_.num_agpr, 0
	.set _ZN7rocprim17ROCPRIM_400000_NS6detail17trampoline_kernelINS0_14default_configENS1_25partition_config_selectorILNS1_17partition_subalgoE8EtNS0_10empty_typeEbEEZZNS1_14partition_implILS5_8ELb0ES3_jN6thrust23THRUST_200600_302600_NS6detail15normal_iteratorINSA_10device_ptrItEEEEPS6_PKS6_NS0_5tupleIJSF_S6_EEENSJ_IJSG_SG_EEENS0_18inequality_wrapperINSA_8equal_toItEEEEPmJS6_EEE10hipError_tPvRmT3_T4_T5_T6_T7_T9_mT8_P12ihipStream_tbDpT10_ENKUlT_T0_E_clISt17integral_constantIbLb1EES1A_EEDaS15_S16_EUlS15_E_NS1_11comp_targetILNS1_3genE2ELNS1_11target_archE906ELNS1_3gpuE6ELNS1_3repE0EEENS1_30default_config_static_selectorELNS0_4arch9wavefront6targetE1EEEvT1_.numbered_sgpr, 0
	.set _ZN7rocprim17ROCPRIM_400000_NS6detail17trampoline_kernelINS0_14default_configENS1_25partition_config_selectorILNS1_17partition_subalgoE8EtNS0_10empty_typeEbEEZZNS1_14partition_implILS5_8ELb0ES3_jN6thrust23THRUST_200600_302600_NS6detail15normal_iteratorINSA_10device_ptrItEEEEPS6_PKS6_NS0_5tupleIJSF_S6_EEENSJ_IJSG_SG_EEENS0_18inequality_wrapperINSA_8equal_toItEEEEPmJS6_EEE10hipError_tPvRmT3_T4_T5_T6_T7_T9_mT8_P12ihipStream_tbDpT10_ENKUlT_T0_E_clISt17integral_constantIbLb1EES1A_EEDaS15_S16_EUlS15_E_NS1_11comp_targetILNS1_3genE2ELNS1_11target_archE906ELNS1_3gpuE6ELNS1_3repE0EEENS1_30default_config_static_selectorELNS0_4arch9wavefront6targetE1EEEvT1_.num_named_barrier, 0
	.set _ZN7rocprim17ROCPRIM_400000_NS6detail17trampoline_kernelINS0_14default_configENS1_25partition_config_selectorILNS1_17partition_subalgoE8EtNS0_10empty_typeEbEEZZNS1_14partition_implILS5_8ELb0ES3_jN6thrust23THRUST_200600_302600_NS6detail15normal_iteratorINSA_10device_ptrItEEEEPS6_PKS6_NS0_5tupleIJSF_S6_EEENSJ_IJSG_SG_EEENS0_18inequality_wrapperINSA_8equal_toItEEEEPmJS6_EEE10hipError_tPvRmT3_T4_T5_T6_T7_T9_mT8_P12ihipStream_tbDpT10_ENKUlT_T0_E_clISt17integral_constantIbLb1EES1A_EEDaS15_S16_EUlS15_E_NS1_11comp_targetILNS1_3genE2ELNS1_11target_archE906ELNS1_3gpuE6ELNS1_3repE0EEENS1_30default_config_static_selectorELNS0_4arch9wavefront6targetE1EEEvT1_.private_seg_size, 0
	.set _ZN7rocprim17ROCPRIM_400000_NS6detail17trampoline_kernelINS0_14default_configENS1_25partition_config_selectorILNS1_17partition_subalgoE8EtNS0_10empty_typeEbEEZZNS1_14partition_implILS5_8ELb0ES3_jN6thrust23THRUST_200600_302600_NS6detail15normal_iteratorINSA_10device_ptrItEEEEPS6_PKS6_NS0_5tupleIJSF_S6_EEENSJ_IJSG_SG_EEENS0_18inequality_wrapperINSA_8equal_toItEEEEPmJS6_EEE10hipError_tPvRmT3_T4_T5_T6_T7_T9_mT8_P12ihipStream_tbDpT10_ENKUlT_T0_E_clISt17integral_constantIbLb1EES1A_EEDaS15_S16_EUlS15_E_NS1_11comp_targetILNS1_3genE2ELNS1_11target_archE906ELNS1_3gpuE6ELNS1_3repE0EEENS1_30default_config_static_selectorELNS0_4arch9wavefront6targetE1EEEvT1_.uses_vcc, 0
	.set _ZN7rocprim17ROCPRIM_400000_NS6detail17trampoline_kernelINS0_14default_configENS1_25partition_config_selectorILNS1_17partition_subalgoE8EtNS0_10empty_typeEbEEZZNS1_14partition_implILS5_8ELb0ES3_jN6thrust23THRUST_200600_302600_NS6detail15normal_iteratorINSA_10device_ptrItEEEEPS6_PKS6_NS0_5tupleIJSF_S6_EEENSJ_IJSG_SG_EEENS0_18inequality_wrapperINSA_8equal_toItEEEEPmJS6_EEE10hipError_tPvRmT3_T4_T5_T6_T7_T9_mT8_P12ihipStream_tbDpT10_ENKUlT_T0_E_clISt17integral_constantIbLb1EES1A_EEDaS15_S16_EUlS15_E_NS1_11comp_targetILNS1_3genE2ELNS1_11target_archE906ELNS1_3gpuE6ELNS1_3repE0EEENS1_30default_config_static_selectorELNS0_4arch9wavefront6targetE1EEEvT1_.uses_flat_scratch, 0
	.set _ZN7rocprim17ROCPRIM_400000_NS6detail17trampoline_kernelINS0_14default_configENS1_25partition_config_selectorILNS1_17partition_subalgoE8EtNS0_10empty_typeEbEEZZNS1_14partition_implILS5_8ELb0ES3_jN6thrust23THRUST_200600_302600_NS6detail15normal_iteratorINSA_10device_ptrItEEEEPS6_PKS6_NS0_5tupleIJSF_S6_EEENSJ_IJSG_SG_EEENS0_18inequality_wrapperINSA_8equal_toItEEEEPmJS6_EEE10hipError_tPvRmT3_T4_T5_T6_T7_T9_mT8_P12ihipStream_tbDpT10_ENKUlT_T0_E_clISt17integral_constantIbLb1EES1A_EEDaS15_S16_EUlS15_E_NS1_11comp_targetILNS1_3genE2ELNS1_11target_archE906ELNS1_3gpuE6ELNS1_3repE0EEENS1_30default_config_static_selectorELNS0_4arch9wavefront6targetE1EEEvT1_.has_dyn_sized_stack, 0
	.set _ZN7rocprim17ROCPRIM_400000_NS6detail17trampoline_kernelINS0_14default_configENS1_25partition_config_selectorILNS1_17partition_subalgoE8EtNS0_10empty_typeEbEEZZNS1_14partition_implILS5_8ELb0ES3_jN6thrust23THRUST_200600_302600_NS6detail15normal_iteratorINSA_10device_ptrItEEEEPS6_PKS6_NS0_5tupleIJSF_S6_EEENSJ_IJSG_SG_EEENS0_18inequality_wrapperINSA_8equal_toItEEEEPmJS6_EEE10hipError_tPvRmT3_T4_T5_T6_T7_T9_mT8_P12ihipStream_tbDpT10_ENKUlT_T0_E_clISt17integral_constantIbLb1EES1A_EEDaS15_S16_EUlS15_E_NS1_11comp_targetILNS1_3genE2ELNS1_11target_archE906ELNS1_3gpuE6ELNS1_3repE0EEENS1_30default_config_static_selectorELNS0_4arch9wavefront6targetE1EEEvT1_.has_recursion, 0
	.set _ZN7rocprim17ROCPRIM_400000_NS6detail17trampoline_kernelINS0_14default_configENS1_25partition_config_selectorILNS1_17partition_subalgoE8EtNS0_10empty_typeEbEEZZNS1_14partition_implILS5_8ELb0ES3_jN6thrust23THRUST_200600_302600_NS6detail15normal_iteratorINSA_10device_ptrItEEEEPS6_PKS6_NS0_5tupleIJSF_S6_EEENSJ_IJSG_SG_EEENS0_18inequality_wrapperINSA_8equal_toItEEEEPmJS6_EEE10hipError_tPvRmT3_T4_T5_T6_T7_T9_mT8_P12ihipStream_tbDpT10_ENKUlT_T0_E_clISt17integral_constantIbLb1EES1A_EEDaS15_S16_EUlS15_E_NS1_11comp_targetILNS1_3genE2ELNS1_11target_archE906ELNS1_3gpuE6ELNS1_3repE0EEENS1_30default_config_static_selectorELNS0_4arch9wavefront6targetE1EEEvT1_.has_indirect_call, 0
	.section	.AMDGPU.csdata,"",@progbits
; Kernel info:
; codeLenInByte = 4
; TotalNumSgprs: 4
; NumVgprs: 0
; ScratchSize: 0
; MemoryBound: 0
; FloatMode: 240
; IeeeMode: 1
; LDSByteSize: 0 bytes/workgroup (compile time only)
; SGPRBlocks: 0
; VGPRBlocks: 0
; NumSGPRsForWavesPerEU: 4
; NumVGPRsForWavesPerEU: 1
; Occupancy: 10
; WaveLimiterHint : 0
; COMPUTE_PGM_RSRC2:SCRATCH_EN: 0
; COMPUTE_PGM_RSRC2:USER_SGPR: 6
; COMPUTE_PGM_RSRC2:TRAP_HANDLER: 0
; COMPUTE_PGM_RSRC2:TGID_X_EN: 1
; COMPUTE_PGM_RSRC2:TGID_Y_EN: 0
; COMPUTE_PGM_RSRC2:TGID_Z_EN: 0
; COMPUTE_PGM_RSRC2:TIDIG_COMP_CNT: 0
	.section	.text._ZN7rocprim17ROCPRIM_400000_NS6detail17trampoline_kernelINS0_14default_configENS1_25partition_config_selectorILNS1_17partition_subalgoE8EtNS0_10empty_typeEbEEZZNS1_14partition_implILS5_8ELb0ES3_jN6thrust23THRUST_200600_302600_NS6detail15normal_iteratorINSA_10device_ptrItEEEEPS6_PKS6_NS0_5tupleIJSF_S6_EEENSJ_IJSG_SG_EEENS0_18inequality_wrapperINSA_8equal_toItEEEEPmJS6_EEE10hipError_tPvRmT3_T4_T5_T6_T7_T9_mT8_P12ihipStream_tbDpT10_ENKUlT_T0_E_clISt17integral_constantIbLb1EES1A_EEDaS15_S16_EUlS15_E_NS1_11comp_targetILNS1_3genE10ELNS1_11target_archE1200ELNS1_3gpuE4ELNS1_3repE0EEENS1_30default_config_static_selectorELNS0_4arch9wavefront6targetE1EEEvT1_,"axG",@progbits,_ZN7rocprim17ROCPRIM_400000_NS6detail17trampoline_kernelINS0_14default_configENS1_25partition_config_selectorILNS1_17partition_subalgoE8EtNS0_10empty_typeEbEEZZNS1_14partition_implILS5_8ELb0ES3_jN6thrust23THRUST_200600_302600_NS6detail15normal_iteratorINSA_10device_ptrItEEEEPS6_PKS6_NS0_5tupleIJSF_S6_EEENSJ_IJSG_SG_EEENS0_18inequality_wrapperINSA_8equal_toItEEEEPmJS6_EEE10hipError_tPvRmT3_T4_T5_T6_T7_T9_mT8_P12ihipStream_tbDpT10_ENKUlT_T0_E_clISt17integral_constantIbLb1EES1A_EEDaS15_S16_EUlS15_E_NS1_11comp_targetILNS1_3genE10ELNS1_11target_archE1200ELNS1_3gpuE4ELNS1_3repE0EEENS1_30default_config_static_selectorELNS0_4arch9wavefront6targetE1EEEvT1_,comdat
	.protected	_ZN7rocprim17ROCPRIM_400000_NS6detail17trampoline_kernelINS0_14default_configENS1_25partition_config_selectorILNS1_17partition_subalgoE8EtNS0_10empty_typeEbEEZZNS1_14partition_implILS5_8ELb0ES3_jN6thrust23THRUST_200600_302600_NS6detail15normal_iteratorINSA_10device_ptrItEEEEPS6_PKS6_NS0_5tupleIJSF_S6_EEENSJ_IJSG_SG_EEENS0_18inequality_wrapperINSA_8equal_toItEEEEPmJS6_EEE10hipError_tPvRmT3_T4_T5_T6_T7_T9_mT8_P12ihipStream_tbDpT10_ENKUlT_T0_E_clISt17integral_constantIbLb1EES1A_EEDaS15_S16_EUlS15_E_NS1_11comp_targetILNS1_3genE10ELNS1_11target_archE1200ELNS1_3gpuE4ELNS1_3repE0EEENS1_30default_config_static_selectorELNS0_4arch9wavefront6targetE1EEEvT1_ ; -- Begin function _ZN7rocprim17ROCPRIM_400000_NS6detail17trampoline_kernelINS0_14default_configENS1_25partition_config_selectorILNS1_17partition_subalgoE8EtNS0_10empty_typeEbEEZZNS1_14partition_implILS5_8ELb0ES3_jN6thrust23THRUST_200600_302600_NS6detail15normal_iteratorINSA_10device_ptrItEEEEPS6_PKS6_NS0_5tupleIJSF_S6_EEENSJ_IJSG_SG_EEENS0_18inequality_wrapperINSA_8equal_toItEEEEPmJS6_EEE10hipError_tPvRmT3_T4_T5_T6_T7_T9_mT8_P12ihipStream_tbDpT10_ENKUlT_T0_E_clISt17integral_constantIbLb1EES1A_EEDaS15_S16_EUlS15_E_NS1_11comp_targetILNS1_3genE10ELNS1_11target_archE1200ELNS1_3gpuE4ELNS1_3repE0EEENS1_30default_config_static_selectorELNS0_4arch9wavefront6targetE1EEEvT1_
	.globl	_ZN7rocprim17ROCPRIM_400000_NS6detail17trampoline_kernelINS0_14default_configENS1_25partition_config_selectorILNS1_17partition_subalgoE8EtNS0_10empty_typeEbEEZZNS1_14partition_implILS5_8ELb0ES3_jN6thrust23THRUST_200600_302600_NS6detail15normal_iteratorINSA_10device_ptrItEEEEPS6_PKS6_NS0_5tupleIJSF_S6_EEENSJ_IJSG_SG_EEENS0_18inequality_wrapperINSA_8equal_toItEEEEPmJS6_EEE10hipError_tPvRmT3_T4_T5_T6_T7_T9_mT8_P12ihipStream_tbDpT10_ENKUlT_T0_E_clISt17integral_constantIbLb1EES1A_EEDaS15_S16_EUlS15_E_NS1_11comp_targetILNS1_3genE10ELNS1_11target_archE1200ELNS1_3gpuE4ELNS1_3repE0EEENS1_30default_config_static_selectorELNS0_4arch9wavefront6targetE1EEEvT1_
	.p2align	8
	.type	_ZN7rocprim17ROCPRIM_400000_NS6detail17trampoline_kernelINS0_14default_configENS1_25partition_config_selectorILNS1_17partition_subalgoE8EtNS0_10empty_typeEbEEZZNS1_14partition_implILS5_8ELb0ES3_jN6thrust23THRUST_200600_302600_NS6detail15normal_iteratorINSA_10device_ptrItEEEEPS6_PKS6_NS0_5tupleIJSF_S6_EEENSJ_IJSG_SG_EEENS0_18inequality_wrapperINSA_8equal_toItEEEEPmJS6_EEE10hipError_tPvRmT3_T4_T5_T6_T7_T9_mT8_P12ihipStream_tbDpT10_ENKUlT_T0_E_clISt17integral_constantIbLb1EES1A_EEDaS15_S16_EUlS15_E_NS1_11comp_targetILNS1_3genE10ELNS1_11target_archE1200ELNS1_3gpuE4ELNS1_3repE0EEENS1_30default_config_static_selectorELNS0_4arch9wavefront6targetE1EEEvT1_,@function
_ZN7rocprim17ROCPRIM_400000_NS6detail17trampoline_kernelINS0_14default_configENS1_25partition_config_selectorILNS1_17partition_subalgoE8EtNS0_10empty_typeEbEEZZNS1_14partition_implILS5_8ELb0ES3_jN6thrust23THRUST_200600_302600_NS6detail15normal_iteratorINSA_10device_ptrItEEEEPS6_PKS6_NS0_5tupleIJSF_S6_EEENSJ_IJSG_SG_EEENS0_18inequality_wrapperINSA_8equal_toItEEEEPmJS6_EEE10hipError_tPvRmT3_T4_T5_T6_T7_T9_mT8_P12ihipStream_tbDpT10_ENKUlT_T0_E_clISt17integral_constantIbLb1EES1A_EEDaS15_S16_EUlS15_E_NS1_11comp_targetILNS1_3genE10ELNS1_11target_archE1200ELNS1_3gpuE4ELNS1_3repE0EEENS1_30default_config_static_selectorELNS0_4arch9wavefront6targetE1EEEvT1_: ; @_ZN7rocprim17ROCPRIM_400000_NS6detail17trampoline_kernelINS0_14default_configENS1_25partition_config_selectorILNS1_17partition_subalgoE8EtNS0_10empty_typeEbEEZZNS1_14partition_implILS5_8ELb0ES3_jN6thrust23THRUST_200600_302600_NS6detail15normal_iteratorINSA_10device_ptrItEEEEPS6_PKS6_NS0_5tupleIJSF_S6_EEENSJ_IJSG_SG_EEENS0_18inequality_wrapperINSA_8equal_toItEEEEPmJS6_EEE10hipError_tPvRmT3_T4_T5_T6_T7_T9_mT8_P12ihipStream_tbDpT10_ENKUlT_T0_E_clISt17integral_constantIbLb1EES1A_EEDaS15_S16_EUlS15_E_NS1_11comp_targetILNS1_3genE10ELNS1_11target_archE1200ELNS1_3gpuE4ELNS1_3repE0EEENS1_30default_config_static_selectorELNS0_4arch9wavefront6targetE1EEEvT1_
; %bb.0:
	.section	.rodata,"a",@progbits
	.p2align	6, 0x0
	.amdhsa_kernel _ZN7rocprim17ROCPRIM_400000_NS6detail17trampoline_kernelINS0_14default_configENS1_25partition_config_selectorILNS1_17partition_subalgoE8EtNS0_10empty_typeEbEEZZNS1_14partition_implILS5_8ELb0ES3_jN6thrust23THRUST_200600_302600_NS6detail15normal_iteratorINSA_10device_ptrItEEEEPS6_PKS6_NS0_5tupleIJSF_S6_EEENSJ_IJSG_SG_EEENS0_18inequality_wrapperINSA_8equal_toItEEEEPmJS6_EEE10hipError_tPvRmT3_T4_T5_T6_T7_T9_mT8_P12ihipStream_tbDpT10_ENKUlT_T0_E_clISt17integral_constantIbLb1EES1A_EEDaS15_S16_EUlS15_E_NS1_11comp_targetILNS1_3genE10ELNS1_11target_archE1200ELNS1_3gpuE4ELNS1_3repE0EEENS1_30default_config_static_selectorELNS0_4arch9wavefront6targetE1EEEvT1_
		.amdhsa_group_segment_fixed_size 0
		.amdhsa_private_segment_fixed_size 0
		.amdhsa_kernarg_size 128
		.amdhsa_user_sgpr_count 6
		.amdhsa_user_sgpr_private_segment_buffer 1
		.amdhsa_user_sgpr_dispatch_ptr 0
		.amdhsa_user_sgpr_queue_ptr 0
		.amdhsa_user_sgpr_kernarg_segment_ptr 1
		.amdhsa_user_sgpr_dispatch_id 0
		.amdhsa_user_sgpr_flat_scratch_init 0
		.amdhsa_user_sgpr_private_segment_size 0
		.amdhsa_uses_dynamic_stack 0
		.amdhsa_system_sgpr_private_segment_wavefront_offset 0
		.amdhsa_system_sgpr_workgroup_id_x 1
		.amdhsa_system_sgpr_workgroup_id_y 0
		.amdhsa_system_sgpr_workgroup_id_z 0
		.amdhsa_system_sgpr_workgroup_info 0
		.amdhsa_system_vgpr_workitem_id 0
		.amdhsa_next_free_vgpr 1
		.amdhsa_next_free_sgpr 0
		.amdhsa_reserve_vcc 0
		.amdhsa_reserve_flat_scratch 0
		.amdhsa_float_round_mode_32 0
		.amdhsa_float_round_mode_16_64 0
		.amdhsa_float_denorm_mode_32 3
		.amdhsa_float_denorm_mode_16_64 3
		.amdhsa_dx10_clamp 1
		.amdhsa_ieee_mode 1
		.amdhsa_fp16_overflow 0
		.amdhsa_exception_fp_ieee_invalid_op 0
		.amdhsa_exception_fp_denorm_src 0
		.amdhsa_exception_fp_ieee_div_zero 0
		.amdhsa_exception_fp_ieee_overflow 0
		.amdhsa_exception_fp_ieee_underflow 0
		.amdhsa_exception_fp_ieee_inexact 0
		.amdhsa_exception_int_div_zero 0
	.end_amdhsa_kernel
	.section	.text._ZN7rocprim17ROCPRIM_400000_NS6detail17trampoline_kernelINS0_14default_configENS1_25partition_config_selectorILNS1_17partition_subalgoE8EtNS0_10empty_typeEbEEZZNS1_14partition_implILS5_8ELb0ES3_jN6thrust23THRUST_200600_302600_NS6detail15normal_iteratorINSA_10device_ptrItEEEEPS6_PKS6_NS0_5tupleIJSF_S6_EEENSJ_IJSG_SG_EEENS0_18inequality_wrapperINSA_8equal_toItEEEEPmJS6_EEE10hipError_tPvRmT3_T4_T5_T6_T7_T9_mT8_P12ihipStream_tbDpT10_ENKUlT_T0_E_clISt17integral_constantIbLb1EES1A_EEDaS15_S16_EUlS15_E_NS1_11comp_targetILNS1_3genE10ELNS1_11target_archE1200ELNS1_3gpuE4ELNS1_3repE0EEENS1_30default_config_static_selectorELNS0_4arch9wavefront6targetE1EEEvT1_,"axG",@progbits,_ZN7rocprim17ROCPRIM_400000_NS6detail17trampoline_kernelINS0_14default_configENS1_25partition_config_selectorILNS1_17partition_subalgoE8EtNS0_10empty_typeEbEEZZNS1_14partition_implILS5_8ELb0ES3_jN6thrust23THRUST_200600_302600_NS6detail15normal_iteratorINSA_10device_ptrItEEEEPS6_PKS6_NS0_5tupleIJSF_S6_EEENSJ_IJSG_SG_EEENS0_18inequality_wrapperINSA_8equal_toItEEEEPmJS6_EEE10hipError_tPvRmT3_T4_T5_T6_T7_T9_mT8_P12ihipStream_tbDpT10_ENKUlT_T0_E_clISt17integral_constantIbLb1EES1A_EEDaS15_S16_EUlS15_E_NS1_11comp_targetILNS1_3genE10ELNS1_11target_archE1200ELNS1_3gpuE4ELNS1_3repE0EEENS1_30default_config_static_selectorELNS0_4arch9wavefront6targetE1EEEvT1_,comdat
.Lfunc_end288:
	.size	_ZN7rocprim17ROCPRIM_400000_NS6detail17trampoline_kernelINS0_14default_configENS1_25partition_config_selectorILNS1_17partition_subalgoE8EtNS0_10empty_typeEbEEZZNS1_14partition_implILS5_8ELb0ES3_jN6thrust23THRUST_200600_302600_NS6detail15normal_iteratorINSA_10device_ptrItEEEEPS6_PKS6_NS0_5tupleIJSF_S6_EEENSJ_IJSG_SG_EEENS0_18inequality_wrapperINSA_8equal_toItEEEEPmJS6_EEE10hipError_tPvRmT3_T4_T5_T6_T7_T9_mT8_P12ihipStream_tbDpT10_ENKUlT_T0_E_clISt17integral_constantIbLb1EES1A_EEDaS15_S16_EUlS15_E_NS1_11comp_targetILNS1_3genE10ELNS1_11target_archE1200ELNS1_3gpuE4ELNS1_3repE0EEENS1_30default_config_static_selectorELNS0_4arch9wavefront6targetE1EEEvT1_, .Lfunc_end288-_ZN7rocprim17ROCPRIM_400000_NS6detail17trampoline_kernelINS0_14default_configENS1_25partition_config_selectorILNS1_17partition_subalgoE8EtNS0_10empty_typeEbEEZZNS1_14partition_implILS5_8ELb0ES3_jN6thrust23THRUST_200600_302600_NS6detail15normal_iteratorINSA_10device_ptrItEEEEPS6_PKS6_NS0_5tupleIJSF_S6_EEENSJ_IJSG_SG_EEENS0_18inequality_wrapperINSA_8equal_toItEEEEPmJS6_EEE10hipError_tPvRmT3_T4_T5_T6_T7_T9_mT8_P12ihipStream_tbDpT10_ENKUlT_T0_E_clISt17integral_constantIbLb1EES1A_EEDaS15_S16_EUlS15_E_NS1_11comp_targetILNS1_3genE10ELNS1_11target_archE1200ELNS1_3gpuE4ELNS1_3repE0EEENS1_30default_config_static_selectorELNS0_4arch9wavefront6targetE1EEEvT1_
                                        ; -- End function
	.set _ZN7rocprim17ROCPRIM_400000_NS6detail17trampoline_kernelINS0_14default_configENS1_25partition_config_selectorILNS1_17partition_subalgoE8EtNS0_10empty_typeEbEEZZNS1_14partition_implILS5_8ELb0ES3_jN6thrust23THRUST_200600_302600_NS6detail15normal_iteratorINSA_10device_ptrItEEEEPS6_PKS6_NS0_5tupleIJSF_S6_EEENSJ_IJSG_SG_EEENS0_18inequality_wrapperINSA_8equal_toItEEEEPmJS6_EEE10hipError_tPvRmT3_T4_T5_T6_T7_T9_mT8_P12ihipStream_tbDpT10_ENKUlT_T0_E_clISt17integral_constantIbLb1EES1A_EEDaS15_S16_EUlS15_E_NS1_11comp_targetILNS1_3genE10ELNS1_11target_archE1200ELNS1_3gpuE4ELNS1_3repE0EEENS1_30default_config_static_selectorELNS0_4arch9wavefront6targetE1EEEvT1_.num_vgpr, 0
	.set _ZN7rocprim17ROCPRIM_400000_NS6detail17trampoline_kernelINS0_14default_configENS1_25partition_config_selectorILNS1_17partition_subalgoE8EtNS0_10empty_typeEbEEZZNS1_14partition_implILS5_8ELb0ES3_jN6thrust23THRUST_200600_302600_NS6detail15normal_iteratorINSA_10device_ptrItEEEEPS6_PKS6_NS0_5tupleIJSF_S6_EEENSJ_IJSG_SG_EEENS0_18inequality_wrapperINSA_8equal_toItEEEEPmJS6_EEE10hipError_tPvRmT3_T4_T5_T6_T7_T9_mT8_P12ihipStream_tbDpT10_ENKUlT_T0_E_clISt17integral_constantIbLb1EES1A_EEDaS15_S16_EUlS15_E_NS1_11comp_targetILNS1_3genE10ELNS1_11target_archE1200ELNS1_3gpuE4ELNS1_3repE0EEENS1_30default_config_static_selectorELNS0_4arch9wavefront6targetE1EEEvT1_.num_agpr, 0
	.set _ZN7rocprim17ROCPRIM_400000_NS6detail17trampoline_kernelINS0_14default_configENS1_25partition_config_selectorILNS1_17partition_subalgoE8EtNS0_10empty_typeEbEEZZNS1_14partition_implILS5_8ELb0ES3_jN6thrust23THRUST_200600_302600_NS6detail15normal_iteratorINSA_10device_ptrItEEEEPS6_PKS6_NS0_5tupleIJSF_S6_EEENSJ_IJSG_SG_EEENS0_18inequality_wrapperINSA_8equal_toItEEEEPmJS6_EEE10hipError_tPvRmT3_T4_T5_T6_T7_T9_mT8_P12ihipStream_tbDpT10_ENKUlT_T0_E_clISt17integral_constantIbLb1EES1A_EEDaS15_S16_EUlS15_E_NS1_11comp_targetILNS1_3genE10ELNS1_11target_archE1200ELNS1_3gpuE4ELNS1_3repE0EEENS1_30default_config_static_selectorELNS0_4arch9wavefront6targetE1EEEvT1_.numbered_sgpr, 0
	.set _ZN7rocprim17ROCPRIM_400000_NS6detail17trampoline_kernelINS0_14default_configENS1_25partition_config_selectorILNS1_17partition_subalgoE8EtNS0_10empty_typeEbEEZZNS1_14partition_implILS5_8ELb0ES3_jN6thrust23THRUST_200600_302600_NS6detail15normal_iteratorINSA_10device_ptrItEEEEPS6_PKS6_NS0_5tupleIJSF_S6_EEENSJ_IJSG_SG_EEENS0_18inequality_wrapperINSA_8equal_toItEEEEPmJS6_EEE10hipError_tPvRmT3_T4_T5_T6_T7_T9_mT8_P12ihipStream_tbDpT10_ENKUlT_T0_E_clISt17integral_constantIbLb1EES1A_EEDaS15_S16_EUlS15_E_NS1_11comp_targetILNS1_3genE10ELNS1_11target_archE1200ELNS1_3gpuE4ELNS1_3repE0EEENS1_30default_config_static_selectorELNS0_4arch9wavefront6targetE1EEEvT1_.num_named_barrier, 0
	.set _ZN7rocprim17ROCPRIM_400000_NS6detail17trampoline_kernelINS0_14default_configENS1_25partition_config_selectorILNS1_17partition_subalgoE8EtNS0_10empty_typeEbEEZZNS1_14partition_implILS5_8ELb0ES3_jN6thrust23THRUST_200600_302600_NS6detail15normal_iteratorINSA_10device_ptrItEEEEPS6_PKS6_NS0_5tupleIJSF_S6_EEENSJ_IJSG_SG_EEENS0_18inequality_wrapperINSA_8equal_toItEEEEPmJS6_EEE10hipError_tPvRmT3_T4_T5_T6_T7_T9_mT8_P12ihipStream_tbDpT10_ENKUlT_T0_E_clISt17integral_constantIbLb1EES1A_EEDaS15_S16_EUlS15_E_NS1_11comp_targetILNS1_3genE10ELNS1_11target_archE1200ELNS1_3gpuE4ELNS1_3repE0EEENS1_30default_config_static_selectorELNS0_4arch9wavefront6targetE1EEEvT1_.private_seg_size, 0
	.set _ZN7rocprim17ROCPRIM_400000_NS6detail17trampoline_kernelINS0_14default_configENS1_25partition_config_selectorILNS1_17partition_subalgoE8EtNS0_10empty_typeEbEEZZNS1_14partition_implILS5_8ELb0ES3_jN6thrust23THRUST_200600_302600_NS6detail15normal_iteratorINSA_10device_ptrItEEEEPS6_PKS6_NS0_5tupleIJSF_S6_EEENSJ_IJSG_SG_EEENS0_18inequality_wrapperINSA_8equal_toItEEEEPmJS6_EEE10hipError_tPvRmT3_T4_T5_T6_T7_T9_mT8_P12ihipStream_tbDpT10_ENKUlT_T0_E_clISt17integral_constantIbLb1EES1A_EEDaS15_S16_EUlS15_E_NS1_11comp_targetILNS1_3genE10ELNS1_11target_archE1200ELNS1_3gpuE4ELNS1_3repE0EEENS1_30default_config_static_selectorELNS0_4arch9wavefront6targetE1EEEvT1_.uses_vcc, 0
	.set _ZN7rocprim17ROCPRIM_400000_NS6detail17trampoline_kernelINS0_14default_configENS1_25partition_config_selectorILNS1_17partition_subalgoE8EtNS0_10empty_typeEbEEZZNS1_14partition_implILS5_8ELb0ES3_jN6thrust23THRUST_200600_302600_NS6detail15normal_iteratorINSA_10device_ptrItEEEEPS6_PKS6_NS0_5tupleIJSF_S6_EEENSJ_IJSG_SG_EEENS0_18inequality_wrapperINSA_8equal_toItEEEEPmJS6_EEE10hipError_tPvRmT3_T4_T5_T6_T7_T9_mT8_P12ihipStream_tbDpT10_ENKUlT_T0_E_clISt17integral_constantIbLb1EES1A_EEDaS15_S16_EUlS15_E_NS1_11comp_targetILNS1_3genE10ELNS1_11target_archE1200ELNS1_3gpuE4ELNS1_3repE0EEENS1_30default_config_static_selectorELNS0_4arch9wavefront6targetE1EEEvT1_.uses_flat_scratch, 0
	.set _ZN7rocprim17ROCPRIM_400000_NS6detail17trampoline_kernelINS0_14default_configENS1_25partition_config_selectorILNS1_17partition_subalgoE8EtNS0_10empty_typeEbEEZZNS1_14partition_implILS5_8ELb0ES3_jN6thrust23THRUST_200600_302600_NS6detail15normal_iteratorINSA_10device_ptrItEEEEPS6_PKS6_NS0_5tupleIJSF_S6_EEENSJ_IJSG_SG_EEENS0_18inequality_wrapperINSA_8equal_toItEEEEPmJS6_EEE10hipError_tPvRmT3_T4_T5_T6_T7_T9_mT8_P12ihipStream_tbDpT10_ENKUlT_T0_E_clISt17integral_constantIbLb1EES1A_EEDaS15_S16_EUlS15_E_NS1_11comp_targetILNS1_3genE10ELNS1_11target_archE1200ELNS1_3gpuE4ELNS1_3repE0EEENS1_30default_config_static_selectorELNS0_4arch9wavefront6targetE1EEEvT1_.has_dyn_sized_stack, 0
	.set _ZN7rocprim17ROCPRIM_400000_NS6detail17trampoline_kernelINS0_14default_configENS1_25partition_config_selectorILNS1_17partition_subalgoE8EtNS0_10empty_typeEbEEZZNS1_14partition_implILS5_8ELb0ES3_jN6thrust23THRUST_200600_302600_NS6detail15normal_iteratorINSA_10device_ptrItEEEEPS6_PKS6_NS0_5tupleIJSF_S6_EEENSJ_IJSG_SG_EEENS0_18inequality_wrapperINSA_8equal_toItEEEEPmJS6_EEE10hipError_tPvRmT3_T4_T5_T6_T7_T9_mT8_P12ihipStream_tbDpT10_ENKUlT_T0_E_clISt17integral_constantIbLb1EES1A_EEDaS15_S16_EUlS15_E_NS1_11comp_targetILNS1_3genE10ELNS1_11target_archE1200ELNS1_3gpuE4ELNS1_3repE0EEENS1_30default_config_static_selectorELNS0_4arch9wavefront6targetE1EEEvT1_.has_recursion, 0
	.set _ZN7rocprim17ROCPRIM_400000_NS6detail17trampoline_kernelINS0_14default_configENS1_25partition_config_selectorILNS1_17partition_subalgoE8EtNS0_10empty_typeEbEEZZNS1_14partition_implILS5_8ELb0ES3_jN6thrust23THRUST_200600_302600_NS6detail15normal_iteratorINSA_10device_ptrItEEEEPS6_PKS6_NS0_5tupleIJSF_S6_EEENSJ_IJSG_SG_EEENS0_18inequality_wrapperINSA_8equal_toItEEEEPmJS6_EEE10hipError_tPvRmT3_T4_T5_T6_T7_T9_mT8_P12ihipStream_tbDpT10_ENKUlT_T0_E_clISt17integral_constantIbLb1EES1A_EEDaS15_S16_EUlS15_E_NS1_11comp_targetILNS1_3genE10ELNS1_11target_archE1200ELNS1_3gpuE4ELNS1_3repE0EEENS1_30default_config_static_selectorELNS0_4arch9wavefront6targetE1EEEvT1_.has_indirect_call, 0
	.section	.AMDGPU.csdata,"",@progbits
; Kernel info:
; codeLenInByte = 0
; TotalNumSgprs: 4
; NumVgprs: 0
; ScratchSize: 0
; MemoryBound: 0
; FloatMode: 240
; IeeeMode: 1
; LDSByteSize: 0 bytes/workgroup (compile time only)
; SGPRBlocks: 0
; VGPRBlocks: 0
; NumSGPRsForWavesPerEU: 4
; NumVGPRsForWavesPerEU: 1
; Occupancy: 10
; WaveLimiterHint : 0
; COMPUTE_PGM_RSRC2:SCRATCH_EN: 0
; COMPUTE_PGM_RSRC2:USER_SGPR: 6
; COMPUTE_PGM_RSRC2:TRAP_HANDLER: 0
; COMPUTE_PGM_RSRC2:TGID_X_EN: 1
; COMPUTE_PGM_RSRC2:TGID_Y_EN: 0
; COMPUTE_PGM_RSRC2:TGID_Z_EN: 0
; COMPUTE_PGM_RSRC2:TIDIG_COMP_CNT: 0
	.section	.text._ZN7rocprim17ROCPRIM_400000_NS6detail17trampoline_kernelINS0_14default_configENS1_25partition_config_selectorILNS1_17partition_subalgoE8EtNS0_10empty_typeEbEEZZNS1_14partition_implILS5_8ELb0ES3_jN6thrust23THRUST_200600_302600_NS6detail15normal_iteratorINSA_10device_ptrItEEEEPS6_PKS6_NS0_5tupleIJSF_S6_EEENSJ_IJSG_SG_EEENS0_18inequality_wrapperINSA_8equal_toItEEEEPmJS6_EEE10hipError_tPvRmT3_T4_T5_T6_T7_T9_mT8_P12ihipStream_tbDpT10_ENKUlT_T0_E_clISt17integral_constantIbLb1EES1A_EEDaS15_S16_EUlS15_E_NS1_11comp_targetILNS1_3genE9ELNS1_11target_archE1100ELNS1_3gpuE3ELNS1_3repE0EEENS1_30default_config_static_selectorELNS0_4arch9wavefront6targetE1EEEvT1_,"axG",@progbits,_ZN7rocprim17ROCPRIM_400000_NS6detail17trampoline_kernelINS0_14default_configENS1_25partition_config_selectorILNS1_17partition_subalgoE8EtNS0_10empty_typeEbEEZZNS1_14partition_implILS5_8ELb0ES3_jN6thrust23THRUST_200600_302600_NS6detail15normal_iteratorINSA_10device_ptrItEEEEPS6_PKS6_NS0_5tupleIJSF_S6_EEENSJ_IJSG_SG_EEENS0_18inequality_wrapperINSA_8equal_toItEEEEPmJS6_EEE10hipError_tPvRmT3_T4_T5_T6_T7_T9_mT8_P12ihipStream_tbDpT10_ENKUlT_T0_E_clISt17integral_constantIbLb1EES1A_EEDaS15_S16_EUlS15_E_NS1_11comp_targetILNS1_3genE9ELNS1_11target_archE1100ELNS1_3gpuE3ELNS1_3repE0EEENS1_30default_config_static_selectorELNS0_4arch9wavefront6targetE1EEEvT1_,comdat
	.protected	_ZN7rocprim17ROCPRIM_400000_NS6detail17trampoline_kernelINS0_14default_configENS1_25partition_config_selectorILNS1_17partition_subalgoE8EtNS0_10empty_typeEbEEZZNS1_14partition_implILS5_8ELb0ES3_jN6thrust23THRUST_200600_302600_NS6detail15normal_iteratorINSA_10device_ptrItEEEEPS6_PKS6_NS0_5tupleIJSF_S6_EEENSJ_IJSG_SG_EEENS0_18inequality_wrapperINSA_8equal_toItEEEEPmJS6_EEE10hipError_tPvRmT3_T4_T5_T6_T7_T9_mT8_P12ihipStream_tbDpT10_ENKUlT_T0_E_clISt17integral_constantIbLb1EES1A_EEDaS15_S16_EUlS15_E_NS1_11comp_targetILNS1_3genE9ELNS1_11target_archE1100ELNS1_3gpuE3ELNS1_3repE0EEENS1_30default_config_static_selectorELNS0_4arch9wavefront6targetE1EEEvT1_ ; -- Begin function _ZN7rocprim17ROCPRIM_400000_NS6detail17trampoline_kernelINS0_14default_configENS1_25partition_config_selectorILNS1_17partition_subalgoE8EtNS0_10empty_typeEbEEZZNS1_14partition_implILS5_8ELb0ES3_jN6thrust23THRUST_200600_302600_NS6detail15normal_iteratorINSA_10device_ptrItEEEEPS6_PKS6_NS0_5tupleIJSF_S6_EEENSJ_IJSG_SG_EEENS0_18inequality_wrapperINSA_8equal_toItEEEEPmJS6_EEE10hipError_tPvRmT3_T4_T5_T6_T7_T9_mT8_P12ihipStream_tbDpT10_ENKUlT_T0_E_clISt17integral_constantIbLb1EES1A_EEDaS15_S16_EUlS15_E_NS1_11comp_targetILNS1_3genE9ELNS1_11target_archE1100ELNS1_3gpuE3ELNS1_3repE0EEENS1_30default_config_static_selectorELNS0_4arch9wavefront6targetE1EEEvT1_
	.globl	_ZN7rocprim17ROCPRIM_400000_NS6detail17trampoline_kernelINS0_14default_configENS1_25partition_config_selectorILNS1_17partition_subalgoE8EtNS0_10empty_typeEbEEZZNS1_14partition_implILS5_8ELb0ES3_jN6thrust23THRUST_200600_302600_NS6detail15normal_iteratorINSA_10device_ptrItEEEEPS6_PKS6_NS0_5tupleIJSF_S6_EEENSJ_IJSG_SG_EEENS0_18inequality_wrapperINSA_8equal_toItEEEEPmJS6_EEE10hipError_tPvRmT3_T4_T5_T6_T7_T9_mT8_P12ihipStream_tbDpT10_ENKUlT_T0_E_clISt17integral_constantIbLb1EES1A_EEDaS15_S16_EUlS15_E_NS1_11comp_targetILNS1_3genE9ELNS1_11target_archE1100ELNS1_3gpuE3ELNS1_3repE0EEENS1_30default_config_static_selectorELNS0_4arch9wavefront6targetE1EEEvT1_
	.p2align	8
	.type	_ZN7rocprim17ROCPRIM_400000_NS6detail17trampoline_kernelINS0_14default_configENS1_25partition_config_selectorILNS1_17partition_subalgoE8EtNS0_10empty_typeEbEEZZNS1_14partition_implILS5_8ELb0ES3_jN6thrust23THRUST_200600_302600_NS6detail15normal_iteratorINSA_10device_ptrItEEEEPS6_PKS6_NS0_5tupleIJSF_S6_EEENSJ_IJSG_SG_EEENS0_18inequality_wrapperINSA_8equal_toItEEEEPmJS6_EEE10hipError_tPvRmT3_T4_T5_T6_T7_T9_mT8_P12ihipStream_tbDpT10_ENKUlT_T0_E_clISt17integral_constantIbLb1EES1A_EEDaS15_S16_EUlS15_E_NS1_11comp_targetILNS1_3genE9ELNS1_11target_archE1100ELNS1_3gpuE3ELNS1_3repE0EEENS1_30default_config_static_selectorELNS0_4arch9wavefront6targetE1EEEvT1_,@function
_ZN7rocprim17ROCPRIM_400000_NS6detail17trampoline_kernelINS0_14default_configENS1_25partition_config_selectorILNS1_17partition_subalgoE8EtNS0_10empty_typeEbEEZZNS1_14partition_implILS5_8ELb0ES3_jN6thrust23THRUST_200600_302600_NS6detail15normal_iteratorINSA_10device_ptrItEEEEPS6_PKS6_NS0_5tupleIJSF_S6_EEENSJ_IJSG_SG_EEENS0_18inequality_wrapperINSA_8equal_toItEEEEPmJS6_EEE10hipError_tPvRmT3_T4_T5_T6_T7_T9_mT8_P12ihipStream_tbDpT10_ENKUlT_T0_E_clISt17integral_constantIbLb1EES1A_EEDaS15_S16_EUlS15_E_NS1_11comp_targetILNS1_3genE9ELNS1_11target_archE1100ELNS1_3gpuE3ELNS1_3repE0EEENS1_30default_config_static_selectorELNS0_4arch9wavefront6targetE1EEEvT1_: ; @_ZN7rocprim17ROCPRIM_400000_NS6detail17trampoline_kernelINS0_14default_configENS1_25partition_config_selectorILNS1_17partition_subalgoE8EtNS0_10empty_typeEbEEZZNS1_14partition_implILS5_8ELb0ES3_jN6thrust23THRUST_200600_302600_NS6detail15normal_iteratorINSA_10device_ptrItEEEEPS6_PKS6_NS0_5tupleIJSF_S6_EEENSJ_IJSG_SG_EEENS0_18inequality_wrapperINSA_8equal_toItEEEEPmJS6_EEE10hipError_tPvRmT3_T4_T5_T6_T7_T9_mT8_P12ihipStream_tbDpT10_ENKUlT_T0_E_clISt17integral_constantIbLb1EES1A_EEDaS15_S16_EUlS15_E_NS1_11comp_targetILNS1_3genE9ELNS1_11target_archE1100ELNS1_3gpuE3ELNS1_3repE0EEENS1_30default_config_static_selectorELNS0_4arch9wavefront6targetE1EEEvT1_
; %bb.0:
	.section	.rodata,"a",@progbits
	.p2align	6, 0x0
	.amdhsa_kernel _ZN7rocprim17ROCPRIM_400000_NS6detail17trampoline_kernelINS0_14default_configENS1_25partition_config_selectorILNS1_17partition_subalgoE8EtNS0_10empty_typeEbEEZZNS1_14partition_implILS5_8ELb0ES3_jN6thrust23THRUST_200600_302600_NS6detail15normal_iteratorINSA_10device_ptrItEEEEPS6_PKS6_NS0_5tupleIJSF_S6_EEENSJ_IJSG_SG_EEENS0_18inequality_wrapperINSA_8equal_toItEEEEPmJS6_EEE10hipError_tPvRmT3_T4_T5_T6_T7_T9_mT8_P12ihipStream_tbDpT10_ENKUlT_T0_E_clISt17integral_constantIbLb1EES1A_EEDaS15_S16_EUlS15_E_NS1_11comp_targetILNS1_3genE9ELNS1_11target_archE1100ELNS1_3gpuE3ELNS1_3repE0EEENS1_30default_config_static_selectorELNS0_4arch9wavefront6targetE1EEEvT1_
		.amdhsa_group_segment_fixed_size 0
		.amdhsa_private_segment_fixed_size 0
		.amdhsa_kernarg_size 128
		.amdhsa_user_sgpr_count 6
		.amdhsa_user_sgpr_private_segment_buffer 1
		.amdhsa_user_sgpr_dispatch_ptr 0
		.amdhsa_user_sgpr_queue_ptr 0
		.amdhsa_user_sgpr_kernarg_segment_ptr 1
		.amdhsa_user_sgpr_dispatch_id 0
		.amdhsa_user_sgpr_flat_scratch_init 0
		.amdhsa_user_sgpr_private_segment_size 0
		.amdhsa_uses_dynamic_stack 0
		.amdhsa_system_sgpr_private_segment_wavefront_offset 0
		.amdhsa_system_sgpr_workgroup_id_x 1
		.amdhsa_system_sgpr_workgroup_id_y 0
		.amdhsa_system_sgpr_workgroup_id_z 0
		.amdhsa_system_sgpr_workgroup_info 0
		.amdhsa_system_vgpr_workitem_id 0
		.amdhsa_next_free_vgpr 1
		.amdhsa_next_free_sgpr 0
		.amdhsa_reserve_vcc 0
		.amdhsa_reserve_flat_scratch 0
		.amdhsa_float_round_mode_32 0
		.amdhsa_float_round_mode_16_64 0
		.amdhsa_float_denorm_mode_32 3
		.amdhsa_float_denorm_mode_16_64 3
		.amdhsa_dx10_clamp 1
		.amdhsa_ieee_mode 1
		.amdhsa_fp16_overflow 0
		.amdhsa_exception_fp_ieee_invalid_op 0
		.amdhsa_exception_fp_denorm_src 0
		.amdhsa_exception_fp_ieee_div_zero 0
		.amdhsa_exception_fp_ieee_overflow 0
		.amdhsa_exception_fp_ieee_underflow 0
		.amdhsa_exception_fp_ieee_inexact 0
		.amdhsa_exception_int_div_zero 0
	.end_amdhsa_kernel
	.section	.text._ZN7rocprim17ROCPRIM_400000_NS6detail17trampoline_kernelINS0_14default_configENS1_25partition_config_selectorILNS1_17partition_subalgoE8EtNS0_10empty_typeEbEEZZNS1_14partition_implILS5_8ELb0ES3_jN6thrust23THRUST_200600_302600_NS6detail15normal_iteratorINSA_10device_ptrItEEEEPS6_PKS6_NS0_5tupleIJSF_S6_EEENSJ_IJSG_SG_EEENS0_18inequality_wrapperINSA_8equal_toItEEEEPmJS6_EEE10hipError_tPvRmT3_T4_T5_T6_T7_T9_mT8_P12ihipStream_tbDpT10_ENKUlT_T0_E_clISt17integral_constantIbLb1EES1A_EEDaS15_S16_EUlS15_E_NS1_11comp_targetILNS1_3genE9ELNS1_11target_archE1100ELNS1_3gpuE3ELNS1_3repE0EEENS1_30default_config_static_selectorELNS0_4arch9wavefront6targetE1EEEvT1_,"axG",@progbits,_ZN7rocprim17ROCPRIM_400000_NS6detail17trampoline_kernelINS0_14default_configENS1_25partition_config_selectorILNS1_17partition_subalgoE8EtNS0_10empty_typeEbEEZZNS1_14partition_implILS5_8ELb0ES3_jN6thrust23THRUST_200600_302600_NS6detail15normal_iteratorINSA_10device_ptrItEEEEPS6_PKS6_NS0_5tupleIJSF_S6_EEENSJ_IJSG_SG_EEENS0_18inequality_wrapperINSA_8equal_toItEEEEPmJS6_EEE10hipError_tPvRmT3_T4_T5_T6_T7_T9_mT8_P12ihipStream_tbDpT10_ENKUlT_T0_E_clISt17integral_constantIbLb1EES1A_EEDaS15_S16_EUlS15_E_NS1_11comp_targetILNS1_3genE9ELNS1_11target_archE1100ELNS1_3gpuE3ELNS1_3repE0EEENS1_30default_config_static_selectorELNS0_4arch9wavefront6targetE1EEEvT1_,comdat
.Lfunc_end289:
	.size	_ZN7rocprim17ROCPRIM_400000_NS6detail17trampoline_kernelINS0_14default_configENS1_25partition_config_selectorILNS1_17partition_subalgoE8EtNS0_10empty_typeEbEEZZNS1_14partition_implILS5_8ELb0ES3_jN6thrust23THRUST_200600_302600_NS6detail15normal_iteratorINSA_10device_ptrItEEEEPS6_PKS6_NS0_5tupleIJSF_S6_EEENSJ_IJSG_SG_EEENS0_18inequality_wrapperINSA_8equal_toItEEEEPmJS6_EEE10hipError_tPvRmT3_T4_T5_T6_T7_T9_mT8_P12ihipStream_tbDpT10_ENKUlT_T0_E_clISt17integral_constantIbLb1EES1A_EEDaS15_S16_EUlS15_E_NS1_11comp_targetILNS1_3genE9ELNS1_11target_archE1100ELNS1_3gpuE3ELNS1_3repE0EEENS1_30default_config_static_selectorELNS0_4arch9wavefront6targetE1EEEvT1_, .Lfunc_end289-_ZN7rocprim17ROCPRIM_400000_NS6detail17trampoline_kernelINS0_14default_configENS1_25partition_config_selectorILNS1_17partition_subalgoE8EtNS0_10empty_typeEbEEZZNS1_14partition_implILS5_8ELb0ES3_jN6thrust23THRUST_200600_302600_NS6detail15normal_iteratorINSA_10device_ptrItEEEEPS6_PKS6_NS0_5tupleIJSF_S6_EEENSJ_IJSG_SG_EEENS0_18inequality_wrapperINSA_8equal_toItEEEEPmJS6_EEE10hipError_tPvRmT3_T4_T5_T6_T7_T9_mT8_P12ihipStream_tbDpT10_ENKUlT_T0_E_clISt17integral_constantIbLb1EES1A_EEDaS15_S16_EUlS15_E_NS1_11comp_targetILNS1_3genE9ELNS1_11target_archE1100ELNS1_3gpuE3ELNS1_3repE0EEENS1_30default_config_static_selectorELNS0_4arch9wavefront6targetE1EEEvT1_
                                        ; -- End function
	.set _ZN7rocprim17ROCPRIM_400000_NS6detail17trampoline_kernelINS0_14default_configENS1_25partition_config_selectorILNS1_17partition_subalgoE8EtNS0_10empty_typeEbEEZZNS1_14partition_implILS5_8ELb0ES3_jN6thrust23THRUST_200600_302600_NS6detail15normal_iteratorINSA_10device_ptrItEEEEPS6_PKS6_NS0_5tupleIJSF_S6_EEENSJ_IJSG_SG_EEENS0_18inequality_wrapperINSA_8equal_toItEEEEPmJS6_EEE10hipError_tPvRmT3_T4_T5_T6_T7_T9_mT8_P12ihipStream_tbDpT10_ENKUlT_T0_E_clISt17integral_constantIbLb1EES1A_EEDaS15_S16_EUlS15_E_NS1_11comp_targetILNS1_3genE9ELNS1_11target_archE1100ELNS1_3gpuE3ELNS1_3repE0EEENS1_30default_config_static_selectorELNS0_4arch9wavefront6targetE1EEEvT1_.num_vgpr, 0
	.set _ZN7rocprim17ROCPRIM_400000_NS6detail17trampoline_kernelINS0_14default_configENS1_25partition_config_selectorILNS1_17partition_subalgoE8EtNS0_10empty_typeEbEEZZNS1_14partition_implILS5_8ELb0ES3_jN6thrust23THRUST_200600_302600_NS6detail15normal_iteratorINSA_10device_ptrItEEEEPS6_PKS6_NS0_5tupleIJSF_S6_EEENSJ_IJSG_SG_EEENS0_18inequality_wrapperINSA_8equal_toItEEEEPmJS6_EEE10hipError_tPvRmT3_T4_T5_T6_T7_T9_mT8_P12ihipStream_tbDpT10_ENKUlT_T0_E_clISt17integral_constantIbLb1EES1A_EEDaS15_S16_EUlS15_E_NS1_11comp_targetILNS1_3genE9ELNS1_11target_archE1100ELNS1_3gpuE3ELNS1_3repE0EEENS1_30default_config_static_selectorELNS0_4arch9wavefront6targetE1EEEvT1_.num_agpr, 0
	.set _ZN7rocprim17ROCPRIM_400000_NS6detail17trampoline_kernelINS0_14default_configENS1_25partition_config_selectorILNS1_17partition_subalgoE8EtNS0_10empty_typeEbEEZZNS1_14partition_implILS5_8ELb0ES3_jN6thrust23THRUST_200600_302600_NS6detail15normal_iteratorINSA_10device_ptrItEEEEPS6_PKS6_NS0_5tupleIJSF_S6_EEENSJ_IJSG_SG_EEENS0_18inequality_wrapperINSA_8equal_toItEEEEPmJS6_EEE10hipError_tPvRmT3_T4_T5_T6_T7_T9_mT8_P12ihipStream_tbDpT10_ENKUlT_T0_E_clISt17integral_constantIbLb1EES1A_EEDaS15_S16_EUlS15_E_NS1_11comp_targetILNS1_3genE9ELNS1_11target_archE1100ELNS1_3gpuE3ELNS1_3repE0EEENS1_30default_config_static_selectorELNS0_4arch9wavefront6targetE1EEEvT1_.numbered_sgpr, 0
	.set _ZN7rocprim17ROCPRIM_400000_NS6detail17trampoline_kernelINS0_14default_configENS1_25partition_config_selectorILNS1_17partition_subalgoE8EtNS0_10empty_typeEbEEZZNS1_14partition_implILS5_8ELb0ES3_jN6thrust23THRUST_200600_302600_NS6detail15normal_iteratorINSA_10device_ptrItEEEEPS6_PKS6_NS0_5tupleIJSF_S6_EEENSJ_IJSG_SG_EEENS0_18inequality_wrapperINSA_8equal_toItEEEEPmJS6_EEE10hipError_tPvRmT3_T4_T5_T6_T7_T9_mT8_P12ihipStream_tbDpT10_ENKUlT_T0_E_clISt17integral_constantIbLb1EES1A_EEDaS15_S16_EUlS15_E_NS1_11comp_targetILNS1_3genE9ELNS1_11target_archE1100ELNS1_3gpuE3ELNS1_3repE0EEENS1_30default_config_static_selectorELNS0_4arch9wavefront6targetE1EEEvT1_.num_named_barrier, 0
	.set _ZN7rocprim17ROCPRIM_400000_NS6detail17trampoline_kernelINS0_14default_configENS1_25partition_config_selectorILNS1_17partition_subalgoE8EtNS0_10empty_typeEbEEZZNS1_14partition_implILS5_8ELb0ES3_jN6thrust23THRUST_200600_302600_NS6detail15normal_iteratorINSA_10device_ptrItEEEEPS6_PKS6_NS0_5tupleIJSF_S6_EEENSJ_IJSG_SG_EEENS0_18inequality_wrapperINSA_8equal_toItEEEEPmJS6_EEE10hipError_tPvRmT3_T4_T5_T6_T7_T9_mT8_P12ihipStream_tbDpT10_ENKUlT_T0_E_clISt17integral_constantIbLb1EES1A_EEDaS15_S16_EUlS15_E_NS1_11comp_targetILNS1_3genE9ELNS1_11target_archE1100ELNS1_3gpuE3ELNS1_3repE0EEENS1_30default_config_static_selectorELNS0_4arch9wavefront6targetE1EEEvT1_.private_seg_size, 0
	.set _ZN7rocprim17ROCPRIM_400000_NS6detail17trampoline_kernelINS0_14default_configENS1_25partition_config_selectorILNS1_17partition_subalgoE8EtNS0_10empty_typeEbEEZZNS1_14partition_implILS5_8ELb0ES3_jN6thrust23THRUST_200600_302600_NS6detail15normal_iteratorINSA_10device_ptrItEEEEPS6_PKS6_NS0_5tupleIJSF_S6_EEENSJ_IJSG_SG_EEENS0_18inequality_wrapperINSA_8equal_toItEEEEPmJS6_EEE10hipError_tPvRmT3_T4_T5_T6_T7_T9_mT8_P12ihipStream_tbDpT10_ENKUlT_T0_E_clISt17integral_constantIbLb1EES1A_EEDaS15_S16_EUlS15_E_NS1_11comp_targetILNS1_3genE9ELNS1_11target_archE1100ELNS1_3gpuE3ELNS1_3repE0EEENS1_30default_config_static_selectorELNS0_4arch9wavefront6targetE1EEEvT1_.uses_vcc, 0
	.set _ZN7rocprim17ROCPRIM_400000_NS6detail17trampoline_kernelINS0_14default_configENS1_25partition_config_selectorILNS1_17partition_subalgoE8EtNS0_10empty_typeEbEEZZNS1_14partition_implILS5_8ELb0ES3_jN6thrust23THRUST_200600_302600_NS6detail15normal_iteratorINSA_10device_ptrItEEEEPS6_PKS6_NS0_5tupleIJSF_S6_EEENSJ_IJSG_SG_EEENS0_18inequality_wrapperINSA_8equal_toItEEEEPmJS6_EEE10hipError_tPvRmT3_T4_T5_T6_T7_T9_mT8_P12ihipStream_tbDpT10_ENKUlT_T0_E_clISt17integral_constantIbLb1EES1A_EEDaS15_S16_EUlS15_E_NS1_11comp_targetILNS1_3genE9ELNS1_11target_archE1100ELNS1_3gpuE3ELNS1_3repE0EEENS1_30default_config_static_selectorELNS0_4arch9wavefront6targetE1EEEvT1_.uses_flat_scratch, 0
	.set _ZN7rocprim17ROCPRIM_400000_NS6detail17trampoline_kernelINS0_14default_configENS1_25partition_config_selectorILNS1_17partition_subalgoE8EtNS0_10empty_typeEbEEZZNS1_14partition_implILS5_8ELb0ES3_jN6thrust23THRUST_200600_302600_NS6detail15normal_iteratorINSA_10device_ptrItEEEEPS6_PKS6_NS0_5tupleIJSF_S6_EEENSJ_IJSG_SG_EEENS0_18inequality_wrapperINSA_8equal_toItEEEEPmJS6_EEE10hipError_tPvRmT3_T4_T5_T6_T7_T9_mT8_P12ihipStream_tbDpT10_ENKUlT_T0_E_clISt17integral_constantIbLb1EES1A_EEDaS15_S16_EUlS15_E_NS1_11comp_targetILNS1_3genE9ELNS1_11target_archE1100ELNS1_3gpuE3ELNS1_3repE0EEENS1_30default_config_static_selectorELNS0_4arch9wavefront6targetE1EEEvT1_.has_dyn_sized_stack, 0
	.set _ZN7rocprim17ROCPRIM_400000_NS6detail17trampoline_kernelINS0_14default_configENS1_25partition_config_selectorILNS1_17partition_subalgoE8EtNS0_10empty_typeEbEEZZNS1_14partition_implILS5_8ELb0ES3_jN6thrust23THRUST_200600_302600_NS6detail15normal_iteratorINSA_10device_ptrItEEEEPS6_PKS6_NS0_5tupleIJSF_S6_EEENSJ_IJSG_SG_EEENS0_18inequality_wrapperINSA_8equal_toItEEEEPmJS6_EEE10hipError_tPvRmT3_T4_T5_T6_T7_T9_mT8_P12ihipStream_tbDpT10_ENKUlT_T0_E_clISt17integral_constantIbLb1EES1A_EEDaS15_S16_EUlS15_E_NS1_11comp_targetILNS1_3genE9ELNS1_11target_archE1100ELNS1_3gpuE3ELNS1_3repE0EEENS1_30default_config_static_selectorELNS0_4arch9wavefront6targetE1EEEvT1_.has_recursion, 0
	.set _ZN7rocprim17ROCPRIM_400000_NS6detail17trampoline_kernelINS0_14default_configENS1_25partition_config_selectorILNS1_17partition_subalgoE8EtNS0_10empty_typeEbEEZZNS1_14partition_implILS5_8ELb0ES3_jN6thrust23THRUST_200600_302600_NS6detail15normal_iteratorINSA_10device_ptrItEEEEPS6_PKS6_NS0_5tupleIJSF_S6_EEENSJ_IJSG_SG_EEENS0_18inequality_wrapperINSA_8equal_toItEEEEPmJS6_EEE10hipError_tPvRmT3_T4_T5_T6_T7_T9_mT8_P12ihipStream_tbDpT10_ENKUlT_T0_E_clISt17integral_constantIbLb1EES1A_EEDaS15_S16_EUlS15_E_NS1_11comp_targetILNS1_3genE9ELNS1_11target_archE1100ELNS1_3gpuE3ELNS1_3repE0EEENS1_30default_config_static_selectorELNS0_4arch9wavefront6targetE1EEEvT1_.has_indirect_call, 0
	.section	.AMDGPU.csdata,"",@progbits
; Kernel info:
; codeLenInByte = 0
; TotalNumSgprs: 4
; NumVgprs: 0
; ScratchSize: 0
; MemoryBound: 0
; FloatMode: 240
; IeeeMode: 1
; LDSByteSize: 0 bytes/workgroup (compile time only)
; SGPRBlocks: 0
; VGPRBlocks: 0
; NumSGPRsForWavesPerEU: 4
; NumVGPRsForWavesPerEU: 1
; Occupancy: 10
; WaveLimiterHint : 0
; COMPUTE_PGM_RSRC2:SCRATCH_EN: 0
; COMPUTE_PGM_RSRC2:USER_SGPR: 6
; COMPUTE_PGM_RSRC2:TRAP_HANDLER: 0
; COMPUTE_PGM_RSRC2:TGID_X_EN: 1
; COMPUTE_PGM_RSRC2:TGID_Y_EN: 0
; COMPUTE_PGM_RSRC2:TGID_Z_EN: 0
; COMPUTE_PGM_RSRC2:TIDIG_COMP_CNT: 0
	.section	.text._ZN7rocprim17ROCPRIM_400000_NS6detail17trampoline_kernelINS0_14default_configENS1_25partition_config_selectorILNS1_17partition_subalgoE8EtNS0_10empty_typeEbEEZZNS1_14partition_implILS5_8ELb0ES3_jN6thrust23THRUST_200600_302600_NS6detail15normal_iteratorINSA_10device_ptrItEEEEPS6_PKS6_NS0_5tupleIJSF_S6_EEENSJ_IJSG_SG_EEENS0_18inequality_wrapperINSA_8equal_toItEEEEPmJS6_EEE10hipError_tPvRmT3_T4_T5_T6_T7_T9_mT8_P12ihipStream_tbDpT10_ENKUlT_T0_E_clISt17integral_constantIbLb1EES1A_EEDaS15_S16_EUlS15_E_NS1_11comp_targetILNS1_3genE8ELNS1_11target_archE1030ELNS1_3gpuE2ELNS1_3repE0EEENS1_30default_config_static_selectorELNS0_4arch9wavefront6targetE1EEEvT1_,"axG",@progbits,_ZN7rocprim17ROCPRIM_400000_NS6detail17trampoline_kernelINS0_14default_configENS1_25partition_config_selectorILNS1_17partition_subalgoE8EtNS0_10empty_typeEbEEZZNS1_14partition_implILS5_8ELb0ES3_jN6thrust23THRUST_200600_302600_NS6detail15normal_iteratorINSA_10device_ptrItEEEEPS6_PKS6_NS0_5tupleIJSF_S6_EEENSJ_IJSG_SG_EEENS0_18inequality_wrapperINSA_8equal_toItEEEEPmJS6_EEE10hipError_tPvRmT3_T4_T5_T6_T7_T9_mT8_P12ihipStream_tbDpT10_ENKUlT_T0_E_clISt17integral_constantIbLb1EES1A_EEDaS15_S16_EUlS15_E_NS1_11comp_targetILNS1_3genE8ELNS1_11target_archE1030ELNS1_3gpuE2ELNS1_3repE0EEENS1_30default_config_static_selectorELNS0_4arch9wavefront6targetE1EEEvT1_,comdat
	.protected	_ZN7rocprim17ROCPRIM_400000_NS6detail17trampoline_kernelINS0_14default_configENS1_25partition_config_selectorILNS1_17partition_subalgoE8EtNS0_10empty_typeEbEEZZNS1_14partition_implILS5_8ELb0ES3_jN6thrust23THRUST_200600_302600_NS6detail15normal_iteratorINSA_10device_ptrItEEEEPS6_PKS6_NS0_5tupleIJSF_S6_EEENSJ_IJSG_SG_EEENS0_18inequality_wrapperINSA_8equal_toItEEEEPmJS6_EEE10hipError_tPvRmT3_T4_T5_T6_T7_T9_mT8_P12ihipStream_tbDpT10_ENKUlT_T0_E_clISt17integral_constantIbLb1EES1A_EEDaS15_S16_EUlS15_E_NS1_11comp_targetILNS1_3genE8ELNS1_11target_archE1030ELNS1_3gpuE2ELNS1_3repE0EEENS1_30default_config_static_selectorELNS0_4arch9wavefront6targetE1EEEvT1_ ; -- Begin function _ZN7rocprim17ROCPRIM_400000_NS6detail17trampoline_kernelINS0_14default_configENS1_25partition_config_selectorILNS1_17partition_subalgoE8EtNS0_10empty_typeEbEEZZNS1_14partition_implILS5_8ELb0ES3_jN6thrust23THRUST_200600_302600_NS6detail15normal_iteratorINSA_10device_ptrItEEEEPS6_PKS6_NS0_5tupleIJSF_S6_EEENSJ_IJSG_SG_EEENS0_18inequality_wrapperINSA_8equal_toItEEEEPmJS6_EEE10hipError_tPvRmT3_T4_T5_T6_T7_T9_mT8_P12ihipStream_tbDpT10_ENKUlT_T0_E_clISt17integral_constantIbLb1EES1A_EEDaS15_S16_EUlS15_E_NS1_11comp_targetILNS1_3genE8ELNS1_11target_archE1030ELNS1_3gpuE2ELNS1_3repE0EEENS1_30default_config_static_selectorELNS0_4arch9wavefront6targetE1EEEvT1_
	.globl	_ZN7rocprim17ROCPRIM_400000_NS6detail17trampoline_kernelINS0_14default_configENS1_25partition_config_selectorILNS1_17partition_subalgoE8EtNS0_10empty_typeEbEEZZNS1_14partition_implILS5_8ELb0ES3_jN6thrust23THRUST_200600_302600_NS6detail15normal_iteratorINSA_10device_ptrItEEEEPS6_PKS6_NS0_5tupleIJSF_S6_EEENSJ_IJSG_SG_EEENS0_18inequality_wrapperINSA_8equal_toItEEEEPmJS6_EEE10hipError_tPvRmT3_T4_T5_T6_T7_T9_mT8_P12ihipStream_tbDpT10_ENKUlT_T0_E_clISt17integral_constantIbLb1EES1A_EEDaS15_S16_EUlS15_E_NS1_11comp_targetILNS1_3genE8ELNS1_11target_archE1030ELNS1_3gpuE2ELNS1_3repE0EEENS1_30default_config_static_selectorELNS0_4arch9wavefront6targetE1EEEvT1_
	.p2align	8
	.type	_ZN7rocprim17ROCPRIM_400000_NS6detail17trampoline_kernelINS0_14default_configENS1_25partition_config_selectorILNS1_17partition_subalgoE8EtNS0_10empty_typeEbEEZZNS1_14partition_implILS5_8ELb0ES3_jN6thrust23THRUST_200600_302600_NS6detail15normal_iteratorINSA_10device_ptrItEEEEPS6_PKS6_NS0_5tupleIJSF_S6_EEENSJ_IJSG_SG_EEENS0_18inequality_wrapperINSA_8equal_toItEEEEPmJS6_EEE10hipError_tPvRmT3_T4_T5_T6_T7_T9_mT8_P12ihipStream_tbDpT10_ENKUlT_T0_E_clISt17integral_constantIbLb1EES1A_EEDaS15_S16_EUlS15_E_NS1_11comp_targetILNS1_3genE8ELNS1_11target_archE1030ELNS1_3gpuE2ELNS1_3repE0EEENS1_30default_config_static_selectorELNS0_4arch9wavefront6targetE1EEEvT1_,@function
_ZN7rocprim17ROCPRIM_400000_NS6detail17trampoline_kernelINS0_14default_configENS1_25partition_config_selectorILNS1_17partition_subalgoE8EtNS0_10empty_typeEbEEZZNS1_14partition_implILS5_8ELb0ES3_jN6thrust23THRUST_200600_302600_NS6detail15normal_iteratorINSA_10device_ptrItEEEEPS6_PKS6_NS0_5tupleIJSF_S6_EEENSJ_IJSG_SG_EEENS0_18inequality_wrapperINSA_8equal_toItEEEEPmJS6_EEE10hipError_tPvRmT3_T4_T5_T6_T7_T9_mT8_P12ihipStream_tbDpT10_ENKUlT_T0_E_clISt17integral_constantIbLb1EES1A_EEDaS15_S16_EUlS15_E_NS1_11comp_targetILNS1_3genE8ELNS1_11target_archE1030ELNS1_3gpuE2ELNS1_3repE0EEENS1_30default_config_static_selectorELNS0_4arch9wavefront6targetE1EEEvT1_: ; @_ZN7rocprim17ROCPRIM_400000_NS6detail17trampoline_kernelINS0_14default_configENS1_25partition_config_selectorILNS1_17partition_subalgoE8EtNS0_10empty_typeEbEEZZNS1_14partition_implILS5_8ELb0ES3_jN6thrust23THRUST_200600_302600_NS6detail15normal_iteratorINSA_10device_ptrItEEEEPS6_PKS6_NS0_5tupleIJSF_S6_EEENSJ_IJSG_SG_EEENS0_18inequality_wrapperINSA_8equal_toItEEEEPmJS6_EEE10hipError_tPvRmT3_T4_T5_T6_T7_T9_mT8_P12ihipStream_tbDpT10_ENKUlT_T0_E_clISt17integral_constantIbLb1EES1A_EEDaS15_S16_EUlS15_E_NS1_11comp_targetILNS1_3genE8ELNS1_11target_archE1030ELNS1_3gpuE2ELNS1_3repE0EEENS1_30default_config_static_selectorELNS0_4arch9wavefront6targetE1EEEvT1_
; %bb.0:
	.section	.rodata,"a",@progbits
	.p2align	6, 0x0
	.amdhsa_kernel _ZN7rocprim17ROCPRIM_400000_NS6detail17trampoline_kernelINS0_14default_configENS1_25partition_config_selectorILNS1_17partition_subalgoE8EtNS0_10empty_typeEbEEZZNS1_14partition_implILS5_8ELb0ES3_jN6thrust23THRUST_200600_302600_NS6detail15normal_iteratorINSA_10device_ptrItEEEEPS6_PKS6_NS0_5tupleIJSF_S6_EEENSJ_IJSG_SG_EEENS0_18inequality_wrapperINSA_8equal_toItEEEEPmJS6_EEE10hipError_tPvRmT3_T4_T5_T6_T7_T9_mT8_P12ihipStream_tbDpT10_ENKUlT_T0_E_clISt17integral_constantIbLb1EES1A_EEDaS15_S16_EUlS15_E_NS1_11comp_targetILNS1_3genE8ELNS1_11target_archE1030ELNS1_3gpuE2ELNS1_3repE0EEENS1_30default_config_static_selectorELNS0_4arch9wavefront6targetE1EEEvT1_
		.amdhsa_group_segment_fixed_size 0
		.amdhsa_private_segment_fixed_size 0
		.amdhsa_kernarg_size 128
		.amdhsa_user_sgpr_count 6
		.amdhsa_user_sgpr_private_segment_buffer 1
		.amdhsa_user_sgpr_dispatch_ptr 0
		.amdhsa_user_sgpr_queue_ptr 0
		.amdhsa_user_sgpr_kernarg_segment_ptr 1
		.amdhsa_user_sgpr_dispatch_id 0
		.amdhsa_user_sgpr_flat_scratch_init 0
		.amdhsa_user_sgpr_private_segment_size 0
		.amdhsa_uses_dynamic_stack 0
		.amdhsa_system_sgpr_private_segment_wavefront_offset 0
		.amdhsa_system_sgpr_workgroup_id_x 1
		.amdhsa_system_sgpr_workgroup_id_y 0
		.amdhsa_system_sgpr_workgroup_id_z 0
		.amdhsa_system_sgpr_workgroup_info 0
		.amdhsa_system_vgpr_workitem_id 0
		.amdhsa_next_free_vgpr 1
		.amdhsa_next_free_sgpr 0
		.amdhsa_reserve_vcc 0
		.amdhsa_reserve_flat_scratch 0
		.amdhsa_float_round_mode_32 0
		.amdhsa_float_round_mode_16_64 0
		.amdhsa_float_denorm_mode_32 3
		.amdhsa_float_denorm_mode_16_64 3
		.amdhsa_dx10_clamp 1
		.amdhsa_ieee_mode 1
		.amdhsa_fp16_overflow 0
		.amdhsa_exception_fp_ieee_invalid_op 0
		.amdhsa_exception_fp_denorm_src 0
		.amdhsa_exception_fp_ieee_div_zero 0
		.amdhsa_exception_fp_ieee_overflow 0
		.amdhsa_exception_fp_ieee_underflow 0
		.amdhsa_exception_fp_ieee_inexact 0
		.amdhsa_exception_int_div_zero 0
	.end_amdhsa_kernel
	.section	.text._ZN7rocprim17ROCPRIM_400000_NS6detail17trampoline_kernelINS0_14default_configENS1_25partition_config_selectorILNS1_17partition_subalgoE8EtNS0_10empty_typeEbEEZZNS1_14partition_implILS5_8ELb0ES3_jN6thrust23THRUST_200600_302600_NS6detail15normal_iteratorINSA_10device_ptrItEEEEPS6_PKS6_NS0_5tupleIJSF_S6_EEENSJ_IJSG_SG_EEENS0_18inequality_wrapperINSA_8equal_toItEEEEPmJS6_EEE10hipError_tPvRmT3_T4_T5_T6_T7_T9_mT8_P12ihipStream_tbDpT10_ENKUlT_T0_E_clISt17integral_constantIbLb1EES1A_EEDaS15_S16_EUlS15_E_NS1_11comp_targetILNS1_3genE8ELNS1_11target_archE1030ELNS1_3gpuE2ELNS1_3repE0EEENS1_30default_config_static_selectorELNS0_4arch9wavefront6targetE1EEEvT1_,"axG",@progbits,_ZN7rocprim17ROCPRIM_400000_NS6detail17trampoline_kernelINS0_14default_configENS1_25partition_config_selectorILNS1_17partition_subalgoE8EtNS0_10empty_typeEbEEZZNS1_14partition_implILS5_8ELb0ES3_jN6thrust23THRUST_200600_302600_NS6detail15normal_iteratorINSA_10device_ptrItEEEEPS6_PKS6_NS0_5tupleIJSF_S6_EEENSJ_IJSG_SG_EEENS0_18inequality_wrapperINSA_8equal_toItEEEEPmJS6_EEE10hipError_tPvRmT3_T4_T5_T6_T7_T9_mT8_P12ihipStream_tbDpT10_ENKUlT_T0_E_clISt17integral_constantIbLb1EES1A_EEDaS15_S16_EUlS15_E_NS1_11comp_targetILNS1_3genE8ELNS1_11target_archE1030ELNS1_3gpuE2ELNS1_3repE0EEENS1_30default_config_static_selectorELNS0_4arch9wavefront6targetE1EEEvT1_,comdat
.Lfunc_end290:
	.size	_ZN7rocprim17ROCPRIM_400000_NS6detail17trampoline_kernelINS0_14default_configENS1_25partition_config_selectorILNS1_17partition_subalgoE8EtNS0_10empty_typeEbEEZZNS1_14partition_implILS5_8ELb0ES3_jN6thrust23THRUST_200600_302600_NS6detail15normal_iteratorINSA_10device_ptrItEEEEPS6_PKS6_NS0_5tupleIJSF_S6_EEENSJ_IJSG_SG_EEENS0_18inequality_wrapperINSA_8equal_toItEEEEPmJS6_EEE10hipError_tPvRmT3_T4_T5_T6_T7_T9_mT8_P12ihipStream_tbDpT10_ENKUlT_T0_E_clISt17integral_constantIbLb1EES1A_EEDaS15_S16_EUlS15_E_NS1_11comp_targetILNS1_3genE8ELNS1_11target_archE1030ELNS1_3gpuE2ELNS1_3repE0EEENS1_30default_config_static_selectorELNS0_4arch9wavefront6targetE1EEEvT1_, .Lfunc_end290-_ZN7rocprim17ROCPRIM_400000_NS6detail17trampoline_kernelINS0_14default_configENS1_25partition_config_selectorILNS1_17partition_subalgoE8EtNS0_10empty_typeEbEEZZNS1_14partition_implILS5_8ELb0ES3_jN6thrust23THRUST_200600_302600_NS6detail15normal_iteratorINSA_10device_ptrItEEEEPS6_PKS6_NS0_5tupleIJSF_S6_EEENSJ_IJSG_SG_EEENS0_18inequality_wrapperINSA_8equal_toItEEEEPmJS6_EEE10hipError_tPvRmT3_T4_T5_T6_T7_T9_mT8_P12ihipStream_tbDpT10_ENKUlT_T0_E_clISt17integral_constantIbLb1EES1A_EEDaS15_S16_EUlS15_E_NS1_11comp_targetILNS1_3genE8ELNS1_11target_archE1030ELNS1_3gpuE2ELNS1_3repE0EEENS1_30default_config_static_selectorELNS0_4arch9wavefront6targetE1EEEvT1_
                                        ; -- End function
	.set _ZN7rocprim17ROCPRIM_400000_NS6detail17trampoline_kernelINS0_14default_configENS1_25partition_config_selectorILNS1_17partition_subalgoE8EtNS0_10empty_typeEbEEZZNS1_14partition_implILS5_8ELb0ES3_jN6thrust23THRUST_200600_302600_NS6detail15normal_iteratorINSA_10device_ptrItEEEEPS6_PKS6_NS0_5tupleIJSF_S6_EEENSJ_IJSG_SG_EEENS0_18inequality_wrapperINSA_8equal_toItEEEEPmJS6_EEE10hipError_tPvRmT3_T4_T5_T6_T7_T9_mT8_P12ihipStream_tbDpT10_ENKUlT_T0_E_clISt17integral_constantIbLb1EES1A_EEDaS15_S16_EUlS15_E_NS1_11comp_targetILNS1_3genE8ELNS1_11target_archE1030ELNS1_3gpuE2ELNS1_3repE0EEENS1_30default_config_static_selectorELNS0_4arch9wavefront6targetE1EEEvT1_.num_vgpr, 0
	.set _ZN7rocprim17ROCPRIM_400000_NS6detail17trampoline_kernelINS0_14default_configENS1_25partition_config_selectorILNS1_17partition_subalgoE8EtNS0_10empty_typeEbEEZZNS1_14partition_implILS5_8ELb0ES3_jN6thrust23THRUST_200600_302600_NS6detail15normal_iteratorINSA_10device_ptrItEEEEPS6_PKS6_NS0_5tupleIJSF_S6_EEENSJ_IJSG_SG_EEENS0_18inequality_wrapperINSA_8equal_toItEEEEPmJS6_EEE10hipError_tPvRmT3_T4_T5_T6_T7_T9_mT8_P12ihipStream_tbDpT10_ENKUlT_T0_E_clISt17integral_constantIbLb1EES1A_EEDaS15_S16_EUlS15_E_NS1_11comp_targetILNS1_3genE8ELNS1_11target_archE1030ELNS1_3gpuE2ELNS1_3repE0EEENS1_30default_config_static_selectorELNS0_4arch9wavefront6targetE1EEEvT1_.num_agpr, 0
	.set _ZN7rocprim17ROCPRIM_400000_NS6detail17trampoline_kernelINS0_14default_configENS1_25partition_config_selectorILNS1_17partition_subalgoE8EtNS0_10empty_typeEbEEZZNS1_14partition_implILS5_8ELb0ES3_jN6thrust23THRUST_200600_302600_NS6detail15normal_iteratorINSA_10device_ptrItEEEEPS6_PKS6_NS0_5tupleIJSF_S6_EEENSJ_IJSG_SG_EEENS0_18inequality_wrapperINSA_8equal_toItEEEEPmJS6_EEE10hipError_tPvRmT3_T4_T5_T6_T7_T9_mT8_P12ihipStream_tbDpT10_ENKUlT_T0_E_clISt17integral_constantIbLb1EES1A_EEDaS15_S16_EUlS15_E_NS1_11comp_targetILNS1_3genE8ELNS1_11target_archE1030ELNS1_3gpuE2ELNS1_3repE0EEENS1_30default_config_static_selectorELNS0_4arch9wavefront6targetE1EEEvT1_.numbered_sgpr, 0
	.set _ZN7rocprim17ROCPRIM_400000_NS6detail17trampoline_kernelINS0_14default_configENS1_25partition_config_selectorILNS1_17partition_subalgoE8EtNS0_10empty_typeEbEEZZNS1_14partition_implILS5_8ELb0ES3_jN6thrust23THRUST_200600_302600_NS6detail15normal_iteratorINSA_10device_ptrItEEEEPS6_PKS6_NS0_5tupleIJSF_S6_EEENSJ_IJSG_SG_EEENS0_18inequality_wrapperINSA_8equal_toItEEEEPmJS6_EEE10hipError_tPvRmT3_T4_T5_T6_T7_T9_mT8_P12ihipStream_tbDpT10_ENKUlT_T0_E_clISt17integral_constantIbLb1EES1A_EEDaS15_S16_EUlS15_E_NS1_11comp_targetILNS1_3genE8ELNS1_11target_archE1030ELNS1_3gpuE2ELNS1_3repE0EEENS1_30default_config_static_selectorELNS0_4arch9wavefront6targetE1EEEvT1_.num_named_barrier, 0
	.set _ZN7rocprim17ROCPRIM_400000_NS6detail17trampoline_kernelINS0_14default_configENS1_25partition_config_selectorILNS1_17partition_subalgoE8EtNS0_10empty_typeEbEEZZNS1_14partition_implILS5_8ELb0ES3_jN6thrust23THRUST_200600_302600_NS6detail15normal_iteratorINSA_10device_ptrItEEEEPS6_PKS6_NS0_5tupleIJSF_S6_EEENSJ_IJSG_SG_EEENS0_18inequality_wrapperINSA_8equal_toItEEEEPmJS6_EEE10hipError_tPvRmT3_T4_T5_T6_T7_T9_mT8_P12ihipStream_tbDpT10_ENKUlT_T0_E_clISt17integral_constantIbLb1EES1A_EEDaS15_S16_EUlS15_E_NS1_11comp_targetILNS1_3genE8ELNS1_11target_archE1030ELNS1_3gpuE2ELNS1_3repE0EEENS1_30default_config_static_selectorELNS0_4arch9wavefront6targetE1EEEvT1_.private_seg_size, 0
	.set _ZN7rocprim17ROCPRIM_400000_NS6detail17trampoline_kernelINS0_14default_configENS1_25partition_config_selectorILNS1_17partition_subalgoE8EtNS0_10empty_typeEbEEZZNS1_14partition_implILS5_8ELb0ES3_jN6thrust23THRUST_200600_302600_NS6detail15normal_iteratorINSA_10device_ptrItEEEEPS6_PKS6_NS0_5tupleIJSF_S6_EEENSJ_IJSG_SG_EEENS0_18inequality_wrapperINSA_8equal_toItEEEEPmJS6_EEE10hipError_tPvRmT3_T4_T5_T6_T7_T9_mT8_P12ihipStream_tbDpT10_ENKUlT_T0_E_clISt17integral_constantIbLb1EES1A_EEDaS15_S16_EUlS15_E_NS1_11comp_targetILNS1_3genE8ELNS1_11target_archE1030ELNS1_3gpuE2ELNS1_3repE0EEENS1_30default_config_static_selectorELNS0_4arch9wavefront6targetE1EEEvT1_.uses_vcc, 0
	.set _ZN7rocprim17ROCPRIM_400000_NS6detail17trampoline_kernelINS0_14default_configENS1_25partition_config_selectorILNS1_17partition_subalgoE8EtNS0_10empty_typeEbEEZZNS1_14partition_implILS5_8ELb0ES3_jN6thrust23THRUST_200600_302600_NS6detail15normal_iteratorINSA_10device_ptrItEEEEPS6_PKS6_NS0_5tupleIJSF_S6_EEENSJ_IJSG_SG_EEENS0_18inequality_wrapperINSA_8equal_toItEEEEPmJS6_EEE10hipError_tPvRmT3_T4_T5_T6_T7_T9_mT8_P12ihipStream_tbDpT10_ENKUlT_T0_E_clISt17integral_constantIbLb1EES1A_EEDaS15_S16_EUlS15_E_NS1_11comp_targetILNS1_3genE8ELNS1_11target_archE1030ELNS1_3gpuE2ELNS1_3repE0EEENS1_30default_config_static_selectorELNS0_4arch9wavefront6targetE1EEEvT1_.uses_flat_scratch, 0
	.set _ZN7rocprim17ROCPRIM_400000_NS6detail17trampoline_kernelINS0_14default_configENS1_25partition_config_selectorILNS1_17partition_subalgoE8EtNS0_10empty_typeEbEEZZNS1_14partition_implILS5_8ELb0ES3_jN6thrust23THRUST_200600_302600_NS6detail15normal_iteratorINSA_10device_ptrItEEEEPS6_PKS6_NS0_5tupleIJSF_S6_EEENSJ_IJSG_SG_EEENS0_18inequality_wrapperINSA_8equal_toItEEEEPmJS6_EEE10hipError_tPvRmT3_T4_T5_T6_T7_T9_mT8_P12ihipStream_tbDpT10_ENKUlT_T0_E_clISt17integral_constantIbLb1EES1A_EEDaS15_S16_EUlS15_E_NS1_11comp_targetILNS1_3genE8ELNS1_11target_archE1030ELNS1_3gpuE2ELNS1_3repE0EEENS1_30default_config_static_selectorELNS0_4arch9wavefront6targetE1EEEvT1_.has_dyn_sized_stack, 0
	.set _ZN7rocprim17ROCPRIM_400000_NS6detail17trampoline_kernelINS0_14default_configENS1_25partition_config_selectorILNS1_17partition_subalgoE8EtNS0_10empty_typeEbEEZZNS1_14partition_implILS5_8ELb0ES3_jN6thrust23THRUST_200600_302600_NS6detail15normal_iteratorINSA_10device_ptrItEEEEPS6_PKS6_NS0_5tupleIJSF_S6_EEENSJ_IJSG_SG_EEENS0_18inequality_wrapperINSA_8equal_toItEEEEPmJS6_EEE10hipError_tPvRmT3_T4_T5_T6_T7_T9_mT8_P12ihipStream_tbDpT10_ENKUlT_T0_E_clISt17integral_constantIbLb1EES1A_EEDaS15_S16_EUlS15_E_NS1_11comp_targetILNS1_3genE8ELNS1_11target_archE1030ELNS1_3gpuE2ELNS1_3repE0EEENS1_30default_config_static_selectorELNS0_4arch9wavefront6targetE1EEEvT1_.has_recursion, 0
	.set _ZN7rocprim17ROCPRIM_400000_NS6detail17trampoline_kernelINS0_14default_configENS1_25partition_config_selectorILNS1_17partition_subalgoE8EtNS0_10empty_typeEbEEZZNS1_14partition_implILS5_8ELb0ES3_jN6thrust23THRUST_200600_302600_NS6detail15normal_iteratorINSA_10device_ptrItEEEEPS6_PKS6_NS0_5tupleIJSF_S6_EEENSJ_IJSG_SG_EEENS0_18inequality_wrapperINSA_8equal_toItEEEEPmJS6_EEE10hipError_tPvRmT3_T4_T5_T6_T7_T9_mT8_P12ihipStream_tbDpT10_ENKUlT_T0_E_clISt17integral_constantIbLb1EES1A_EEDaS15_S16_EUlS15_E_NS1_11comp_targetILNS1_3genE8ELNS1_11target_archE1030ELNS1_3gpuE2ELNS1_3repE0EEENS1_30default_config_static_selectorELNS0_4arch9wavefront6targetE1EEEvT1_.has_indirect_call, 0
	.section	.AMDGPU.csdata,"",@progbits
; Kernel info:
; codeLenInByte = 0
; TotalNumSgprs: 4
; NumVgprs: 0
; ScratchSize: 0
; MemoryBound: 0
; FloatMode: 240
; IeeeMode: 1
; LDSByteSize: 0 bytes/workgroup (compile time only)
; SGPRBlocks: 0
; VGPRBlocks: 0
; NumSGPRsForWavesPerEU: 4
; NumVGPRsForWavesPerEU: 1
; Occupancy: 10
; WaveLimiterHint : 0
; COMPUTE_PGM_RSRC2:SCRATCH_EN: 0
; COMPUTE_PGM_RSRC2:USER_SGPR: 6
; COMPUTE_PGM_RSRC2:TRAP_HANDLER: 0
; COMPUTE_PGM_RSRC2:TGID_X_EN: 1
; COMPUTE_PGM_RSRC2:TGID_Y_EN: 0
; COMPUTE_PGM_RSRC2:TGID_Z_EN: 0
; COMPUTE_PGM_RSRC2:TIDIG_COMP_CNT: 0
	.section	.text._ZN7rocprim17ROCPRIM_400000_NS6detail17trampoline_kernelINS0_14default_configENS1_25partition_config_selectorILNS1_17partition_subalgoE8EtNS0_10empty_typeEbEEZZNS1_14partition_implILS5_8ELb0ES3_jN6thrust23THRUST_200600_302600_NS6detail15normal_iteratorINSA_10device_ptrItEEEEPS6_PKS6_NS0_5tupleIJSF_S6_EEENSJ_IJSG_SG_EEENS0_18inequality_wrapperINSA_8equal_toItEEEEPmJS6_EEE10hipError_tPvRmT3_T4_T5_T6_T7_T9_mT8_P12ihipStream_tbDpT10_ENKUlT_T0_E_clISt17integral_constantIbLb1EES19_IbLb0EEEEDaS15_S16_EUlS15_E_NS1_11comp_targetILNS1_3genE0ELNS1_11target_archE4294967295ELNS1_3gpuE0ELNS1_3repE0EEENS1_30default_config_static_selectorELNS0_4arch9wavefront6targetE1EEEvT1_,"axG",@progbits,_ZN7rocprim17ROCPRIM_400000_NS6detail17trampoline_kernelINS0_14default_configENS1_25partition_config_selectorILNS1_17partition_subalgoE8EtNS0_10empty_typeEbEEZZNS1_14partition_implILS5_8ELb0ES3_jN6thrust23THRUST_200600_302600_NS6detail15normal_iteratorINSA_10device_ptrItEEEEPS6_PKS6_NS0_5tupleIJSF_S6_EEENSJ_IJSG_SG_EEENS0_18inequality_wrapperINSA_8equal_toItEEEEPmJS6_EEE10hipError_tPvRmT3_T4_T5_T6_T7_T9_mT8_P12ihipStream_tbDpT10_ENKUlT_T0_E_clISt17integral_constantIbLb1EES19_IbLb0EEEEDaS15_S16_EUlS15_E_NS1_11comp_targetILNS1_3genE0ELNS1_11target_archE4294967295ELNS1_3gpuE0ELNS1_3repE0EEENS1_30default_config_static_selectorELNS0_4arch9wavefront6targetE1EEEvT1_,comdat
	.protected	_ZN7rocprim17ROCPRIM_400000_NS6detail17trampoline_kernelINS0_14default_configENS1_25partition_config_selectorILNS1_17partition_subalgoE8EtNS0_10empty_typeEbEEZZNS1_14partition_implILS5_8ELb0ES3_jN6thrust23THRUST_200600_302600_NS6detail15normal_iteratorINSA_10device_ptrItEEEEPS6_PKS6_NS0_5tupleIJSF_S6_EEENSJ_IJSG_SG_EEENS0_18inequality_wrapperINSA_8equal_toItEEEEPmJS6_EEE10hipError_tPvRmT3_T4_T5_T6_T7_T9_mT8_P12ihipStream_tbDpT10_ENKUlT_T0_E_clISt17integral_constantIbLb1EES19_IbLb0EEEEDaS15_S16_EUlS15_E_NS1_11comp_targetILNS1_3genE0ELNS1_11target_archE4294967295ELNS1_3gpuE0ELNS1_3repE0EEENS1_30default_config_static_selectorELNS0_4arch9wavefront6targetE1EEEvT1_ ; -- Begin function _ZN7rocprim17ROCPRIM_400000_NS6detail17trampoline_kernelINS0_14default_configENS1_25partition_config_selectorILNS1_17partition_subalgoE8EtNS0_10empty_typeEbEEZZNS1_14partition_implILS5_8ELb0ES3_jN6thrust23THRUST_200600_302600_NS6detail15normal_iteratorINSA_10device_ptrItEEEEPS6_PKS6_NS0_5tupleIJSF_S6_EEENSJ_IJSG_SG_EEENS0_18inequality_wrapperINSA_8equal_toItEEEEPmJS6_EEE10hipError_tPvRmT3_T4_T5_T6_T7_T9_mT8_P12ihipStream_tbDpT10_ENKUlT_T0_E_clISt17integral_constantIbLb1EES19_IbLb0EEEEDaS15_S16_EUlS15_E_NS1_11comp_targetILNS1_3genE0ELNS1_11target_archE4294967295ELNS1_3gpuE0ELNS1_3repE0EEENS1_30default_config_static_selectorELNS0_4arch9wavefront6targetE1EEEvT1_
	.globl	_ZN7rocprim17ROCPRIM_400000_NS6detail17trampoline_kernelINS0_14default_configENS1_25partition_config_selectorILNS1_17partition_subalgoE8EtNS0_10empty_typeEbEEZZNS1_14partition_implILS5_8ELb0ES3_jN6thrust23THRUST_200600_302600_NS6detail15normal_iteratorINSA_10device_ptrItEEEEPS6_PKS6_NS0_5tupleIJSF_S6_EEENSJ_IJSG_SG_EEENS0_18inequality_wrapperINSA_8equal_toItEEEEPmJS6_EEE10hipError_tPvRmT3_T4_T5_T6_T7_T9_mT8_P12ihipStream_tbDpT10_ENKUlT_T0_E_clISt17integral_constantIbLb1EES19_IbLb0EEEEDaS15_S16_EUlS15_E_NS1_11comp_targetILNS1_3genE0ELNS1_11target_archE4294967295ELNS1_3gpuE0ELNS1_3repE0EEENS1_30default_config_static_selectorELNS0_4arch9wavefront6targetE1EEEvT1_
	.p2align	8
	.type	_ZN7rocprim17ROCPRIM_400000_NS6detail17trampoline_kernelINS0_14default_configENS1_25partition_config_selectorILNS1_17partition_subalgoE8EtNS0_10empty_typeEbEEZZNS1_14partition_implILS5_8ELb0ES3_jN6thrust23THRUST_200600_302600_NS6detail15normal_iteratorINSA_10device_ptrItEEEEPS6_PKS6_NS0_5tupleIJSF_S6_EEENSJ_IJSG_SG_EEENS0_18inequality_wrapperINSA_8equal_toItEEEEPmJS6_EEE10hipError_tPvRmT3_T4_T5_T6_T7_T9_mT8_P12ihipStream_tbDpT10_ENKUlT_T0_E_clISt17integral_constantIbLb1EES19_IbLb0EEEEDaS15_S16_EUlS15_E_NS1_11comp_targetILNS1_3genE0ELNS1_11target_archE4294967295ELNS1_3gpuE0ELNS1_3repE0EEENS1_30default_config_static_selectorELNS0_4arch9wavefront6targetE1EEEvT1_,@function
_ZN7rocprim17ROCPRIM_400000_NS6detail17trampoline_kernelINS0_14default_configENS1_25partition_config_selectorILNS1_17partition_subalgoE8EtNS0_10empty_typeEbEEZZNS1_14partition_implILS5_8ELb0ES3_jN6thrust23THRUST_200600_302600_NS6detail15normal_iteratorINSA_10device_ptrItEEEEPS6_PKS6_NS0_5tupleIJSF_S6_EEENSJ_IJSG_SG_EEENS0_18inequality_wrapperINSA_8equal_toItEEEEPmJS6_EEE10hipError_tPvRmT3_T4_T5_T6_T7_T9_mT8_P12ihipStream_tbDpT10_ENKUlT_T0_E_clISt17integral_constantIbLb1EES19_IbLb0EEEEDaS15_S16_EUlS15_E_NS1_11comp_targetILNS1_3genE0ELNS1_11target_archE4294967295ELNS1_3gpuE0ELNS1_3repE0EEENS1_30default_config_static_selectorELNS0_4arch9wavefront6targetE1EEEvT1_: ; @_ZN7rocprim17ROCPRIM_400000_NS6detail17trampoline_kernelINS0_14default_configENS1_25partition_config_selectorILNS1_17partition_subalgoE8EtNS0_10empty_typeEbEEZZNS1_14partition_implILS5_8ELb0ES3_jN6thrust23THRUST_200600_302600_NS6detail15normal_iteratorINSA_10device_ptrItEEEEPS6_PKS6_NS0_5tupleIJSF_S6_EEENSJ_IJSG_SG_EEENS0_18inequality_wrapperINSA_8equal_toItEEEEPmJS6_EEE10hipError_tPvRmT3_T4_T5_T6_T7_T9_mT8_P12ihipStream_tbDpT10_ENKUlT_T0_E_clISt17integral_constantIbLb1EES19_IbLb0EEEEDaS15_S16_EUlS15_E_NS1_11comp_targetILNS1_3genE0ELNS1_11target_archE4294967295ELNS1_3gpuE0ELNS1_3repE0EEENS1_30default_config_static_selectorELNS0_4arch9wavefront6targetE1EEEvT1_
; %bb.0:
	.section	.rodata,"a",@progbits
	.p2align	6, 0x0
	.amdhsa_kernel _ZN7rocprim17ROCPRIM_400000_NS6detail17trampoline_kernelINS0_14default_configENS1_25partition_config_selectorILNS1_17partition_subalgoE8EtNS0_10empty_typeEbEEZZNS1_14partition_implILS5_8ELb0ES3_jN6thrust23THRUST_200600_302600_NS6detail15normal_iteratorINSA_10device_ptrItEEEEPS6_PKS6_NS0_5tupleIJSF_S6_EEENSJ_IJSG_SG_EEENS0_18inequality_wrapperINSA_8equal_toItEEEEPmJS6_EEE10hipError_tPvRmT3_T4_T5_T6_T7_T9_mT8_P12ihipStream_tbDpT10_ENKUlT_T0_E_clISt17integral_constantIbLb1EES19_IbLb0EEEEDaS15_S16_EUlS15_E_NS1_11comp_targetILNS1_3genE0ELNS1_11target_archE4294967295ELNS1_3gpuE0ELNS1_3repE0EEENS1_30default_config_static_selectorELNS0_4arch9wavefront6targetE1EEEvT1_
		.amdhsa_group_segment_fixed_size 0
		.amdhsa_private_segment_fixed_size 0
		.amdhsa_kernarg_size 112
		.amdhsa_user_sgpr_count 6
		.amdhsa_user_sgpr_private_segment_buffer 1
		.amdhsa_user_sgpr_dispatch_ptr 0
		.amdhsa_user_sgpr_queue_ptr 0
		.amdhsa_user_sgpr_kernarg_segment_ptr 1
		.amdhsa_user_sgpr_dispatch_id 0
		.amdhsa_user_sgpr_flat_scratch_init 0
		.amdhsa_user_sgpr_private_segment_size 0
		.amdhsa_uses_dynamic_stack 0
		.amdhsa_system_sgpr_private_segment_wavefront_offset 0
		.amdhsa_system_sgpr_workgroup_id_x 1
		.amdhsa_system_sgpr_workgroup_id_y 0
		.amdhsa_system_sgpr_workgroup_id_z 0
		.amdhsa_system_sgpr_workgroup_info 0
		.amdhsa_system_vgpr_workitem_id 0
		.amdhsa_next_free_vgpr 1
		.amdhsa_next_free_sgpr 0
		.amdhsa_reserve_vcc 0
		.amdhsa_reserve_flat_scratch 0
		.amdhsa_float_round_mode_32 0
		.amdhsa_float_round_mode_16_64 0
		.amdhsa_float_denorm_mode_32 3
		.amdhsa_float_denorm_mode_16_64 3
		.amdhsa_dx10_clamp 1
		.amdhsa_ieee_mode 1
		.amdhsa_fp16_overflow 0
		.amdhsa_exception_fp_ieee_invalid_op 0
		.amdhsa_exception_fp_denorm_src 0
		.amdhsa_exception_fp_ieee_div_zero 0
		.amdhsa_exception_fp_ieee_overflow 0
		.amdhsa_exception_fp_ieee_underflow 0
		.amdhsa_exception_fp_ieee_inexact 0
		.amdhsa_exception_int_div_zero 0
	.end_amdhsa_kernel
	.section	.text._ZN7rocprim17ROCPRIM_400000_NS6detail17trampoline_kernelINS0_14default_configENS1_25partition_config_selectorILNS1_17partition_subalgoE8EtNS0_10empty_typeEbEEZZNS1_14partition_implILS5_8ELb0ES3_jN6thrust23THRUST_200600_302600_NS6detail15normal_iteratorINSA_10device_ptrItEEEEPS6_PKS6_NS0_5tupleIJSF_S6_EEENSJ_IJSG_SG_EEENS0_18inequality_wrapperINSA_8equal_toItEEEEPmJS6_EEE10hipError_tPvRmT3_T4_T5_T6_T7_T9_mT8_P12ihipStream_tbDpT10_ENKUlT_T0_E_clISt17integral_constantIbLb1EES19_IbLb0EEEEDaS15_S16_EUlS15_E_NS1_11comp_targetILNS1_3genE0ELNS1_11target_archE4294967295ELNS1_3gpuE0ELNS1_3repE0EEENS1_30default_config_static_selectorELNS0_4arch9wavefront6targetE1EEEvT1_,"axG",@progbits,_ZN7rocprim17ROCPRIM_400000_NS6detail17trampoline_kernelINS0_14default_configENS1_25partition_config_selectorILNS1_17partition_subalgoE8EtNS0_10empty_typeEbEEZZNS1_14partition_implILS5_8ELb0ES3_jN6thrust23THRUST_200600_302600_NS6detail15normal_iteratorINSA_10device_ptrItEEEEPS6_PKS6_NS0_5tupleIJSF_S6_EEENSJ_IJSG_SG_EEENS0_18inequality_wrapperINSA_8equal_toItEEEEPmJS6_EEE10hipError_tPvRmT3_T4_T5_T6_T7_T9_mT8_P12ihipStream_tbDpT10_ENKUlT_T0_E_clISt17integral_constantIbLb1EES19_IbLb0EEEEDaS15_S16_EUlS15_E_NS1_11comp_targetILNS1_3genE0ELNS1_11target_archE4294967295ELNS1_3gpuE0ELNS1_3repE0EEENS1_30default_config_static_selectorELNS0_4arch9wavefront6targetE1EEEvT1_,comdat
.Lfunc_end291:
	.size	_ZN7rocprim17ROCPRIM_400000_NS6detail17trampoline_kernelINS0_14default_configENS1_25partition_config_selectorILNS1_17partition_subalgoE8EtNS0_10empty_typeEbEEZZNS1_14partition_implILS5_8ELb0ES3_jN6thrust23THRUST_200600_302600_NS6detail15normal_iteratorINSA_10device_ptrItEEEEPS6_PKS6_NS0_5tupleIJSF_S6_EEENSJ_IJSG_SG_EEENS0_18inequality_wrapperINSA_8equal_toItEEEEPmJS6_EEE10hipError_tPvRmT3_T4_T5_T6_T7_T9_mT8_P12ihipStream_tbDpT10_ENKUlT_T0_E_clISt17integral_constantIbLb1EES19_IbLb0EEEEDaS15_S16_EUlS15_E_NS1_11comp_targetILNS1_3genE0ELNS1_11target_archE4294967295ELNS1_3gpuE0ELNS1_3repE0EEENS1_30default_config_static_selectorELNS0_4arch9wavefront6targetE1EEEvT1_, .Lfunc_end291-_ZN7rocprim17ROCPRIM_400000_NS6detail17trampoline_kernelINS0_14default_configENS1_25partition_config_selectorILNS1_17partition_subalgoE8EtNS0_10empty_typeEbEEZZNS1_14partition_implILS5_8ELb0ES3_jN6thrust23THRUST_200600_302600_NS6detail15normal_iteratorINSA_10device_ptrItEEEEPS6_PKS6_NS0_5tupleIJSF_S6_EEENSJ_IJSG_SG_EEENS0_18inequality_wrapperINSA_8equal_toItEEEEPmJS6_EEE10hipError_tPvRmT3_T4_T5_T6_T7_T9_mT8_P12ihipStream_tbDpT10_ENKUlT_T0_E_clISt17integral_constantIbLb1EES19_IbLb0EEEEDaS15_S16_EUlS15_E_NS1_11comp_targetILNS1_3genE0ELNS1_11target_archE4294967295ELNS1_3gpuE0ELNS1_3repE0EEENS1_30default_config_static_selectorELNS0_4arch9wavefront6targetE1EEEvT1_
                                        ; -- End function
	.set _ZN7rocprim17ROCPRIM_400000_NS6detail17trampoline_kernelINS0_14default_configENS1_25partition_config_selectorILNS1_17partition_subalgoE8EtNS0_10empty_typeEbEEZZNS1_14partition_implILS5_8ELb0ES3_jN6thrust23THRUST_200600_302600_NS6detail15normal_iteratorINSA_10device_ptrItEEEEPS6_PKS6_NS0_5tupleIJSF_S6_EEENSJ_IJSG_SG_EEENS0_18inequality_wrapperINSA_8equal_toItEEEEPmJS6_EEE10hipError_tPvRmT3_T4_T5_T6_T7_T9_mT8_P12ihipStream_tbDpT10_ENKUlT_T0_E_clISt17integral_constantIbLb1EES19_IbLb0EEEEDaS15_S16_EUlS15_E_NS1_11comp_targetILNS1_3genE0ELNS1_11target_archE4294967295ELNS1_3gpuE0ELNS1_3repE0EEENS1_30default_config_static_selectorELNS0_4arch9wavefront6targetE1EEEvT1_.num_vgpr, 0
	.set _ZN7rocprim17ROCPRIM_400000_NS6detail17trampoline_kernelINS0_14default_configENS1_25partition_config_selectorILNS1_17partition_subalgoE8EtNS0_10empty_typeEbEEZZNS1_14partition_implILS5_8ELb0ES3_jN6thrust23THRUST_200600_302600_NS6detail15normal_iteratorINSA_10device_ptrItEEEEPS6_PKS6_NS0_5tupleIJSF_S6_EEENSJ_IJSG_SG_EEENS0_18inequality_wrapperINSA_8equal_toItEEEEPmJS6_EEE10hipError_tPvRmT3_T4_T5_T6_T7_T9_mT8_P12ihipStream_tbDpT10_ENKUlT_T0_E_clISt17integral_constantIbLb1EES19_IbLb0EEEEDaS15_S16_EUlS15_E_NS1_11comp_targetILNS1_3genE0ELNS1_11target_archE4294967295ELNS1_3gpuE0ELNS1_3repE0EEENS1_30default_config_static_selectorELNS0_4arch9wavefront6targetE1EEEvT1_.num_agpr, 0
	.set _ZN7rocprim17ROCPRIM_400000_NS6detail17trampoline_kernelINS0_14default_configENS1_25partition_config_selectorILNS1_17partition_subalgoE8EtNS0_10empty_typeEbEEZZNS1_14partition_implILS5_8ELb0ES3_jN6thrust23THRUST_200600_302600_NS6detail15normal_iteratorINSA_10device_ptrItEEEEPS6_PKS6_NS0_5tupleIJSF_S6_EEENSJ_IJSG_SG_EEENS0_18inequality_wrapperINSA_8equal_toItEEEEPmJS6_EEE10hipError_tPvRmT3_T4_T5_T6_T7_T9_mT8_P12ihipStream_tbDpT10_ENKUlT_T0_E_clISt17integral_constantIbLb1EES19_IbLb0EEEEDaS15_S16_EUlS15_E_NS1_11comp_targetILNS1_3genE0ELNS1_11target_archE4294967295ELNS1_3gpuE0ELNS1_3repE0EEENS1_30default_config_static_selectorELNS0_4arch9wavefront6targetE1EEEvT1_.numbered_sgpr, 0
	.set _ZN7rocprim17ROCPRIM_400000_NS6detail17trampoline_kernelINS0_14default_configENS1_25partition_config_selectorILNS1_17partition_subalgoE8EtNS0_10empty_typeEbEEZZNS1_14partition_implILS5_8ELb0ES3_jN6thrust23THRUST_200600_302600_NS6detail15normal_iteratorINSA_10device_ptrItEEEEPS6_PKS6_NS0_5tupleIJSF_S6_EEENSJ_IJSG_SG_EEENS0_18inequality_wrapperINSA_8equal_toItEEEEPmJS6_EEE10hipError_tPvRmT3_T4_T5_T6_T7_T9_mT8_P12ihipStream_tbDpT10_ENKUlT_T0_E_clISt17integral_constantIbLb1EES19_IbLb0EEEEDaS15_S16_EUlS15_E_NS1_11comp_targetILNS1_3genE0ELNS1_11target_archE4294967295ELNS1_3gpuE0ELNS1_3repE0EEENS1_30default_config_static_selectorELNS0_4arch9wavefront6targetE1EEEvT1_.num_named_barrier, 0
	.set _ZN7rocprim17ROCPRIM_400000_NS6detail17trampoline_kernelINS0_14default_configENS1_25partition_config_selectorILNS1_17partition_subalgoE8EtNS0_10empty_typeEbEEZZNS1_14partition_implILS5_8ELb0ES3_jN6thrust23THRUST_200600_302600_NS6detail15normal_iteratorINSA_10device_ptrItEEEEPS6_PKS6_NS0_5tupleIJSF_S6_EEENSJ_IJSG_SG_EEENS0_18inequality_wrapperINSA_8equal_toItEEEEPmJS6_EEE10hipError_tPvRmT3_T4_T5_T6_T7_T9_mT8_P12ihipStream_tbDpT10_ENKUlT_T0_E_clISt17integral_constantIbLb1EES19_IbLb0EEEEDaS15_S16_EUlS15_E_NS1_11comp_targetILNS1_3genE0ELNS1_11target_archE4294967295ELNS1_3gpuE0ELNS1_3repE0EEENS1_30default_config_static_selectorELNS0_4arch9wavefront6targetE1EEEvT1_.private_seg_size, 0
	.set _ZN7rocprim17ROCPRIM_400000_NS6detail17trampoline_kernelINS0_14default_configENS1_25partition_config_selectorILNS1_17partition_subalgoE8EtNS0_10empty_typeEbEEZZNS1_14partition_implILS5_8ELb0ES3_jN6thrust23THRUST_200600_302600_NS6detail15normal_iteratorINSA_10device_ptrItEEEEPS6_PKS6_NS0_5tupleIJSF_S6_EEENSJ_IJSG_SG_EEENS0_18inequality_wrapperINSA_8equal_toItEEEEPmJS6_EEE10hipError_tPvRmT3_T4_T5_T6_T7_T9_mT8_P12ihipStream_tbDpT10_ENKUlT_T0_E_clISt17integral_constantIbLb1EES19_IbLb0EEEEDaS15_S16_EUlS15_E_NS1_11comp_targetILNS1_3genE0ELNS1_11target_archE4294967295ELNS1_3gpuE0ELNS1_3repE0EEENS1_30default_config_static_selectorELNS0_4arch9wavefront6targetE1EEEvT1_.uses_vcc, 0
	.set _ZN7rocprim17ROCPRIM_400000_NS6detail17trampoline_kernelINS0_14default_configENS1_25partition_config_selectorILNS1_17partition_subalgoE8EtNS0_10empty_typeEbEEZZNS1_14partition_implILS5_8ELb0ES3_jN6thrust23THRUST_200600_302600_NS6detail15normal_iteratorINSA_10device_ptrItEEEEPS6_PKS6_NS0_5tupleIJSF_S6_EEENSJ_IJSG_SG_EEENS0_18inequality_wrapperINSA_8equal_toItEEEEPmJS6_EEE10hipError_tPvRmT3_T4_T5_T6_T7_T9_mT8_P12ihipStream_tbDpT10_ENKUlT_T0_E_clISt17integral_constantIbLb1EES19_IbLb0EEEEDaS15_S16_EUlS15_E_NS1_11comp_targetILNS1_3genE0ELNS1_11target_archE4294967295ELNS1_3gpuE0ELNS1_3repE0EEENS1_30default_config_static_selectorELNS0_4arch9wavefront6targetE1EEEvT1_.uses_flat_scratch, 0
	.set _ZN7rocprim17ROCPRIM_400000_NS6detail17trampoline_kernelINS0_14default_configENS1_25partition_config_selectorILNS1_17partition_subalgoE8EtNS0_10empty_typeEbEEZZNS1_14partition_implILS5_8ELb0ES3_jN6thrust23THRUST_200600_302600_NS6detail15normal_iteratorINSA_10device_ptrItEEEEPS6_PKS6_NS0_5tupleIJSF_S6_EEENSJ_IJSG_SG_EEENS0_18inequality_wrapperINSA_8equal_toItEEEEPmJS6_EEE10hipError_tPvRmT3_T4_T5_T6_T7_T9_mT8_P12ihipStream_tbDpT10_ENKUlT_T0_E_clISt17integral_constantIbLb1EES19_IbLb0EEEEDaS15_S16_EUlS15_E_NS1_11comp_targetILNS1_3genE0ELNS1_11target_archE4294967295ELNS1_3gpuE0ELNS1_3repE0EEENS1_30default_config_static_selectorELNS0_4arch9wavefront6targetE1EEEvT1_.has_dyn_sized_stack, 0
	.set _ZN7rocprim17ROCPRIM_400000_NS6detail17trampoline_kernelINS0_14default_configENS1_25partition_config_selectorILNS1_17partition_subalgoE8EtNS0_10empty_typeEbEEZZNS1_14partition_implILS5_8ELb0ES3_jN6thrust23THRUST_200600_302600_NS6detail15normal_iteratorINSA_10device_ptrItEEEEPS6_PKS6_NS0_5tupleIJSF_S6_EEENSJ_IJSG_SG_EEENS0_18inequality_wrapperINSA_8equal_toItEEEEPmJS6_EEE10hipError_tPvRmT3_T4_T5_T6_T7_T9_mT8_P12ihipStream_tbDpT10_ENKUlT_T0_E_clISt17integral_constantIbLb1EES19_IbLb0EEEEDaS15_S16_EUlS15_E_NS1_11comp_targetILNS1_3genE0ELNS1_11target_archE4294967295ELNS1_3gpuE0ELNS1_3repE0EEENS1_30default_config_static_selectorELNS0_4arch9wavefront6targetE1EEEvT1_.has_recursion, 0
	.set _ZN7rocprim17ROCPRIM_400000_NS6detail17trampoline_kernelINS0_14default_configENS1_25partition_config_selectorILNS1_17partition_subalgoE8EtNS0_10empty_typeEbEEZZNS1_14partition_implILS5_8ELb0ES3_jN6thrust23THRUST_200600_302600_NS6detail15normal_iteratorINSA_10device_ptrItEEEEPS6_PKS6_NS0_5tupleIJSF_S6_EEENSJ_IJSG_SG_EEENS0_18inequality_wrapperINSA_8equal_toItEEEEPmJS6_EEE10hipError_tPvRmT3_T4_T5_T6_T7_T9_mT8_P12ihipStream_tbDpT10_ENKUlT_T0_E_clISt17integral_constantIbLb1EES19_IbLb0EEEEDaS15_S16_EUlS15_E_NS1_11comp_targetILNS1_3genE0ELNS1_11target_archE4294967295ELNS1_3gpuE0ELNS1_3repE0EEENS1_30default_config_static_selectorELNS0_4arch9wavefront6targetE1EEEvT1_.has_indirect_call, 0
	.section	.AMDGPU.csdata,"",@progbits
; Kernel info:
; codeLenInByte = 0
; TotalNumSgprs: 4
; NumVgprs: 0
; ScratchSize: 0
; MemoryBound: 0
; FloatMode: 240
; IeeeMode: 1
; LDSByteSize: 0 bytes/workgroup (compile time only)
; SGPRBlocks: 0
; VGPRBlocks: 0
; NumSGPRsForWavesPerEU: 4
; NumVGPRsForWavesPerEU: 1
; Occupancy: 10
; WaveLimiterHint : 0
; COMPUTE_PGM_RSRC2:SCRATCH_EN: 0
; COMPUTE_PGM_RSRC2:USER_SGPR: 6
; COMPUTE_PGM_RSRC2:TRAP_HANDLER: 0
; COMPUTE_PGM_RSRC2:TGID_X_EN: 1
; COMPUTE_PGM_RSRC2:TGID_Y_EN: 0
; COMPUTE_PGM_RSRC2:TGID_Z_EN: 0
; COMPUTE_PGM_RSRC2:TIDIG_COMP_CNT: 0
	.section	.text._ZN7rocprim17ROCPRIM_400000_NS6detail17trampoline_kernelINS0_14default_configENS1_25partition_config_selectorILNS1_17partition_subalgoE8EtNS0_10empty_typeEbEEZZNS1_14partition_implILS5_8ELb0ES3_jN6thrust23THRUST_200600_302600_NS6detail15normal_iteratorINSA_10device_ptrItEEEEPS6_PKS6_NS0_5tupleIJSF_S6_EEENSJ_IJSG_SG_EEENS0_18inequality_wrapperINSA_8equal_toItEEEEPmJS6_EEE10hipError_tPvRmT3_T4_T5_T6_T7_T9_mT8_P12ihipStream_tbDpT10_ENKUlT_T0_E_clISt17integral_constantIbLb1EES19_IbLb0EEEEDaS15_S16_EUlS15_E_NS1_11comp_targetILNS1_3genE5ELNS1_11target_archE942ELNS1_3gpuE9ELNS1_3repE0EEENS1_30default_config_static_selectorELNS0_4arch9wavefront6targetE1EEEvT1_,"axG",@progbits,_ZN7rocprim17ROCPRIM_400000_NS6detail17trampoline_kernelINS0_14default_configENS1_25partition_config_selectorILNS1_17partition_subalgoE8EtNS0_10empty_typeEbEEZZNS1_14partition_implILS5_8ELb0ES3_jN6thrust23THRUST_200600_302600_NS6detail15normal_iteratorINSA_10device_ptrItEEEEPS6_PKS6_NS0_5tupleIJSF_S6_EEENSJ_IJSG_SG_EEENS0_18inequality_wrapperINSA_8equal_toItEEEEPmJS6_EEE10hipError_tPvRmT3_T4_T5_T6_T7_T9_mT8_P12ihipStream_tbDpT10_ENKUlT_T0_E_clISt17integral_constantIbLb1EES19_IbLb0EEEEDaS15_S16_EUlS15_E_NS1_11comp_targetILNS1_3genE5ELNS1_11target_archE942ELNS1_3gpuE9ELNS1_3repE0EEENS1_30default_config_static_selectorELNS0_4arch9wavefront6targetE1EEEvT1_,comdat
	.protected	_ZN7rocprim17ROCPRIM_400000_NS6detail17trampoline_kernelINS0_14default_configENS1_25partition_config_selectorILNS1_17partition_subalgoE8EtNS0_10empty_typeEbEEZZNS1_14partition_implILS5_8ELb0ES3_jN6thrust23THRUST_200600_302600_NS6detail15normal_iteratorINSA_10device_ptrItEEEEPS6_PKS6_NS0_5tupleIJSF_S6_EEENSJ_IJSG_SG_EEENS0_18inequality_wrapperINSA_8equal_toItEEEEPmJS6_EEE10hipError_tPvRmT3_T4_T5_T6_T7_T9_mT8_P12ihipStream_tbDpT10_ENKUlT_T0_E_clISt17integral_constantIbLb1EES19_IbLb0EEEEDaS15_S16_EUlS15_E_NS1_11comp_targetILNS1_3genE5ELNS1_11target_archE942ELNS1_3gpuE9ELNS1_3repE0EEENS1_30default_config_static_selectorELNS0_4arch9wavefront6targetE1EEEvT1_ ; -- Begin function _ZN7rocprim17ROCPRIM_400000_NS6detail17trampoline_kernelINS0_14default_configENS1_25partition_config_selectorILNS1_17partition_subalgoE8EtNS0_10empty_typeEbEEZZNS1_14partition_implILS5_8ELb0ES3_jN6thrust23THRUST_200600_302600_NS6detail15normal_iteratorINSA_10device_ptrItEEEEPS6_PKS6_NS0_5tupleIJSF_S6_EEENSJ_IJSG_SG_EEENS0_18inequality_wrapperINSA_8equal_toItEEEEPmJS6_EEE10hipError_tPvRmT3_T4_T5_T6_T7_T9_mT8_P12ihipStream_tbDpT10_ENKUlT_T0_E_clISt17integral_constantIbLb1EES19_IbLb0EEEEDaS15_S16_EUlS15_E_NS1_11comp_targetILNS1_3genE5ELNS1_11target_archE942ELNS1_3gpuE9ELNS1_3repE0EEENS1_30default_config_static_selectorELNS0_4arch9wavefront6targetE1EEEvT1_
	.globl	_ZN7rocprim17ROCPRIM_400000_NS6detail17trampoline_kernelINS0_14default_configENS1_25partition_config_selectorILNS1_17partition_subalgoE8EtNS0_10empty_typeEbEEZZNS1_14partition_implILS5_8ELb0ES3_jN6thrust23THRUST_200600_302600_NS6detail15normal_iteratorINSA_10device_ptrItEEEEPS6_PKS6_NS0_5tupleIJSF_S6_EEENSJ_IJSG_SG_EEENS0_18inequality_wrapperINSA_8equal_toItEEEEPmJS6_EEE10hipError_tPvRmT3_T4_T5_T6_T7_T9_mT8_P12ihipStream_tbDpT10_ENKUlT_T0_E_clISt17integral_constantIbLb1EES19_IbLb0EEEEDaS15_S16_EUlS15_E_NS1_11comp_targetILNS1_3genE5ELNS1_11target_archE942ELNS1_3gpuE9ELNS1_3repE0EEENS1_30default_config_static_selectorELNS0_4arch9wavefront6targetE1EEEvT1_
	.p2align	8
	.type	_ZN7rocprim17ROCPRIM_400000_NS6detail17trampoline_kernelINS0_14default_configENS1_25partition_config_selectorILNS1_17partition_subalgoE8EtNS0_10empty_typeEbEEZZNS1_14partition_implILS5_8ELb0ES3_jN6thrust23THRUST_200600_302600_NS6detail15normal_iteratorINSA_10device_ptrItEEEEPS6_PKS6_NS0_5tupleIJSF_S6_EEENSJ_IJSG_SG_EEENS0_18inequality_wrapperINSA_8equal_toItEEEEPmJS6_EEE10hipError_tPvRmT3_T4_T5_T6_T7_T9_mT8_P12ihipStream_tbDpT10_ENKUlT_T0_E_clISt17integral_constantIbLb1EES19_IbLb0EEEEDaS15_S16_EUlS15_E_NS1_11comp_targetILNS1_3genE5ELNS1_11target_archE942ELNS1_3gpuE9ELNS1_3repE0EEENS1_30default_config_static_selectorELNS0_4arch9wavefront6targetE1EEEvT1_,@function
_ZN7rocprim17ROCPRIM_400000_NS6detail17trampoline_kernelINS0_14default_configENS1_25partition_config_selectorILNS1_17partition_subalgoE8EtNS0_10empty_typeEbEEZZNS1_14partition_implILS5_8ELb0ES3_jN6thrust23THRUST_200600_302600_NS6detail15normal_iteratorINSA_10device_ptrItEEEEPS6_PKS6_NS0_5tupleIJSF_S6_EEENSJ_IJSG_SG_EEENS0_18inequality_wrapperINSA_8equal_toItEEEEPmJS6_EEE10hipError_tPvRmT3_T4_T5_T6_T7_T9_mT8_P12ihipStream_tbDpT10_ENKUlT_T0_E_clISt17integral_constantIbLb1EES19_IbLb0EEEEDaS15_S16_EUlS15_E_NS1_11comp_targetILNS1_3genE5ELNS1_11target_archE942ELNS1_3gpuE9ELNS1_3repE0EEENS1_30default_config_static_selectorELNS0_4arch9wavefront6targetE1EEEvT1_: ; @_ZN7rocprim17ROCPRIM_400000_NS6detail17trampoline_kernelINS0_14default_configENS1_25partition_config_selectorILNS1_17partition_subalgoE8EtNS0_10empty_typeEbEEZZNS1_14partition_implILS5_8ELb0ES3_jN6thrust23THRUST_200600_302600_NS6detail15normal_iteratorINSA_10device_ptrItEEEEPS6_PKS6_NS0_5tupleIJSF_S6_EEENSJ_IJSG_SG_EEENS0_18inequality_wrapperINSA_8equal_toItEEEEPmJS6_EEE10hipError_tPvRmT3_T4_T5_T6_T7_T9_mT8_P12ihipStream_tbDpT10_ENKUlT_T0_E_clISt17integral_constantIbLb1EES19_IbLb0EEEEDaS15_S16_EUlS15_E_NS1_11comp_targetILNS1_3genE5ELNS1_11target_archE942ELNS1_3gpuE9ELNS1_3repE0EEENS1_30default_config_static_selectorELNS0_4arch9wavefront6targetE1EEEvT1_
; %bb.0:
	.section	.rodata,"a",@progbits
	.p2align	6, 0x0
	.amdhsa_kernel _ZN7rocprim17ROCPRIM_400000_NS6detail17trampoline_kernelINS0_14default_configENS1_25partition_config_selectorILNS1_17partition_subalgoE8EtNS0_10empty_typeEbEEZZNS1_14partition_implILS5_8ELb0ES3_jN6thrust23THRUST_200600_302600_NS6detail15normal_iteratorINSA_10device_ptrItEEEEPS6_PKS6_NS0_5tupleIJSF_S6_EEENSJ_IJSG_SG_EEENS0_18inequality_wrapperINSA_8equal_toItEEEEPmJS6_EEE10hipError_tPvRmT3_T4_T5_T6_T7_T9_mT8_P12ihipStream_tbDpT10_ENKUlT_T0_E_clISt17integral_constantIbLb1EES19_IbLb0EEEEDaS15_S16_EUlS15_E_NS1_11comp_targetILNS1_3genE5ELNS1_11target_archE942ELNS1_3gpuE9ELNS1_3repE0EEENS1_30default_config_static_selectorELNS0_4arch9wavefront6targetE1EEEvT1_
		.amdhsa_group_segment_fixed_size 0
		.amdhsa_private_segment_fixed_size 0
		.amdhsa_kernarg_size 112
		.amdhsa_user_sgpr_count 6
		.amdhsa_user_sgpr_private_segment_buffer 1
		.amdhsa_user_sgpr_dispatch_ptr 0
		.amdhsa_user_sgpr_queue_ptr 0
		.amdhsa_user_sgpr_kernarg_segment_ptr 1
		.amdhsa_user_sgpr_dispatch_id 0
		.amdhsa_user_sgpr_flat_scratch_init 0
		.amdhsa_user_sgpr_private_segment_size 0
		.amdhsa_uses_dynamic_stack 0
		.amdhsa_system_sgpr_private_segment_wavefront_offset 0
		.amdhsa_system_sgpr_workgroup_id_x 1
		.amdhsa_system_sgpr_workgroup_id_y 0
		.amdhsa_system_sgpr_workgroup_id_z 0
		.amdhsa_system_sgpr_workgroup_info 0
		.amdhsa_system_vgpr_workitem_id 0
		.amdhsa_next_free_vgpr 1
		.amdhsa_next_free_sgpr 0
		.amdhsa_reserve_vcc 0
		.amdhsa_reserve_flat_scratch 0
		.amdhsa_float_round_mode_32 0
		.amdhsa_float_round_mode_16_64 0
		.amdhsa_float_denorm_mode_32 3
		.amdhsa_float_denorm_mode_16_64 3
		.amdhsa_dx10_clamp 1
		.amdhsa_ieee_mode 1
		.amdhsa_fp16_overflow 0
		.amdhsa_exception_fp_ieee_invalid_op 0
		.amdhsa_exception_fp_denorm_src 0
		.amdhsa_exception_fp_ieee_div_zero 0
		.amdhsa_exception_fp_ieee_overflow 0
		.amdhsa_exception_fp_ieee_underflow 0
		.amdhsa_exception_fp_ieee_inexact 0
		.amdhsa_exception_int_div_zero 0
	.end_amdhsa_kernel
	.section	.text._ZN7rocprim17ROCPRIM_400000_NS6detail17trampoline_kernelINS0_14default_configENS1_25partition_config_selectorILNS1_17partition_subalgoE8EtNS0_10empty_typeEbEEZZNS1_14partition_implILS5_8ELb0ES3_jN6thrust23THRUST_200600_302600_NS6detail15normal_iteratorINSA_10device_ptrItEEEEPS6_PKS6_NS0_5tupleIJSF_S6_EEENSJ_IJSG_SG_EEENS0_18inequality_wrapperINSA_8equal_toItEEEEPmJS6_EEE10hipError_tPvRmT3_T4_T5_T6_T7_T9_mT8_P12ihipStream_tbDpT10_ENKUlT_T0_E_clISt17integral_constantIbLb1EES19_IbLb0EEEEDaS15_S16_EUlS15_E_NS1_11comp_targetILNS1_3genE5ELNS1_11target_archE942ELNS1_3gpuE9ELNS1_3repE0EEENS1_30default_config_static_selectorELNS0_4arch9wavefront6targetE1EEEvT1_,"axG",@progbits,_ZN7rocprim17ROCPRIM_400000_NS6detail17trampoline_kernelINS0_14default_configENS1_25partition_config_selectorILNS1_17partition_subalgoE8EtNS0_10empty_typeEbEEZZNS1_14partition_implILS5_8ELb0ES3_jN6thrust23THRUST_200600_302600_NS6detail15normal_iteratorINSA_10device_ptrItEEEEPS6_PKS6_NS0_5tupleIJSF_S6_EEENSJ_IJSG_SG_EEENS0_18inequality_wrapperINSA_8equal_toItEEEEPmJS6_EEE10hipError_tPvRmT3_T4_T5_T6_T7_T9_mT8_P12ihipStream_tbDpT10_ENKUlT_T0_E_clISt17integral_constantIbLb1EES19_IbLb0EEEEDaS15_S16_EUlS15_E_NS1_11comp_targetILNS1_3genE5ELNS1_11target_archE942ELNS1_3gpuE9ELNS1_3repE0EEENS1_30default_config_static_selectorELNS0_4arch9wavefront6targetE1EEEvT1_,comdat
.Lfunc_end292:
	.size	_ZN7rocprim17ROCPRIM_400000_NS6detail17trampoline_kernelINS0_14default_configENS1_25partition_config_selectorILNS1_17partition_subalgoE8EtNS0_10empty_typeEbEEZZNS1_14partition_implILS5_8ELb0ES3_jN6thrust23THRUST_200600_302600_NS6detail15normal_iteratorINSA_10device_ptrItEEEEPS6_PKS6_NS0_5tupleIJSF_S6_EEENSJ_IJSG_SG_EEENS0_18inequality_wrapperINSA_8equal_toItEEEEPmJS6_EEE10hipError_tPvRmT3_T4_T5_T6_T7_T9_mT8_P12ihipStream_tbDpT10_ENKUlT_T0_E_clISt17integral_constantIbLb1EES19_IbLb0EEEEDaS15_S16_EUlS15_E_NS1_11comp_targetILNS1_3genE5ELNS1_11target_archE942ELNS1_3gpuE9ELNS1_3repE0EEENS1_30default_config_static_selectorELNS0_4arch9wavefront6targetE1EEEvT1_, .Lfunc_end292-_ZN7rocprim17ROCPRIM_400000_NS6detail17trampoline_kernelINS0_14default_configENS1_25partition_config_selectorILNS1_17partition_subalgoE8EtNS0_10empty_typeEbEEZZNS1_14partition_implILS5_8ELb0ES3_jN6thrust23THRUST_200600_302600_NS6detail15normal_iteratorINSA_10device_ptrItEEEEPS6_PKS6_NS0_5tupleIJSF_S6_EEENSJ_IJSG_SG_EEENS0_18inequality_wrapperINSA_8equal_toItEEEEPmJS6_EEE10hipError_tPvRmT3_T4_T5_T6_T7_T9_mT8_P12ihipStream_tbDpT10_ENKUlT_T0_E_clISt17integral_constantIbLb1EES19_IbLb0EEEEDaS15_S16_EUlS15_E_NS1_11comp_targetILNS1_3genE5ELNS1_11target_archE942ELNS1_3gpuE9ELNS1_3repE0EEENS1_30default_config_static_selectorELNS0_4arch9wavefront6targetE1EEEvT1_
                                        ; -- End function
	.set _ZN7rocprim17ROCPRIM_400000_NS6detail17trampoline_kernelINS0_14default_configENS1_25partition_config_selectorILNS1_17partition_subalgoE8EtNS0_10empty_typeEbEEZZNS1_14partition_implILS5_8ELb0ES3_jN6thrust23THRUST_200600_302600_NS6detail15normal_iteratorINSA_10device_ptrItEEEEPS6_PKS6_NS0_5tupleIJSF_S6_EEENSJ_IJSG_SG_EEENS0_18inequality_wrapperINSA_8equal_toItEEEEPmJS6_EEE10hipError_tPvRmT3_T4_T5_T6_T7_T9_mT8_P12ihipStream_tbDpT10_ENKUlT_T0_E_clISt17integral_constantIbLb1EES19_IbLb0EEEEDaS15_S16_EUlS15_E_NS1_11comp_targetILNS1_3genE5ELNS1_11target_archE942ELNS1_3gpuE9ELNS1_3repE0EEENS1_30default_config_static_selectorELNS0_4arch9wavefront6targetE1EEEvT1_.num_vgpr, 0
	.set _ZN7rocprim17ROCPRIM_400000_NS6detail17trampoline_kernelINS0_14default_configENS1_25partition_config_selectorILNS1_17partition_subalgoE8EtNS0_10empty_typeEbEEZZNS1_14partition_implILS5_8ELb0ES3_jN6thrust23THRUST_200600_302600_NS6detail15normal_iteratorINSA_10device_ptrItEEEEPS6_PKS6_NS0_5tupleIJSF_S6_EEENSJ_IJSG_SG_EEENS0_18inequality_wrapperINSA_8equal_toItEEEEPmJS6_EEE10hipError_tPvRmT3_T4_T5_T6_T7_T9_mT8_P12ihipStream_tbDpT10_ENKUlT_T0_E_clISt17integral_constantIbLb1EES19_IbLb0EEEEDaS15_S16_EUlS15_E_NS1_11comp_targetILNS1_3genE5ELNS1_11target_archE942ELNS1_3gpuE9ELNS1_3repE0EEENS1_30default_config_static_selectorELNS0_4arch9wavefront6targetE1EEEvT1_.num_agpr, 0
	.set _ZN7rocprim17ROCPRIM_400000_NS6detail17trampoline_kernelINS0_14default_configENS1_25partition_config_selectorILNS1_17partition_subalgoE8EtNS0_10empty_typeEbEEZZNS1_14partition_implILS5_8ELb0ES3_jN6thrust23THRUST_200600_302600_NS6detail15normal_iteratorINSA_10device_ptrItEEEEPS6_PKS6_NS0_5tupleIJSF_S6_EEENSJ_IJSG_SG_EEENS0_18inequality_wrapperINSA_8equal_toItEEEEPmJS6_EEE10hipError_tPvRmT3_T4_T5_T6_T7_T9_mT8_P12ihipStream_tbDpT10_ENKUlT_T0_E_clISt17integral_constantIbLb1EES19_IbLb0EEEEDaS15_S16_EUlS15_E_NS1_11comp_targetILNS1_3genE5ELNS1_11target_archE942ELNS1_3gpuE9ELNS1_3repE0EEENS1_30default_config_static_selectorELNS0_4arch9wavefront6targetE1EEEvT1_.numbered_sgpr, 0
	.set _ZN7rocprim17ROCPRIM_400000_NS6detail17trampoline_kernelINS0_14default_configENS1_25partition_config_selectorILNS1_17partition_subalgoE8EtNS0_10empty_typeEbEEZZNS1_14partition_implILS5_8ELb0ES3_jN6thrust23THRUST_200600_302600_NS6detail15normal_iteratorINSA_10device_ptrItEEEEPS6_PKS6_NS0_5tupleIJSF_S6_EEENSJ_IJSG_SG_EEENS0_18inequality_wrapperINSA_8equal_toItEEEEPmJS6_EEE10hipError_tPvRmT3_T4_T5_T6_T7_T9_mT8_P12ihipStream_tbDpT10_ENKUlT_T0_E_clISt17integral_constantIbLb1EES19_IbLb0EEEEDaS15_S16_EUlS15_E_NS1_11comp_targetILNS1_3genE5ELNS1_11target_archE942ELNS1_3gpuE9ELNS1_3repE0EEENS1_30default_config_static_selectorELNS0_4arch9wavefront6targetE1EEEvT1_.num_named_barrier, 0
	.set _ZN7rocprim17ROCPRIM_400000_NS6detail17trampoline_kernelINS0_14default_configENS1_25partition_config_selectorILNS1_17partition_subalgoE8EtNS0_10empty_typeEbEEZZNS1_14partition_implILS5_8ELb0ES3_jN6thrust23THRUST_200600_302600_NS6detail15normal_iteratorINSA_10device_ptrItEEEEPS6_PKS6_NS0_5tupleIJSF_S6_EEENSJ_IJSG_SG_EEENS0_18inequality_wrapperINSA_8equal_toItEEEEPmJS6_EEE10hipError_tPvRmT3_T4_T5_T6_T7_T9_mT8_P12ihipStream_tbDpT10_ENKUlT_T0_E_clISt17integral_constantIbLb1EES19_IbLb0EEEEDaS15_S16_EUlS15_E_NS1_11comp_targetILNS1_3genE5ELNS1_11target_archE942ELNS1_3gpuE9ELNS1_3repE0EEENS1_30default_config_static_selectorELNS0_4arch9wavefront6targetE1EEEvT1_.private_seg_size, 0
	.set _ZN7rocprim17ROCPRIM_400000_NS6detail17trampoline_kernelINS0_14default_configENS1_25partition_config_selectorILNS1_17partition_subalgoE8EtNS0_10empty_typeEbEEZZNS1_14partition_implILS5_8ELb0ES3_jN6thrust23THRUST_200600_302600_NS6detail15normal_iteratorINSA_10device_ptrItEEEEPS6_PKS6_NS0_5tupleIJSF_S6_EEENSJ_IJSG_SG_EEENS0_18inequality_wrapperINSA_8equal_toItEEEEPmJS6_EEE10hipError_tPvRmT3_T4_T5_T6_T7_T9_mT8_P12ihipStream_tbDpT10_ENKUlT_T0_E_clISt17integral_constantIbLb1EES19_IbLb0EEEEDaS15_S16_EUlS15_E_NS1_11comp_targetILNS1_3genE5ELNS1_11target_archE942ELNS1_3gpuE9ELNS1_3repE0EEENS1_30default_config_static_selectorELNS0_4arch9wavefront6targetE1EEEvT1_.uses_vcc, 0
	.set _ZN7rocprim17ROCPRIM_400000_NS6detail17trampoline_kernelINS0_14default_configENS1_25partition_config_selectorILNS1_17partition_subalgoE8EtNS0_10empty_typeEbEEZZNS1_14partition_implILS5_8ELb0ES3_jN6thrust23THRUST_200600_302600_NS6detail15normal_iteratorINSA_10device_ptrItEEEEPS6_PKS6_NS0_5tupleIJSF_S6_EEENSJ_IJSG_SG_EEENS0_18inequality_wrapperINSA_8equal_toItEEEEPmJS6_EEE10hipError_tPvRmT3_T4_T5_T6_T7_T9_mT8_P12ihipStream_tbDpT10_ENKUlT_T0_E_clISt17integral_constantIbLb1EES19_IbLb0EEEEDaS15_S16_EUlS15_E_NS1_11comp_targetILNS1_3genE5ELNS1_11target_archE942ELNS1_3gpuE9ELNS1_3repE0EEENS1_30default_config_static_selectorELNS0_4arch9wavefront6targetE1EEEvT1_.uses_flat_scratch, 0
	.set _ZN7rocprim17ROCPRIM_400000_NS6detail17trampoline_kernelINS0_14default_configENS1_25partition_config_selectorILNS1_17partition_subalgoE8EtNS0_10empty_typeEbEEZZNS1_14partition_implILS5_8ELb0ES3_jN6thrust23THRUST_200600_302600_NS6detail15normal_iteratorINSA_10device_ptrItEEEEPS6_PKS6_NS0_5tupleIJSF_S6_EEENSJ_IJSG_SG_EEENS0_18inequality_wrapperINSA_8equal_toItEEEEPmJS6_EEE10hipError_tPvRmT3_T4_T5_T6_T7_T9_mT8_P12ihipStream_tbDpT10_ENKUlT_T0_E_clISt17integral_constantIbLb1EES19_IbLb0EEEEDaS15_S16_EUlS15_E_NS1_11comp_targetILNS1_3genE5ELNS1_11target_archE942ELNS1_3gpuE9ELNS1_3repE0EEENS1_30default_config_static_selectorELNS0_4arch9wavefront6targetE1EEEvT1_.has_dyn_sized_stack, 0
	.set _ZN7rocprim17ROCPRIM_400000_NS6detail17trampoline_kernelINS0_14default_configENS1_25partition_config_selectorILNS1_17partition_subalgoE8EtNS0_10empty_typeEbEEZZNS1_14partition_implILS5_8ELb0ES3_jN6thrust23THRUST_200600_302600_NS6detail15normal_iteratorINSA_10device_ptrItEEEEPS6_PKS6_NS0_5tupleIJSF_S6_EEENSJ_IJSG_SG_EEENS0_18inequality_wrapperINSA_8equal_toItEEEEPmJS6_EEE10hipError_tPvRmT3_T4_T5_T6_T7_T9_mT8_P12ihipStream_tbDpT10_ENKUlT_T0_E_clISt17integral_constantIbLb1EES19_IbLb0EEEEDaS15_S16_EUlS15_E_NS1_11comp_targetILNS1_3genE5ELNS1_11target_archE942ELNS1_3gpuE9ELNS1_3repE0EEENS1_30default_config_static_selectorELNS0_4arch9wavefront6targetE1EEEvT1_.has_recursion, 0
	.set _ZN7rocprim17ROCPRIM_400000_NS6detail17trampoline_kernelINS0_14default_configENS1_25partition_config_selectorILNS1_17partition_subalgoE8EtNS0_10empty_typeEbEEZZNS1_14partition_implILS5_8ELb0ES3_jN6thrust23THRUST_200600_302600_NS6detail15normal_iteratorINSA_10device_ptrItEEEEPS6_PKS6_NS0_5tupleIJSF_S6_EEENSJ_IJSG_SG_EEENS0_18inequality_wrapperINSA_8equal_toItEEEEPmJS6_EEE10hipError_tPvRmT3_T4_T5_T6_T7_T9_mT8_P12ihipStream_tbDpT10_ENKUlT_T0_E_clISt17integral_constantIbLb1EES19_IbLb0EEEEDaS15_S16_EUlS15_E_NS1_11comp_targetILNS1_3genE5ELNS1_11target_archE942ELNS1_3gpuE9ELNS1_3repE0EEENS1_30default_config_static_selectorELNS0_4arch9wavefront6targetE1EEEvT1_.has_indirect_call, 0
	.section	.AMDGPU.csdata,"",@progbits
; Kernel info:
; codeLenInByte = 0
; TotalNumSgprs: 4
; NumVgprs: 0
; ScratchSize: 0
; MemoryBound: 0
; FloatMode: 240
; IeeeMode: 1
; LDSByteSize: 0 bytes/workgroup (compile time only)
; SGPRBlocks: 0
; VGPRBlocks: 0
; NumSGPRsForWavesPerEU: 4
; NumVGPRsForWavesPerEU: 1
; Occupancy: 10
; WaveLimiterHint : 0
; COMPUTE_PGM_RSRC2:SCRATCH_EN: 0
; COMPUTE_PGM_RSRC2:USER_SGPR: 6
; COMPUTE_PGM_RSRC2:TRAP_HANDLER: 0
; COMPUTE_PGM_RSRC2:TGID_X_EN: 1
; COMPUTE_PGM_RSRC2:TGID_Y_EN: 0
; COMPUTE_PGM_RSRC2:TGID_Z_EN: 0
; COMPUTE_PGM_RSRC2:TIDIG_COMP_CNT: 0
	.section	.text._ZN7rocprim17ROCPRIM_400000_NS6detail17trampoline_kernelINS0_14default_configENS1_25partition_config_selectorILNS1_17partition_subalgoE8EtNS0_10empty_typeEbEEZZNS1_14partition_implILS5_8ELb0ES3_jN6thrust23THRUST_200600_302600_NS6detail15normal_iteratorINSA_10device_ptrItEEEEPS6_PKS6_NS0_5tupleIJSF_S6_EEENSJ_IJSG_SG_EEENS0_18inequality_wrapperINSA_8equal_toItEEEEPmJS6_EEE10hipError_tPvRmT3_T4_T5_T6_T7_T9_mT8_P12ihipStream_tbDpT10_ENKUlT_T0_E_clISt17integral_constantIbLb1EES19_IbLb0EEEEDaS15_S16_EUlS15_E_NS1_11comp_targetILNS1_3genE4ELNS1_11target_archE910ELNS1_3gpuE8ELNS1_3repE0EEENS1_30default_config_static_selectorELNS0_4arch9wavefront6targetE1EEEvT1_,"axG",@progbits,_ZN7rocprim17ROCPRIM_400000_NS6detail17trampoline_kernelINS0_14default_configENS1_25partition_config_selectorILNS1_17partition_subalgoE8EtNS0_10empty_typeEbEEZZNS1_14partition_implILS5_8ELb0ES3_jN6thrust23THRUST_200600_302600_NS6detail15normal_iteratorINSA_10device_ptrItEEEEPS6_PKS6_NS0_5tupleIJSF_S6_EEENSJ_IJSG_SG_EEENS0_18inequality_wrapperINSA_8equal_toItEEEEPmJS6_EEE10hipError_tPvRmT3_T4_T5_T6_T7_T9_mT8_P12ihipStream_tbDpT10_ENKUlT_T0_E_clISt17integral_constantIbLb1EES19_IbLb0EEEEDaS15_S16_EUlS15_E_NS1_11comp_targetILNS1_3genE4ELNS1_11target_archE910ELNS1_3gpuE8ELNS1_3repE0EEENS1_30default_config_static_selectorELNS0_4arch9wavefront6targetE1EEEvT1_,comdat
	.protected	_ZN7rocprim17ROCPRIM_400000_NS6detail17trampoline_kernelINS0_14default_configENS1_25partition_config_selectorILNS1_17partition_subalgoE8EtNS0_10empty_typeEbEEZZNS1_14partition_implILS5_8ELb0ES3_jN6thrust23THRUST_200600_302600_NS6detail15normal_iteratorINSA_10device_ptrItEEEEPS6_PKS6_NS0_5tupleIJSF_S6_EEENSJ_IJSG_SG_EEENS0_18inequality_wrapperINSA_8equal_toItEEEEPmJS6_EEE10hipError_tPvRmT3_T4_T5_T6_T7_T9_mT8_P12ihipStream_tbDpT10_ENKUlT_T0_E_clISt17integral_constantIbLb1EES19_IbLb0EEEEDaS15_S16_EUlS15_E_NS1_11comp_targetILNS1_3genE4ELNS1_11target_archE910ELNS1_3gpuE8ELNS1_3repE0EEENS1_30default_config_static_selectorELNS0_4arch9wavefront6targetE1EEEvT1_ ; -- Begin function _ZN7rocprim17ROCPRIM_400000_NS6detail17trampoline_kernelINS0_14default_configENS1_25partition_config_selectorILNS1_17partition_subalgoE8EtNS0_10empty_typeEbEEZZNS1_14partition_implILS5_8ELb0ES3_jN6thrust23THRUST_200600_302600_NS6detail15normal_iteratorINSA_10device_ptrItEEEEPS6_PKS6_NS0_5tupleIJSF_S6_EEENSJ_IJSG_SG_EEENS0_18inequality_wrapperINSA_8equal_toItEEEEPmJS6_EEE10hipError_tPvRmT3_T4_T5_T6_T7_T9_mT8_P12ihipStream_tbDpT10_ENKUlT_T0_E_clISt17integral_constantIbLb1EES19_IbLb0EEEEDaS15_S16_EUlS15_E_NS1_11comp_targetILNS1_3genE4ELNS1_11target_archE910ELNS1_3gpuE8ELNS1_3repE0EEENS1_30default_config_static_selectorELNS0_4arch9wavefront6targetE1EEEvT1_
	.globl	_ZN7rocprim17ROCPRIM_400000_NS6detail17trampoline_kernelINS0_14default_configENS1_25partition_config_selectorILNS1_17partition_subalgoE8EtNS0_10empty_typeEbEEZZNS1_14partition_implILS5_8ELb0ES3_jN6thrust23THRUST_200600_302600_NS6detail15normal_iteratorINSA_10device_ptrItEEEEPS6_PKS6_NS0_5tupleIJSF_S6_EEENSJ_IJSG_SG_EEENS0_18inequality_wrapperINSA_8equal_toItEEEEPmJS6_EEE10hipError_tPvRmT3_T4_T5_T6_T7_T9_mT8_P12ihipStream_tbDpT10_ENKUlT_T0_E_clISt17integral_constantIbLb1EES19_IbLb0EEEEDaS15_S16_EUlS15_E_NS1_11comp_targetILNS1_3genE4ELNS1_11target_archE910ELNS1_3gpuE8ELNS1_3repE0EEENS1_30default_config_static_selectorELNS0_4arch9wavefront6targetE1EEEvT1_
	.p2align	8
	.type	_ZN7rocprim17ROCPRIM_400000_NS6detail17trampoline_kernelINS0_14default_configENS1_25partition_config_selectorILNS1_17partition_subalgoE8EtNS0_10empty_typeEbEEZZNS1_14partition_implILS5_8ELb0ES3_jN6thrust23THRUST_200600_302600_NS6detail15normal_iteratorINSA_10device_ptrItEEEEPS6_PKS6_NS0_5tupleIJSF_S6_EEENSJ_IJSG_SG_EEENS0_18inequality_wrapperINSA_8equal_toItEEEEPmJS6_EEE10hipError_tPvRmT3_T4_T5_T6_T7_T9_mT8_P12ihipStream_tbDpT10_ENKUlT_T0_E_clISt17integral_constantIbLb1EES19_IbLb0EEEEDaS15_S16_EUlS15_E_NS1_11comp_targetILNS1_3genE4ELNS1_11target_archE910ELNS1_3gpuE8ELNS1_3repE0EEENS1_30default_config_static_selectorELNS0_4arch9wavefront6targetE1EEEvT1_,@function
_ZN7rocprim17ROCPRIM_400000_NS6detail17trampoline_kernelINS0_14default_configENS1_25partition_config_selectorILNS1_17partition_subalgoE8EtNS0_10empty_typeEbEEZZNS1_14partition_implILS5_8ELb0ES3_jN6thrust23THRUST_200600_302600_NS6detail15normal_iteratorINSA_10device_ptrItEEEEPS6_PKS6_NS0_5tupleIJSF_S6_EEENSJ_IJSG_SG_EEENS0_18inequality_wrapperINSA_8equal_toItEEEEPmJS6_EEE10hipError_tPvRmT3_T4_T5_T6_T7_T9_mT8_P12ihipStream_tbDpT10_ENKUlT_T0_E_clISt17integral_constantIbLb1EES19_IbLb0EEEEDaS15_S16_EUlS15_E_NS1_11comp_targetILNS1_3genE4ELNS1_11target_archE910ELNS1_3gpuE8ELNS1_3repE0EEENS1_30default_config_static_selectorELNS0_4arch9wavefront6targetE1EEEvT1_: ; @_ZN7rocprim17ROCPRIM_400000_NS6detail17trampoline_kernelINS0_14default_configENS1_25partition_config_selectorILNS1_17partition_subalgoE8EtNS0_10empty_typeEbEEZZNS1_14partition_implILS5_8ELb0ES3_jN6thrust23THRUST_200600_302600_NS6detail15normal_iteratorINSA_10device_ptrItEEEEPS6_PKS6_NS0_5tupleIJSF_S6_EEENSJ_IJSG_SG_EEENS0_18inequality_wrapperINSA_8equal_toItEEEEPmJS6_EEE10hipError_tPvRmT3_T4_T5_T6_T7_T9_mT8_P12ihipStream_tbDpT10_ENKUlT_T0_E_clISt17integral_constantIbLb1EES19_IbLb0EEEEDaS15_S16_EUlS15_E_NS1_11comp_targetILNS1_3genE4ELNS1_11target_archE910ELNS1_3gpuE8ELNS1_3repE0EEENS1_30default_config_static_selectorELNS0_4arch9wavefront6targetE1EEEvT1_
; %bb.0:
	.section	.rodata,"a",@progbits
	.p2align	6, 0x0
	.amdhsa_kernel _ZN7rocprim17ROCPRIM_400000_NS6detail17trampoline_kernelINS0_14default_configENS1_25partition_config_selectorILNS1_17partition_subalgoE8EtNS0_10empty_typeEbEEZZNS1_14partition_implILS5_8ELb0ES3_jN6thrust23THRUST_200600_302600_NS6detail15normal_iteratorINSA_10device_ptrItEEEEPS6_PKS6_NS0_5tupleIJSF_S6_EEENSJ_IJSG_SG_EEENS0_18inequality_wrapperINSA_8equal_toItEEEEPmJS6_EEE10hipError_tPvRmT3_T4_T5_T6_T7_T9_mT8_P12ihipStream_tbDpT10_ENKUlT_T0_E_clISt17integral_constantIbLb1EES19_IbLb0EEEEDaS15_S16_EUlS15_E_NS1_11comp_targetILNS1_3genE4ELNS1_11target_archE910ELNS1_3gpuE8ELNS1_3repE0EEENS1_30default_config_static_selectorELNS0_4arch9wavefront6targetE1EEEvT1_
		.amdhsa_group_segment_fixed_size 0
		.amdhsa_private_segment_fixed_size 0
		.amdhsa_kernarg_size 112
		.amdhsa_user_sgpr_count 6
		.amdhsa_user_sgpr_private_segment_buffer 1
		.amdhsa_user_sgpr_dispatch_ptr 0
		.amdhsa_user_sgpr_queue_ptr 0
		.amdhsa_user_sgpr_kernarg_segment_ptr 1
		.amdhsa_user_sgpr_dispatch_id 0
		.amdhsa_user_sgpr_flat_scratch_init 0
		.amdhsa_user_sgpr_private_segment_size 0
		.amdhsa_uses_dynamic_stack 0
		.amdhsa_system_sgpr_private_segment_wavefront_offset 0
		.amdhsa_system_sgpr_workgroup_id_x 1
		.amdhsa_system_sgpr_workgroup_id_y 0
		.amdhsa_system_sgpr_workgroup_id_z 0
		.amdhsa_system_sgpr_workgroup_info 0
		.amdhsa_system_vgpr_workitem_id 0
		.amdhsa_next_free_vgpr 1
		.amdhsa_next_free_sgpr 0
		.amdhsa_reserve_vcc 0
		.amdhsa_reserve_flat_scratch 0
		.amdhsa_float_round_mode_32 0
		.amdhsa_float_round_mode_16_64 0
		.amdhsa_float_denorm_mode_32 3
		.amdhsa_float_denorm_mode_16_64 3
		.amdhsa_dx10_clamp 1
		.amdhsa_ieee_mode 1
		.amdhsa_fp16_overflow 0
		.amdhsa_exception_fp_ieee_invalid_op 0
		.amdhsa_exception_fp_denorm_src 0
		.amdhsa_exception_fp_ieee_div_zero 0
		.amdhsa_exception_fp_ieee_overflow 0
		.amdhsa_exception_fp_ieee_underflow 0
		.amdhsa_exception_fp_ieee_inexact 0
		.amdhsa_exception_int_div_zero 0
	.end_amdhsa_kernel
	.section	.text._ZN7rocprim17ROCPRIM_400000_NS6detail17trampoline_kernelINS0_14default_configENS1_25partition_config_selectorILNS1_17partition_subalgoE8EtNS0_10empty_typeEbEEZZNS1_14partition_implILS5_8ELb0ES3_jN6thrust23THRUST_200600_302600_NS6detail15normal_iteratorINSA_10device_ptrItEEEEPS6_PKS6_NS0_5tupleIJSF_S6_EEENSJ_IJSG_SG_EEENS0_18inequality_wrapperINSA_8equal_toItEEEEPmJS6_EEE10hipError_tPvRmT3_T4_T5_T6_T7_T9_mT8_P12ihipStream_tbDpT10_ENKUlT_T0_E_clISt17integral_constantIbLb1EES19_IbLb0EEEEDaS15_S16_EUlS15_E_NS1_11comp_targetILNS1_3genE4ELNS1_11target_archE910ELNS1_3gpuE8ELNS1_3repE0EEENS1_30default_config_static_selectorELNS0_4arch9wavefront6targetE1EEEvT1_,"axG",@progbits,_ZN7rocprim17ROCPRIM_400000_NS6detail17trampoline_kernelINS0_14default_configENS1_25partition_config_selectorILNS1_17partition_subalgoE8EtNS0_10empty_typeEbEEZZNS1_14partition_implILS5_8ELb0ES3_jN6thrust23THRUST_200600_302600_NS6detail15normal_iteratorINSA_10device_ptrItEEEEPS6_PKS6_NS0_5tupleIJSF_S6_EEENSJ_IJSG_SG_EEENS0_18inequality_wrapperINSA_8equal_toItEEEEPmJS6_EEE10hipError_tPvRmT3_T4_T5_T6_T7_T9_mT8_P12ihipStream_tbDpT10_ENKUlT_T0_E_clISt17integral_constantIbLb1EES19_IbLb0EEEEDaS15_S16_EUlS15_E_NS1_11comp_targetILNS1_3genE4ELNS1_11target_archE910ELNS1_3gpuE8ELNS1_3repE0EEENS1_30default_config_static_selectorELNS0_4arch9wavefront6targetE1EEEvT1_,comdat
.Lfunc_end293:
	.size	_ZN7rocprim17ROCPRIM_400000_NS6detail17trampoline_kernelINS0_14default_configENS1_25partition_config_selectorILNS1_17partition_subalgoE8EtNS0_10empty_typeEbEEZZNS1_14partition_implILS5_8ELb0ES3_jN6thrust23THRUST_200600_302600_NS6detail15normal_iteratorINSA_10device_ptrItEEEEPS6_PKS6_NS0_5tupleIJSF_S6_EEENSJ_IJSG_SG_EEENS0_18inequality_wrapperINSA_8equal_toItEEEEPmJS6_EEE10hipError_tPvRmT3_T4_T5_T6_T7_T9_mT8_P12ihipStream_tbDpT10_ENKUlT_T0_E_clISt17integral_constantIbLb1EES19_IbLb0EEEEDaS15_S16_EUlS15_E_NS1_11comp_targetILNS1_3genE4ELNS1_11target_archE910ELNS1_3gpuE8ELNS1_3repE0EEENS1_30default_config_static_selectorELNS0_4arch9wavefront6targetE1EEEvT1_, .Lfunc_end293-_ZN7rocprim17ROCPRIM_400000_NS6detail17trampoline_kernelINS0_14default_configENS1_25partition_config_selectorILNS1_17partition_subalgoE8EtNS0_10empty_typeEbEEZZNS1_14partition_implILS5_8ELb0ES3_jN6thrust23THRUST_200600_302600_NS6detail15normal_iteratorINSA_10device_ptrItEEEEPS6_PKS6_NS0_5tupleIJSF_S6_EEENSJ_IJSG_SG_EEENS0_18inequality_wrapperINSA_8equal_toItEEEEPmJS6_EEE10hipError_tPvRmT3_T4_T5_T6_T7_T9_mT8_P12ihipStream_tbDpT10_ENKUlT_T0_E_clISt17integral_constantIbLb1EES19_IbLb0EEEEDaS15_S16_EUlS15_E_NS1_11comp_targetILNS1_3genE4ELNS1_11target_archE910ELNS1_3gpuE8ELNS1_3repE0EEENS1_30default_config_static_selectorELNS0_4arch9wavefront6targetE1EEEvT1_
                                        ; -- End function
	.set _ZN7rocprim17ROCPRIM_400000_NS6detail17trampoline_kernelINS0_14default_configENS1_25partition_config_selectorILNS1_17partition_subalgoE8EtNS0_10empty_typeEbEEZZNS1_14partition_implILS5_8ELb0ES3_jN6thrust23THRUST_200600_302600_NS6detail15normal_iteratorINSA_10device_ptrItEEEEPS6_PKS6_NS0_5tupleIJSF_S6_EEENSJ_IJSG_SG_EEENS0_18inequality_wrapperINSA_8equal_toItEEEEPmJS6_EEE10hipError_tPvRmT3_T4_T5_T6_T7_T9_mT8_P12ihipStream_tbDpT10_ENKUlT_T0_E_clISt17integral_constantIbLb1EES19_IbLb0EEEEDaS15_S16_EUlS15_E_NS1_11comp_targetILNS1_3genE4ELNS1_11target_archE910ELNS1_3gpuE8ELNS1_3repE0EEENS1_30default_config_static_selectorELNS0_4arch9wavefront6targetE1EEEvT1_.num_vgpr, 0
	.set _ZN7rocprim17ROCPRIM_400000_NS6detail17trampoline_kernelINS0_14default_configENS1_25partition_config_selectorILNS1_17partition_subalgoE8EtNS0_10empty_typeEbEEZZNS1_14partition_implILS5_8ELb0ES3_jN6thrust23THRUST_200600_302600_NS6detail15normal_iteratorINSA_10device_ptrItEEEEPS6_PKS6_NS0_5tupleIJSF_S6_EEENSJ_IJSG_SG_EEENS0_18inequality_wrapperINSA_8equal_toItEEEEPmJS6_EEE10hipError_tPvRmT3_T4_T5_T6_T7_T9_mT8_P12ihipStream_tbDpT10_ENKUlT_T0_E_clISt17integral_constantIbLb1EES19_IbLb0EEEEDaS15_S16_EUlS15_E_NS1_11comp_targetILNS1_3genE4ELNS1_11target_archE910ELNS1_3gpuE8ELNS1_3repE0EEENS1_30default_config_static_selectorELNS0_4arch9wavefront6targetE1EEEvT1_.num_agpr, 0
	.set _ZN7rocprim17ROCPRIM_400000_NS6detail17trampoline_kernelINS0_14default_configENS1_25partition_config_selectorILNS1_17partition_subalgoE8EtNS0_10empty_typeEbEEZZNS1_14partition_implILS5_8ELb0ES3_jN6thrust23THRUST_200600_302600_NS6detail15normal_iteratorINSA_10device_ptrItEEEEPS6_PKS6_NS0_5tupleIJSF_S6_EEENSJ_IJSG_SG_EEENS0_18inequality_wrapperINSA_8equal_toItEEEEPmJS6_EEE10hipError_tPvRmT3_T4_T5_T6_T7_T9_mT8_P12ihipStream_tbDpT10_ENKUlT_T0_E_clISt17integral_constantIbLb1EES19_IbLb0EEEEDaS15_S16_EUlS15_E_NS1_11comp_targetILNS1_3genE4ELNS1_11target_archE910ELNS1_3gpuE8ELNS1_3repE0EEENS1_30default_config_static_selectorELNS0_4arch9wavefront6targetE1EEEvT1_.numbered_sgpr, 0
	.set _ZN7rocprim17ROCPRIM_400000_NS6detail17trampoline_kernelINS0_14default_configENS1_25partition_config_selectorILNS1_17partition_subalgoE8EtNS0_10empty_typeEbEEZZNS1_14partition_implILS5_8ELb0ES3_jN6thrust23THRUST_200600_302600_NS6detail15normal_iteratorINSA_10device_ptrItEEEEPS6_PKS6_NS0_5tupleIJSF_S6_EEENSJ_IJSG_SG_EEENS0_18inequality_wrapperINSA_8equal_toItEEEEPmJS6_EEE10hipError_tPvRmT3_T4_T5_T6_T7_T9_mT8_P12ihipStream_tbDpT10_ENKUlT_T0_E_clISt17integral_constantIbLb1EES19_IbLb0EEEEDaS15_S16_EUlS15_E_NS1_11comp_targetILNS1_3genE4ELNS1_11target_archE910ELNS1_3gpuE8ELNS1_3repE0EEENS1_30default_config_static_selectorELNS0_4arch9wavefront6targetE1EEEvT1_.num_named_barrier, 0
	.set _ZN7rocprim17ROCPRIM_400000_NS6detail17trampoline_kernelINS0_14default_configENS1_25partition_config_selectorILNS1_17partition_subalgoE8EtNS0_10empty_typeEbEEZZNS1_14partition_implILS5_8ELb0ES3_jN6thrust23THRUST_200600_302600_NS6detail15normal_iteratorINSA_10device_ptrItEEEEPS6_PKS6_NS0_5tupleIJSF_S6_EEENSJ_IJSG_SG_EEENS0_18inequality_wrapperINSA_8equal_toItEEEEPmJS6_EEE10hipError_tPvRmT3_T4_T5_T6_T7_T9_mT8_P12ihipStream_tbDpT10_ENKUlT_T0_E_clISt17integral_constantIbLb1EES19_IbLb0EEEEDaS15_S16_EUlS15_E_NS1_11comp_targetILNS1_3genE4ELNS1_11target_archE910ELNS1_3gpuE8ELNS1_3repE0EEENS1_30default_config_static_selectorELNS0_4arch9wavefront6targetE1EEEvT1_.private_seg_size, 0
	.set _ZN7rocprim17ROCPRIM_400000_NS6detail17trampoline_kernelINS0_14default_configENS1_25partition_config_selectorILNS1_17partition_subalgoE8EtNS0_10empty_typeEbEEZZNS1_14partition_implILS5_8ELb0ES3_jN6thrust23THRUST_200600_302600_NS6detail15normal_iteratorINSA_10device_ptrItEEEEPS6_PKS6_NS0_5tupleIJSF_S6_EEENSJ_IJSG_SG_EEENS0_18inequality_wrapperINSA_8equal_toItEEEEPmJS6_EEE10hipError_tPvRmT3_T4_T5_T6_T7_T9_mT8_P12ihipStream_tbDpT10_ENKUlT_T0_E_clISt17integral_constantIbLb1EES19_IbLb0EEEEDaS15_S16_EUlS15_E_NS1_11comp_targetILNS1_3genE4ELNS1_11target_archE910ELNS1_3gpuE8ELNS1_3repE0EEENS1_30default_config_static_selectorELNS0_4arch9wavefront6targetE1EEEvT1_.uses_vcc, 0
	.set _ZN7rocprim17ROCPRIM_400000_NS6detail17trampoline_kernelINS0_14default_configENS1_25partition_config_selectorILNS1_17partition_subalgoE8EtNS0_10empty_typeEbEEZZNS1_14partition_implILS5_8ELb0ES3_jN6thrust23THRUST_200600_302600_NS6detail15normal_iteratorINSA_10device_ptrItEEEEPS6_PKS6_NS0_5tupleIJSF_S6_EEENSJ_IJSG_SG_EEENS0_18inequality_wrapperINSA_8equal_toItEEEEPmJS6_EEE10hipError_tPvRmT3_T4_T5_T6_T7_T9_mT8_P12ihipStream_tbDpT10_ENKUlT_T0_E_clISt17integral_constantIbLb1EES19_IbLb0EEEEDaS15_S16_EUlS15_E_NS1_11comp_targetILNS1_3genE4ELNS1_11target_archE910ELNS1_3gpuE8ELNS1_3repE0EEENS1_30default_config_static_selectorELNS0_4arch9wavefront6targetE1EEEvT1_.uses_flat_scratch, 0
	.set _ZN7rocprim17ROCPRIM_400000_NS6detail17trampoline_kernelINS0_14default_configENS1_25partition_config_selectorILNS1_17partition_subalgoE8EtNS0_10empty_typeEbEEZZNS1_14partition_implILS5_8ELb0ES3_jN6thrust23THRUST_200600_302600_NS6detail15normal_iteratorINSA_10device_ptrItEEEEPS6_PKS6_NS0_5tupleIJSF_S6_EEENSJ_IJSG_SG_EEENS0_18inequality_wrapperINSA_8equal_toItEEEEPmJS6_EEE10hipError_tPvRmT3_T4_T5_T6_T7_T9_mT8_P12ihipStream_tbDpT10_ENKUlT_T0_E_clISt17integral_constantIbLb1EES19_IbLb0EEEEDaS15_S16_EUlS15_E_NS1_11comp_targetILNS1_3genE4ELNS1_11target_archE910ELNS1_3gpuE8ELNS1_3repE0EEENS1_30default_config_static_selectorELNS0_4arch9wavefront6targetE1EEEvT1_.has_dyn_sized_stack, 0
	.set _ZN7rocprim17ROCPRIM_400000_NS6detail17trampoline_kernelINS0_14default_configENS1_25partition_config_selectorILNS1_17partition_subalgoE8EtNS0_10empty_typeEbEEZZNS1_14partition_implILS5_8ELb0ES3_jN6thrust23THRUST_200600_302600_NS6detail15normal_iteratorINSA_10device_ptrItEEEEPS6_PKS6_NS0_5tupleIJSF_S6_EEENSJ_IJSG_SG_EEENS0_18inequality_wrapperINSA_8equal_toItEEEEPmJS6_EEE10hipError_tPvRmT3_T4_T5_T6_T7_T9_mT8_P12ihipStream_tbDpT10_ENKUlT_T0_E_clISt17integral_constantIbLb1EES19_IbLb0EEEEDaS15_S16_EUlS15_E_NS1_11comp_targetILNS1_3genE4ELNS1_11target_archE910ELNS1_3gpuE8ELNS1_3repE0EEENS1_30default_config_static_selectorELNS0_4arch9wavefront6targetE1EEEvT1_.has_recursion, 0
	.set _ZN7rocprim17ROCPRIM_400000_NS6detail17trampoline_kernelINS0_14default_configENS1_25partition_config_selectorILNS1_17partition_subalgoE8EtNS0_10empty_typeEbEEZZNS1_14partition_implILS5_8ELb0ES3_jN6thrust23THRUST_200600_302600_NS6detail15normal_iteratorINSA_10device_ptrItEEEEPS6_PKS6_NS0_5tupleIJSF_S6_EEENSJ_IJSG_SG_EEENS0_18inequality_wrapperINSA_8equal_toItEEEEPmJS6_EEE10hipError_tPvRmT3_T4_T5_T6_T7_T9_mT8_P12ihipStream_tbDpT10_ENKUlT_T0_E_clISt17integral_constantIbLb1EES19_IbLb0EEEEDaS15_S16_EUlS15_E_NS1_11comp_targetILNS1_3genE4ELNS1_11target_archE910ELNS1_3gpuE8ELNS1_3repE0EEENS1_30default_config_static_selectorELNS0_4arch9wavefront6targetE1EEEvT1_.has_indirect_call, 0
	.section	.AMDGPU.csdata,"",@progbits
; Kernel info:
; codeLenInByte = 0
; TotalNumSgprs: 4
; NumVgprs: 0
; ScratchSize: 0
; MemoryBound: 0
; FloatMode: 240
; IeeeMode: 1
; LDSByteSize: 0 bytes/workgroup (compile time only)
; SGPRBlocks: 0
; VGPRBlocks: 0
; NumSGPRsForWavesPerEU: 4
; NumVGPRsForWavesPerEU: 1
; Occupancy: 10
; WaveLimiterHint : 0
; COMPUTE_PGM_RSRC2:SCRATCH_EN: 0
; COMPUTE_PGM_RSRC2:USER_SGPR: 6
; COMPUTE_PGM_RSRC2:TRAP_HANDLER: 0
; COMPUTE_PGM_RSRC2:TGID_X_EN: 1
; COMPUTE_PGM_RSRC2:TGID_Y_EN: 0
; COMPUTE_PGM_RSRC2:TGID_Z_EN: 0
; COMPUTE_PGM_RSRC2:TIDIG_COMP_CNT: 0
	.section	.text._ZN7rocprim17ROCPRIM_400000_NS6detail17trampoline_kernelINS0_14default_configENS1_25partition_config_selectorILNS1_17partition_subalgoE8EtNS0_10empty_typeEbEEZZNS1_14partition_implILS5_8ELb0ES3_jN6thrust23THRUST_200600_302600_NS6detail15normal_iteratorINSA_10device_ptrItEEEEPS6_PKS6_NS0_5tupleIJSF_S6_EEENSJ_IJSG_SG_EEENS0_18inequality_wrapperINSA_8equal_toItEEEEPmJS6_EEE10hipError_tPvRmT3_T4_T5_T6_T7_T9_mT8_P12ihipStream_tbDpT10_ENKUlT_T0_E_clISt17integral_constantIbLb1EES19_IbLb0EEEEDaS15_S16_EUlS15_E_NS1_11comp_targetILNS1_3genE3ELNS1_11target_archE908ELNS1_3gpuE7ELNS1_3repE0EEENS1_30default_config_static_selectorELNS0_4arch9wavefront6targetE1EEEvT1_,"axG",@progbits,_ZN7rocprim17ROCPRIM_400000_NS6detail17trampoline_kernelINS0_14default_configENS1_25partition_config_selectorILNS1_17partition_subalgoE8EtNS0_10empty_typeEbEEZZNS1_14partition_implILS5_8ELb0ES3_jN6thrust23THRUST_200600_302600_NS6detail15normal_iteratorINSA_10device_ptrItEEEEPS6_PKS6_NS0_5tupleIJSF_S6_EEENSJ_IJSG_SG_EEENS0_18inequality_wrapperINSA_8equal_toItEEEEPmJS6_EEE10hipError_tPvRmT3_T4_T5_T6_T7_T9_mT8_P12ihipStream_tbDpT10_ENKUlT_T0_E_clISt17integral_constantIbLb1EES19_IbLb0EEEEDaS15_S16_EUlS15_E_NS1_11comp_targetILNS1_3genE3ELNS1_11target_archE908ELNS1_3gpuE7ELNS1_3repE0EEENS1_30default_config_static_selectorELNS0_4arch9wavefront6targetE1EEEvT1_,comdat
	.protected	_ZN7rocprim17ROCPRIM_400000_NS6detail17trampoline_kernelINS0_14default_configENS1_25partition_config_selectorILNS1_17partition_subalgoE8EtNS0_10empty_typeEbEEZZNS1_14partition_implILS5_8ELb0ES3_jN6thrust23THRUST_200600_302600_NS6detail15normal_iteratorINSA_10device_ptrItEEEEPS6_PKS6_NS0_5tupleIJSF_S6_EEENSJ_IJSG_SG_EEENS0_18inequality_wrapperINSA_8equal_toItEEEEPmJS6_EEE10hipError_tPvRmT3_T4_T5_T6_T7_T9_mT8_P12ihipStream_tbDpT10_ENKUlT_T0_E_clISt17integral_constantIbLb1EES19_IbLb0EEEEDaS15_S16_EUlS15_E_NS1_11comp_targetILNS1_3genE3ELNS1_11target_archE908ELNS1_3gpuE7ELNS1_3repE0EEENS1_30default_config_static_selectorELNS0_4arch9wavefront6targetE1EEEvT1_ ; -- Begin function _ZN7rocprim17ROCPRIM_400000_NS6detail17trampoline_kernelINS0_14default_configENS1_25partition_config_selectorILNS1_17partition_subalgoE8EtNS0_10empty_typeEbEEZZNS1_14partition_implILS5_8ELb0ES3_jN6thrust23THRUST_200600_302600_NS6detail15normal_iteratorINSA_10device_ptrItEEEEPS6_PKS6_NS0_5tupleIJSF_S6_EEENSJ_IJSG_SG_EEENS0_18inequality_wrapperINSA_8equal_toItEEEEPmJS6_EEE10hipError_tPvRmT3_T4_T5_T6_T7_T9_mT8_P12ihipStream_tbDpT10_ENKUlT_T0_E_clISt17integral_constantIbLb1EES19_IbLb0EEEEDaS15_S16_EUlS15_E_NS1_11comp_targetILNS1_3genE3ELNS1_11target_archE908ELNS1_3gpuE7ELNS1_3repE0EEENS1_30default_config_static_selectorELNS0_4arch9wavefront6targetE1EEEvT1_
	.globl	_ZN7rocprim17ROCPRIM_400000_NS6detail17trampoline_kernelINS0_14default_configENS1_25partition_config_selectorILNS1_17partition_subalgoE8EtNS0_10empty_typeEbEEZZNS1_14partition_implILS5_8ELb0ES3_jN6thrust23THRUST_200600_302600_NS6detail15normal_iteratorINSA_10device_ptrItEEEEPS6_PKS6_NS0_5tupleIJSF_S6_EEENSJ_IJSG_SG_EEENS0_18inequality_wrapperINSA_8equal_toItEEEEPmJS6_EEE10hipError_tPvRmT3_T4_T5_T6_T7_T9_mT8_P12ihipStream_tbDpT10_ENKUlT_T0_E_clISt17integral_constantIbLb1EES19_IbLb0EEEEDaS15_S16_EUlS15_E_NS1_11comp_targetILNS1_3genE3ELNS1_11target_archE908ELNS1_3gpuE7ELNS1_3repE0EEENS1_30default_config_static_selectorELNS0_4arch9wavefront6targetE1EEEvT1_
	.p2align	8
	.type	_ZN7rocprim17ROCPRIM_400000_NS6detail17trampoline_kernelINS0_14default_configENS1_25partition_config_selectorILNS1_17partition_subalgoE8EtNS0_10empty_typeEbEEZZNS1_14partition_implILS5_8ELb0ES3_jN6thrust23THRUST_200600_302600_NS6detail15normal_iteratorINSA_10device_ptrItEEEEPS6_PKS6_NS0_5tupleIJSF_S6_EEENSJ_IJSG_SG_EEENS0_18inequality_wrapperINSA_8equal_toItEEEEPmJS6_EEE10hipError_tPvRmT3_T4_T5_T6_T7_T9_mT8_P12ihipStream_tbDpT10_ENKUlT_T0_E_clISt17integral_constantIbLb1EES19_IbLb0EEEEDaS15_S16_EUlS15_E_NS1_11comp_targetILNS1_3genE3ELNS1_11target_archE908ELNS1_3gpuE7ELNS1_3repE0EEENS1_30default_config_static_selectorELNS0_4arch9wavefront6targetE1EEEvT1_,@function
_ZN7rocprim17ROCPRIM_400000_NS6detail17trampoline_kernelINS0_14default_configENS1_25partition_config_selectorILNS1_17partition_subalgoE8EtNS0_10empty_typeEbEEZZNS1_14partition_implILS5_8ELb0ES3_jN6thrust23THRUST_200600_302600_NS6detail15normal_iteratorINSA_10device_ptrItEEEEPS6_PKS6_NS0_5tupleIJSF_S6_EEENSJ_IJSG_SG_EEENS0_18inequality_wrapperINSA_8equal_toItEEEEPmJS6_EEE10hipError_tPvRmT3_T4_T5_T6_T7_T9_mT8_P12ihipStream_tbDpT10_ENKUlT_T0_E_clISt17integral_constantIbLb1EES19_IbLb0EEEEDaS15_S16_EUlS15_E_NS1_11comp_targetILNS1_3genE3ELNS1_11target_archE908ELNS1_3gpuE7ELNS1_3repE0EEENS1_30default_config_static_selectorELNS0_4arch9wavefront6targetE1EEEvT1_: ; @_ZN7rocprim17ROCPRIM_400000_NS6detail17trampoline_kernelINS0_14default_configENS1_25partition_config_selectorILNS1_17partition_subalgoE8EtNS0_10empty_typeEbEEZZNS1_14partition_implILS5_8ELb0ES3_jN6thrust23THRUST_200600_302600_NS6detail15normal_iteratorINSA_10device_ptrItEEEEPS6_PKS6_NS0_5tupleIJSF_S6_EEENSJ_IJSG_SG_EEENS0_18inequality_wrapperINSA_8equal_toItEEEEPmJS6_EEE10hipError_tPvRmT3_T4_T5_T6_T7_T9_mT8_P12ihipStream_tbDpT10_ENKUlT_T0_E_clISt17integral_constantIbLb1EES19_IbLb0EEEEDaS15_S16_EUlS15_E_NS1_11comp_targetILNS1_3genE3ELNS1_11target_archE908ELNS1_3gpuE7ELNS1_3repE0EEENS1_30default_config_static_selectorELNS0_4arch9wavefront6targetE1EEEvT1_
; %bb.0:
	.section	.rodata,"a",@progbits
	.p2align	6, 0x0
	.amdhsa_kernel _ZN7rocprim17ROCPRIM_400000_NS6detail17trampoline_kernelINS0_14default_configENS1_25partition_config_selectorILNS1_17partition_subalgoE8EtNS0_10empty_typeEbEEZZNS1_14partition_implILS5_8ELb0ES3_jN6thrust23THRUST_200600_302600_NS6detail15normal_iteratorINSA_10device_ptrItEEEEPS6_PKS6_NS0_5tupleIJSF_S6_EEENSJ_IJSG_SG_EEENS0_18inequality_wrapperINSA_8equal_toItEEEEPmJS6_EEE10hipError_tPvRmT3_T4_T5_T6_T7_T9_mT8_P12ihipStream_tbDpT10_ENKUlT_T0_E_clISt17integral_constantIbLb1EES19_IbLb0EEEEDaS15_S16_EUlS15_E_NS1_11comp_targetILNS1_3genE3ELNS1_11target_archE908ELNS1_3gpuE7ELNS1_3repE0EEENS1_30default_config_static_selectorELNS0_4arch9wavefront6targetE1EEEvT1_
		.amdhsa_group_segment_fixed_size 0
		.amdhsa_private_segment_fixed_size 0
		.amdhsa_kernarg_size 112
		.amdhsa_user_sgpr_count 6
		.amdhsa_user_sgpr_private_segment_buffer 1
		.amdhsa_user_sgpr_dispatch_ptr 0
		.amdhsa_user_sgpr_queue_ptr 0
		.amdhsa_user_sgpr_kernarg_segment_ptr 1
		.amdhsa_user_sgpr_dispatch_id 0
		.amdhsa_user_sgpr_flat_scratch_init 0
		.amdhsa_user_sgpr_private_segment_size 0
		.amdhsa_uses_dynamic_stack 0
		.amdhsa_system_sgpr_private_segment_wavefront_offset 0
		.amdhsa_system_sgpr_workgroup_id_x 1
		.amdhsa_system_sgpr_workgroup_id_y 0
		.amdhsa_system_sgpr_workgroup_id_z 0
		.amdhsa_system_sgpr_workgroup_info 0
		.amdhsa_system_vgpr_workitem_id 0
		.amdhsa_next_free_vgpr 1
		.amdhsa_next_free_sgpr 0
		.amdhsa_reserve_vcc 0
		.amdhsa_reserve_flat_scratch 0
		.amdhsa_float_round_mode_32 0
		.amdhsa_float_round_mode_16_64 0
		.amdhsa_float_denorm_mode_32 3
		.amdhsa_float_denorm_mode_16_64 3
		.amdhsa_dx10_clamp 1
		.amdhsa_ieee_mode 1
		.amdhsa_fp16_overflow 0
		.amdhsa_exception_fp_ieee_invalid_op 0
		.amdhsa_exception_fp_denorm_src 0
		.amdhsa_exception_fp_ieee_div_zero 0
		.amdhsa_exception_fp_ieee_overflow 0
		.amdhsa_exception_fp_ieee_underflow 0
		.amdhsa_exception_fp_ieee_inexact 0
		.amdhsa_exception_int_div_zero 0
	.end_amdhsa_kernel
	.section	.text._ZN7rocprim17ROCPRIM_400000_NS6detail17trampoline_kernelINS0_14default_configENS1_25partition_config_selectorILNS1_17partition_subalgoE8EtNS0_10empty_typeEbEEZZNS1_14partition_implILS5_8ELb0ES3_jN6thrust23THRUST_200600_302600_NS6detail15normal_iteratorINSA_10device_ptrItEEEEPS6_PKS6_NS0_5tupleIJSF_S6_EEENSJ_IJSG_SG_EEENS0_18inequality_wrapperINSA_8equal_toItEEEEPmJS6_EEE10hipError_tPvRmT3_T4_T5_T6_T7_T9_mT8_P12ihipStream_tbDpT10_ENKUlT_T0_E_clISt17integral_constantIbLb1EES19_IbLb0EEEEDaS15_S16_EUlS15_E_NS1_11comp_targetILNS1_3genE3ELNS1_11target_archE908ELNS1_3gpuE7ELNS1_3repE0EEENS1_30default_config_static_selectorELNS0_4arch9wavefront6targetE1EEEvT1_,"axG",@progbits,_ZN7rocprim17ROCPRIM_400000_NS6detail17trampoline_kernelINS0_14default_configENS1_25partition_config_selectorILNS1_17partition_subalgoE8EtNS0_10empty_typeEbEEZZNS1_14partition_implILS5_8ELb0ES3_jN6thrust23THRUST_200600_302600_NS6detail15normal_iteratorINSA_10device_ptrItEEEEPS6_PKS6_NS0_5tupleIJSF_S6_EEENSJ_IJSG_SG_EEENS0_18inequality_wrapperINSA_8equal_toItEEEEPmJS6_EEE10hipError_tPvRmT3_T4_T5_T6_T7_T9_mT8_P12ihipStream_tbDpT10_ENKUlT_T0_E_clISt17integral_constantIbLb1EES19_IbLb0EEEEDaS15_S16_EUlS15_E_NS1_11comp_targetILNS1_3genE3ELNS1_11target_archE908ELNS1_3gpuE7ELNS1_3repE0EEENS1_30default_config_static_selectorELNS0_4arch9wavefront6targetE1EEEvT1_,comdat
.Lfunc_end294:
	.size	_ZN7rocprim17ROCPRIM_400000_NS6detail17trampoline_kernelINS0_14default_configENS1_25partition_config_selectorILNS1_17partition_subalgoE8EtNS0_10empty_typeEbEEZZNS1_14partition_implILS5_8ELb0ES3_jN6thrust23THRUST_200600_302600_NS6detail15normal_iteratorINSA_10device_ptrItEEEEPS6_PKS6_NS0_5tupleIJSF_S6_EEENSJ_IJSG_SG_EEENS0_18inequality_wrapperINSA_8equal_toItEEEEPmJS6_EEE10hipError_tPvRmT3_T4_T5_T6_T7_T9_mT8_P12ihipStream_tbDpT10_ENKUlT_T0_E_clISt17integral_constantIbLb1EES19_IbLb0EEEEDaS15_S16_EUlS15_E_NS1_11comp_targetILNS1_3genE3ELNS1_11target_archE908ELNS1_3gpuE7ELNS1_3repE0EEENS1_30default_config_static_selectorELNS0_4arch9wavefront6targetE1EEEvT1_, .Lfunc_end294-_ZN7rocprim17ROCPRIM_400000_NS6detail17trampoline_kernelINS0_14default_configENS1_25partition_config_selectorILNS1_17partition_subalgoE8EtNS0_10empty_typeEbEEZZNS1_14partition_implILS5_8ELb0ES3_jN6thrust23THRUST_200600_302600_NS6detail15normal_iteratorINSA_10device_ptrItEEEEPS6_PKS6_NS0_5tupleIJSF_S6_EEENSJ_IJSG_SG_EEENS0_18inequality_wrapperINSA_8equal_toItEEEEPmJS6_EEE10hipError_tPvRmT3_T4_T5_T6_T7_T9_mT8_P12ihipStream_tbDpT10_ENKUlT_T0_E_clISt17integral_constantIbLb1EES19_IbLb0EEEEDaS15_S16_EUlS15_E_NS1_11comp_targetILNS1_3genE3ELNS1_11target_archE908ELNS1_3gpuE7ELNS1_3repE0EEENS1_30default_config_static_selectorELNS0_4arch9wavefront6targetE1EEEvT1_
                                        ; -- End function
	.set _ZN7rocprim17ROCPRIM_400000_NS6detail17trampoline_kernelINS0_14default_configENS1_25partition_config_selectorILNS1_17partition_subalgoE8EtNS0_10empty_typeEbEEZZNS1_14partition_implILS5_8ELb0ES3_jN6thrust23THRUST_200600_302600_NS6detail15normal_iteratorINSA_10device_ptrItEEEEPS6_PKS6_NS0_5tupleIJSF_S6_EEENSJ_IJSG_SG_EEENS0_18inequality_wrapperINSA_8equal_toItEEEEPmJS6_EEE10hipError_tPvRmT3_T4_T5_T6_T7_T9_mT8_P12ihipStream_tbDpT10_ENKUlT_T0_E_clISt17integral_constantIbLb1EES19_IbLb0EEEEDaS15_S16_EUlS15_E_NS1_11comp_targetILNS1_3genE3ELNS1_11target_archE908ELNS1_3gpuE7ELNS1_3repE0EEENS1_30default_config_static_selectorELNS0_4arch9wavefront6targetE1EEEvT1_.num_vgpr, 0
	.set _ZN7rocprim17ROCPRIM_400000_NS6detail17trampoline_kernelINS0_14default_configENS1_25partition_config_selectorILNS1_17partition_subalgoE8EtNS0_10empty_typeEbEEZZNS1_14partition_implILS5_8ELb0ES3_jN6thrust23THRUST_200600_302600_NS6detail15normal_iteratorINSA_10device_ptrItEEEEPS6_PKS6_NS0_5tupleIJSF_S6_EEENSJ_IJSG_SG_EEENS0_18inequality_wrapperINSA_8equal_toItEEEEPmJS6_EEE10hipError_tPvRmT3_T4_T5_T6_T7_T9_mT8_P12ihipStream_tbDpT10_ENKUlT_T0_E_clISt17integral_constantIbLb1EES19_IbLb0EEEEDaS15_S16_EUlS15_E_NS1_11comp_targetILNS1_3genE3ELNS1_11target_archE908ELNS1_3gpuE7ELNS1_3repE0EEENS1_30default_config_static_selectorELNS0_4arch9wavefront6targetE1EEEvT1_.num_agpr, 0
	.set _ZN7rocprim17ROCPRIM_400000_NS6detail17trampoline_kernelINS0_14default_configENS1_25partition_config_selectorILNS1_17partition_subalgoE8EtNS0_10empty_typeEbEEZZNS1_14partition_implILS5_8ELb0ES3_jN6thrust23THRUST_200600_302600_NS6detail15normal_iteratorINSA_10device_ptrItEEEEPS6_PKS6_NS0_5tupleIJSF_S6_EEENSJ_IJSG_SG_EEENS0_18inequality_wrapperINSA_8equal_toItEEEEPmJS6_EEE10hipError_tPvRmT3_T4_T5_T6_T7_T9_mT8_P12ihipStream_tbDpT10_ENKUlT_T0_E_clISt17integral_constantIbLb1EES19_IbLb0EEEEDaS15_S16_EUlS15_E_NS1_11comp_targetILNS1_3genE3ELNS1_11target_archE908ELNS1_3gpuE7ELNS1_3repE0EEENS1_30default_config_static_selectorELNS0_4arch9wavefront6targetE1EEEvT1_.numbered_sgpr, 0
	.set _ZN7rocprim17ROCPRIM_400000_NS6detail17trampoline_kernelINS0_14default_configENS1_25partition_config_selectorILNS1_17partition_subalgoE8EtNS0_10empty_typeEbEEZZNS1_14partition_implILS5_8ELb0ES3_jN6thrust23THRUST_200600_302600_NS6detail15normal_iteratorINSA_10device_ptrItEEEEPS6_PKS6_NS0_5tupleIJSF_S6_EEENSJ_IJSG_SG_EEENS0_18inequality_wrapperINSA_8equal_toItEEEEPmJS6_EEE10hipError_tPvRmT3_T4_T5_T6_T7_T9_mT8_P12ihipStream_tbDpT10_ENKUlT_T0_E_clISt17integral_constantIbLb1EES19_IbLb0EEEEDaS15_S16_EUlS15_E_NS1_11comp_targetILNS1_3genE3ELNS1_11target_archE908ELNS1_3gpuE7ELNS1_3repE0EEENS1_30default_config_static_selectorELNS0_4arch9wavefront6targetE1EEEvT1_.num_named_barrier, 0
	.set _ZN7rocprim17ROCPRIM_400000_NS6detail17trampoline_kernelINS0_14default_configENS1_25partition_config_selectorILNS1_17partition_subalgoE8EtNS0_10empty_typeEbEEZZNS1_14partition_implILS5_8ELb0ES3_jN6thrust23THRUST_200600_302600_NS6detail15normal_iteratorINSA_10device_ptrItEEEEPS6_PKS6_NS0_5tupleIJSF_S6_EEENSJ_IJSG_SG_EEENS0_18inequality_wrapperINSA_8equal_toItEEEEPmJS6_EEE10hipError_tPvRmT3_T4_T5_T6_T7_T9_mT8_P12ihipStream_tbDpT10_ENKUlT_T0_E_clISt17integral_constantIbLb1EES19_IbLb0EEEEDaS15_S16_EUlS15_E_NS1_11comp_targetILNS1_3genE3ELNS1_11target_archE908ELNS1_3gpuE7ELNS1_3repE0EEENS1_30default_config_static_selectorELNS0_4arch9wavefront6targetE1EEEvT1_.private_seg_size, 0
	.set _ZN7rocprim17ROCPRIM_400000_NS6detail17trampoline_kernelINS0_14default_configENS1_25partition_config_selectorILNS1_17partition_subalgoE8EtNS0_10empty_typeEbEEZZNS1_14partition_implILS5_8ELb0ES3_jN6thrust23THRUST_200600_302600_NS6detail15normal_iteratorINSA_10device_ptrItEEEEPS6_PKS6_NS0_5tupleIJSF_S6_EEENSJ_IJSG_SG_EEENS0_18inequality_wrapperINSA_8equal_toItEEEEPmJS6_EEE10hipError_tPvRmT3_T4_T5_T6_T7_T9_mT8_P12ihipStream_tbDpT10_ENKUlT_T0_E_clISt17integral_constantIbLb1EES19_IbLb0EEEEDaS15_S16_EUlS15_E_NS1_11comp_targetILNS1_3genE3ELNS1_11target_archE908ELNS1_3gpuE7ELNS1_3repE0EEENS1_30default_config_static_selectorELNS0_4arch9wavefront6targetE1EEEvT1_.uses_vcc, 0
	.set _ZN7rocprim17ROCPRIM_400000_NS6detail17trampoline_kernelINS0_14default_configENS1_25partition_config_selectorILNS1_17partition_subalgoE8EtNS0_10empty_typeEbEEZZNS1_14partition_implILS5_8ELb0ES3_jN6thrust23THRUST_200600_302600_NS6detail15normal_iteratorINSA_10device_ptrItEEEEPS6_PKS6_NS0_5tupleIJSF_S6_EEENSJ_IJSG_SG_EEENS0_18inequality_wrapperINSA_8equal_toItEEEEPmJS6_EEE10hipError_tPvRmT3_T4_T5_T6_T7_T9_mT8_P12ihipStream_tbDpT10_ENKUlT_T0_E_clISt17integral_constantIbLb1EES19_IbLb0EEEEDaS15_S16_EUlS15_E_NS1_11comp_targetILNS1_3genE3ELNS1_11target_archE908ELNS1_3gpuE7ELNS1_3repE0EEENS1_30default_config_static_selectorELNS0_4arch9wavefront6targetE1EEEvT1_.uses_flat_scratch, 0
	.set _ZN7rocprim17ROCPRIM_400000_NS6detail17trampoline_kernelINS0_14default_configENS1_25partition_config_selectorILNS1_17partition_subalgoE8EtNS0_10empty_typeEbEEZZNS1_14partition_implILS5_8ELb0ES3_jN6thrust23THRUST_200600_302600_NS6detail15normal_iteratorINSA_10device_ptrItEEEEPS6_PKS6_NS0_5tupleIJSF_S6_EEENSJ_IJSG_SG_EEENS0_18inequality_wrapperINSA_8equal_toItEEEEPmJS6_EEE10hipError_tPvRmT3_T4_T5_T6_T7_T9_mT8_P12ihipStream_tbDpT10_ENKUlT_T0_E_clISt17integral_constantIbLb1EES19_IbLb0EEEEDaS15_S16_EUlS15_E_NS1_11comp_targetILNS1_3genE3ELNS1_11target_archE908ELNS1_3gpuE7ELNS1_3repE0EEENS1_30default_config_static_selectorELNS0_4arch9wavefront6targetE1EEEvT1_.has_dyn_sized_stack, 0
	.set _ZN7rocprim17ROCPRIM_400000_NS6detail17trampoline_kernelINS0_14default_configENS1_25partition_config_selectorILNS1_17partition_subalgoE8EtNS0_10empty_typeEbEEZZNS1_14partition_implILS5_8ELb0ES3_jN6thrust23THRUST_200600_302600_NS6detail15normal_iteratorINSA_10device_ptrItEEEEPS6_PKS6_NS0_5tupleIJSF_S6_EEENSJ_IJSG_SG_EEENS0_18inequality_wrapperINSA_8equal_toItEEEEPmJS6_EEE10hipError_tPvRmT3_T4_T5_T6_T7_T9_mT8_P12ihipStream_tbDpT10_ENKUlT_T0_E_clISt17integral_constantIbLb1EES19_IbLb0EEEEDaS15_S16_EUlS15_E_NS1_11comp_targetILNS1_3genE3ELNS1_11target_archE908ELNS1_3gpuE7ELNS1_3repE0EEENS1_30default_config_static_selectorELNS0_4arch9wavefront6targetE1EEEvT1_.has_recursion, 0
	.set _ZN7rocprim17ROCPRIM_400000_NS6detail17trampoline_kernelINS0_14default_configENS1_25partition_config_selectorILNS1_17partition_subalgoE8EtNS0_10empty_typeEbEEZZNS1_14partition_implILS5_8ELb0ES3_jN6thrust23THRUST_200600_302600_NS6detail15normal_iteratorINSA_10device_ptrItEEEEPS6_PKS6_NS0_5tupleIJSF_S6_EEENSJ_IJSG_SG_EEENS0_18inequality_wrapperINSA_8equal_toItEEEEPmJS6_EEE10hipError_tPvRmT3_T4_T5_T6_T7_T9_mT8_P12ihipStream_tbDpT10_ENKUlT_T0_E_clISt17integral_constantIbLb1EES19_IbLb0EEEEDaS15_S16_EUlS15_E_NS1_11comp_targetILNS1_3genE3ELNS1_11target_archE908ELNS1_3gpuE7ELNS1_3repE0EEENS1_30default_config_static_selectorELNS0_4arch9wavefront6targetE1EEEvT1_.has_indirect_call, 0
	.section	.AMDGPU.csdata,"",@progbits
; Kernel info:
; codeLenInByte = 0
; TotalNumSgprs: 4
; NumVgprs: 0
; ScratchSize: 0
; MemoryBound: 0
; FloatMode: 240
; IeeeMode: 1
; LDSByteSize: 0 bytes/workgroup (compile time only)
; SGPRBlocks: 0
; VGPRBlocks: 0
; NumSGPRsForWavesPerEU: 4
; NumVGPRsForWavesPerEU: 1
; Occupancy: 10
; WaveLimiterHint : 0
; COMPUTE_PGM_RSRC2:SCRATCH_EN: 0
; COMPUTE_PGM_RSRC2:USER_SGPR: 6
; COMPUTE_PGM_RSRC2:TRAP_HANDLER: 0
; COMPUTE_PGM_RSRC2:TGID_X_EN: 1
; COMPUTE_PGM_RSRC2:TGID_Y_EN: 0
; COMPUTE_PGM_RSRC2:TGID_Z_EN: 0
; COMPUTE_PGM_RSRC2:TIDIG_COMP_CNT: 0
	.section	.text._ZN7rocprim17ROCPRIM_400000_NS6detail17trampoline_kernelINS0_14default_configENS1_25partition_config_selectorILNS1_17partition_subalgoE8EtNS0_10empty_typeEbEEZZNS1_14partition_implILS5_8ELb0ES3_jN6thrust23THRUST_200600_302600_NS6detail15normal_iteratorINSA_10device_ptrItEEEEPS6_PKS6_NS0_5tupleIJSF_S6_EEENSJ_IJSG_SG_EEENS0_18inequality_wrapperINSA_8equal_toItEEEEPmJS6_EEE10hipError_tPvRmT3_T4_T5_T6_T7_T9_mT8_P12ihipStream_tbDpT10_ENKUlT_T0_E_clISt17integral_constantIbLb1EES19_IbLb0EEEEDaS15_S16_EUlS15_E_NS1_11comp_targetILNS1_3genE2ELNS1_11target_archE906ELNS1_3gpuE6ELNS1_3repE0EEENS1_30default_config_static_selectorELNS0_4arch9wavefront6targetE1EEEvT1_,"axG",@progbits,_ZN7rocprim17ROCPRIM_400000_NS6detail17trampoline_kernelINS0_14default_configENS1_25partition_config_selectorILNS1_17partition_subalgoE8EtNS0_10empty_typeEbEEZZNS1_14partition_implILS5_8ELb0ES3_jN6thrust23THRUST_200600_302600_NS6detail15normal_iteratorINSA_10device_ptrItEEEEPS6_PKS6_NS0_5tupleIJSF_S6_EEENSJ_IJSG_SG_EEENS0_18inequality_wrapperINSA_8equal_toItEEEEPmJS6_EEE10hipError_tPvRmT3_T4_T5_T6_T7_T9_mT8_P12ihipStream_tbDpT10_ENKUlT_T0_E_clISt17integral_constantIbLb1EES19_IbLb0EEEEDaS15_S16_EUlS15_E_NS1_11comp_targetILNS1_3genE2ELNS1_11target_archE906ELNS1_3gpuE6ELNS1_3repE0EEENS1_30default_config_static_selectorELNS0_4arch9wavefront6targetE1EEEvT1_,comdat
	.protected	_ZN7rocprim17ROCPRIM_400000_NS6detail17trampoline_kernelINS0_14default_configENS1_25partition_config_selectorILNS1_17partition_subalgoE8EtNS0_10empty_typeEbEEZZNS1_14partition_implILS5_8ELb0ES3_jN6thrust23THRUST_200600_302600_NS6detail15normal_iteratorINSA_10device_ptrItEEEEPS6_PKS6_NS0_5tupleIJSF_S6_EEENSJ_IJSG_SG_EEENS0_18inequality_wrapperINSA_8equal_toItEEEEPmJS6_EEE10hipError_tPvRmT3_T4_T5_T6_T7_T9_mT8_P12ihipStream_tbDpT10_ENKUlT_T0_E_clISt17integral_constantIbLb1EES19_IbLb0EEEEDaS15_S16_EUlS15_E_NS1_11comp_targetILNS1_3genE2ELNS1_11target_archE906ELNS1_3gpuE6ELNS1_3repE0EEENS1_30default_config_static_selectorELNS0_4arch9wavefront6targetE1EEEvT1_ ; -- Begin function _ZN7rocprim17ROCPRIM_400000_NS6detail17trampoline_kernelINS0_14default_configENS1_25partition_config_selectorILNS1_17partition_subalgoE8EtNS0_10empty_typeEbEEZZNS1_14partition_implILS5_8ELb0ES3_jN6thrust23THRUST_200600_302600_NS6detail15normal_iteratorINSA_10device_ptrItEEEEPS6_PKS6_NS0_5tupleIJSF_S6_EEENSJ_IJSG_SG_EEENS0_18inequality_wrapperINSA_8equal_toItEEEEPmJS6_EEE10hipError_tPvRmT3_T4_T5_T6_T7_T9_mT8_P12ihipStream_tbDpT10_ENKUlT_T0_E_clISt17integral_constantIbLb1EES19_IbLb0EEEEDaS15_S16_EUlS15_E_NS1_11comp_targetILNS1_3genE2ELNS1_11target_archE906ELNS1_3gpuE6ELNS1_3repE0EEENS1_30default_config_static_selectorELNS0_4arch9wavefront6targetE1EEEvT1_
	.globl	_ZN7rocprim17ROCPRIM_400000_NS6detail17trampoline_kernelINS0_14default_configENS1_25partition_config_selectorILNS1_17partition_subalgoE8EtNS0_10empty_typeEbEEZZNS1_14partition_implILS5_8ELb0ES3_jN6thrust23THRUST_200600_302600_NS6detail15normal_iteratorINSA_10device_ptrItEEEEPS6_PKS6_NS0_5tupleIJSF_S6_EEENSJ_IJSG_SG_EEENS0_18inequality_wrapperINSA_8equal_toItEEEEPmJS6_EEE10hipError_tPvRmT3_T4_T5_T6_T7_T9_mT8_P12ihipStream_tbDpT10_ENKUlT_T0_E_clISt17integral_constantIbLb1EES19_IbLb0EEEEDaS15_S16_EUlS15_E_NS1_11comp_targetILNS1_3genE2ELNS1_11target_archE906ELNS1_3gpuE6ELNS1_3repE0EEENS1_30default_config_static_selectorELNS0_4arch9wavefront6targetE1EEEvT1_
	.p2align	8
	.type	_ZN7rocprim17ROCPRIM_400000_NS6detail17trampoline_kernelINS0_14default_configENS1_25partition_config_selectorILNS1_17partition_subalgoE8EtNS0_10empty_typeEbEEZZNS1_14partition_implILS5_8ELb0ES3_jN6thrust23THRUST_200600_302600_NS6detail15normal_iteratorINSA_10device_ptrItEEEEPS6_PKS6_NS0_5tupleIJSF_S6_EEENSJ_IJSG_SG_EEENS0_18inequality_wrapperINSA_8equal_toItEEEEPmJS6_EEE10hipError_tPvRmT3_T4_T5_T6_T7_T9_mT8_P12ihipStream_tbDpT10_ENKUlT_T0_E_clISt17integral_constantIbLb1EES19_IbLb0EEEEDaS15_S16_EUlS15_E_NS1_11comp_targetILNS1_3genE2ELNS1_11target_archE906ELNS1_3gpuE6ELNS1_3repE0EEENS1_30default_config_static_selectorELNS0_4arch9wavefront6targetE1EEEvT1_,@function
_ZN7rocprim17ROCPRIM_400000_NS6detail17trampoline_kernelINS0_14default_configENS1_25partition_config_selectorILNS1_17partition_subalgoE8EtNS0_10empty_typeEbEEZZNS1_14partition_implILS5_8ELb0ES3_jN6thrust23THRUST_200600_302600_NS6detail15normal_iteratorINSA_10device_ptrItEEEEPS6_PKS6_NS0_5tupleIJSF_S6_EEENSJ_IJSG_SG_EEENS0_18inequality_wrapperINSA_8equal_toItEEEEPmJS6_EEE10hipError_tPvRmT3_T4_T5_T6_T7_T9_mT8_P12ihipStream_tbDpT10_ENKUlT_T0_E_clISt17integral_constantIbLb1EES19_IbLb0EEEEDaS15_S16_EUlS15_E_NS1_11comp_targetILNS1_3genE2ELNS1_11target_archE906ELNS1_3gpuE6ELNS1_3repE0EEENS1_30default_config_static_selectorELNS0_4arch9wavefront6targetE1EEEvT1_: ; @_ZN7rocprim17ROCPRIM_400000_NS6detail17trampoline_kernelINS0_14default_configENS1_25partition_config_selectorILNS1_17partition_subalgoE8EtNS0_10empty_typeEbEEZZNS1_14partition_implILS5_8ELb0ES3_jN6thrust23THRUST_200600_302600_NS6detail15normal_iteratorINSA_10device_ptrItEEEEPS6_PKS6_NS0_5tupleIJSF_S6_EEENSJ_IJSG_SG_EEENS0_18inequality_wrapperINSA_8equal_toItEEEEPmJS6_EEE10hipError_tPvRmT3_T4_T5_T6_T7_T9_mT8_P12ihipStream_tbDpT10_ENKUlT_T0_E_clISt17integral_constantIbLb1EES19_IbLb0EEEEDaS15_S16_EUlS15_E_NS1_11comp_targetILNS1_3genE2ELNS1_11target_archE906ELNS1_3gpuE6ELNS1_3repE0EEENS1_30default_config_static_selectorELNS0_4arch9wavefront6targetE1EEEvT1_
; %bb.0:
	s_endpgm
	.section	.rodata,"a",@progbits
	.p2align	6, 0x0
	.amdhsa_kernel _ZN7rocprim17ROCPRIM_400000_NS6detail17trampoline_kernelINS0_14default_configENS1_25partition_config_selectorILNS1_17partition_subalgoE8EtNS0_10empty_typeEbEEZZNS1_14partition_implILS5_8ELb0ES3_jN6thrust23THRUST_200600_302600_NS6detail15normal_iteratorINSA_10device_ptrItEEEEPS6_PKS6_NS0_5tupleIJSF_S6_EEENSJ_IJSG_SG_EEENS0_18inequality_wrapperINSA_8equal_toItEEEEPmJS6_EEE10hipError_tPvRmT3_T4_T5_T6_T7_T9_mT8_P12ihipStream_tbDpT10_ENKUlT_T0_E_clISt17integral_constantIbLb1EES19_IbLb0EEEEDaS15_S16_EUlS15_E_NS1_11comp_targetILNS1_3genE2ELNS1_11target_archE906ELNS1_3gpuE6ELNS1_3repE0EEENS1_30default_config_static_selectorELNS0_4arch9wavefront6targetE1EEEvT1_
		.amdhsa_group_segment_fixed_size 0
		.amdhsa_private_segment_fixed_size 0
		.amdhsa_kernarg_size 112
		.amdhsa_user_sgpr_count 6
		.amdhsa_user_sgpr_private_segment_buffer 1
		.amdhsa_user_sgpr_dispatch_ptr 0
		.amdhsa_user_sgpr_queue_ptr 0
		.amdhsa_user_sgpr_kernarg_segment_ptr 1
		.amdhsa_user_sgpr_dispatch_id 0
		.amdhsa_user_sgpr_flat_scratch_init 0
		.amdhsa_user_sgpr_private_segment_size 0
		.amdhsa_uses_dynamic_stack 0
		.amdhsa_system_sgpr_private_segment_wavefront_offset 0
		.amdhsa_system_sgpr_workgroup_id_x 1
		.amdhsa_system_sgpr_workgroup_id_y 0
		.amdhsa_system_sgpr_workgroup_id_z 0
		.amdhsa_system_sgpr_workgroup_info 0
		.amdhsa_system_vgpr_workitem_id 0
		.amdhsa_next_free_vgpr 1
		.amdhsa_next_free_sgpr 0
		.amdhsa_reserve_vcc 0
		.amdhsa_reserve_flat_scratch 0
		.amdhsa_float_round_mode_32 0
		.amdhsa_float_round_mode_16_64 0
		.amdhsa_float_denorm_mode_32 3
		.amdhsa_float_denorm_mode_16_64 3
		.amdhsa_dx10_clamp 1
		.amdhsa_ieee_mode 1
		.amdhsa_fp16_overflow 0
		.amdhsa_exception_fp_ieee_invalid_op 0
		.amdhsa_exception_fp_denorm_src 0
		.amdhsa_exception_fp_ieee_div_zero 0
		.amdhsa_exception_fp_ieee_overflow 0
		.amdhsa_exception_fp_ieee_underflow 0
		.amdhsa_exception_fp_ieee_inexact 0
		.amdhsa_exception_int_div_zero 0
	.end_amdhsa_kernel
	.section	.text._ZN7rocprim17ROCPRIM_400000_NS6detail17trampoline_kernelINS0_14default_configENS1_25partition_config_selectorILNS1_17partition_subalgoE8EtNS0_10empty_typeEbEEZZNS1_14partition_implILS5_8ELb0ES3_jN6thrust23THRUST_200600_302600_NS6detail15normal_iteratorINSA_10device_ptrItEEEEPS6_PKS6_NS0_5tupleIJSF_S6_EEENSJ_IJSG_SG_EEENS0_18inequality_wrapperINSA_8equal_toItEEEEPmJS6_EEE10hipError_tPvRmT3_T4_T5_T6_T7_T9_mT8_P12ihipStream_tbDpT10_ENKUlT_T0_E_clISt17integral_constantIbLb1EES19_IbLb0EEEEDaS15_S16_EUlS15_E_NS1_11comp_targetILNS1_3genE2ELNS1_11target_archE906ELNS1_3gpuE6ELNS1_3repE0EEENS1_30default_config_static_selectorELNS0_4arch9wavefront6targetE1EEEvT1_,"axG",@progbits,_ZN7rocprim17ROCPRIM_400000_NS6detail17trampoline_kernelINS0_14default_configENS1_25partition_config_selectorILNS1_17partition_subalgoE8EtNS0_10empty_typeEbEEZZNS1_14partition_implILS5_8ELb0ES3_jN6thrust23THRUST_200600_302600_NS6detail15normal_iteratorINSA_10device_ptrItEEEEPS6_PKS6_NS0_5tupleIJSF_S6_EEENSJ_IJSG_SG_EEENS0_18inequality_wrapperINSA_8equal_toItEEEEPmJS6_EEE10hipError_tPvRmT3_T4_T5_T6_T7_T9_mT8_P12ihipStream_tbDpT10_ENKUlT_T0_E_clISt17integral_constantIbLb1EES19_IbLb0EEEEDaS15_S16_EUlS15_E_NS1_11comp_targetILNS1_3genE2ELNS1_11target_archE906ELNS1_3gpuE6ELNS1_3repE0EEENS1_30default_config_static_selectorELNS0_4arch9wavefront6targetE1EEEvT1_,comdat
.Lfunc_end295:
	.size	_ZN7rocprim17ROCPRIM_400000_NS6detail17trampoline_kernelINS0_14default_configENS1_25partition_config_selectorILNS1_17partition_subalgoE8EtNS0_10empty_typeEbEEZZNS1_14partition_implILS5_8ELb0ES3_jN6thrust23THRUST_200600_302600_NS6detail15normal_iteratorINSA_10device_ptrItEEEEPS6_PKS6_NS0_5tupleIJSF_S6_EEENSJ_IJSG_SG_EEENS0_18inequality_wrapperINSA_8equal_toItEEEEPmJS6_EEE10hipError_tPvRmT3_T4_T5_T6_T7_T9_mT8_P12ihipStream_tbDpT10_ENKUlT_T0_E_clISt17integral_constantIbLb1EES19_IbLb0EEEEDaS15_S16_EUlS15_E_NS1_11comp_targetILNS1_3genE2ELNS1_11target_archE906ELNS1_3gpuE6ELNS1_3repE0EEENS1_30default_config_static_selectorELNS0_4arch9wavefront6targetE1EEEvT1_, .Lfunc_end295-_ZN7rocprim17ROCPRIM_400000_NS6detail17trampoline_kernelINS0_14default_configENS1_25partition_config_selectorILNS1_17partition_subalgoE8EtNS0_10empty_typeEbEEZZNS1_14partition_implILS5_8ELb0ES3_jN6thrust23THRUST_200600_302600_NS6detail15normal_iteratorINSA_10device_ptrItEEEEPS6_PKS6_NS0_5tupleIJSF_S6_EEENSJ_IJSG_SG_EEENS0_18inequality_wrapperINSA_8equal_toItEEEEPmJS6_EEE10hipError_tPvRmT3_T4_T5_T6_T7_T9_mT8_P12ihipStream_tbDpT10_ENKUlT_T0_E_clISt17integral_constantIbLb1EES19_IbLb0EEEEDaS15_S16_EUlS15_E_NS1_11comp_targetILNS1_3genE2ELNS1_11target_archE906ELNS1_3gpuE6ELNS1_3repE0EEENS1_30default_config_static_selectorELNS0_4arch9wavefront6targetE1EEEvT1_
                                        ; -- End function
	.set _ZN7rocprim17ROCPRIM_400000_NS6detail17trampoline_kernelINS0_14default_configENS1_25partition_config_selectorILNS1_17partition_subalgoE8EtNS0_10empty_typeEbEEZZNS1_14partition_implILS5_8ELb0ES3_jN6thrust23THRUST_200600_302600_NS6detail15normal_iteratorINSA_10device_ptrItEEEEPS6_PKS6_NS0_5tupleIJSF_S6_EEENSJ_IJSG_SG_EEENS0_18inequality_wrapperINSA_8equal_toItEEEEPmJS6_EEE10hipError_tPvRmT3_T4_T5_T6_T7_T9_mT8_P12ihipStream_tbDpT10_ENKUlT_T0_E_clISt17integral_constantIbLb1EES19_IbLb0EEEEDaS15_S16_EUlS15_E_NS1_11comp_targetILNS1_3genE2ELNS1_11target_archE906ELNS1_3gpuE6ELNS1_3repE0EEENS1_30default_config_static_selectorELNS0_4arch9wavefront6targetE1EEEvT1_.num_vgpr, 0
	.set _ZN7rocprim17ROCPRIM_400000_NS6detail17trampoline_kernelINS0_14default_configENS1_25partition_config_selectorILNS1_17partition_subalgoE8EtNS0_10empty_typeEbEEZZNS1_14partition_implILS5_8ELb0ES3_jN6thrust23THRUST_200600_302600_NS6detail15normal_iteratorINSA_10device_ptrItEEEEPS6_PKS6_NS0_5tupleIJSF_S6_EEENSJ_IJSG_SG_EEENS0_18inequality_wrapperINSA_8equal_toItEEEEPmJS6_EEE10hipError_tPvRmT3_T4_T5_T6_T7_T9_mT8_P12ihipStream_tbDpT10_ENKUlT_T0_E_clISt17integral_constantIbLb1EES19_IbLb0EEEEDaS15_S16_EUlS15_E_NS1_11comp_targetILNS1_3genE2ELNS1_11target_archE906ELNS1_3gpuE6ELNS1_3repE0EEENS1_30default_config_static_selectorELNS0_4arch9wavefront6targetE1EEEvT1_.num_agpr, 0
	.set _ZN7rocprim17ROCPRIM_400000_NS6detail17trampoline_kernelINS0_14default_configENS1_25partition_config_selectorILNS1_17partition_subalgoE8EtNS0_10empty_typeEbEEZZNS1_14partition_implILS5_8ELb0ES3_jN6thrust23THRUST_200600_302600_NS6detail15normal_iteratorINSA_10device_ptrItEEEEPS6_PKS6_NS0_5tupleIJSF_S6_EEENSJ_IJSG_SG_EEENS0_18inequality_wrapperINSA_8equal_toItEEEEPmJS6_EEE10hipError_tPvRmT3_T4_T5_T6_T7_T9_mT8_P12ihipStream_tbDpT10_ENKUlT_T0_E_clISt17integral_constantIbLb1EES19_IbLb0EEEEDaS15_S16_EUlS15_E_NS1_11comp_targetILNS1_3genE2ELNS1_11target_archE906ELNS1_3gpuE6ELNS1_3repE0EEENS1_30default_config_static_selectorELNS0_4arch9wavefront6targetE1EEEvT1_.numbered_sgpr, 0
	.set _ZN7rocprim17ROCPRIM_400000_NS6detail17trampoline_kernelINS0_14default_configENS1_25partition_config_selectorILNS1_17partition_subalgoE8EtNS0_10empty_typeEbEEZZNS1_14partition_implILS5_8ELb0ES3_jN6thrust23THRUST_200600_302600_NS6detail15normal_iteratorINSA_10device_ptrItEEEEPS6_PKS6_NS0_5tupleIJSF_S6_EEENSJ_IJSG_SG_EEENS0_18inequality_wrapperINSA_8equal_toItEEEEPmJS6_EEE10hipError_tPvRmT3_T4_T5_T6_T7_T9_mT8_P12ihipStream_tbDpT10_ENKUlT_T0_E_clISt17integral_constantIbLb1EES19_IbLb0EEEEDaS15_S16_EUlS15_E_NS1_11comp_targetILNS1_3genE2ELNS1_11target_archE906ELNS1_3gpuE6ELNS1_3repE0EEENS1_30default_config_static_selectorELNS0_4arch9wavefront6targetE1EEEvT1_.num_named_barrier, 0
	.set _ZN7rocprim17ROCPRIM_400000_NS6detail17trampoline_kernelINS0_14default_configENS1_25partition_config_selectorILNS1_17partition_subalgoE8EtNS0_10empty_typeEbEEZZNS1_14partition_implILS5_8ELb0ES3_jN6thrust23THRUST_200600_302600_NS6detail15normal_iteratorINSA_10device_ptrItEEEEPS6_PKS6_NS0_5tupleIJSF_S6_EEENSJ_IJSG_SG_EEENS0_18inequality_wrapperINSA_8equal_toItEEEEPmJS6_EEE10hipError_tPvRmT3_T4_T5_T6_T7_T9_mT8_P12ihipStream_tbDpT10_ENKUlT_T0_E_clISt17integral_constantIbLb1EES19_IbLb0EEEEDaS15_S16_EUlS15_E_NS1_11comp_targetILNS1_3genE2ELNS1_11target_archE906ELNS1_3gpuE6ELNS1_3repE0EEENS1_30default_config_static_selectorELNS0_4arch9wavefront6targetE1EEEvT1_.private_seg_size, 0
	.set _ZN7rocprim17ROCPRIM_400000_NS6detail17trampoline_kernelINS0_14default_configENS1_25partition_config_selectorILNS1_17partition_subalgoE8EtNS0_10empty_typeEbEEZZNS1_14partition_implILS5_8ELb0ES3_jN6thrust23THRUST_200600_302600_NS6detail15normal_iteratorINSA_10device_ptrItEEEEPS6_PKS6_NS0_5tupleIJSF_S6_EEENSJ_IJSG_SG_EEENS0_18inequality_wrapperINSA_8equal_toItEEEEPmJS6_EEE10hipError_tPvRmT3_T4_T5_T6_T7_T9_mT8_P12ihipStream_tbDpT10_ENKUlT_T0_E_clISt17integral_constantIbLb1EES19_IbLb0EEEEDaS15_S16_EUlS15_E_NS1_11comp_targetILNS1_3genE2ELNS1_11target_archE906ELNS1_3gpuE6ELNS1_3repE0EEENS1_30default_config_static_selectorELNS0_4arch9wavefront6targetE1EEEvT1_.uses_vcc, 0
	.set _ZN7rocprim17ROCPRIM_400000_NS6detail17trampoline_kernelINS0_14default_configENS1_25partition_config_selectorILNS1_17partition_subalgoE8EtNS0_10empty_typeEbEEZZNS1_14partition_implILS5_8ELb0ES3_jN6thrust23THRUST_200600_302600_NS6detail15normal_iteratorINSA_10device_ptrItEEEEPS6_PKS6_NS0_5tupleIJSF_S6_EEENSJ_IJSG_SG_EEENS0_18inequality_wrapperINSA_8equal_toItEEEEPmJS6_EEE10hipError_tPvRmT3_T4_T5_T6_T7_T9_mT8_P12ihipStream_tbDpT10_ENKUlT_T0_E_clISt17integral_constantIbLb1EES19_IbLb0EEEEDaS15_S16_EUlS15_E_NS1_11comp_targetILNS1_3genE2ELNS1_11target_archE906ELNS1_3gpuE6ELNS1_3repE0EEENS1_30default_config_static_selectorELNS0_4arch9wavefront6targetE1EEEvT1_.uses_flat_scratch, 0
	.set _ZN7rocprim17ROCPRIM_400000_NS6detail17trampoline_kernelINS0_14default_configENS1_25partition_config_selectorILNS1_17partition_subalgoE8EtNS0_10empty_typeEbEEZZNS1_14partition_implILS5_8ELb0ES3_jN6thrust23THRUST_200600_302600_NS6detail15normal_iteratorINSA_10device_ptrItEEEEPS6_PKS6_NS0_5tupleIJSF_S6_EEENSJ_IJSG_SG_EEENS0_18inequality_wrapperINSA_8equal_toItEEEEPmJS6_EEE10hipError_tPvRmT3_T4_T5_T6_T7_T9_mT8_P12ihipStream_tbDpT10_ENKUlT_T0_E_clISt17integral_constantIbLb1EES19_IbLb0EEEEDaS15_S16_EUlS15_E_NS1_11comp_targetILNS1_3genE2ELNS1_11target_archE906ELNS1_3gpuE6ELNS1_3repE0EEENS1_30default_config_static_selectorELNS0_4arch9wavefront6targetE1EEEvT1_.has_dyn_sized_stack, 0
	.set _ZN7rocprim17ROCPRIM_400000_NS6detail17trampoline_kernelINS0_14default_configENS1_25partition_config_selectorILNS1_17partition_subalgoE8EtNS0_10empty_typeEbEEZZNS1_14partition_implILS5_8ELb0ES3_jN6thrust23THRUST_200600_302600_NS6detail15normal_iteratorINSA_10device_ptrItEEEEPS6_PKS6_NS0_5tupleIJSF_S6_EEENSJ_IJSG_SG_EEENS0_18inequality_wrapperINSA_8equal_toItEEEEPmJS6_EEE10hipError_tPvRmT3_T4_T5_T6_T7_T9_mT8_P12ihipStream_tbDpT10_ENKUlT_T0_E_clISt17integral_constantIbLb1EES19_IbLb0EEEEDaS15_S16_EUlS15_E_NS1_11comp_targetILNS1_3genE2ELNS1_11target_archE906ELNS1_3gpuE6ELNS1_3repE0EEENS1_30default_config_static_selectorELNS0_4arch9wavefront6targetE1EEEvT1_.has_recursion, 0
	.set _ZN7rocprim17ROCPRIM_400000_NS6detail17trampoline_kernelINS0_14default_configENS1_25partition_config_selectorILNS1_17partition_subalgoE8EtNS0_10empty_typeEbEEZZNS1_14partition_implILS5_8ELb0ES3_jN6thrust23THRUST_200600_302600_NS6detail15normal_iteratorINSA_10device_ptrItEEEEPS6_PKS6_NS0_5tupleIJSF_S6_EEENSJ_IJSG_SG_EEENS0_18inequality_wrapperINSA_8equal_toItEEEEPmJS6_EEE10hipError_tPvRmT3_T4_T5_T6_T7_T9_mT8_P12ihipStream_tbDpT10_ENKUlT_T0_E_clISt17integral_constantIbLb1EES19_IbLb0EEEEDaS15_S16_EUlS15_E_NS1_11comp_targetILNS1_3genE2ELNS1_11target_archE906ELNS1_3gpuE6ELNS1_3repE0EEENS1_30default_config_static_selectorELNS0_4arch9wavefront6targetE1EEEvT1_.has_indirect_call, 0
	.section	.AMDGPU.csdata,"",@progbits
; Kernel info:
; codeLenInByte = 4
; TotalNumSgprs: 4
; NumVgprs: 0
; ScratchSize: 0
; MemoryBound: 0
; FloatMode: 240
; IeeeMode: 1
; LDSByteSize: 0 bytes/workgroup (compile time only)
; SGPRBlocks: 0
; VGPRBlocks: 0
; NumSGPRsForWavesPerEU: 4
; NumVGPRsForWavesPerEU: 1
; Occupancy: 10
; WaveLimiterHint : 0
; COMPUTE_PGM_RSRC2:SCRATCH_EN: 0
; COMPUTE_PGM_RSRC2:USER_SGPR: 6
; COMPUTE_PGM_RSRC2:TRAP_HANDLER: 0
; COMPUTE_PGM_RSRC2:TGID_X_EN: 1
; COMPUTE_PGM_RSRC2:TGID_Y_EN: 0
; COMPUTE_PGM_RSRC2:TGID_Z_EN: 0
; COMPUTE_PGM_RSRC2:TIDIG_COMP_CNT: 0
	.section	.text._ZN7rocprim17ROCPRIM_400000_NS6detail17trampoline_kernelINS0_14default_configENS1_25partition_config_selectorILNS1_17partition_subalgoE8EtNS0_10empty_typeEbEEZZNS1_14partition_implILS5_8ELb0ES3_jN6thrust23THRUST_200600_302600_NS6detail15normal_iteratorINSA_10device_ptrItEEEEPS6_PKS6_NS0_5tupleIJSF_S6_EEENSJ_IJSG_SG_EEENS0_18inequality_wrapperINSA_8equal_toItEEEEPmJS6_EEE10hipError_tPvRmT3_T4_T5_T6_T7_T9_mT8_P12ihipStream_tbDpT10_ENKUlT_T0_E_clISt17integral_constantIbLb1EES19_IbLb0EEEEDaS15_S16_EUlS15_E_NS1_11comp_targetILNS1_3genE10ELNS1_11target_archE1200ELNS1_3gpuE4ELNS1_3repE0EEENS1_30default_config_static_selectorELNS0_4arch9wavefront6targetE1EEEvT1_,"axG",@progbits,_ZN7rocprim17ROCPRIM_400000_NS6detail17trampoline_kernelINS0_14default_configENS1_25partition_config_selectorILNS1_17partition_subalgoE8EtNS0_10empty_typeEbEEZZNS1_14partition_implILS5_8ELb0ES3_jN6thrust23THRUST_200600_302600_NS6detail15normal_iteratorINSA_10device_ptrItEEEEPS6_PKS6_NS0_5tupleIJSF_S6_EEENSJ_IJSG_SG_EEENS0_18inequality_wrapperINSA_8equal_toItEEEEPmJS6_EEE10hipError_tPvRmT3_T4_T5_T6_T7_T9_mT8_P12ihipStream_tbDpT10_ENKUlT_T0_E_clISt17integral_constantIbLb1EES19_IbLb0EEEEDaS15_S16_EUlS15_E_NS1_11comp_targetILNS1_3genE10ELNS1_11target_archE1200ELNS1_3gpuE4ELNS1_3repE0EEENS1_30default_config_static_selectorELNS0_4arch9wavefront6targetE1EEEvT1_,comdat
	.protected	_ZN7rocprim17ROCPRIM_400000_NS6detail17trampoline_kernelINS0_14default_configENS1_25partition_config_selectorILNS1_17partition_subalgoE8EtNS0_10empty_typeEbEEZZNS1_14partition_implILS5_8ELb0ES3_jN6thrust23THRUST_200600_302600_NS6detail15normal_iteratorINSA_10device_ptrItEEEEPS6_PKS6_NS0_5tupleIJSF_S6_EEENSJ_IJSG_SG_EEENS0_18inequality_wrapperINSA_8equal_toItEEEEPmJS6_EEE10hipError_tPvRmT3_T4_T5_T6_T7_T9_mT8_P12ihipStream_tbDpT10_ENKUlT_T0_E_clISt17integral_constantIbLb1EES19_IbLb0EEEEDaS15_S16_EUlS15_E_NS1_11comp_targetILNS1_3genE10ELNS1_11target_archE1200ELNS1_3gpuE4ELNS1_3repE0EEENS1_30default_config_static_selectorELNS0_4arch9wavefront6targetE1EEEvT1_ ; -- Begin function _ZN7rocprim17ROCPRIM_400000_NS6detail17trampoline_kernelINS0_14default_configENS1_25partition_config_selectorILNS1_17partition_subalgoE8EtNS0_10empty_typeEbEEZZNS1_14partition_implILS5_8ELb0ES3_jN6thrust23THRUST_200600_302600_NS6detail15normal_iteratorINSA_10device_ptrItEEEEPS6_PKS6_NS0_5tupleIJSF_S6_EEENSJ_IJSG_SG_EEENS0_18inequality_wrapperINSA_8equal_toItEEEEPmJS6_EEE10hipError_tPvRmT3_T4_T5_T6_T7_T9_mT8_P12ihipStream_tbDpT10_ENKUlT_T0_E_clISt17integral_constantIbLb1EES19_IbLb0EEEEDaS15_S16_EUlS15_E_NS1_11comp_targetILNS1_3genE10ELNS1_11target_archE1200ELNS1_3gpuE4ELNS1_3repE0EEENS1_30default_config_static_selectorELNS0_4arch9wavefront6targetE1EEEvT1_
	.globl	_ZN7rocprim17ROCPRIM_400000_NS6detail17trampoline_kernelINS0_14default_configENS1_25partition_config_selectorILNS1_17partition_subalgoE8EtNS0_10empty_typeEbEEZZNS1_14partition_implILS5_8ELb0ES3_jN6thrust23THRUST_200600_302600_NS6detail15normal_iteratorINSA_10device_ptrItEEEEPS6_PKS6_NS0_5tupleIJSF_S6_EEENSJ_IJSG_SG_EEENS0_18inequality_wrapperINSA_8equal_toItEEEEPmJS6_EEE10hipError_tPvRmT3_T4_T5_T6_T7_T9_mT8_P12ihipStream_tbDpT10_ENKUlT_T0_E_clISt17integral_constantIbLb1EES19_IbLb0EEEEDaS15_S16_EUlS15_E_NS1_11comp_targetILNS1_3genE10ELNS1_11target_archE1200ELNS1_3gpuE4ELNS1_3repE0EEENS1_30default_config_static_selectorELNS0_4arch9wavefront6targetE1EEEvT1_
	.p2align	8
	.type	_ZN7rocprim17ROCPRIM_400000_NS6detail17trampoline_kernelINS0_14default_configENS1_25partition_config_selectorILNS1_17partition_subalgoE8EtNS0_10empty_typeEbEEZZNS1_14partition_implILS5_8ELb0ES3_jN6thrust23THRUST_200600_302600_NS6detail15normal_iteratorINSA_10device_ptrItEEEEPS6_PKS6_NS0_5tupleIJSF_S6_EEENSJ_IJSG_SG_EEENS0_18inequality_wrapperINSA_8equal_toItEEEEPmJS6_EEE10hipError_tPvRmT3_T4_T5_T6_T7_T9_mT8_P12ihipStream_tbDpT10_ENKUlT_T0_E_clISt17integral_constantIbLb1EES19_IbLb0EEEEDaS15_S16_EUlS15_E_NS1_11comp_targetILNS1_3genE10ELNS1_11target_archE1200ELNS1_3gpuE4ELNS1_3repE0EEENS1_30default_config_static_selectorELNS0_4arch9wavefront6targetE1EEEvT1_,@function
_ZN7rocprim17ROCPRIM_400000_NS6detail17trampoline_kernelINS0_14default_configENS1_25partition_config_selectorILNS1_17partition_subalgoE8EtNS0_10empty_typeEbEEZZNS1_14partition_implILS5_8ELb0ES3_jN6thrust23THRUST_200600_302600_NS6detail15normal_iteratorINSA_10device_ptrItEEEEPS6_PKS6_NS0_5tupleIJSF_S6_EEENSJ_IJSG_SG_EEENS0_18inequality_wrapperINSA_8equal_toItEEEEPmJS6_EEE10hipError_tPvRmT3_T4_T5_T6_T7_T9_mT8_P12ihipStream_tbDpT10_ENKUlT_T0_E_clISt17integral_constantIbLb1EES19_IbLb0EEEEDaS15_S16_EUlS15_E_NS1_11comp_targetILNS1_3genE10ELNS1_11target_archE1200ELNS1_3gpuE4ELNS1_3repE0EEENS1_30default_config_static_selectorELNS0_4arch9wavefront6targetE1EEEvT1_: ; @_ZN7rocprim17ROCPRIM_400000_NS6detail17trampoline_kernelINS0_14default_configENS1_25partition_config_selectorILNS1_17partition_subalgoE8EtNS0_10empty_typeEbEEZZNS1_14partition_implILS5_8ELb0ES3_jN6thrust23THRUST_200600_302600_NS6detail15normal_iteratorINSA_10device_ptrItEEEEPS6_PKS6_NS0_5tupleIJSF_S6_EEENSJ_IJSG_SG_EEENS0_18inequality_wrapperINSA_8equal_toItEEEEPmJS6_EEE10hipError_tPvRmT3_T4_T5_T6_T7_T9_mT8_P12ihipStream_tbDpT10_ENKUlT_T0_E_clISt17integral_constantIbLb1EES19_IbLb0EEEEDaS15_S16_EUlS15_E_NS1_11comp_targetILNS1_3genE10ELNS1_11target_archE1200ELNS1_3gpuE4ELNS1_3repE0EEENS1_30default_config_static_selectorELNS0_4arch9wavefront6targetE1EEEvT1_
; %bb.0:
	.section	.rodata,"a",@progbits
	.p2align	6, 0x0
	.amdhsa_kernel _ZN7rocprim17ROCPRIM_400000_NS6detail17trampoline_kernelINS0_14default_configENS1_25partition_config_selectorILNS1_17partition_subalgoE8EtNS0_10empty_typeEbEEZZNS1_14partition_implILS5_8ELb0ES3_jN6thrust23THRUST_200600_302600_NS6detail15normal_iteratorINSA_10device_ptrItEEEEPS6_PKS6_NS0_5tupleIJSF_S6_EEENSJ_IJSG_SG_EEENS0_18inequality_wrapperINSA_8equal_toItEEEEPmJS6_EEE10hipError_tPvRmT3_T4_T5_T6_T7_T9_mT8_P12ihipStream_tbDpT10_ENKUlT_T0_E_clISt17integral_constantIbLb1EES19_IbLb0EEEEDaS15_S16_EUlS15_E_NS1_11comp_targetILNS1_3genE10ELNS1_11target_archE1200ELNS1_3gpuE4ELNS1_3repE0EEENS1_30default_config_static_selectorELNS0_4arch9wavefront6targetE1EEEvT1_
		.amdhsa_group_segment_fixed_size 0
		.amdhsa_private_segment_fixed_size 0
		.amdhsa_kernarg_size 112
		.amdhsa_user_sgpr_count 6
		.amdhsa_user_sgpr_private_segment_buffer 1
		.amdhsa_user_sgpr_dispatch_ptr 0
		.amdhsa_user_sgpr_queue_ptr 0
		.amdhsa_user_sgpr_kernarg_segment_ptr 1
		.amdhsa_user_sgpr_dispatch_id 0
		.amdhsa_user_sgpr_flat_scratch_init 0
		.amdhsa_user_sgpr_private_segment_size 0
		.amdhsa_uses_dynamic_stack 0
		.amdhsa_system_sgpr_private_segment_wavefront_offset 0
		.amdhsa_system_sgpr_workgroup_id_x 1
		.amdhsa_system_sgpr_workgroup_id_y 0
		.amdhsa_system_sgpr_workgroup_id_z 0
		.amdhsa_system_sgpr_workgroup_info 0
		.amdhsa_system_vgpr_workitem_id 0
		.amdhsa_next_free_vgpr 1
		.amdhsa_next_free_sgpr 0
		.amdhsa_reserve_vcc 0
		.amdhsa_reserve_flat_scratch 0
		.amdhsa_float_round_mode_32 0
		.amdhsa_float_round_mode_16_64 0
		.amdhsa_float_denorm_mode_32 3
		.amdhsa_float_denorm_mode_16_64 3
		.amdhsa_dx10_clamp 1
		.amdhsa_ieee_mode 1
		.amdhsa_fp16_overflow 0
		.amdhsa_exception_fp_ieee_invalid_op 0
		.amdhsa_exception_fp_denorm_src 0
		.amdhsa_exception_fp_ieee_div_zero 0
		.amdhsa_exception_fp_ieee_overflow 0
		.amdhsa_exception_fp_ieee_underflow 0
		.amdhsa_exception_fp_ieee_inexact 0
		.amdhsa_exception_int_div_zero 0
	.end_amdhsa_kernel
	.section	.text._ZN7rocprim17ROCPRIM_400000_NS6detail17trampoline_kernelINS0_14default_configENS1_25partition_config_selectorILNS1_17partition_subalgoE8EtNS0_10empty_typeEbEEZZNS1_14partition_implILS5_8ELb0ES3_jN6thrust23THRUST_200600_302600_NS6detail15normal_iteratorINSA_10device_ptrItEEEEPS6_PKS6_NS0_5tupleIJSF_S6_EEENSJ_IJSG_SG_EEENS0_18inequality_wrapperINSA_8equal_toItEEEEPmJS6_EEE10hipError_tPvRmT3_T4_T5_T6_T7_T9_mT8_P12ihipStream_tbDpT10_ENKUlT_T0_E_clISt17integral_constantIbLb1EES19_IbLb0EEEEDaS15_S16_EUlS15_E_NS1_11comp_targetILNS1_3genE10ELNS1_11target_archE1200ELNS1_3gpuE4ELNS1_3repE0EEENS1_30default_config_static_selectorELNS0_4arch9wavefront6targetE1EEEvT1_,"axG",@progbits,_ZN7rocprim17ROCPRIM_400000_NS6detail17trampoline_kernelINS0_14default_configENS1_25partition_config_selectorILNS1_17partition_subalgoE8EtNS0_10empty_typeEbEEZZNS1_14partition_implILS5_8ELb0ES3_jN6thrust23THRUST_200600_302600_NS6detail15normal_iteratorINSA_10device_ptrItEEEEPS6_PKS6_NS0_5tupleIJSF_S6_EEENSJ_IJSG_SG_EEENS0_18inequality_wrapperINSA_8equal_toItEEEEPmJS6_EEE10hipError_tPvRmT3_T4_T5_T6_T7_T9_mT8_P12ihipStream_tbDpT10_ENKUlT_T0_E_clISt17integral_constantIbLb1EES19_IbLb0EEEEDaS15_S16_EUlS15_E_NS1_11comp_targetILNS1_3genE10ELNS1_11target_archE1200ELNS1_3gpuE4ELNS1_3repE0EEENS1_30default_config_static_selectorELNS0_4arch9wavefront6targetE1EEEvT1_,comdat
.Lfunc_end296:
	.size	_ZN7rocprim17ROCPRIM_400000_NS6detail17trampoline_kernelINS0_14default_configENS1_25partition_config_selectorILNS1_17partition_subalgoE8EtNS0_10empty_typeEbEEZZNS1_14partition_implILS5_8ELb0ES3_jN6thrust23THRUST_200600_302600_NS6detail15normal_iteratorINSA_10device_ptrItEEEEPS6_PKS6_NS0_5tupleIJSF_S6_EEENSJ_IJSG_SG_EEENS0_18inequality_wrapperINSA_8equal_toItEEEEPmJS6_EEE10hipError_tPvRmT3_T4_T5_T6_T7_T9_mT8_P12ihipStream_tbDpT10_ENKUlT_T0_E_clISt17integral_constantIbLb1EES19_IbLb0EEEEDaS15_S16_EUlS15_E_NS1_11comp_targetILNS1_3genE10ELNS1_11target_archE1200ELNS1_3gpuE4ELNS1_3repE0EEENS1_30default_config_static_selectorELNS0_4arch9wavefront6targetE1EEEvT1_, .Lfunc_end296-_ZN7rocprim17ROCPRIM_400000_NS6detail17trampoline_kernelINS0_14default_configENS1_25partition_config_selectorILNS1_17partition_subalgoE8EtNS0_10empty_typeEbEEZZNS1_14partition_implILS5_8ELb0ES3_jN6thrust23THRUST_200600_302600_NS6detail15normal_iteratorINSA_10device_ptrItEEEEPS6_PKS6_NS0_5tupleIJSF_S6_EEENSJ_IJSG_SG_EEENS0_18inequality_wrapperINSA_8equal_toItEEEEPmJS6_EEE10hipError_tPvRmT3_T4_T5_T6_T7_T9_mT8_P12ihipStream_tbDpT10_ENKUlT_T0_E_clISt17integral_constantIbLb1EES19_IbLb0EEEEDaS15_S16_EUlS15_E_NS1_11comp_targetILNS1_3genE10ELNS1_11target_archE1200ELNS1_3gpuE4ELNS1_3repE0EEENS1_30default_config_static_selectorELNS0_4arch9wavefront6targetE1EEEvT1_
                                        ; -- End function
	.set _ZN7rocprim17ROCPRIM_400000_NS6detail17trampoline_kernelINS0_14default_configENS1_25partition_config_selectorILNS1_17partition_subalgoE8EtNS0_10empty_typeEbEEZZNS1_14partition_implILS5_8ELb0ES3_jN6thrust23THRUST_200600_302600_NS6detail15normal_iteratorINSA_10device_ptrItEEEEPS6_PKS6_NS0_5tupleIJSF_S6_EEENSJ_IJSG_SG_EEENS0_18inequality_wrapperINSA_8equal_toItEEEEPmJS6_EEE10hipError_tPvRmT3_T4_T5_T6_T7_T9_mT8_P12ihipStream_tbDpT10_ENKUlT_T0_E_clISt17integral_constantIbLb1EES19_IbLb0EEEEDaS15_S16_EUlS15_E_NS1_11comp_targetILNS1_3genE10ELNS1_11target_archE1200ELNS1_3gpuE4ELNS1_3repE0EEENS1_30default_config_static_selectorELNS0_4arch9wavefront6targetE1EEEvT1_.num_vgpr, 0
	.set _ZN7rocprim17ROCPRIM_400000_NS6detail17trampoline_kernelINS0_14default_configENS1_25partition_config_selectorILNS1_17partition_subalgoE8EtNS0_10empty_typeEbEEZZNS1_14partition_implILS5_8ELb0ES3_jN6thrust23THRUST_200600_302600_NS6detail15normal_iteratorINSA_10device_ptrItEEEEPS6_PKS6_NS0_5tupleIJSF_S6_EEENSJ_IJSG_SG_EEENS0_18inequality_wrapperINSA_8equal_toItEEEEPmJS6_EEE10hipError_tPvRmT3_T4_T5_T6_T7_T9_mT8_P12ihipStream_tbDpT10_ENKUlT_T0_E_clISt17integral_constantIbLb1EES19_IbLb0EEEEDaS15_S16_EUlS15_E_NS1_11comp_targetILNS1_3genE10ELNS1_11target_archE1200ELNS1_3gpuE4ELNS1_3repE0EEENS1_30default_config_static_selectorELNS0_4arch9wavefront6targetE1EEEvT1_.num_agpr, 0
	.set _ZN7rocprim17ROCPRIM_400000_NS6detail17trampoline_kernelINS0_14default_configENS1_25partition_config_selectorILNS1_17partition_subalgoE8EtNS0_10empty_typeEbEEZZNS1_14partition_implILS5_8ELb0ES3_jN6thrust23THRUST_200600_302600_NS6detail15normal_iteratorINSA_10device_ptrItEEEEPS6_PKS6_NS0_5tupleIJSF_S6_EEENSJ_IJSG_SG_EEENS0_18inequality_wrapperINSA_8equal_toItEEEEPmJS6_EEE10hipError_tPvRmT3_T4_T5_T6_T7_T9_mT8_P12ihipStream_tbDpT10_ENKUlT_T0_E_clISt17integral_constantIbLb1EES19_IbLb0EEEEDaS15_S16_EUlS15_E_NS1_11comp_targetILNS1_3genE10ELNS1_11target_archE1200ELNS1_3gpuE4ELNS1_3repE0EEENS1_30default_config_static_selectorELNS0_4arch9wavefront6targetE1EEEvT1_.numbered_sgpr, 0
	.set _ZN7rocprim17ROCPRIM_400000_NS6detail17trampoline_kernelINS0_14default_configENS1_25partition_config_selectorILNS1_17partition_subalgoE8EtNS0_10empty_typeEbEEZZNS1_14partition_implILS5_8ELb0ES3_jN6thrust23THRUST_200600_302600_NS6detail15normal_iteratorINSA_10device_ptrItEEEEPS6_PKS6_NS0_5tupleIJSF_S6_EEENSJ_IJSG_SG_EEENS0_18inequality_wrapperINSA_8equal_toItEEEEPmJS6_EEE10hipError_tPvRmT3_T4_T5_T6_T7_T9_mT8_P12ihipStream_tbDpT10_ENKUlT_T0_E_clISt17integral_constantIbLb1EES19_IbLb0EEEEDaS15_S16_EUlS15_E_NS1_11comp_targetILNS1_3genE10ELNS1_11target_archE1200ELNS1_3gpuE4ELNS1_3repE0EEENS1_30default_config_static_selectorELNS0_4arch9wavefront6targetE1EEEvT1_.num_named_barrier, 0
	.set _ZN7rocprim17ROCPRIM_400000_NS6detail17trampoline_kernelINS0_14default_configENS1_25partition_config_selectorILNS1_17partition_subalgoE8EtNS0_10empty_typeEbEEZZNS1_14partition_implILS5_8ELb0ES3_jN6thrust23THRUST_200600_302600_NS6detail15normal_iteratorINSA_10device_ptrItEEEEPS6_PKS6_NS0_5tupleIJSF_S6_EEENSJ_IJSG_SG_EEENS0_18inequality_wrapperINSA_8equal_toItEEEEPmJS6_EEE10hipError_tPvRmT3_T4_T5_T6_T7_T9_mT8_P12ihipStream_tbDpT10_ENKUlT_T0_E_clISt17integral_constantIbLb1EES19_IbLb0EEEEDaS15_S16_EUlS15_E_NS1_11comp_targetILNS1_3genE10ELNS1_11target_archE1200ELNS1_3gpuE4ELNS1_3repE0EEENS1_30default_config_static_selectorELNS0_4arch9wavefront6targetE1EEEvT1_.private_seg_size, 0
	.set _ZN7rocprim17ROCPRIM_400000_NS6detail17trampoline_kernelINS0_14default_configENS1_25partition_config_selectorILNS1_17partition_subalgoE8EtNS0_10empty_typeEbEEZZNS1_14partition_implILS5_8ELb0ES3_jN6thrust23THRUST_200600_302600_NS6detail15normal_iteratorINSA_10device_ptrItEEEEPS6_PKS6_NS0_5tupleIJSF_S6_EEENSJ_IJSG_SG_EEENS0_18inequality_wrapperINSA_8equal_toItEEEEPmJS6_EEE10hipError_tPvRmT3_T4_T5_T6_T7_T9_mT8_P12ihipStream_tbDpT10_ENKUlT_T0_E_clISt17integral_constantIbLb1EES19_IbLb0EEEEDaS15_S16_EUlS15_E_NS1_11comp_targetILNS1_3genE10ELNS1_11target_archE1200ELNS1_3gpuE4ELNS1_3repE0EEENS1_30default_config_static_selectorELNS0_4arch9wavefront6targetE1EEEvT1_.uses_vcc, 0
	.set _ZN7rocprim17ROCPRIM_400000_NS6detail17trampoline_kernelINS0_14default_configENS1_25partition_config_selectorILNS1_17partition_subalgoE8EtNS0_10empty_typeEbEEZZNS1_14partition_implILS5_8ELb0ES3_jN6thrust23THRUST_200600_302600_NS6detail15normal_iteratorINSA_10device_ptrItEEEEPS6_PKS6_NS0_5tupleIJSF_S6_EEENSJ_IJSG_SG_EEENS0_18inequality_wrapperINSA_8equal_toItEEEEPmJS6_EEE10hipError_tPvRmT3_T4_T5_T6_T7_T9_mT8_P12ihipStream_tbDpT10_ENKUlT_T0_E_clISt17integral_constantIbLb1EES19_IbLb0EEEEDaS15_S16_EUlS15_E_NS1_11comp_targetILNS1_3genE10ELNS1_11target_archE1200ELNS1_3gpuE4ELNS1_3repE0EEENS1_30default_config_static_selectorELNS0_4arch9wavefront6targetE1EEEvT1_.uses_flat_scratch, 0
	.set _ZN7rocprim17ROCPRIM_400000_NS6detail17trampoline_kernelINS0_14default_configENS1_25partition_config_selectorILNS1_17partition_subalgoE8EtNS0_10empty_typeEbEEZZNS1_14partition_implILS5_8ELb0ES3_jN6thrust23THRUST_200600_302600_NS6detail15normal_iteratorINSA_10device_ptrItEEEEPS6_PKS6_NS0_5tupleIJSF_S6_EEENSJ_IJSG_SG_EEENS0_18inequality_wrapperINSA_8equal_toItEEEEPmJS6_EEE10hipError_tPvRmT3_T4_T5_T6_T7_T9_mT8_P12ihipStream_tbDpT10_ENKUlT_T0_E_clISt17integral_constantIbLb1EES19_IbLb0EEEEDaS15_S16_EUlS15_E_NS1_11comp_targetILNS1_3genE10ELNS1_11target_archE1200ELNS1_3gpuE4ELNS1_3repE0EEENS1_30default_config_static_selectorELNS0_4arch9wavefront6targetE1EEEvT1_.has_dyn_sized_stack, 0
	.set _ZN7rocprim17ROCPRIM_400000_NS6detail17trampoline_kernelINS0_14default_configENS1_25partition_config_selectorILNS1_17partition_subalgoE8EtNS0_10empty_typeEbEEZZNS1_14partition_implILS5_8ELb0ES3_jN6thrust23THRUST_200600_302600_NS6detail15normal_iteratorINSA_10device_ptrItEEEEPS6_PKS6_NS0_5tupleIJSF_S6_EEENSJ_IJSG_SG_EEENS0_18inequality_wrapperINSA_8equal_toItEEEEPmJS6_EEE10hipError_tPvRmT3_T4_T5_T6_T7_T9_mT8_P12ihipStream_tbDpT10_ENKUlT_T0_E_clISt17integral_constantIbLb1EES19_IbLb0EEEEDaS15_S16_EUlS15_E_NS1_11comp_targetILNS1_3genE10ELNS1_11target_archE1200ELNS1_3gpuE4ELNS1_3repE0EEENS1_30default_config_static_selectorELNS0_4arch9wavefront6targetE1EEEvT1_.has_recursion, 0
	.set _ZN7rocprim17ROCPRIM_400000_NS6detail17trampoline_kernelINS0_14default_configENS1_25partition_config_selectorILNS1_17partition_subalgoE8EtNS0_10empty_typeEbEEZZNS1_14partition_implILS5_8ELb0ES3_jN6thrust23THRUST_200600_302600_NS6detail15normal_iteratorINSA_10device_ptrItEEEEPS6_PKS6_NS0_5tupleIJSF_S6_EEENSJ_IJSG_SG_EEENS0_18inequality_wrapperINSA_8equal_toItEEEEPmJS6_EEE10hipError_tPvRmT3_T4_T5_T6_T7_T9_mT8_P12ihipStream_tbDpT10_ENKUlT_T0_E_clISt17integral_constantIbLb1EES19_IbLb0EEEEDaS15_S16_EUlS15_E_NS1_11comp_targetILNS1_3genE10ELNS1_11target_archE1200ELNS1_3gpuE4ELNS1_3repE0EEENS1_30default_config_static_selectorELNS0_4arch9wavefront6targetE1EEEvT1_.has_indirect_call, 0
	.section	.AMDGPU.csdata,"",@progbits
; Kernel info:
; codeLenInByte = 0
; TotalNumSgprs: 4
; NumVgprs: 0
; ScratchSize: 0
; MemoryBound: 0
; FloatMode: 240
; IeeeMode: 1
; LDSByteSize: 0 bytes/workgroup (compile time only)
; SGPRBlocks: 0
; VGPRBlocks: 0
; NumSGPRsForWavesPerEU: 4
; NumVGPRsForWavesPerEU: 1
; Occupancy: 10
; WaveLimiterHint : 0
; COMPUTE_PGM_RSRC2:SCRATCH_EN: 0
; COMPUTE_PGM_RSRC2:USER_SGPR: 6
; COMPUTE_PGM_RSRC2:TRAP_HANDLER: 0
; COMPUTE_PGM_RSRC2:TGID_X_EN: 1
; COMPUTE_PGM_RSRC2:TGID_Y_EN: 0
; COMPUTE_PGM_RSRC2:TGID_Z_EN: 0
; COMPUTE_PGM_RSRC2:TIDIG_COMP_CNT: 0
	.section	.text._ZN7rocprim17ROCPRIM_400000_NS6detail17trampoline_kernelINS0_14default_configENS1_25partition_config_selectorILNS1_17partition_subalgoE8EtNS0_10empty_typeEbEEZZNS1_14partition_implILS5_8ELb0ES3_jN6thrust23THRUST_200600_302600_NS6detail15normal_iteratorINSA_10device_ptrItEEEEPS6_PKS6_NS0_5tupleIJSF_S6_EEENSJ_IJSG_SG_EEENS0_18inequality_wrapperINSA_8equal_toItEEEEPmJS6_EEE10hipError_tPvRmT3_T4_T5_T6_T7_T9_mT8_P12ihipStream_tbDpT10_ENKUlT_T0_E_clISt17integral_constantIbLb1EES19_IbLb0EEEEDaS15_S16_EUlS15_E_NS1_11comp_targetILNS1_3genE9ELNS1_11target_archE1100ELNS1_3gpuE3ELNS1_3repE0EEENS1_30default_config_static_selectorELNS0_4arch9wavefront6targetE1EEEvT1_,"axG",@progbits,_ZN7rocprim17ROCPRIM_400000_NS6detail17trampoline_kernelINS0_14default_configENS1_25partition_config_selectorILNS1_17partition_subalgoE8EtNS0_10empty_typeEbEEZZNS1_14partition_implILS5_8ELb0ES3_jN6thrust23THRUST_200600_302600_NS6detail15normal_iteratorINSA_10device_ptrItEEEEPS6_PKS6_NS0_5tupleIJSF_S6_EEENSJ_IJSG_SG_EEENS0_18inequality_wrapperINSA_8equal_toItEEEEPmJS6_EEE10hipError_tPvRmT3_T4_T5_T6_T7_T9_mT8_P12ihipStream_tbDpT10_ENKUlT_T0_E_clISt17integral_constantIbLb1EES19_IbLb0EEEEDaS15_S16_EUlS15_E_NS1_11comp_targetILNS1_3genE9ELNS1_11target_archE1100ELNS1_3gpuE3ELNS1_3repE0EEENS1_30default_config_static_selectorELNS0_4arch9wavefront6targetE1EEEvT1_,comdat
	.protected	_ZN7rocprim17ROCPRIM_400000_NS6detail17trampoline_kernelINS0_14default_configENS1_25partition_config_selectorILNS1_17partition_subalgoE8EtNS0_10empty_typeEbEEZZNS1_14partition_implILS5_8ELb0ES3_jN6thrust23THRUST_200600_302600_NS6detail15normal_iteratorINSA_10device_ptrItEEEEPS6_PKS6_NS0_5tupleIJSF_S6_EEENSJ_IJSG_SG_EEENS0_18inequality_wrapperINSA_8equal_toItEEEEPmJS6_EEE10hipError_tPvRmT3_T4_T5_T6_T7_T9_mT8_P12ihipStream_tbDpT10_ENKUlT_T0_E_clISt17integral_constantIbLb1EES19_IbLb0EEEEDaS15_S16_EUlS15_E_NS1_11comp_targetILNS1_3genE9ELNS1_11target_archE1100ELNS1_3gpuE3ELNS1_3repE0EEENS1_30default_config_static_selectorELNS0_4arch9wavefront6targetE1EEEvT1_ ; -- Begin function _ZN7rocprim17ROCPRIM_400000_NS6detail17trampoline_kernelINS0_14default_configENS1_25partition_config_selectorILNS1_17partition_subalgoE8EtNS0_10empty_typeEbEEZZNS1_14partition_implILS5_8ELb0ES3_jN6thrust23THRUST_200600_302600_NS6detail15normal_iteratorINSA_10device_ptrItEEEEPS6_PKS6_NS0_5tupleIJSF_S6_EEENSJ_IJSG_SG_EEENS0_18inequality_wrapperINSA_8equal_toItEEEEPmJS6_EEE10hipError_tPvRmT3_T4_T5_T6_T7_T9_mT8_P12ihipStream_tbDpT10_ENKUlT_T0_E_clISt17integral_constantIbLb1EES19_IbLb0EEEEDaS15_S16_EUlS15_E_NS1_11comp_targetILNS1_3genE9ELNS1_11target_archE1100ELNS1_3gpuE3ELNS1_3repE0EEENS1_30default_config_static_selectorELNS0_4arch9wavefront6targetE1EEEvT1_
	.globl	_ZN7rocprim17ROCPRIM_400000_NS6detail17trampoline_kernelINS0_14default_configENS1_25partition_config_selectorILNS1_17partition_subalgoE8EtNS0_10empty_typeEbEEZZNS1_14partition_implILS5_8ELb0ES3_jN6thrust23THRUST_200600_302600_NS6detail15normal_iteratorINSA_10device_ptrItEEEEPS6_PKS6_NS0_5tupleIJSF_S6_EEENSJ_IJSG_SG_EEENS0_18inequality_wrapperINSA_8equal_toItEEEEPmJS6_EEE10hipError_tPvRmT3_T4_T5_T6_T7_T9_mT8_P12ihipStream_tbDpT10_ENKUlT_T0_E_clISt17integral_constantIbLb1EES19_IbLb0EEEEDaS15_S16_EUlS15_E_NS1_11comp_targetILNS1_3genE9ELNS1_11target_archE1100ELNS1_3gpuE3ELNS1_3repE0EEENS1_30default_config_static_selectorELNS0_4arch9wavefront6targetE1EEEvT1_
	.p2align	8
	.type	_ZN7rocprim17ROCPRIM_400000_NS6detail17trampoline_kernelINS0_14default_configENS1_25partition_config_selectorILNS1_17partition_subalgoE8EtNS0_10empty_typeEbEEZZNS1_14partition_implILS5_8ELb0ES3_jN6thrust23THRUST_200600_302600_NS6detail15normal_iteratorINSA_10device_ptrItEEEEPS6_PKS6_NS0_5tupleIJSF_S6_EEENSJ_IJSG_SG_EEENS0_18inequality_wrapperINSA_8equal_toItEEEEPmJS6_EEE10hipError_tPvRmT3_T4_T5_T6_T7_T9_mT8_P12ihipStream_tbDpT10_ENKUlT_T0_E_clISt17integral_constantIbLb1EES19_IbLb0EEEEDaS15_S16_EUlS15_E_NS1_11comp_targetILNS1_3genE9ELNS1_11target_archE1100ELNS1_3gpuE3ELNS1_3repE0EEENS1_30default_config_static_selectorELNS0_4arch9wavefront6targetE1EEEvT1_,@function
_ZN7rocprim17ROCPRIM_400000_NS6detail17trampoline_kernelINS0_14default_configENS1_25partition_config_selectorILNS1_17partition_subalgoE8EtNS0_10empty_typeEbEEZZNS1_14partition_implILS5_8ELb0ES3_jN6thrust23THRUST_200600_302600_NS6detail15normal_iteratorINSA_10device_ptrItEEEEPS6_PKS6_NS0_5tupleIJSF_S6_EEENSJ_IJSG_SG_EEENS0_18inequality_wrapperINSA_8equal_toItEEEEPmJS6_EEE10hipError_tPvRmT3_T4_T5_T6_T7_T9_mT8_P12ihipStream_tbDpT10_ENKUlT_T0_E_clISt17integral_constantIbLb1EES19_IbLb0EEEEDaS15_S16_EUlS15_E_NS1_11comp_targetILNS1_3genE9ELNS1_11target_archE1100ELNS1_3gpuE3ELNS1_3repE0EEENS1_30default_config_static_selectorELNS0_4arch9wavefront6targetE1EEEvT1_: ; @_ZN7rocprim17ROCPRIM_400000_NS6detail17trampoline_kernelINS0_14default_configENS1_25partition_config_selectorILNS1_17partition_subalgoE8EtNS0_10empty_typeEbEEZZNS1_14partition_implILS5_8ELb0ES3_jN6thrust23THRUST_200600_302600_NS6detail15normal_iteratorINSA_10device_ptrItEEEEPS6_PKS6_NS0_5tupleIJSF_S6_EEENSJ_IJSG_SG_EEENS0_18inequality_wrapperINSA_8equal_toItEEEEPmJS6_EEE10hipError_tPvRmT3_T4_T5_T6_T7_T9_mT8_P12ihipStream_tbDpT10_ENKUlT_T0_E_clISt17integral_constantIbLb1EES19_IbLb0EEEEDaS15_S16_EUlS15_E_NS1_11comp_targetILNS1_3genE9ELNS1_11target_archE1100ELNS1_3gpuE3ELNS1_3repE0EEENS1_30default_config_static_selectorELNS0_4arch9wavefront6targetE1EEEvT1_
; %bb.0:
	.section	.rodata,"a",@progbits
	.p2align	6, 0x0
	.amdhsa_kernel _ZN7rocprim17ROCPRIM_400000_NS6detail17trampoline_kernelINS0_14default_configENS1_25partition_config_selectorILNS1_17partition_subalgoE8EtNS0_10empty_typeEbEEZZNS1_14partition_implILS5_8ELb0ES3_jN6thrust23THRUST_200600_302600_NS6detail15normal_iteratorINSA_10device_ptrItEEEEPS6_PKS6_NS0_5tupleIJSF_S6_EEENSJ_IJSG_SG_EEENS0_18inequality_wrapperINSA_8equal_toItEEEEPmJS6_EEE10hipError_tPvRmT3_T4_T5_T6_T7_T9_mT8_P12ihipStream_tbDpT10_ENKUlT_T0_E_clISt17integral_constantIbLb1EES19_IbLb0EEEEDaS15_S16_EUlS15_E_NS1_11comp_targetILNS1_3genE9ELNS1_11target_archE1100ELNS1_3gpuE3ELNS1_3repE0EEENS1_30default_config_static_selectorELNS0_4arch9wavefront6targetE1EEEvT1_
		.amdhsa_group_segment_fixed_size 0
		.amdhsa_private_segment_fixed_size 0
		.amdhsa_kernarg_size 112
		.amdhsa_user_sgpr_count 6
		.amdhsa_user_sgpr_private_segment_buffer 1
		.amdhsa_user_sgpr_dispatch_ptr 0
		.amdhsa_user_sgpr_queue_ptr 0
		.amdhsa_user_sgpr_kernarg_segment_ptr 1
		.amdhsa_user_sgpr_dispatch_id 0
		.amdhsa_user_sgpr_flat_scratch_init 0
		.amdhsa_user_sgpr_private_segment_size 0
		.amdhsa_uses_dynamic_stack 0
		.amdhsa_system_sgpr_private_segment_wavefront_offset 0
		.amdhsa_system_sgpr_workgroup_id_x 1
		.amdhsa_system_sgpr_workgroup_id_y 0
		.amdhsa_system_sgpr_workgroup_id_z 0
		.amdhsa_system_sgpr_workgroup_info 0
		.amdhsa_system_vgpr_workitem_id 0
		.amdhsa_next_free_vgpr 1
		.amdhsa_next_free_sgpr 0
		.amdhsa_reserve_vcc 0
		.amdhsa_reserve_flat_scratch 0
		.amdhsa_float_round_mode_32 0
		.amdhsa_float_round_mode_16_64 0
		.amdhsa_float_denorm_mode_32 3
		.amdhsa_float_denorm_mode_16_64 3
		.amdhsa_dx10_clamp 1
		.amdhsa_ieee_mode 1
		.amdhsa_fp16_overflow 0
		.amdhsa_exception_fp_ieee_invalid_op 0
		.amdhsa_exception_fp_denorm_src 0
		.amdhsa_exception_fp_ieee_div_zero 0
		.amdhsa_exception_fp_ieee_overflow 0
		.amdhsa_exception_fp_ieee_underflow 0
		.amdhsa_exception_fp_ieee_inexact 0
		.amdhsa_exception_int_div_zero 0
	.end_amdhsa_kernel
	.section	.text._ZN7rocprim17ROCPRIM_400000_NS6detail17trampoline_kernelINS0_14default_configENS1_25partition_config_selectorILNS1_17partition_subalgoE8EtNS0_10empty_typeEbEEZZNS1_14partition_implILS5_8ELb0ES3_jN6thrust23THRUST_200600_302600_NS6detail15normal_iteratorINSA_10device_ptrItEEEEPS6_PKS6_NS0_5tupleIJSF_S6_EEENSJ_IJSG_SG_EEENS0_18inequality_wrapperINSA_8equal_toItEEEEPmJS6_EEE10hipError_tPvRmT3_T4_T5_T6_T7_T9_mT8_P12ihipStream_tbDpT10_ENKUlT_T0_E_clISt17integral_constantIbLb1EES19_IbLb0EEEEDaS15_S16_EUlS15_E_NS1_11comp_targetILNS1_3genE9ELNS1_11target_archE1100ELNS1_3gpuE3ELNS1_3repE0EEENS1_30default_config_static_selectorELNS0_4arch9wavefront6targetE1EEEvT1_,"axG",@progbits,_ZN7rocprim17ROCPRIM_400000_NS6detail17trampoline_kernelINS0_14default_configENS1_25partition_config_selectorILNS1_17partition_subalgoE8EtNS0_10empty_typeEbEEZZNS1_14partition_implILS5_8ELb0ES3_jN6thrust23THRUST_200600_302600_NS6detail15normal_iteratorINSA_10device_ptrItEEEEPS6_PKS6_NS0_5tupleIJSF_S6_EEENSJ_IJSG_SG_EEENS0_18inequality_wrapperINSA_8equal_toItEEEEPmJS6_EEE10hipError_tPvRmT3_T4_T5_T6_T7_T9_mT8_P12ihipStream_tbDpT10_ENKUlT_T0_E_clISt17integral_constantIbLb1EES19_IbLb0EEEEDaS15_S16_EUlS15_E_NS1_11comp_targetILNS1_3genE9ELNS1_11target_archE1100ELNS1_3gpuE3ELNS1_3repE0EEENS1_30default_config_static_selectorELNS0_4arch9wavefront6targetE1EEEvT1_,comdat
.Lfunc_end297:
	.size	_ZN7rocprim17ROCPRIM_400000_NS6detail17trampoline_kernelINS0_14default_configENS1_25partition_config_selectorILNS1_17partition_subalgoE8EtNS0_10empty_typeEbEEZZNS1_14partition_implILS5_8ELb0ES3_jN6thrust23THRUST_200600_302600_NS6detail15normal_iteratorINSA_10device_ptrItEEEEPS6_PKS6_NS0_5tupleIJSF_S6_EEENSJ_IJSG_SG_EEENS0_18inequality_wrapperINSA_8equal_toItEEEEPmJS6_EEE10hipError_tPvRmT3_T4_T5_T6_T7_T9_mT8_P12ihipStream_tbDpT10_ENKUlT_T0_E_clISt17integral_constantIbLb1EES19_IbLb0EEEEDaS15_S16_EUlS15_E_NS1_11comp_targetILNS1_3genE9ELNS1_11target_archE1100ELNS1_3gpuE3ELNS1_3repE0EEENS1_30default_config_static_selectorELNS0_4arch9wavefront6targetE1EEEvT1_, .Lfunc_end297-_ZN7rocprim17ROCPRIM_400000_NS6detail17trampoline_kernelINS0_14default_configENS1_25partition_config_selectorILNS1_17partition_subalgoE8EtNS0_10empty_typeEbEEZZNS1_14partition_implILS5_8ELb0ES3_jN6thrust23THRUST_200600_302600_NS6detail15normal_iteratorINSA_10device_ptrItEEEEPS6_PKS6_NS0_5tupleIJSF_S6_EEENSJ_IJSG_SG_EEENS0_18inequality_wrapperINSA_8equal_toItEEEEPmJS6_EEE10hipError_tPvRmT3_T4_T5_T6_T7_T9_mT8_P12ihipStream_tbDpT10_ENKUlT_T0_E_clISt17integral_constantIbLb1EES19_IbLb0EEEEDaS15_S16_EUlS15_E_NS1_11comp_targetILNS1_3genE9ELNS1_11target_archE1100ELNS1_3gpuE3ELNS1_3repE0EEENS1_30default_config_static_selectorELNS0_4arch9wavefront6targetE1EEEvT1_
                                        ; -- End function
	.set _ZN7rocprim17ROCPRIM_400000_NS6detail17trampoline_kernelINS0_14default_configENS1_25partition_config_selectorILNS1_17partition_subalgoE8EtNS0_10empty_typeEbEEZZNS1_14partition_implILS5_8ELb0ES3_jN6thrust23THRUST_200600_302600_NS6detail15normal_iteratorINSA_10device_ptrItEEEEPS6_PKS6_NS0_5tupleIJSF_S6_EEENSJ_IJSG_SG_EEENS0_18inequality_wrapperINSA_8equal_toItEEEEPmJS6_EEE10hipError_tPvRmT3_T4_T5_T6_T7_T9_mT8_P12ihipStream_tbDpT10_ENKUlT_T0_E_clISt17integral_constantIbLb1EES19_IbLb0EEEEDaS15_S16_EUlS15_E_NS1_11comp_targetILNS1_3genE9ELNS1_11target_archE1100ELNS1_3gpuE3ELNS1_3repE0EEENS1_30default_config_static_selectorELNS0_4arch9wavefront6targetE1EEEvT1_.num_vgpr, 0
	.set _ZN7rocprim17ROCPRIM_400000_NS6detail17trampoline_kernelINS0_14default_configENS1_25partition_config_selectorILNS1_17partition_subalgoE8EtNS0_10empty_typeEbEEZZNS1_14partition_implILS5_8ELb0ES3_jN6thrust23THRUST_200600_302600_NS6detail15normal_iteratorINSA_10device_ptrItEEEEPS6_PKS6_NS0_5tupleIJSF_S6_EEENSJ_IJSG_SG_EEENS0_18inequality_wrapperINSA_8equal_toItEEEEPmJS6_EEE10hipError_tPvRmT3_T4_T5_T6_T7_T9_mT8_P12ihipStream_tbDpT10_ENKUlT_T0_E_clISt17integral_constantIbLb1EES19_IbLb0EEEEDaS15_S16_EUlS15_E_NS1_11comp_targetILNS1_3genE9ELNS1_11target_archE1100ELNS1_3gpuE3ELNS1_3repE0EEENS1_30default_config_static_selectorELNS0_4arch9wavefront6targetE1EEEvT1_.num_agpr, 0
	.set _ZN7rocprim17ROCPRIM_400000_NS6detail17trampoline_kernelINS0_14default_configENS1_25partition_config_selectorILNS1_17partition_subalgoE8EtNS0_10empty_typeEbEEZZNS1_14partition_implILS5_8ELb0ES3_jN6thrust23THRUST_200600_302600_NS6detail15normal_iteratorINSA_10device_ptrItEEEEPS6_PKS6_NS0_5tupleIJSF_S6_EEENSJ_IJSG_SG_EEENS0_18inequality_wrapperINSA_8equal_toItEEEEPmJS6_EEE10hipError_tPvRmT3_T4_T5_T6_T7_T9_mT8_P12ihipStream_tbDpT10_ENKUlT_T0_E_clISt17integral_constantIbLb1EES19_IbLb0EEEEDaS15_S16_EUlS15_E_NS1_11comp_targetILNS1_3genE9ELNS1_11target_archE1100ELNS1_3gpuE3ELNS1_3repE0EEENS1_30default_config_static_selectorELNS0_4arch9wavefront6targetE1EEEvT1_.numbered_sgpr, 0
	.set _ZN7rocprim17ROCPRIM_400000_NS6detail17trampoline_kernelINS0_14default_configENS1_25partition_config_selectorILNS1_17partition_subalgoE8EtNS0_10empty_typeEbEEZZNS1_14partition_implILS5_8ELb0ES3_jN6thrust23THRUST_200600_302600_NS6detail15normal_iteratorINSA_10device_ptrItEEEEPS6_PKS6_NS0_5tupleIJSF_S6_EEENSJ_IJSG_SG_EEENS0_18inequality_wrapperINSA_8equal_toItEEEEPmJS6_EEE10hipError_tPvRmT3_T4_T5_T6_T7_T9_mT8_P12ihipStream_tbDpT10_ENKUlT_T0_E_clISt17integral_constantIbLb1EES19_IbLb0EEEEDaS15_S16_EUlS15_E_NS1_11comp_targetILNS1_3genE9ELNS1_11target_archE1100ELNS1_3gpuE3ELNS1_3repE0EEENS1_30default_config_static_selectorELNS0_4arch9wavefront6targetE1EEEvT1_.num_named_barrier, 0
	.set _ZN7rocprim17ROCPRIM_400000_NS6detail17trampoline_kernelINS0_14default_configENS1_25partition_config_selectorILNS1_17partition_subalgoE8EtNS0_10empty_typeEbEEZZNS1_14partition_implILS5_8ELb0ES3_jN6thrust23THRUST_200600_302600_NS6detail15normal_iteratorINSA_10device_ptrItEEEEPS6_PKS6_NS0_5tupleIJSF_S6_EEENSJ_IJSG_SG_EEENS0_18inequality_wrapperINSA_8equal_toItEEEEPmJS6_EEE10hipError_tPvRmT3_T4_T5_T6_T7_T9_mT8_P12ihipStream_tbDpT10_ENKUlT_T0_E_clISt17integral_constantIbLb1EES19_IbLb0EEEEDaS15_S16_EUlS15_E_NS1_11comp_targetILNS1_3genE9ELNS1_11target_archE1100ELNS1_3gpuE3ELNS1_3repE0EEENS1_30default_config_static_selectorELNS0_4arch9wavefront6targetE1EEEvT1_.private_seg_size, 0
	.set _ZN7rocprim17ROCPRIM_400000_NS6detail17trampoline_kernelINS0_14default_configENS1_25partition_config_selectorILNS1_17partition_subalgoE8EtNS0_10empty_typeEbEEZZNS1_14partition_implILS5_8ELb0ES3_jN6thrust23THRUST_200600_302600_NS6detail15normal_iteratorINSA_10device_ptrItEEEEPS6_PKS6_NS0_5tupleIJSF_S6_EEENSJ_IJSG_SG_EEENS0_18inequality_wrapperINSA_8equal_toItEEEEPmJS6_EEE10hipError_tPvRmT3_T4_T5_T6_T7_T9_mT8_P12ihipStream_tbDpT10_ENKUlT_T0_E_clISt17integral_constantIbLb1EES19_IbLb0EEEEDaS15_S16_EUlS15_E_NS1_11comp_targetILNS1_3genE9ELNS1_11target_archE1100ELNS1_3gpuE3ELNS1_3repE0EEENS1_30default_config_static_selectorELNS0_4arch9wavefront6targetE1EEEvT1_.uses_vcc, 0
	.set _ZN7rocprim17ROCPRIM_400000_NS6detail17trampoline_kernelINS0_14default_configENS1_25partition_config_selectorILNS1_17partition_subalgoE8EtNS0_10empty_typeEbEEZZNS1_14partition_implILS5_8ELb0ES3_jN6thrust23THRUST_200600_302600_NS6detail15normal_iteratorINSA_10device_ptrItEEEEPS6_PKS6_NS0_5tupleIJSF_S6_EEENSJ_IJSG_SG_EEENS0_18inequality_wrapperINSA_8equal_toItEEEEPmJS6_EEE10hipError_tPvRmT3_T4_T5_T6_T7_T9_mT8_P12ihipStream_tbDpT10_ENKUlT_T0_E_clISt17integral_constantIbLb1EES19_IbLb0EEEEDaS15_S16_EUlS15_E_NS1_11comp_targetILNS1_3genE9ELNS1_11target_archE1100ELNS1_3gpuE3ELNS1_3repE0EEENS1_30default_config_static_selectorELNS0_4arch9wavefront6targetE1EEEvT1_.uses_flat_scratch, 0
	.set _ZN7rocprim17ROCPRIM_400000_NS6detail17trampoline_kernelINS0_14default_configENS1_25partition_config_selectorILNS1_17partition_subalgoE8EtNS0_10empty_typeEbEEZZNS1_14partition_implILS5_8ELb0ES3_jN6thrust23THRUST_200600_302600_NS6detail15normal_iteratorINSA_10device_ptrItEEEEPS6_PKS6_NS0_5tupleIJSF_S6_EEENSJ_IJSG_SG_EEENS0_18inequality_wrapperINSA_8equal_toItEEEEPmJS6_EEE10hipError_tPvRmT3_T4_T5_T6_T7_T9_mT8_P12ihipStream_tbDpT10_ENKUlT_T0_E_clISt17integral_constantIbLb1EES19_IbLb0EEEEDaS15_S16_EUlS15_E_NS1_11comp_targetILNS1_3genE9ELNS1_11target_archE1100ELNS1_3gpuE3ELNS1_3repE0EEENS1_30default_config_static_selectorELNS0_4arch9wavefront6targetE1EEEvT1_.has_dyn_sized_stack, 0
	.set _ZN7rocprim17ROCPRIM_400000_NS6detail17trampoline_kernelINS0_14default_configENS1_25partition_config_selectorILNS1_17partition_subalgoE8EtNS0_10empty_typeEbEEZZNS1_14partition_implILS5_8ELb0ES3_jN6thrust23THRUST_200600_302600_NS6detail15normal_iteratorINSA_10device_ptrItEEEEPS6_PKS6_NS0_5tupleIJSF_S6_EEENSJ_IJSG_SG_EEENS0_18inequality_wrapperINSA_8equal_toItEEEEPmJS6_EEE10hipError_tPvRmT3_T4_T5_T6_T7_T9_mT8_P12ihipStream_tbDpT10_ENKUlT_T0_E_clISt17integral_constantIbLb1EES19_IbLb0EEEEDaS15_S16_EUlS15_E_NS1_11comp_targetILNS1_3genE9ELNS1_11target_archE1100ELNS1_3gpuE3ELNS1_3repE0EEENS1_30default_config_static_selectorELNS0_4arch9wavefront6targetE1EEEvT1_.has_recursion, 0
	.set _ZN7rocprim17ROCPRIM_400000_NS6detail17trampoline_kernelINS0_14default_configENS1_25partition_config_selectorILNS1_17partition_subalgoE8EtNS0_10empty_typeEbEEZZNS1_14partition_implILS5_8ELb0ES3_jN6thrust23THRUST_200600_302600_NS6detail15normal_iteratorINSA_10device_ptrItEEEEPS6_PKS6_NS0_5tupleIJSF_S6_EEENSJ_IJSG_SG_EEENS0_18inequality_wrapperINSA_8equal_toItEEEEPmJS6_EEE10hipError_tPvRmT3_T4_T5_T6_T7_T9_mT8_P12ihipStream_tbDpT10_ENKUlT_T0_E_clISt17integral_constantIbLb1EES19_IbLb0EEEEDaS15_S16_EUlS15_E_NS1_11comp_targetILNS1_3genE9ELNS1_11target_archE1100ELNS1_3gpuE3ELNS1_3repE0EEENS1_30default_config_static_selectorELNS0_4arch9wavefront6targetE1EEEvT1_.has_indirect_call, 0
	.section	.AMDGPU.csdata,"",@progbits
; Kernel info:
; codeLenInByte = 0
; TotalNumSgprs: 4
; NumVgprs: 0
; ScratchSize: 0
; MemoryBound: 0
; FloatMode: 240
; IeeeMode: 1
; LDSByteSize: 0 bytes/workgroup (compile time only)
; SGPRBlocks: 0
; VGPRBlocks: 0
; NumSGPRsForWavesPerEU: 4
; NumVGPRsForWavesPerEU: 1
; Occupancy: 10
; WaveLimiterHint : 0
; COMPUTE_PGM_RSRC2:SCRATCH_EN: 0
; COMPUTE_PGM_RSRC2:USER_SGPR: 6
; COMPUTE_PGM_RSRC2:TRAP_HANDLER: 0
; COMPUTE_PGM_RSRC2:TGID_X_EN: 1
; COMPUTE_PGM_RSRC2:TGID_Y_EN: 0
; COMPUTE_PGM_RSRC2:TGID_Z_EN: 0
; COMPUTE_PGM_RSRC2:TIDIG_COMP_CNT: 0
	.section	.text._ZN7rocprim17ROCPRIM_400000_NS6detail17trampoline_kernelINS0_14default_configENS1_25partition_config_selectorILNS1_17partition_subalgoE8EtNS0_10empty_typeEbEEZZNS1_14partition_implILS5_8ELb0ES3_jN6thrust23THRUST_200600_302600_NS6detail15normal_iteratorINSA_10device_ptrItEEEEPS6_PKS6_NS0_5tupleIJSF_S6_EEENSJ_IJSG_SG_EEENS0_18inequality_wrapperINSA_8equal_toItEEEEPmJS6_EEE10hipError_tPvRmT3_T4_T5_T6_T7_T9_mT8_P12ihipStream_tbDpT10_ENKUlT_T0_E_clISt17integral_constantIbLb1EES19_IbLb0EEEEDaS15_S16_EUlS15_E_NS1_11comp_targetILNS1_3genE8ELNS1_11target_archE1030ELNS1_3gpuE2ELNS1_3repE0EEENS1_30default_config_static_selectorELNS0_4arch9wavefront6targetE1EEEvT1_,"axG",@progbits,_ZN7rocprim17ROCPRIM_400000_NS6detail17trampoline_kernelINS0_14default_configENS1_25partition_config_selectorILNS1_17partition_subalgoE8EtNS0_10empty_typeEbEEZZNS1_14partition_implILS5_8ELb0ES3_jN6thrust23THRUST_200600_302600_NS6detail15normal_iteratorINSA_10device_ptrItEEEEPS6_PKS6_NS0_5tupleIJSF_S6_EEENSJ_IJSG_SG_EEENS0_18inequality_wrapperINSA_8equal_toItEEEEPmJS6_EEE10hipError_tPvRmT3_T4_T5_T6_T7_T9_mT8_P12ihipStream_tbDpT10_ENKUlT_T0_E_clISt17integral_constantIbLb1EES19_IbLb0EEEEDaS15_S16_EUlS15_E_NS1_11comp_targetILNS1_3genE8ELNS1_11target_archE1030ELNS1_3gpuE2ELNS1_3repE0EEENS1_30default_config_static_selectorELNS0_4arch9wavefront6targetE1EEEvT1_,comdat
	.protected	_ZN7rocprim17ROCPRIM_400000_NS6detail17trampoline_kernelINS0_14default_configENS1_25partition_config_selectorILNS1_17partition_subalgoE8EtNS0_10empty_typeEbEEZZNS1_14partition_implILS5_8ELb0ES3_jN6thrust23THRUST_200600_302600_NS6detail15normal_iteratorINSA_10device_ptrItEEEEPS6_PKS6_NS0_5tupleIJSF_S6_EEENSJ_IJSG_SG_EEENS0_18inequality_wrapperINSA_8equal_toItEEEEPmJS6_EEE10hipError_tPvRmT3_T4_T5_T6_T7_T9_mT8_P12ihipStream_tbDpT10_ENKUlT_T0_E_clISt17integral_constantIbLb1EES19_IbLb0EEEEDaS15_S16_EUlS15_E_NS1_11comp_targetILNS1_3genE8ELNS1_11target_archE1030ELNS1_3gpuE2ELNS1_3repE0EEENS1_30default_config_static_selectorELNS0_4arch9wavefront6targetE1EEEvT1_ ; -- Begin function _ZN7rocprim17ROCPRIM_400000_NS6detail17trampoline_kernelINS0_14default_configENS1_25partition_config_selectorILNS1_17partition_subalgoE8EtNS0_10empty_typeEbEEZZNS1_14partition_implILS5_8ELb0ES3_jN6thrust23THRUST_200600_302600_NS6detail15normal_iteratorINSA_10device_ptrItEEEEPS6_PKS6_NS0_5tupleIJSF_S6_EEENSJ_IJSG_SG_EEENS0_18inequality_wrapperINSA_8equal_toItEEEEPmJS6_EEE10hipError_tPvRmT3_T4_T5_T6_T7_T9_mT8_P12ihipStream_tbDpT10_ENKUlT_T0_E_clISt17integral_constantIbLb1EES19_IbLb0EEEEDaS15_S16_EUlS15_E_NS1_11comp_targetILNS1_3genE8ELNS1_11target_archE1030ELNS1_3gpuE2ELNS1_3repE0EEENS1_30default_config_static_selectorELNS0_4arch9wavefront6targetE1EEEvT1_
	.globl	_ZN7rocprim17ROCPRIM_400000_NS6detail17trampoline_kernelINS0_14default_configENS1_25partition_config_selectorILNS1_17partition_subalgoE8EtNS0_10empty_typeEbEEZZNS1_14partition_implILS5_8ELb0ES3_jN6thrust23THRUST_200600_302600_NS6detail15normal_iteratorINSA_10device_ptrItEEEEPS6_PKS6_NS0_5tupleIJSF_S6_EEENSJ_IJSG_SG_EEENS0_18inequality_wrapperINSA_8equal_toItEEEEPmJS6_EEE10hipError_tPvRmT3_T4_T5_T6_T7_T9_mT8_P12ihipStream_tbDpT10_ENKUlT_T0_E_clISt17integral_constantIbLb1EES19_IbLb0EEEEDaS15_S16_EUlS15_E_NS1_11comp_targetILNS1_3genE8ELNS1_11target_archE1030ELNS1_3gpuE2ELNS1_3repE0EEENS1_30default_config_static_selectorELNS0_4arch9wavefront6targetE1EEEvT1_
	.p2align	8
	.type	_ZN7rocprim17ROCPRIM_400000_NS6detail17trampoline_kernelINS0_14default_configENS1_25partition_config_selectorILNS1_17partition_subalgoE8EtNS0_10empty_typeEbEEZZNS1_14partition_implILS5_8ELb0ES3_jN6thrust23THRUST_200600_302600_NS6detail15normal_iteratorINSA_10device_ptrItEEEEPS6_PKS6_NS0_5tupleIJSF_S6_EEENSJ_IJSG_SG_EEENS0_18inequality_wrapperINSA_8equal_toItEEEEPmJS6_EEE10hipError_tPvRmT3_T4_T5_T6_T7_T9_mT8_P12ihipStream_tbDpT10_ENKUlT_T0_E_clISt17integral_constantIbLb1EES19_IbLb0EEEEDaS15_S16_EUlS15_E_NS1_11comp_targetILNS1_3genE8ELNS1_11target_archE1030ELNS1_3gpuE2ELNS1_3repE0EEENS1_30default_config_static_selectorELNS0_4arch9wavefront6targetE1EEEvT1_,@function
_ZN7rocprim17ROCPRIM_400000_NS6detail17trampoline_kernelINS0_14default_configENS1_25partition_config_selectorILNS1_17partition_subalgoE8EtNS0_10empty_typeEbEEZZNS1_14partition_implILS5_8ELb0ES3_jN6thrust23THRUST_200600_302600_NS6detail15normal_iteratorINSA_10device_ptrItEEEEPS6_PKS6_NS0_5tupleIJSF_S6_EEENSJ_IJSG_SG_EEENS0_18inequality_wrapperINSA_8equal_toItEEEEPmJS6_EEE10hipError_tPvRmT3_T4_T5_T6_T7_T9_mT8_P12ihipStream_tbDpT10_ENKUlT_T0_E_clISt17integral_constantIbLb1EES19_IbLb0EEEEDaS15_S16_EUlS15_E_NS1_11comp_targetILNS1_3genE8ELNS1_11target_archE1030ELNS1_3gpuE2ELNS1_3repE0EEENS1_30default_config_static_selectorELNS0_4arch9wavefront6targetE1EEEvT1_: ; @_ZN7rocprim17ROCPRIM_400000_NS6detail17trampoline_kernelINS0_14default_configENS1_25partition_config_selectorILNS1_17partition_subalgoE8EtNS0_10empty_typeEbEEZZNS1_14partition_implILS5_8ELb0ES3_jN6thrust23THRUST_200600_302600_NS6detail15normal_iteratorINSA_10device_ptrItEEEEPS6_PKS6_NS0_5tupleIJSF_S6_EEENSJ_IJSG_SG_EEENS0_18inequality_wrapperINSA_8equal_toItEEEEPmJS6_EEE10hipError_tPvRmT3_T4_T5_T6_T7_T9_mT8_P12ihipStream_tbDpT10_ENKUlT_T0_E_clISt17integral_constantIbLb1EES19_IbLb0EEEEDaS15_S16_EUlS15_E_NS1_11comp_targetILNS1_3genE8ELNS1_11target_archE1030ELNS1_3gpuE2ELNS1_3repE0EEENS1_30default_config_static_selectorELNS0_4arch9wavefront6targetE1EEEvT1_
; %bb.0:
	.section	.rodata,"a",@progbits
	.p2align	6, 0x0
	.amdhsa_kernel _ZN7rocprim17ROCPRIM_400000_NS6detail17trampoline_kernelINS0_14default_configENS1_25partition_config_selectorILNS1_17partition_subalgoE8EtNS0_10empty_typeEbEEZZNS1_14partition_implILS5_8ELb0ES3_jN6thrust23THRUST_200600_302600_NS6detail15normal_iteratorINSA_10device_ptrItEEEEPS6_PKS6_NS0_5tupleIJSF_S6_EEENSJ_IJSG_SG_EEENS0_18inequality_wrapperINSA_8equal_toItEEEEPmJS6_EEE10hipError_tPvRmT3_T4_T5_T6_T7_T9_mT8_P12ihipStream_tbDpT10_ENKUlT_T0_E_clISt17integral_constantIbLb1EES19_IbLb0EEEEDaS15_S16_EUlS15_E_NS1_11comp_targetILNS1_3genE8ELNS1_11target_archE1030ELNS1_3gpuE2ELNS1_3repE0EEENS1_30default_config_static_selectorELNS0_4arch9wavefront6targetE1EEEvT1_
		.amdhsa_group_segment_fixed_size 0
		.amdhsa_private_segment_fixed_size 0
		.amdhsa_kernarg_size 112
		.amdhsa_user_sgpr_count 6
		.amdhsa_user_sgpr_private_segment_buffer 1
		.amdhsa_user_sgpr_dispatch_ptr 0
		.amdhsa_user_sgpr_queue_ptr 0
		.amdhsa_user_sgpr_kernarg_segment_ptr 1
		.amdhsa_user_sgpr_dispatch_id 0
		.amdhsa_user_sgpr_flat_scratch_init 0
		.amdhsa_user_sgpr_private_segment_size 0
		.amdhsa_uses_dynamic_stack 0
		.amdhsa_system_sgpr_private_segment_wavefront_offset 0
		.amdhsa_system_sgpr_workgroup_id_x 1
		.amdhsa_system_sgpr_workgroup_id_y 0
		.amdhsa_system_sgpr_workgroup_id_z 0
		.amdhsa_system_sgpr_workgroup_info 0
		.amdhsa_system_vgpr_workitem_id 0
		.amdhsa_next_free_vgpr 1
		.amdhsa_next_free_sgpr 0
		.amdhsa_reserve_vcc 0
		.amdhsa_reserve_flat_scratch 0
		.amdhsa_float_round_mode_32 0
		.amdhsa_float_round_mode_16_64 0
		.amdhsa_float_denorm_mode_32 3
		.amdhsa_float_denorm_mode_16_64 3
		.amdhsa_dx10_clamp 1
		.amdhsa_ieee_mode 1
		.amdhsa_fp16_overflow 0
		.amdhsa_exception_fp_ieee_invalid_op 0
		.amdhsa_exception_fp_denorm_src 0
		.amdhsa_exception_fp_ieee_div_zero 0
		.amdhsa_exception_fp_ieee_overflow 0
		.amdhsa_exception_fp_ieee_underflow 0
		.amdhsa_exception_fp_ieee_inexact 0
		.amdhsa_exception_int_div_zero 0
	.end_amdhsa_kernel
	.section	.text._ZN7rocprim17ROCPRIM_400000_NS6detail17trampoline_kernelINS0_14default_configENS1_25partition_config_selectorILNS1_17partition_subalgoE8EtNS0_10empty_typeEbEEZZNS1_14partition_implILS5_8ELb0ES3_jN6thrust23THRUST_200600_302600_NS6detail15normal_iteratorINSA_10device_ptrItEEEEPS6_PKS6_NS0_5tupleIJSF_S6_EEENSJ_IJSG_SG_EEENS0_18inequality_wrapperINSA_8equal_toItEEEEPmJS6_EEE10hipError_tPvRmT3_T4_T5_T6_T7_T9_mT8_P12ihipStream_tbDpT10_ENKUlT_T0_E_clISt17integral_constantIbLb1EES19_IbLb0EEEEDaS15_S16_EUlS15_E_NS1_11comp_targetILNS1_3genE8ELNS1_11target_archE1030ELNS1_3gpuE2ELNS1_3repE0EEENS1_30default_config_static_selectorELNS0_4arch9wavefront6targetE1EEEvT1_,"axG",@progbits,_ZN7rocprim17ROCPRIM_400000_NS6detail17trampoline_kernelINS0_14default_configENS1_25partition_config_selectorILNS1_17partition_subalgoE8EtNS0_10empty_typeEbEEZZNS1_14partition_implILS5_8ELb0ES3_jN6thrust23THRUST_200600_302600_NS6detail15normal_iteratorINSA_10device_ptrItEEEEPS6_PKS6_NS0_5tupleIJSF_S6_EEENSJ_IJSG_SG_EEENS0_18inequality_wrapperINSA_8equal_toItEEEEPmJS6_EEE10hipError_tPvRmT3_T4_T5_T6_T7_T9_mT8_P12ihipStream_tbDpT10_ENKUlT_T0_E_clISt17integral_constantIbLb1EES19_IbLb0EEEEDaS15_S16_EUlS15_E_NS1_11comp_targetILNS1_3genE8ELNS1_11target_archE1030ELNS1_3gpuE2ELNS1_3repE0EEENS1_30default_config_static_selectorELNS0_4arch9wavefront6targetE1EEEvT1_,comdat
.Lfunc_end298:
	.size	_ZN7rocprim17ROCPRIM_400000_NS6detail17trampoline_kernelINS0_14default_configENS1_25partition_config_selectorILNS1_17partition_subalgoE8EtNS0_10empty_typeEbEEZZNS1_14partition_implILS5_8ELb0ES3_jN6thrust23THRUST_200600_302600_NS6detail15normal_iteratorINSA_10device_ptrItEEEEPS6_PKS6_NS0_5tupleIJSF_S6_EEENSJ_IJSG_SG_EEENS0_18inequality_wrapperINSA_8equal_toItEEEEPmJS6_EEE10hipError_tPvRmT3_T4_T5_T6_T7_T9_mT8_P12ihipStream_tbDpT10_ENKUlT_T0_E_clISt17integral_constantIbLb1EES19_IbLb0EEEEDaS15_S16_EUlS15_E_NS1_11comp_targetILNS1_3genE8ELNS1_11target_archE1030ELNS1_3gpuE2ELNS1_3repE0EEENS1_30default_config_static_selectorELNS0_4arch9wavefront6targetE1EEEvT1_, .Lfunc_end298-_ZN7rocprim17ROCPRIM_400000_NS6detail17trampoline_kernelINS0_14default_configENS1_25partition_config_selectorILNS1_17partition_subalgoE8EtNS0_10empty_typeEbEEZZNS1_14partition_implILS5_8ELb0ES3_jN6thrust23THRUST_200600_302600_NS6detail15normal_iteratorINSA_10device_ptrItEEEEPS6_PKS6_NS0_5tupleIJSF_S6_EEENSJ_IJSG_SG_EEENS0_18inequality_wrapperINSA_8equal_toItEEEEPmJS6_EEE10hipError_tPvRmT3_T4_T5_T6_T7_T9_mT8_P12ihipStream_tbDpT10_ENKUlT_T0_E_clISt17integral_constantIbLb1EES19_IbLb0EEEEDaS15_S16_EUlS15_E_NS1_11comp_targetILNS1_3genE8ELNS1_11target_archE1030ELNS1_3gpuE2ELNS1_3repE0EEENS1_30default_config_static_selectorELNS0_4arch9wavefront6targetE1EEEvT1_
                                        ; -- End function
	.set _ZN7rocprim17ROCPRIM_400000_NS6detail17trampoline_kernelINS0_14default_configENS1_25partition_config_selectorILNS1_17partition_subalgoE8EtNS0_10empty_typeEbEEZZNS1_14partition_implILS5_8ELb0ES3_jN6thrust23THRUST_200600_302600_NS6detail15normal_iteratorINSA_10device_ptrItEEEEPS6_PKS6_NS0_5tupleIJSF_S6_EEENSJ_IJSG_SG_EEENS0_18inequality_wrapperINSA_8equal_toItEEEEPmJS6_EEE10hipError_tPvRmT3_T4_T5_T6_T7_T9_mT8_P12ihipStream_tbDpT10_ENKUlT_T0_E_clISt17integral_constantIbLb1EES19_IbLb0EEEEDaS15_S16_EUlS15_E_NS1_11comp_targetILNS1_3genE8ELNS1_11target_archE1030ELNS1_3gpuE2ELNS1_3repE0EEENS1_30default_config_static_selectorELNS0_4arch9wavefront6targetE1EEEvT1_.num_vgpr, 0
	.set _ZN7rocprim17ROCPRIM_400000_NS6detail17trampoline_kernelINS0_14default_configENS1_25partition_config_selectorILNS1_17partition_subalgoE8EtNS0_10empty_typeEbEEZZNS1_14partition_implILS5_8ELb0ES3_jN6thrust23THRUST_200600_302600_NS6detail15normal_iteratorINSA_10device_ptrItEEEEPS6_PKS6_NS0_5tupleIJSF_S6_EEENSJ_IJSG_SG_EEENS0_18inequality_wrapperINSA_8equal_toItEEEEPmJS6_EEE10hipError_tPvRmT3_T4_T5_T6_T7_T9_mT8_P12ihipStream_tbDpT10_ENKUlT_T0_E_clISt17integral_constantIbLb1EES19_IbLb0EEEEDaS15_S16_EUlS15_E_NS1_11comp_targetILNS1_3genE8ELNS1_11target_archE1030ELNS1_3gpuE2ELNS1_3repE0EEENS1_30default_config_static_selectorELNS0_4arch9wavefront6targetE1EEEvT1_.num_agpr, 0
	.set _ZN7rocprim17ROCPRIM_400000_NS6detail17trampoline_kernelINS0_14default_configENS1_25partition_config_selectorILNS1_17partition_subalgoE8EtNS0_10empty_typeEbEEZZNS1_14partition_implILS5_8ELb0ES3_jN6thrust23THRUST_200600_302600_NS6detail15normal_iteratorINSA_10device_ptrItEEEEPS6_PKS6_NS0_5tupleIJSF_S6_EEENSJ_IJSG_SG_EEENS0_18inequality_wrapperINSA_8equal_toItEEEEPmJS6_EEE10hipError_tPvRmT3_T4_T5_T6_T7_T9_mT8_P12ihipStream_tbDpT10_ENKUlT_T0_E_clISt17integral_constantIbLb1EES19_IbLb0EEEEDaS15_S16_EUlS15_E_NS1_11comp_targetILNS1_3genE8ELNS1_11target_archE1030ELNS1_3gpuE2ELNS1_3repE0EEENS1_30default_config_static_selectorELNS0_4arch9wavefront6targetE1EEEvT1_.numbered_sgpr, 0
	.set _ZN7rocprim17ROCPRIM_400000_NS6detail17trampoline_kernelINS0_14default_configENS1_25partition_config_selectorILNS1_17partition_subalgoE8EtNS0_10empty_typeEbEEZZNS1_14partition_implILS5_8ELb0ES3_jN6thrust23THRUST_200600_302600_NS6detail15normal_iteratorINSA_10device_ptrItEEEEPS6_PKS6_NS0_5tupleIJSF_S6_EEENSJ_IJSG_SG_EEENS0_18inequality_wrapperINSA_8equal_toItEEEEPmJS6_EEE10hipError_tPvRmT3_T4_T5_T6_T7_T9_mT8_P12ihipStream_tbDpT10_ENKUlT_T0_E_clISt17integral_constantIbLb1EES19_IbLb0EEEEDaS15_S16_EUlS15_E_NS1_11comp_targetILNS1_3genE8ELNS1_11target_archE1030ELNS1_3gpuE2ELNS1_3repE0EEENS1_30default_config_static_selectorELNS0_4arch9wavefront6targetE1EEEvT1_.num_named_barrier, 0
	.set _ZN7rocprim17ROCPRIM_400000_NS6detail17trampoline_kernelINS0_14default_configENS1_25partition_config_selectorILNS1_17partition_subalgoE8EtNS0_10empty_typeEbEEZZNS1_14partition_implILS5_8ELb0ES3_jN6thrust23THRUST_200600_302600_NS6detail15normal_iteratorINSA_10device_ptrItEEEEPS6_PKS6_NS0_5tupleIJSF_S6_EEENSJ_IJSG_SG_EEENS0_18inequality_wrapperINSA_8equal_toItEEEEPmJS6_EEE10hipError_tPvRmT3_T4_T5_T6_T7_T9_mT8_P12ihipStream_tbDpT10_ENKUlT_T0_E_clISt17integral_constantIbLb1EES19_IbLb0EEEEDaS15_S16_EUlS15_E_NS1_11comp_targetILNS1_3genE8ELNS1_11target_archE1030ELNS1_3gpuE2ELNS1_3repE0EEENS1_30default_config_static_selectorELNS0_4arch9wavefront6targetE1EEEvT1_.private_seg_size, 0
	.set _ZN7rocprim17ROCPRIM_400000_NS6detail17trampoline_kernelINS0_14default_configENS1_25partition_config_selectorILNS1_17partition_subalgoE8EtNS0_10empty_typeEbEEZZNS1_14partition_implILS5_8ELb0ES3_jN6thrust23THRUST_200600_302600_NS6detail15normal_iteratorINSA_10device_ptrItEEEEPS6_PKS6_NS0_5tupleIJSF_S6_EEENSJ_IJSG_SG_EEENS0_18inequality_wrapperINSA_8equal_toItEEEEPmJS6_EEE10hipError_tPvRmT3_T4_T5_T6_T7_T9_mT8_P12ihipStream_tbDpT10_ENKUlT_T0_E_clISt17integral_constantIbLb1EES19_IbLb0EEEEDaS15_S16_EUlS15_E_NS1_11comp_targetILNS1_3genE8ELNS1_11target_archE1030ELNS1_3gpuE2ELNS1_3repE0EEENS1_30default_config_static_selectorELNS0_4arch9wavefront6targetE1EEEvT1_.uses_vcc, 0
	.set _ZN7rocprim17ROCPRIM_400000_NS6detail17trampoline_kernelINS0_14default_configENS1_25partition_config_selectorILNS1_17partition_subalgoE8EtNS0_10empty_typeEbEEZZNS1_14partition_implILS5_8ELb0ES3_jN6thrust23THRUST_200600_302600_NS6detail15normal_iteratorINSA_10device_ptrItEEEEPS6_PKS6_NS0_5tupleIJSF_S6_EEENSJ_IJSG_SG_EEENS0_18inequality_wrapperINSA_8equal_toItEEEEPmJS6_EEE10hipError_tPvRmT3_T4_T5_T6_T7_T9_mT8_P12ihipStream_tbDpT10_ENKUlT_T0_E_clISt17integral_constantIbLb1EES19_IbLb0EEEEDaS15_S16_EUlS15_E_NS1_11comp_targetILNS1_3genE8ELNS1_11target_archE1030ELNS1_3gpuE2ELNS1_3repE0EEENS1_30default_config_static_selectorELNS0_4arch9wavefront6targetE1EEEvT1_.uses_flat_scratch, 0
	.set _ZN7rocprim17ROCPRIM_400000_NS6detail17trampoline_kernelINS0_14default_configENS1_25partition_config_selectorILNS1_17partition_subalgoE8EtNS0_10empty_typeEbEEZZNS1_14partition_implILS5_8ELb0ES3_jN6thrust23THRUST_200600_302600_NS6detail15normal_iteratorINSA_10device_ptrItEEEEPS6_PKS6_NS0_5tupleIJSF_S6_EEENSJ_IJSG_SG_EEENS0_18inequality_wrapperINSA_8equal_toItEEEEPmJS6_EEE10hipError_tPvRmT3_T4_T5_T6_T7_T9_mT8_P12ihipStream_tbDpT10_ENKUlT_T0_E_clISt17integral_constantIbLb1EES19_IbLb0EEEEDaS15_S16_EUlS15_E_NS1_11comp_targetILNS1_3genE8ELNS1_11target_archE1030ELNS1_3gpuE2ELNS1_3repE0EEENS1_30default_config_static_selectorELNS0_4arch9wavefront6targetE1EEEvT1_.has_dyn_sized_stack, 0
	.set _ZN7rocprim17ROCPRIM_400000_NS6detail17trampoline_kernelINS0_14default_configENS1_25partition_config_selectorILNS1_17partition_subalgoE8EtNS0_10empty_typeEbEEZZNS1_14partition_implILS5_8ELb0ES3_jN6thrust23THRUST_200600_302600_NS6detail15normal_iteratorINSA_10device_ptrItEEEEPS6_PKS6_NS0_5tupleIJSF_S6_EEENSJ_IJSG_SG_EEENS0_18inequality_wrapperINSA_8equal_toItEEEEPmJS6_EEE10hipError_tPvRmT3_T4_T5_T6_T7_T9_mT8_P12ihipStream_tbDpT10_ENKUlT_T0_E_clISt17integral_constantIbLb1EES19_IbLb0EEEEDaS15_S16_EUlS15_E_NS1_11comp_targetILNS1_3genE8ELNS1_11target_archE1030ELNS1_3gpuE2ELNS1_3repE0EEENS1_30default_config_static_selectorELNS0_4arch9wavefront6targetE1EEEvT1_.has_recursion, 0
	.set _ZN7rocprim17ROCPRIM_400000_NS6detail17trampoline_kernelINS0_14default_configENS1_25partition_config_selectorILNS1_17partition_subalgoE8EtNS0_10empty_typeEbEEZZNS1_14partition_implILS5_8ELb0ES3_jN6thrust23THRUST_200600_302600_NS6detail15normal_iteratorINSA_10device_ptrItEEEEPS6_PKS6_NS0_5tupleIJSF_S6_EEENSJ_IJSG_SG_EEENS0_18inequality_wrapperINSA_8equal_toItEEEEPmJS6_EEE10hipError_tPvRmT3_T4_T5_T6_T7_T9_mT8_P12ihipStream_tbDpT10_ENKUlT_T0_E_clISt17integral_constantIbLb1EES19_IbLb0EEEEDaS15_S16_EUlS15_E_NS1_11comp_targetILNS1_3genE8ELNS1_11target_archE1030ELNS1_3gpuE2ELNS1_3repE0EEENS1_30default_config_static_selectorELNS0_4arch9wavefront6targetE1EEEvT1_.has_indirect_call, 0
	.section	.AMDGPU.csdata,"",@progbits
; Kernel info:
; codeLenInByte = 0
; TotalNumSgprs: 4
; NumVgprs: 0
; ScratchSize: 0
; MemoryBound: 0
; FloatMode: 240
; IeeeMode: 1
; LDSByteSize: 0 bytes/workgroup (compile time only)
; SGPRBlocks: 0
; VGPRBlocks: 0
; NumSGPRsForWavesPerEU: 4
; NumVGPRsForWavesPerEU: 1
; Occupancy: 10
; WaveLimiterHint : 0
; COMPUTE_PGM_RSRC2:SCRATCH_EN: 0
; COMPUTE_PGM_RSRC2:USER_SGPR: 6
; COMPUTE_PGM_RSRC2:TRAP_HANDLER: 0
; COMPUTE_PGM_RSRC2:TGID_X_EN: 1
; COMPUTE_PGM_RSRC2:TGID_Y_EN: 0
; COMPUTE_PGM_RSRC2:TGID_Z_EN: 0
; COMPUTE_PGM_RSRC2:TIDIG_COMP_CNT: 0
	.section	.text._ZN7rocprim17ROCPRIM_400000_NS6detail17trampoline_kernelINS0_14default_configENS1_25partition_config_selectorILNS1_17partition_subalgoE8EtNS0_10empty_typeEbEEZZNS1_14partition_implILS5_8ELb0ES3_jN6thrust23THRUST_200600_302600_NS6detail15normal_iteratorINSA_10device_ptrItEEEEPS6_PKS6_NS0_5tupleIJSF_S6_EEENSJ_IJSG_SG_EEENS0_18inequality_wrapperINSA_8equal_toItEEEEPmJS6_EEE10hipError_tPvRmT3_T4_T5_T6_T7_T9_mT8_P12ihipStream_tbDpT10_ENKUlT_T0_E_clISt17integral_constantIbLb0EES19_IbLb1EEEEDaS15_S16_EUlS15_E_NS1_11comp_targetILNS1_3genE0ELNS1_11target_archE4294967295ELNS1_3gpuE0ELNS1_3repE0EEENS1_30default_config_static_selectorELNS0_4arch9wavefront6targetE1EEEvT1_,"axG",@progbits,_ZN7rocprim17ROCPRIM_400000_NS6detail17trampoline_kernelINS0_14default_configENS1_25partition_config_selectorILNS1_17partition_subalgoE8EtNS0_10empty_typeEbEEZZNS1_14partition_implILS5_8ELb0ES3_jN6thrust23THRUST_200600_302600_NS6detail15normal_iteratorINSA_10device_ptrItEEEEPS6_PKS6_NS0_5tupleIJSF_S6_EEENSJ_IJSG_SG_EEENS0_18inequality_wrapperINSA_8equal_toItEEEEPmJS6_EEE10hipError_tPvRmT3_T4_T5_T6_T7_T9_mT8_P12ihipStream_tbDpT10_ENKUlT_T0_E_clISt17integral_constantIbLb0EES19_IbLb1EEEEDaS15_S16_EUlS15_E_NS1_11comp_targetILNS1_3genE0ELNS1_11target_archE4294967295ELNS1_3gpuE0ELNS1_3repE0EEENS1_30default_config_static_selectorELNS0_4arch9wavefront6targetE1EEEvT1_,comdat
	.protected	_ZN7rocprim17ROCPRIM_400000_NS6detail17trampoline_kernelINS0_14default_configENS1_25partition_config_selectorILNS1_17partition_subalgoE8EtNS0_10empty_typeEbEEZZNS1_14partition_implILS5_8ELb0ES3_jN6thrust23THRUST_200600_302600_NS6detail15normal_iteratorINSA_10device_ptrItEEEEPS6_PKS6_NS0_5tupleIJSF_S6_EEENSJ_IJSG_SG_EEENS0_18inequality_wrapperINSA_8equal_toItEEEEPmJS6_EEE10hipError_tPvRmT3_T4_T5_T6_T7_T9_mT8_P12ihipStream_tbDpT10_ENKUlT_T0_E_clISt17integral_constantIbLb0EES19_IbLb1EEEEDaS15_S16_EUlS15_E_NS1_11comp_targetILNS1_3genE0ELNS1_11target_archE4294967295ELNS1_3gpuE0ELNS1_3repE0EEENS1_30default_config_static_selectorELNS0_4arch9wavefront6targetE1EEEvT1_ ; -- Begin function _ZN7rocprim17ROCPRIM_400000_NS6detail17trampoline_kernelINS0_14default_configENS1_25partition_config_selectorILNS1_17partition_subalgoE8EtNS0_10empty_typeEbEEZZNS1_14partition_implILS5_8ELb0ES3_jN6thrust23THRUST_200600_302600_NS6detail15normal_iteratorINSA_10device_ptrItEEEEPS6_PKS6_NS0_5tupleIJSF_S6_EEENSJ_IJSG_SG_EEENS0_18inequality_wrapperINSA_8equal_toItEEEEPmJS6_EEE10hipError_tPvRmT3_T4_T5_T6_T7_T9_mT8_P12ihipStream_tbDpT10_ENKUlT_T0_E_clISt17integral_constantIbLb0EES19_IbLb1EEEEDaS15_S16_EUlS15_E_NS1_11comp_targetILNS1_3genE0ELNS1_11target_archE4294967295ELNS1_3gpuE0ELNS1_3repE0EEENS1_30default_config_static_selectorELNS0_4arch9wavefront6targetE1EEEvT1_
	.globl	_ZN7rocprim17ROCPRIM_400000_NS6detail17trampoline_kernelINS0_14default_configENS1_25partition_config_selectorILNS1_17partition_subalgoE8EtNS0_10empty_typeEbEEZZNS1_14partition_implILS5_8ELb0ES3_jN6thrust23THRUST_200600_302600_NS6detail15normal_iteratorINSA_10device_ptrItEEEEPS6_PKS6_NS0_5tupleIJSF_S6_EEENSJ_IJSG_SG_EEENS0_18inequality_wrapperINSA_8equal_toItEEEEPmJS6_EEE10hipError_tPvRmT3_T4_T5_T6_T7_T9_mT8_P12ihipStream_tbDpT10_ENKUlT_T0_E_clISt17integral_constantIbLb0EES19_IbLb1EEEEDaS15_S16_EUlS15_E_NS1_11comp_targetILNS1_3genE0ELNS1_11target_archE4294967295ELNS1_3gpuE0ELNS1_3repE0EEENS1_30default_config_static_selectorELNS0_4arch9wavefront6targetE1EEEvT1_
	.p2align	8
	.type	_ZN7rocprim17ROCPRIM_400000_NS6detail17trampoline_kernelINS0_14default_configENS1_25partition_config_selectorILNS1_17partition_subalgoE8EtNS0_10empty_typeEbEEZZNS1_14partition_implILS5_8ELb0ES3_jN6thrust23THRUST_200600_302600_NS6detail15normal_iteratorINSA_10device_ptrItEEEEPS6_PKS6_NS0_5tupleIJSF_S6_EEENSJ_IJSG_SG_EEENS0_18inequality_wrapperINSA_8equal_toItEEEEPmJS6_EEE10hipError_tPvRmT3_T4_T5_T6_T7_T9_mT8_P12ihipStream_tbDpT10_ENKUlT_T0_E_clISt17integral_constantIbLb0EES19_IbLb1EEEEDaS15_S16_EUlS15_E_NS1_11comp_targetILNS1_3genE0ELNS1_11target_archE4294967295ELNS1_3gpuE0ELNS1_3repE0EEENS1_30default_config_static_selectorELNS0_4arch9wavefront6targetE1EEEvT1_,@function
_ZN7rocprim17ROCPRIM_400000_NS6detail17trampoline_kernelINS0_14default_configENS1_25partition_config_selectorILNS1_17partition_subalgoE8EtNS0_10empty_typeEbEEZZNS1_14partition_implILS5_8ELb0ES3_jN6thrust23THRUST_200600_302600_NS6detail15normal_iteratorINSA_10device_ptrItEEEEPS6_PKS6_NS0_5tupleIJSF_S6_EEENSJ_IJSG_SG_EEENS0_18inequality_wrapperINSA_8equal_toItEEEEPmJS6_EEE10hipError_tPvRmT3_T4_T5_T6_T7_T9_mT8_P12ihipStream_tbDpT10_ENKUlT_T0_E_clISt17integral_constantIbLb0EES19_IbLb1EEEEDaS15_S16_EUlS15_E_NS1_11comp_targetILNS1_3genE0ELNS1_11target_archE4294967295ELNS1_3gpuE0ELNS1_3repE0EEENS1_30default_config_static_selectorELNS0_4arch9wavefront6targetE1EEEvT1_: ; @_ZN7rocprim17ROCPRIM_400000_NS6detail17trampoline_kernelINS0_14default_configENS1_25partition_config_selectorILNS1_17partition_subalgoE8EtNS0_10empty_typeEbEEZZNS1_14partition_implILS5_8ELb0ES3_jN6thrust23THRUST_200600_302600_NS6detail15normal_iteratorINSA_10device_ptrItEEEEPS6_PKS6_NS0_5tupleIJSF_S6_EEENSJ_IJSG_SG_EEENS0_18inequality_wrapperINSA_8equal_toItEEEEPmJS6_EEE10hipError_tPvRmT3_T4_T5_T6_T7_T9_mT8_P12ihipStream_tbDpT10_ENKUlT_T0_E_clISt17integral_constantIbLb0EES19_IbLb1EEEEDaS15_S16_EUlS15_E_NS1_11comp_targetILNS1_3genE0ELNS1_11target_archE4294967295ELNS1_3gpuE0ELNS1_3repE0EEENS1_30default_config_static_selectorELNS0_4arch9wavefront6targetE1EEEvT1_
; %bb.0:
	.section	.rodata,"a",@progbits
	.p2align	6, 0x0
	.amdhsa_kernel _ZN7rocprim17ROCPRIM_400000_NS6detail17trampoline_kernelINS0_14default_configENS1_25partition_config_selectorILNS1_17partition_subalgoE8EtNS0_10empty_typeEbEEZZNS1_14partition_implILS5_8ELb0ES3_jN6thrust23THRUST_200600_302600_NS6detail15normal_iteratorINSA_10device_ptrItEEEEPS6_PKS6_NS0_5tupleIJSF_S6_EEENSJ_IJSG_SG_EEENS0_18inequality_wrapperINSA_8equal_toItEEEEPmJS6_EEE10hipError_tPvRmT3_T4_T5_T6_T7_T9_mT8_P12ihipStream_tbDpT10_ENKUlT_T0_E_clISt17integral_constantIbLb0EES19_IbLb1EEEEDaS15_S16_EUlS15_E_NS1_11comp_targetILNS1_3genE0ELNS1_11target_archE4294967295ELNS1_3gpuE0ELNS1_3repE0EEENS1_30default_config_static_selectorELNS0_4arch9wavefront6targetE1EEEvT1_
		.amdhsa_group_segment_fixed_size 0
		.amdhsa_private_segment_fixed_size 0
		.amdhsa_kernarg_size 128
		.amdhsa_user_sgpr_count 6
		.amdhsa_user_sgpr_private_segment_buffer 1
		.amdhsa_user_sgpr_dispatch_ptr 0
		.amdhsa_user_sgpr_queue_ptr 0
		.amdhsa_user_sgpr_kernarg_segment_ptr 1
		.amdhsa_user_sgpr_dispatch_id 0
		.amdhsa_user_sgpr_flat_scratch_init 0
		.amdhsa_user_sgpr_private_segment_size 0
		.amdhsa_uses_dynamic_stack 0
		.amdhsa_system_sgpr_private_segment_wavefront_offset 0
		.amdhsa_system_sgpr_workgroup_id_x 1
		.amdhsa_system_sgpr_workgroup_id_y 0
		.amdhsa_system_sgpr_workgroup_id_z 0
		.amdhsa_system_sgpr_workgroup_info 0
		.amdhsa_system_vgpr_workitem_id 0
		.amdhsa_next_free_vgpr 1
		.amdhsa_next_free_sgpr 0
		.amdhsa_reserve_vcc 0
		.amdhsa_reserve_flat_scratch 0
		.amdhsa_float_round_mode_32 0
		.amdhsa_float_round_mode_16_64 0
		.amdhsa_float_denorm_mode_32 3
		.amdhsa_float_denorm_mode_16_64 3
		.amdhsa_dx10_clamp 1
		.amdhsa_ieee_mode 1
		.amdhsa_fp16_overflow 0
		.amdhsa_exception_fp_ieee_invalid_op 0
		.amdhsa_exception_fp_denorm_src 0
		.amdhsa_exception_fp_ieee_div_zero 0
		.amdhsa_exception_fp_ieee_overflow 0
		.amdhsa_exception_fp_ieee_underflow 0
		.amdhsa_exception_fp_ieee_inexact 0
		.amdhsa_exception_int_div_zero 0
	.end_amdhsa_kernel
	.section	.text._ZN7rocprim17ROCPRIM_400000_NS6detail17trampoline_kernelINS0_14default_configENS1_25partition_config_selectorILNS1_17partition_subalgoE8EtNS0_10empty_typeEbEEZZNS1_14partition_implILS5_8ELb0ES3_jN6thrust23THRUST_200600_302600_NS6detail15normal_iteratorINSA_10device_ptrItEEEEPS6_PKS6_NS0_5tupleIJSF_S6_EEENSJ_IJSG_SG_EEENS0_18inequality_wrapperINSA_8equal_toItEEEEPmJS6_EEE10hipError_tPvRmT3_T4_T5_T6_T7_T9_mT8_P12ihipStream_tbDpT10_ENKUlT_T0_E_clISt17integral_constantIbLb0EES19_IbLb1EEEEDaS15_S16_EUlS15_E_NS1_11comp_targetILNS1_3genE0ELNS1_11target_archE4294967295ELNS1_3gpuE0ELNS1_3repE0EEENS1_30default_config_static_selectorELNS0_4arch9wavefront6targetE1EEEvT1_,"axG",@progbits,_ZN7rocprim17ROCPRIM_400000_NS6detail17trampoline_kernelINS0_14default_configENS1_25partition_config_selectorILNS1_17partition_subalgoE8EtNS0_10empty_typeEbEEZZNS1_14partition_implILS5_8ELb0ES3_jN6thrust23THRUST_200600_302600_NS6detail15normal_iteratorINSA_10device_ptrItEEEEPS6_PKS6_NS0_5tupleIJSF_S6_EEENSJ_IJSG_SG_EEENS0_18inequality_wrapperINSA_8equal_toItEEEEPmJS6_EEE10hipError_tPvRmT3_T4_T5_T6_T7_T9_mT8_P12ihipStream_tbDpT10_ENKUlT_T0_E_clISt17integral_constantIbLb0EES19_IbLb1EEEEDaS15_S16_EUlS15_E_NS1_11comp_targetILNS1_3genE0ELNS1_11target_archE4294967295ELNS1_3gpuE0ELNS1_3repE0EEENS1_30default_config_static_selectorELNS0_4arch9wavefront6targetE1EEEvT1_,comdat
.Lfunc_end299:
	.size	_ZN7rocprim17ROCPRIM_400000_NS6detail17trampoline_kernelINS0_14default_configENS1_25partition_config_selectorILNS1_17partition_subalgoE8EtNS0_10empty_typeEbEEZZNS1_14partition_implILS5_8ELb0ES3_jN6thrust23THRUST_200600_302600_NS6detail15normal_iteratorINSA_10device_ptrItEEEEPS6_PKS6_NS0_5tupleIJSF_S6_EEENSJ_IJSG_SG_EEENS0_18inequality_wrapperINSA_8equal_toItEEEEPmJS6_EEE10hipError_tPvRmT3_T4_T5_T6_T7_T9_mT8_P12ihipStream_tbDpT10_ENKUlT_T0_E_clISt17integral_constantIbLb0EES19_IbLb1EEEEDaS15_S16_EUlS15_E_NS1_11comp_targetILNS1_3genE0ELNS1_11target_archE4294967295ELNS1_3gpuE0ELNS1_3repE0EEENS1_30default_config_static_selectorELNS0_4arch9wavefront6targetE1EEEvT1_, .Lfunc_end299-_ZN7rocprim17ROCPRIM_400000_NS6detail17trampoline_kernelINS0_14default_configENS1_25partition_config_selectorILNS1_17partition_subalgoE8EtNS0_10empty_typeEbEEZZNS1_14partition_implILS5_8ELb0ES3_jN6thrust23THRUST_200600_302600_NS6detail15normal_iteratorINSA_10device_ptrItEEEEPS6_PKS6_NS0_5tupleIJSF_S6_EEENSJ_IJSG_SG_EEENS0_18inequality_wrapperINSA_8equal_toItEEEEPmJS6_EEE10hipError_tPvRmT3_T4_T5_T6_T7_T9_mT8_P12ihipStream_tbDpT10_ENKUlT_T0_E_clISt17integral_constantIbLb0EES19_IbLb1EEEEDaS15_S16_EUlS15_E_NS1_11comp_targetILNS1_3genE0ELNS1_11target_archE4294967295ELNS1_3gpuE0ELNS1_3repE0EEENS1_30default_config_static_selectorELNS0_4arch9wavefront6targetE1EEEvT1_
                                        ; -- End function
	.set _ZN7rocprim17ROCPRIM_400000_NS6detail17trampoline_kernelINS0_14default_configENS1_25partition_config_selectorILNS1_17partition_subalgoE8EtNS0_10empty_typeEbEEZZNS1_14partition_implILS5_8ELb0ES3_jN6thrust23THRUST_200600_302600_NS6detail15normal_iteratorINSA_10device_ptrItEEEEPS6_PKS6_NS0_5tupleIJSF_S6_EEENSJ_IJSG_SG_EEENS0_18inequality_wrapperINSA_8equal_toItEEEEPmJS6_EEE10hipError_tPvRmT3_T4_T5_T6_T7_T9_mT8_P12ihipStream_tbDpT10_ENKUlT_T0_E_clISt17integral_constantIbLb0EES19_IbLb1EEEEDaS15_S16_EUlS15_E_NS1_11comp_targetILNS1_3genE0ELNS1_11target_archE4294967295ELNS1_3gpuE0ELNS1_3repE0EEENS1_30default_config_static_selectorELNS0_4arch9wavefront6targetE1EEEvT1_.num_vgpr, 0
	.set _ZN7rocprim17ROCPRIM_400000_NS6detail17trampoline_kernelINS0_14default_configENS1_25partition_config_selectorILNS1_17partition_subalgoE8EtNS0_10empty_typeEbEEZZNS1_14partition_implILS5_8ELb0ES3_jN6thrust23THRUST_200600_302600_NS6detail15normal_iteratorINSA_10device_ptrItEEEEPS6_PKS6_NS0_5tupleIJSF_S6_EEENSJ_IJSG_SG_EEENS0_18inequality_wrapperINSA_8equal_toItEEEEPmJS6_EEE10hipError_tPvRmT3_T4_T5_T6_T7_T9_mT8_P12ihipStream_tbDpT10_ENKUlT_T0_E_clISt17integral_constantIbLb0EES19_IbLb1EEEEDaS15_S16_EUlS15_E_NS1_11comp_targetILNS1_3genE0ELNS1_11target_archE4294967295ELNS1_3gpuE0ELNS1_3repE0EEENS1_30default_config_static_selectorELNS0_4arch9wavefront6targetE1EEEvT1_.num_agpr, 0
	.set _ZN7rocprim17ROCPRIM_400000_NS6detail17trampoline_kernelINS0_14default_configENS1_25partition_config_selectorILNS1_17partition_subalgoE8EtNS0_10empty_typeEbEEZZNS1_14partition_implILS5_8ELb0ES3_jN6thrust23THRUST_200600_302600_NS6detail15normal_iteratorINSA_10device_ptrItEEEEPS6_PKS6_NS0_5tupleIJSF_S6_EEENSJ_IJSG_SG_EEENS0_18inequality_wrapperINSA_8equal_toItEEEEPmJS6_EEE10hipError_tPvRmT3_T4_T5_T6_T7_T9_mT8_P12ihipStream_tbDpT10_ENKUlT_T0_E_clISt17integral_constantIbLb0EES19_IbLb1EEEEDaS15_S16_EUlS15_E_NS1_11comp_targetILNS1_3genE0ELNS1_11target_archE4294967295ELNS1_3gpuE0ELNS1_3repE0EEENS1_30default_config_static_selectorELNS0_4arch9wavefront6targetE1EEEvT1_.numbered_sgpr, 0
	.set _ZN7rocprim17ROCPRIM_400000_NS6detail17trampoline_kernelINS0_14default_configENS1_25partition_config_selectorILNS1_17partition_subalgoE8EtNS0_10empty_typeEbEEZZNS1_14partition_implILS5_8ELb0ES3_jN6thrust23THRUST_200600_302600_NS6detail15normal_iteratorINSA_10device_ptrItEEEEPS6_PKS6_NS0_5tupleIJSF_S6_EEENSJ_IJSG_SG_EEENS0_18inequality_wrapperINSA_8equal_toItEEEEPmJS6_EEE10hipError_tPvRmT3_T4_T5_T6_T7_T9_mT8_P12ihipStream_tbDpT10_ENKUlT_T0_E_clISt17integral_constantIbLb0EES19_IbLb1EEEEDaS15_S16_EUlS15_E_NS1_11comp_targetILNS1_3genE0ELNS1_11target_archE4294967295ELNS1_3gpuE0ELNS1_3repE0EEENS1_30default_config_static_selectorELNS0_4arch9wavefront6targetE1EEEvT1_.num_named_barrier, 0
	.set _ZN7rocprim17ROCPRIM_400000_NS6detail17trampoline_kernelINS0_14default_configENS1_25partition_config_selectorILNS1_17partition_subalgoE8EtNS0_10empty_typeEbEEZZNS1_14partition_implILS5_8ELb0ES3_jN6thrust23THRUST_200600_302600_NS6detail15normal_iteratorINSA_10device_ptrItEEEEPS6_PKS6_NS0_5tupleIJSF_S6_EEENSJ_IJSG_SG_EEENS0_18inequality_wrapperINSA_8equal_toItEEEEPmJS6_EEE10hipError_tPvRmT3_T4_T5_T6_T7_T9_mT8_P12ihipStream_tbDpT10_ENKUlT_T0_E_clISt17integral_constantIbLb0EES19_IbLb1EEEEDaS15_S16_EUlS15_E_NS1_11comp_targetILNS1_3genE0ELNS1_11target_archE4294967295ELNS1_3gpuE0ELNS1_3repE0EEENS1_30default_config_static_selectorELNS0_4arch9wavefront6targetE1EEEvT1_.private_seg_size, 0
	.set _ZN7rocprim17ROCPRIM_400000_NS6detail17trampoline_kernelINS0_14default_configENS1_25partition_config_selectorILNS1_17partition_subalgoE8EtNS0_10empty_typeEbEEZZNS1_14partition_implILS5_8ELb0ES3_jN6thrust23THRUST_200600_302600_NS6detail15normal_iteratorINSA_10device_ptrItEEEEPS6_PKS6_NS0_5tupleIJSF_S6_EEENSJ_IJSG_SG_EEENS0_18inequality_wrapperINSA_8equal_toItEEEEPmJS6_EEE10hipError_tPvRmT3_T4_T5_T6_T7_T9_mT8_P12ihipStream_tbDpT10_ENKUlT_T0_E_clISt17integral_constantIbLb0EES19_IbLb1EEEEDaS15_S16_EUlS15_E_NS1_11comp_targetILNS1_3genE0ELNS1_11target_archE4294967295ELNS1_3gpuE0ELNS1_3repE0EEENS1_30default_config_static_selectorELNS0_4arch9wavefront6targetE1EEEvT1_.uses_vcc, 0
	.set _ZN7rocprim17ROCPRIM_400000_NS6detail17trampoline_kernelINS0_14default_configENS1_25partition_config_selectorILNS1_17partition_subalgoE8EtNS0_10empty_typeEbEEZZNS1_14partition_implILS5_8ELb0ES3_jN6thrust23THRUST_200600_302600_NS6detail15normal_iteratorINSA_10device_ptrItEEEEPS6_PKS6_NS0_5tupleIJSF_S6_EEENSJ_IJSG_SG_EEENS0_18inequality_wrapperINSA_8equal_toItEEEEPmJS6_EEE10hipError_tPvRmT3_T4_T5_T6_T7_T9_mT8_P12ihipStream_tbDpT10_ENKUlT_T0_E_clISt17integral_constantIbLb0EES19_IbLb1EEEEDaS15_S16_EUlS15_E_NS1_11comp_targetILNS1_3genE0ELNS1_11target_archE4294967295ELNS1_3gpuE0ELNS1_3repE0EEENS1_30default_config_static_selectorELNS0_4arch9wavefront6targetE1EEEvT1_.uses_flat_scratch, 0
	.set _ZN7rocprim17ROCPRIM_400000_NS6detail17trampoline_kernelINS0_14default_configENS1_25partition_config_selectorILNS1_17partition_subalgoE8EtNS0_10empty_typeEbEEZZNS1_14partition_implILS5_8ELb0ES3_jN6thrust23THRUST_200600_302600_NS6detail15normal_iteratorINSA_10device_ptrItEEEEPS6_PKS6_NS0_5tupleIJSF_S6_EEENSJ_IJSG_SG_EEENS0_18inequality_wrapperINSA_8equal_toItEEEEPmJS6_EEE10hipError_tPvRmT3_T4_T5_T6_T7_T9_mT8_P12ihipStream_tbDpT10_ENKUlT_T0_E_clISt17integral_constantIbLb0EES19_IbLb1EEEEDaS15_S16_EUlS15_E_NS1_11comp_targetILNS1_3genE0ELNS1_11target_archE4294967295ELNS1_3gpuE0ELNS1_3repE0EEENS1_30default_config_static_selectorELNS0_4arch9wavefront6targetE1EEEvT1_.has_dyn_sized_stack, 0
	.set _ZN7rocprim17ROCPRIM_400000_NS6detail17trampoline_kernelINS0_14default_configENS1_25partition_config_selectorILNS1_17partition_subalgoE8EtNS0_10empty_typeEbEEZZNS1_14partition_implILS5_8ELb0ES3_jN6thrust23THRUST_200600_302600_NS6detail15normal_iteratorINSA_10device_ptrItEEEEPS6_PKS6_NS0_5tupleIJSF_S6_EEENSJ_IJSG_SG_EEENS0_18inequality_wrapperINSA_8equal_toItEEEEPmJS6_EEE10hipError_tPvRmT3_T4_T5_T6_T7_T9_mT8_P12ihipStream_tbDpT10_ENKUlT_T0_E_clISt17integral_constantIbLb0EES19_IbLb1EEEEDaS15_S16_EUlS15_E_NS1_11comp_targetILNS1_3genE0ELNS1_11target_archE4294967295ELNS1_3gpuE0ELNS1_3repE0EEENS1_30default_config_static_selectorELNS0_4arch9wavefront6targetE1EEEvT1_.has_recursion, 0
	.set _ZN7rocprim17ROCPRIM_400000_NS6detail17trampoline_kernelINS0_14default_configENS1_25partition_config_selectorILNS1_17partition_subalgoE8EtNS0_10empty_typeEbEEZZNS1_14partition_implILS5_8ELb0ES3_jN6thrust23THRUST_200600_302600_NS6detail15normal_iteratorINSA_10device_ptrItEEEEPS6_PKS6_NS0_5tupleIJSF_S6_EEENSJ_IJSG_SG_EEENS0_18inequality_wrapperINSA_8equal_toItEEEEPmJS6_EEE10hipError_tPvRmT3_T4_T5_T6_T7_T9_mT8_P12ihipStream_tbDpT10_ENKUlT_T0_E_clISt17integral_constantIbLb0EES19_IbLb1EEEEDaS15_S16_EUlS15_E_NS1_11comp_targetILNS1_3genE0ELNS1_11target_archE4294967295ELNS1_3gpuE0ELNS1_3repE0EEENS1_30default_config_static_selectorELNS0_4arch9wavefront6targetE1EEEvT1_.has_indirect_call, 0
	.section	.AMDGPU.csdata,"",@progbits
; Kernel info:
; codeLenInByte = 0
; TotalNumSgprs: 4
; NumVgprs: 0
; ScratchSize: 0
; MemoryBound: 0
; FloatMode: 240
; IeeeMode: 1
; LDSByteSize: 0 bytes/workgroup (compile time only)
; SGPRBlocks: 0
; VGPRBlocks: 0
; NumSGPRsForWavesPerEU: 4
; NumVGPRsForWavesPerEU: 1
; Occupancy: 10
; WaveLimiterHint : 0
; COMPUTE_PGM_RSRC2:SCRATCH_EN: 0
; COMPUTE_PGM_RSRC2:USER_SGPR: 6
; COMPUTE_PGM_RSRC2:TRAP_HANDLER: 0
; COMPUTE_PGM_RSRC2:TGID_X_EN: 1
; COMPUTE_PGM_RSRC2:TGID_Y_EN: 0
; COMPUTE_PGM_RSRC2:TGID_Z_EN: 0
; COMPUTE_PGM_RSRC2:TIDIG_COMP_CNT: 0
	.section	.text._ZN7rocprim17ROCPRIM_400000_NS6detail17trampoline_kernelINS0_14default_configENS1_25partition_config_selectorILNS1_17partition_subalgoE8EtNS0_10empty_typeEbEEZZNS1_14partition_implILS5_8ELb0ES3_jN6thrust23THRUST_200600_302600_NS6detail15normal_iteratorINSA_10device_ptrItEEEEPS6_PKS6_NS0_5tupleIJSF_S6_EEENSJ_IJSG_SG_EEENS0_18inequality_wrapperINSA_8equal_toItEEEEPmJS6_EEE10hipError_tPvRmT3_T4_T5_T6_T7_T9_mT8_P12ihipStream_tbDpT10_ENKUlT_T0_E_clISt17integral_constantIbLb0EES19_IbLb1EEEEDaS15_S16_EUlS15_E_NS1_11comp_targetILNS1_3genE5ELNS1_11target_archE942ELNS1_3gpuE9ELNS1_3repE0EEENS1_30default_config_static_selectorELNS0_4arch9wavefront6targetE1EEEvT1_,"axG",@progbits,_ZN7rocprim17ROCPRIM_400000_NS6detail17trampoline_kernelINS0_14default_configENS1_25partition_config_selectorILNS1_17partition_subalgoE8EtNS0_10empty_typeEbEEZZNS1_14partition_implILS5_8ELb0ES3_jN6thrust23THRUST_200600_302600_NS6detail15normal_iteratorINSA_10device_ptrItEEEEPS6_PKS6_NS0_5tupleIJSF_S6_EEENSJ_IJSG_SG_EEENS0_18inequality_wrapperINSA_8equal_toItEEEEPmJS6_EEE10hipError_tPvRmT3_T4_T5_T6_T7_T9_mT8_P12ihipStream_tbDpT10_ENKUlT_T0_E_clISt17integral_constantIbLb0EES19_IbLb1EEEEDaS15_S16_EUlS15_E_NS1_11comp_targetILNS1_3genE5ELNS1_11target_archE942ELNS1_3gpuE9ELNS1_3repE0EEENS1_30default_config_static_selectorELNS0_4arch9wavefront6targetE1EEEvT1_,comdat
	.protected	_ZN7rocprim17ROCPRIM_400000_NS6detail17trampoline_kernelINS0_14default_configENS1_25partition_config_selectorILNS1_17partition_subalgoE8EtNS0_10empty_typeEbEEZZNS1_14partition_implILS5_8ELb0ES3_jN6thrust23THRUST_200600_302600_NS6detail15normal_iteratorINSA_10device_ptrItEEEEPS6_PKS6_NS0_5tupleIJSF_S6_EEENSJ_IJSG_SG_EEENS0_18inequality_wrapperINSA_8equal_toItEEEEPmJS6_EEE10hipError_tPvRmT3_T4_T5_T6_T7_T9_mT8_P12ihipStream_tbDpT10_ENKUlT_T0_E_clISt17integral_constantIbLb0EES19_IbLb1EEEEDaS15_S16_EUlS15_E_NS1_11comp_targetILNS1_3genE5ELNS1_11target_archE942ELNS1_3gpuE9ELNS1_3repE0EEENS1_30default_config_static_selectorELNS0_4arch9wavefront6targetE1EEEvT1_ ; -- Begin function _ZN7rocprim17ROCPRIM_400000_NS6detail17trampoline_kernelINS0_14default_configENS1_25partition_config_selectorILNS1_17partition_subalgoE8EtNS0_10empty_typeEbEEZZNS1_14partition_implILS5_8ELb0ES3_jN6thrust23THRUST_200600_302600_NS6detail15normal_iteratorINSA_10device_ptrItEEEEPS6_PKS6_NS0_5tupleIJSF_S6_EEENSJ_IJSG_SG_EEENS0_18inequality_wrapperINSA_8equal_toItEEEEPmJS6_EEE10hipError_tPvRmT3_T4_T5_T6_T7_T9_mT8_P12ihipStream_tbDpT10_ENKUlT_T0_E_clISt17integral_constantIbLb0EES19_IbLb1EEEEDaS15_S16_EUlS15_E_NS1_11comp_targetILNS1_3genE5ELNS1_11target_archE942ELNS1_3gpuE9ELNS1_3repE0EEENS1_30default_config_static_selectorELNS0_4arch9wavefront6targetE1EEEvT1_
	.globl	_ZN7rocprim17ROCPRIM_400000_NS6detail17trampoline_kernelINS0_14default_configENS1_25partition_config_selectorILNS1_17partition_subalgoE8EtNS0_10empty_typeEbEEZZNS1_14partition_implILS5_8ELb0ES3_jN6thrust23THRUST_200600_302600_NS6detail15normal_iteratorINSA_10device_ptrItEEEEPS6_PKS6_NS0_5tupleIJSF_S6_EEENSJ_IJSG_SG_EEENS0_18inequality_wrapperINSA_8equal_toItEEEEPmJS6_EEE10hipError_tPvRmT3_T4_T5_T6_T7_T9_mT8_P12ihipStream_tbDpT10_ENKUlT_T0_E_clISt17integral_constantIbLb0EES19_IbLb1EEEEDaS15_S16_EUlS15_E_NS1_11comp_targetILNS1_3genE5ELNS1_11target_archE942ELNS1_3gpuE9ELNS1_3repE0EEENS1_30default_config_static_selectorELNS0_4arch9wavefront6targetE1EEEvT1_
	.p2align	8
	.type	_ZN7rocprim17ROCPRIM_400000_NS6detail17trampoline_kernelINS0_14default_configENS1_25partition_config_selectorILNS1_17partition_subalgoE8EtNS0_10empty_typeEbEEZZNS1_14partition_implILS5_8ELb0ES3_jN6thrust23THRUST_200600_302600_NS6detail15normal_iteratorINSA_10device_ptrItEEEEPS6_PKS6_NS0_5tupleIJSF_S6_EEENSJ_IJSG_SG_EEENS0_18inequality_wrapperINSA_8equal_toItEEEEPmJS6_EEE10hipError_tPvRmT3_T4_T5_T6_T7_T9_mT8_P12ihipStream_tbDpT10_ENKUlT_T0_E_clISt17integral_constantIbLb0EES19_IbLb1EEEEDaS15_S16_EUlS15_E_NS1_11comp_targetILNS1_3genE5ELNS1_11target_archE942ELNS1_3gpuE9ELNS1_3repE0EEENS1_30default_config_static_selectorELNS0_4arch9wavefront6targetE1EEEvT1_,@function
_ZN7rocprim17ROCPRIM_400000_NS6detail17trampoline_kernelINS0_14default_configENS1_25partition_config_selectorILNS1_17partition_subalgoE8EtNS0_10empty_typeEbEEZZNS1_14partition_implILS5_8ELb0ES3_jN6thrust23THRUST_200600_302600_NS6detail15normal_iteratorINSA_10device_ptrItEEEEPS6_PKS6_NS0_5tupleIJSF_S6_EEENSJ_IJSG_SG_EEENS0_18inequality_wrapperINSA_8equal_toItEEEEPmJS6_EEE10hipError_tPvRmT3_T4_T5_T6_T7_T9_mT8_P12ihipStream_tbDpT10_ENKUlT_T0_E_clISt17integral_constantIbLb0EES19_IbLb1EEEEDaS15_S16_EUlS15_E_NS1_11comp_targetILNS1_3genE5ELNS1_11target_archE942ELNS1_3gpuE9ELNS1_3repE0EEENS1_30default_config_static_selectorELNS0_4arch9wavefront6targetE1EEEvT1_: ; @_ZN7rocprim17ROCPRIM_400000_NS6detail17trampoline_kernelINS0_14default_configENS1_25partition_config_selectorILNS1_17partition_subalgoE8EtNS0_10empty_typeEbEEZZNS1_14partition_implILS5_8ELb0ES3_jN6thrust23THRUST_200600_302600_NS6detail15normal_iteratorINSA_10device_ptrItEEEEPS6_PKS6_NS0_5tupleIJSF_S6_EEENSJ_IJSG_SG_EEENS0_18inequality_wrapperINSA_8equal_toItEEEEPmJS6_EEE10hipError_tPvRmT3_T4_T5_T6_T7_T9_mT8_P12ihipStream_tbDpT10_ENKUlT_T0_E_clISt17integral_constantIbLb0EES19_IbLb1EEEEDaS15_S16_EUlS15_E_NS1_11comp_targetILNS1_3genE5ELNS1_11target_archE942ELNS1_3gpuE9ELNS1_3repE0EEENS1_30default_config_static_selectorELNS0_4arch9wavefront6targetE1EEEvT1_
; %bb.0:
	.section	.rodata,"a",@progbits
	.p2align	6, 0x0
	.amdhsa_kernel _ZN7rocprim17ROCPRIM_400000_NS6detail17trampoline_kernelINS0_14default_configENS1_25partition_config_selectorILNS1_17partition_subalgoE8EtNS0_10empty_typeEbEEZZNS1_14partition_implILS5_8ELb0ES3_jN6thrust23THRUST_200600_302600_NS6detail15normal_iteratorINSA_10device_ptrItEEEEPS6_PKS6_NS0_5tupleIJSF_S6_EEENSJ_IJSG_SG_EEENS0_18inequality_wrapperINSA_8equal_toItEEEEPmJS6_EEE10hipError_tPvRmT3_T4_T5_T6_T7_T9_mT8_P12ihipStream_tbDpT10_ENKUlT_T0_E_clISt17integral_constantIbLb0EES19_IbLb1EEEEDaS15_S16_EUlS15_E_NS1_11comp_targetILNS1_3genE5ELNS1_11target_archE942ELNS1_3gpuE9ELNS1_3repE0EEENS1_30default_config_static_selectorELNS0_4arch9wavefront6targetE1EEEvT1_
		.amdhsa_group_segment_fixed_size 0
		.amdhsa_private_segment_fixed_size 0
		.amdhsa_kernarg_size 128
		.amdhsa_user_sgpr_count 6
		.amdhsa_user_sgpr_private_segment_buffer 1
		.amdhsa_user_sgpr_dispatch_ptr 0
		.amdhsa_user_sgpr_queue_ptr 0
		.amdhsa_user_sgpr_kernarg_segment_ptr 1
		.amdhsa_user_sgpr_dispatch_id 0
		.amdhsa_user_sgpr_flat_scratch_init 0
		.amdhsa_user_sgpr_private_segment_size 0
		.amdhsa_uses_dynamic_stack 0
		.amdhsa_system_sgpr_private_segment_wavefront_offset 0
		.amdhsa_system_sgpr_workgroup_id_x 1
		.amdhsa_system_sgpr_workgroup_id_y 0
		.amdhsa_system_sgpr_workgroup_id_z 0
		.amdhsa_system_sgpr_workgroup_info 0
		.amdhsa_system_vgpr_workitem_id 0
		.amdhsa_next_free_vgpr 1
		.amdhsa_next_free_sgpr 0
		.amdhsa_reserve_vcc 0
		.amdhsa_reserve_flat_scratch 0
		.amdhsa_float_round_mode_32 0
		.amdhsa_float_round_mode_16_64 0
		.amdhsa_float_denorm_mode_32 3
		.amdhsa_float_denorm_mode_16_64 3
		.amdhsa_dx10_clamp 1
		.amdhsa_ieee_mode 1
		.amdhsa_fp16_overflow 0
		.amdhsa_exception_fp_ieee_invalid_op 0
		.amdhsa_exception_fp_denorm_src 0
		.amdhsa_exception_fp_ieee_div_zero 0
		.amdhsa_exception_fp_ieee_overflow 0
		.amdhsa_exception_fp_ieee_underflow 0
		.amdhsa_exception_fp_ieee_inexact 0
		.amdhsa_exception_int_div_zero 0
	.end_amdhsa_kernel
	.section	.text._ZN7rocprim17ROCPRIM_400000_NS6detail17trampoline_kernelINS0_14default_configENS1_25partition_config_selectorILNS1_17partition_subalgoE8EtNS0_10empty_typeEbEEZZNS1_14partition_implILS5_8ELb0ES3_jN6thrust23THRUST_200600_302600_NS6detail15normal_iteratorINSA_10device_ptrItEEEEPS6_PKS6_NS0_5tupleIJSF_S6_EEENSJ_IJSG_SG_EEENS0_18inequality_wrapperINSA_8equal_toItEEEEPmJS6_EEE10hipError_tPvRmT3_T4_T5_T6_T7_T9_mT8_P12ihipStream_tbDpT10_ENKUlT_T0_E_clISt17integral_constantIbLb0EES19_IbLb1EEEEDaS15_S16_EUlS15_E_NS1_11comp_targetILNS1_3genE5ELNS1_11target_archE942ELNS1_3gpuE9ELNS1_3repE0EEENS1_30default_config_static_selectorELNS0_4arch9wavefront6targetE1EEEvT1_,"axG",@progbits,_ZN7rocprim17ROCPRIM_400000_NS6detail17trampoline_kernelINS0_14default_configENS1_25partition_config_selectorILNS1_17partition_subalgoE8EtNS0_10empty_typeEbEEZZNS1_14partition_implILS5_8ELb0ES3_jN6thrust23THRUST_200600_302600_NS6detail15normal_iteratorINSA_10device_ptrItEEEEPS6_PKS6_NS0_5tupleIJSF_S6_EEENSJ_IJSG_SG_EEENS0_18inequality_wrapperINSA_8equal_toItEEEEPmJS6_EEE10hipError_tPvRmT3_T4_T5_T6_T7_T9_mT8_P12ihipStream_tbDpT10_ENKUlT_T0_E_clISt17integral_constantIbLb0EES19_IbLb1EEEEDaS15_S16_EUlS15_E_NS1_11comp_targetILNS1_3genE5ELNS1_11target_archE942ELNS1_3gpuE9ELNS1_3repE0EEENS1_30default_config_static_selectorELNS0_4arch9wavefront6targetE1EEEvT1_,comdat
.Lfunc_end300:
	.size	_ZN7rocprim17ROCPRIM_400000_NS6detail17trampoline_kernelINS0_14default_configENS1_25partition_config_selectorILNS1_17partition_subalgoE8EtNS0_10empty_typeEbEEZZNS1_14partition_implILS5_8ELb0ES3_jN6thrust23THRUST_200600_302600_NS6detail15normal_iteratorINSA_10device_ptrItEEEEPS6_PKS6_NS0_5tupleIJSF_S6_EEENSJ_IJSG_SG_EEENS0_18inequality_wrapperINSA_8equal_toItEEEEPmJS6_EEE10hipError_tPvRmT3_T4_T5_T6_T7_T9_mT8_P12ihipStream_tbDpT10_ENKUlT_T0_E_clISt17integral_constantIbLb0EES19_IbLb1EEEEDaS15_S16_EUlS15_E_NS1_11comp_targetILNS1_3genE5ELNS1_11target_archE942ELNS1_3gpuE9ELNS1_3repE0EEENS1_30default_config_static_selectorELNS0_4arch9wavefront6targetE1EEEvT1_, .Lfunc_end300-_ZN7rocprim17ROCPRIM_400000_NS6detail17trampoline_kernelINS0_14default_configENS1_25partition_config_selectorILNS1_17partition_subalgoE8EtNS0_10empty_typeEbEEZZNS1_14partition_implILS5_8ELb0ES3_jN6thrust23THRUST_200600_302600_NS6detail15normal_iteratorINSA_10device_ptrItEEEEPS6_PKS6_NS0_5tupleIJSF_S6_EEENSJ_IJSG_SG_EEENS0_18inequality_wrapperINSA_8equal_toItEEEEPmJS6_EEE10hipError_tPvRmT3_T4_T5_T6_T7_T9_mT8_P12ihipStream_tbDpT10_ENKUlT_T0_E_clISt17integral_constantIbLb0EES19_IbLb1EEEEDaS15_S16_EUlS15_E_NS1_11comp_targetILNS1_3genE5ELNS1_11target_archE942ELNS1_3gpuE9ELNS1_3repE0EEENS1_30default_config_static_selectorELNS0_4arch9wavefront6targetE1EEEvT1_
                                        ; -- End function
	.set _ZN7rocprim17ROCPRIM_400000_NS6detail17trampoline_kernelINS0_14default_configENS1_25partition_config_selectorILNS1_17partition_subalgoE8EtNS0_10empty_typeEbEEZZNS1_14partition_implILS5_8ELb0ES3_jN6thrust23THRUST_200600_302600_NS6detail15normal_iteratorINSA_10device_ptrItEEEEPS6_PKS6_NS0_5tupleIJSF_S6_EEENSJ_IJSG_SG_EEENS0_18inequality_wrapperINSA_8equal_toItEEEEPmJS6_EEE10hipError_tPvRmT3_T4_T5_T6_T7_T9_mT8_P12ihipStream_tbDpT10_ENKUlT_T0_E_clISt17integral_constantIbLb0EES19_IbLb1EEEEDaS15_S16_EUlS15_E_NS1_11comp_targetILNS1_3genE5ELNS1_11target_archE942ELNS1_3gpuE9ELNS1_3repE0EEENS1_30default_config_static_selectorELNS0_4arch9wavefront6targetE1EEEvT1_.num_vgpr, 0
	.set _ZN7rocprim17ROCPRIM_400000_NS6detail17trampoline_kernelINS0_14default_configENS1_25partition_config_selectorILNS1_17partition_subalgoE8EtNS0_10empty_typeEbEEZZNS1_14partition_implILS5_8ELb0ES3_jN6thrust23THRUST_200600_302600_NS6detail15normal_iteratorINSA_10device_ptrItEEEEPS6_PKS6_NS0_5tupleIJSF_S6_EEENSJ_IJSG_SG_EEENS0_18inequality_wrapperINSA_8equal_toItEEEEPmJS6_EEE10hipError_tPvRmT3_T4_T5_T6_T7_T9_mT8_P12ihipStream_tbDpT10_ENKUlT_T0_E_clISt17integral_constantIbLb0EES19_IbLb1EEEEDaS15_S16_EUlS15_E_NS1_11comp_targetILNS1_3genE5ELNS1_11target_archE942ELNS1_3gpuE9ELNS1_3repE0EEENS1_30default_config_static_selectorELNS0_4arch9wavefront6targetE1EEEvT1_.num_agpr, 0
	.set _ZN7rocprim17ROCPRIM_400000_NS6detail17trampoline_kernelINS0_14default_configENS1_25partition_config_selectorILNS1_17partition_subalgoE8EtNS0_10empty_typeEbEEZZNS1_14partition_implILS5_8ELb0ES3_jN6thrust23THRUST_200600_302600_NS6detail15normal_iteratorINSA_10device_ptrItEEEEPS6_PKS6_NS0_5tupleIJSF_S6_EEENSJ_IJSG_SG_EEENS0_18inequality_wrapperINSA_8equal_toItEEEEPmJS6_EEE10hipError_tPvRmT3_T4_T5_T6_T7_T9_mT8_P12ihipStream_tbDpT10_ENKUlT_T0_E_clISt17integral_constantIbLb0EES19_IbLb1EEEEDaS15_S16_EUlS15_E_NS1_11comp_targetILNS1_3genE5ELNS1_11target_archE942ELNS1_3gpuE9ELNS1_3repE0EEENS1_30default_config_static_selectorELNS0_4arch9wavefront6targetE1EEEvT1_.numbered_sgpr, 0
	.set _ZN7rocprim17ROCPRIM_400000_NS6detail17trampoline_kernelINS0_14default_configENS1_25partition_config_selectorILNS1_17partition_subalgoE8EtNS0_10empty_typeEbEEZZNS1_14partition_implILS5_8ELb0ES3_jN6thrust23THRUST_200600_302600_NS6detail15normal_iteratorINSA_10device_ptrItEEEEPS6_PKS6_NS0_5tupleIJSF_S6_EEENSJ_IJSG_SG_EEENS0_18inequality_wrapperINSA_8equal_toItEEEEPmJS6_EEE10hipError_tPvRmT3_T4_T5_T6_T7_T9_mT8_P12ihipStream_tbDpT10_ENKUlT_T0_E_clISt17integral_constantIbLb0EES19_IbLb1EEEEDaS15_S16_EUlS15_E_NS1_11comp_targetILNS1_3genE5ELNS1_11target_archE942ELNS1_3gpuE9ELNS1_3repE0EEENS1_30default_config_static_selectorELNS0_4arch9wavefront6targetE1EEEvT1_.num_named_barrier, 0
	.set _ZN7rocprim17ROCPRIM_400000_NS6detail17trampoline_kernelINS0_14default_configENS1_25partition_config_selectorILNS1_17partition_subalgoE8EtNS0_10empty_typeEbEEZZNS1_14partition_implILS5_8ELb0ES3_jN6thrust23THRUST_200600_302600_NS6detail15normal_iteratorINSA_10device_ptrItEEEEPS6_PKS6_NS0_5tupleIJSF_S6_EEENSJ_IJSG_SG_EEENS0_18inequality_wrapperINSA_8equal_toItEEEEPmJS6_EEE10hipError_tPvRmT3_T4_T5_T6_T7_T9_mT8_P12ihipStream_tbDpT10_ENKUlT_T0_E_clISt17integral_constantIbLb0EES19_IbLb1EEEEDaS15_S16_EUlS15_E_NS1_11comp_targetILNS1_3genE5ELNS1_11target_archE942ELNS1_3gpuE9ELNS1_3repE0EEENS1_30default_config_static_selectorELNS0_4arch9wavefront6targetE1EEEvT1_.private_seg_size, 0
	.set _ZN7rocprim17ROCPRIM_400000_NS6detail17trampoline_kernelINS0_14default_configENS1_25partition_config_selectorILNS1_17partition_subalgoE8EtNS0_10empty_typeEbEEZZNS1_14partition_implILS5_8ELb0ES3_jN6thrust23THRUST_200600_302600_NS6detail15normal_iteratorINSA_10device_ptrItEEEEPS6_PKS6_NS0_5tupleIJSF_S6_EEENSJ_IJSG_SG_EEENS0_18inequality_wrapperINSA_8equal_toItEEEEPmJS6_EEE10hipError_tPvRmT3_T4_T5_T6_T7_T9_mT8_P12ihipStream_tbDpT10_ENKUlT_T0_E_clISt17integral_constantIbLb0EES19_IbLb1EEEEDaS15_S16_EUlS15_E_NS1_11comp_targetILNS1_3genE5ELNS1_11target_archE942ELNS1_3gpuE9ELNS1_3repE0EEENS1_30default_config_static_selectorELNS0_4arch9wavefront6targetE1EEEvT1_.uses_vcc, 0
	.set _ZN7rocprim17ROCPRIM_400000_NS6detail17trampoline_kernelINS0_14default_configENS1_25partition_config_selectorILNS1_17partition_subalgoE8EtNS0_10empty_typeEbEEZZNS1_14partition_implILS5_8ELb0ES3_jN6thrust23THRUST_200600_302600_NS6detail15normal_iteratorINSA_10device_ptrItEEEEPS6_PKS6_NS0_5tupleIJSF_S6_EEENSJ_IJSG_SG_EEENS0_18inequality_wrapperINSA_8equal_toItEEEEPmJS6_EEE10hipError_tPvRmT3_T4_T5_T6_T7_T9_mT8_P12ihipStream_tbDpT10_ENKUlT_T0_E_clISt17integral_constantIbLb0EES19_IbLb1EEEEDaS15_S16_EUlS15_E_NS1_11comp_targetILNS1_3genE5ELNS1_11target_archE942ELNS1_3gpuE9ELNS1_3repE0EEENS1_30default_config_static_selectorELNS0_4arch9wavefront6targetE1EEEvT1_.uses_flat_scratch, 0
	.set _ZN7rocprim17ROCPRIM_400000_NS6detail17trampoline_kernelINS0_14default_configENS1_25partition_config_selectorILNS1_17partition_subalgoE8EtNS0_10empty_typeEbEEZZNS1_14partition_implILS5_8ELb0ES3_jN6thrust23THRUST_200600_302600_NS6detail15normal_iteratorINSA_10device_ptrItEEEEPS6_PKS6_NS0_5tupleIJSF_S6_EEENSJ_IJSG_SG_EEENS0_18inequality_wrapperINSA_8equal_toItEEEEPmJS6_EEE10hipError_tPvRmT3_T4_T5_T6_T7_T9_mT8_P12ihipStream_tbDpT10_ENKUlT_T0_E_clISt17integral_constantIbLb0EES19_IbLb1EEEEDaS15_S16_EUlS15_E_NS1_11comp_targetILNS1_3genE5ELNS1_11target_archE942ELNS1_3gpuE9ELNS1_3repE0EEENS1_30default_config_static_selectorELNS0_4arch9wavefront6targetE1EEEvT1_.has_dyn_sized_stack, 0
	.set _ZN7rocprim17ROCPRIM_400000_NS6detail17trampoline_kernelINS0_14default_configENS1_25partition_config_selectorILNS1_17partition_subalgoE8EtNS0_10empty_typeEbEEZZNS1_14partition_implILS5_8ELb0ES3_jN6thrust23THRUST_200600_302600_NS6detail15normal_iteratorINSA_10device_ptrItEEEEPS6_PKS6_NS0_5tupleIJSF_S6_EEENSJ_IJSG_SG_EEENS0_18inequality_wrapperINSA_8equal_toItEEEEPmJS6_EEE10hipError_tPvRmT3_T4_T5_T6_T7_T9_mT8_P12ihipStream_tbDpT10_ENKUlT_T0_E_clISt17integral_constantIbLb0EES19_IbLb1EEEEDaS15_S16_EUlS15_E_NS1_11comp_targetILNS1_3genE5ELNS1_11target_archE942ELNS1_3gpuE9ELNS1_3repE0EEENS1_30default_config_static_selectorELNS0_4arch9wavefront6targetE1EEEvT1_.has_recursion, 0
	.set _ZN7rocprim17ROCPRIM_400000_NS6detail17trampoline_kernelINS0_14default_configENS1_25partition_config_selectorILNS1_17partition_subalgoE8EtNS0_10empty_typeEbEEZZNS1_14partition_implILS5_8ELb0ES3_jN6thrust23THRUST_200600_302600_NS6detail15normal_iteratorINSA_10device_ptrItEEEEPS6_PKS6_NS0_5tupleIJSF_S6_EEENSJ_IJSG_SG_EEENS0_18inequality_wrapperINSA_8equal_toItEEEEPmJS6_EEE10hipError_tPvRmT3_T4_T5_T6_T7_T9_mT8_P12ihipStream_tbDpT10_ENKUlT_T0_E_clISt17integral_constantIbLb0EES19_IbLb1EEEEDaS15_S16_EUlS15_E_NS1_11comp_targetILNS1_3genE5ELNS1_11target_archE942ELNS1_3gpuE9ELNS1_3repE0EEENS1_30default_config_static_selectorELNS0_4arch9wavefront6targetE1EEEvT1_.has_indirect_call, 0
	.section	.AMDGPU.csdata,"",@progbits
; Kernel info:
; codeLenInByte = 0
; TotalNumSgprs: 4
; NumVgprs: 0
; ScratchSize: 0
; MemoryBound: 0
; FloatMode: 240
; IeeeMode: 1
; LDSByteSize: 0 bytes/workgroup (compile time only)
; SGPRBlocks: 0
; VGPRBlocks: 0
; NumSGPRsForWavesPerEU: 4
; NumVGPRsForWavesPerEU: 1
; Occupancy: 10
; WaveLimiterHint : 0
; COMPUTE_PGM_RSRC2:SCRATCH_EN: 0
; COMPUTE_PGM_RSRC2:USER_SGPR: 6
; COMPUTE_PGM_RSRC2:TRAP_HANDLER: 0
; COMPUTE_PGM_RSRC2:TGID_X_EN: 1
; COMPUTE_PGM_RSRC2:TGID_Y_EN: 0
; COMPUTE_PGM_RSRC2:TGID_Z_EN: 0
; COMPUTE_PGM_RSRC2:TIDIG_COMP_CNT: 0
	.section	.text._ZN7rocprim17ROCPRIM_400000_NS6detail17trampoline_kernelINS0_14default_configENS1_25partition_config_selectorILNS1_17partition_subalgoE8EtNS0_10empty_typeEbEEZZNS1_14partition_implILS5_8ELb0ES3_jN6thrust23THRUST_200600_302600_NS6detail15normal_iteratorINSA_10device_ptrItEEEEPS6_PKS6_NS0_5tupleIJSF_S6_EEENSJ_IJSG_SG_EEENS0_18inequality_wrapperINSA_8equal_toItEEEEPmJS6_EEE10hipError_tPvRmT3_T4_T5_T6_T7_T9_mT8_P12ihipStream_tbDpT10_ENKUlT_T0_E_clISt17integral_constantIbLb0EES19_IbLb1EEEEDaS15_S16_EUlS15_E_NS1_11comp_targetILNS1_3genE4ELNS1_11target_archE910ELNS1_3gpuE8ELNS1_3repE0EEENS1_30default_config_static_selectorELNS0_4arch9wavefront6targetE1EEEvT1_,"axG",@progbits,_ZN7rocprim17ROCPRIM_400000_NS6detail17trampoline_kernelINS0_14default_configENS1_25partition_config_selectorILNS1_17partition_subalgoE8EtNS0_10empty_typeEbEEZZNS1_14partition_implILS5_8ELb0ES3_jN6thrust23THRUST_200600_302600_NS6detail15normal_iteratorINSA_10device_ptrItEEEEPS6_PKS6_NS0_5tupleIJSF_S6_EEENSJ_IJSG_SG_EEENS0_18inequality_wrapperINSA_8equal_toItEEEEPmJS6_EEE10hipError_tPvRmT3_T4_T5_T6_T7_T9_mT8_P12ihipStream_tbDpT10_ENKUlT_T0_E_clISt17integral_constantIbLb0EES19_IbLb1EEEEDaS15_S16_EUlS15_E_NS1_11comp_targetILNS1_3genE4ELNS1_11target_archE910ELNS1_3gpuE8ELNS1_3repE0EEENS1_30default_config_static_selectorELNS0_4arch9wavefront6targetE1EEEvT1_,comdat
	.protected	_ZN7rocprim17ROCPRIM_400000_NS6detail17trampoline_kernelINS0_14default_configENS1_25partition_config_selectorILNS1_17partition_subalgoE8EtNS0_10empty_typeEbEEZZNS1_14partition_implILS5_8ELb0ES3_jN6thrust23THRUST_200600_302600_NS6detail15normal_iteratorINSA_10device_ptrItEEEEPS6_PKS6_NS0_5tupleIJSF_S6_EEENSJ_IJSG_SG_EEENS0_18inequality_wrapperINSA_8equal_toItEEEEPmJS6_EEE10hipError_tPvRmT3_T4_T5_T6_T7_T9_mT8_P12ihipStream_tbDpT10_ENKUlT_T0_E_clISt17integral_constantIbLb0EES19_IbLb1EEEEDaS15_S16_EUlS15_E_NS1_11comp_targetILNS1_3genE4ELNS1_11target_archE910ELNS1_3gpuE8ELNS1_3repE0EEENS1_30default_config_static_selectorELNS0_4arch9wavefront6targetE1EEEvT1_ ; -- Begin function _ZN7rocprim17ROCPRIM_400000_NS6detail17trampoline_kernelINS0_14default_configENS1_25partition_config_selectorILNS1_17partition_subalgoE8EtNS0_10empty_typeEbEEZZNS1_14partition_implILS5_8ELb0ES3_jN6thrust23THRUST_200600_302600_NS6detail15normal_iteratorINSA_10device_ptrItEEEEPS6_PKS6_NS0_5tupleIJSF_S6_EEENSJ_IJSG_SG_EEENS0_18inequality_wrapperINSA_8equal_toItEEEEPmJS6_EEE10hipError_tPvRmT3_T4_T5_T6_T7_T9_mT8_P12ihipStream_tbDpT10_ENKUlT_T0_E_clISt17integral_constantIbLb0EES19_IbLb1EEEEDaS15_S16_EUlS15_E_NS1_11comp_targetILNS1_3genE4ELNS1_11target_archE910ELNS1_3gpuE8ELNS1_3repE0EEENS1_30default_config_static_selectorELNS0_4arch9wavefront6targetE1EEEvT1_
	.globl	_ZN7rocprim17ROCPRIM_400000_NS6detail17trampoline_kernelINS0_14default_configENS1_25partition_config_selectorILNS1_17partition_subalgoE8EtNS0_10empty_typeEbEEZZNS1_14partition_implILS5_8ELb0ES3_jN6thrust23THRUST_200600_302600_NS6detail15normal_iteratorINSA_10device_ptrItEEEEPS6_PKS6_NS0_5tupleIJSF_S6_EEENSJ_IJSG_SG_EEENS0_18inequality_wrapperINSA_8equal_toItEEEEPmJS6_EEE10hipError_tPvRmT3_T4_T5_T6_T7_T9_mT8_P12ihipStream_tbDpT10_ENKUlT_T0_E_clISt17integral_constantIbLb0EES19_IbLb1EEEEDaS15_S16_EUlS15_E_NS1_11comp_targetILNS1_3genE4ELNS1_11target_archE910ELNS1_3gpuE8ELNS1_3repE0EEENS1_30default_config_static_selectorELNS0_4arch9wavefront6targetE1EEEvT1_
	.p2align	8
	.type	_ZN7rocprim17ROCPRIM_400000_NS6detail17trampoline_kernelINS0_14default_configENS1_25partition_config_selectorILNS1_17partition_subalgoE8EtNS0_10empty_typeEbEEZZNS1_14partition_implILS5_8ELb0ES3_jN6thrust23THRUST_200600_302600_NS6detail15normal_iteratorINSA_10device_ptrItEEEEPS6_PKS6_NS0_5tupleIJSF_S6_EEENSJ_IJSG_SG_EEENS0_18inequality_wrapperINSA_8equal_toItEEEEPmJS6_EEE10hipError_tPvRmT3_T4_T5_T6_T7_T9_mT8_P12ihipStream_tbDpT10_ENKUlT_T0_E_clISt17integral_constantIbLb0EES19_IbLb1EEEEDaS15_S16_EUlS15_E_NS1_11comp_targetILNS1_3genE4ELNS1_11target_archE910ELNS1_3gpuE8ELNS1_3repE0EEENS1_30default_config_static_selectorELNS0_4arch9wavefront6targetE1EEEvT1_,@function
_ZN7rocprim17ROCPRIM_400000_NS6detail17trampoline_kernelINS0_14default_configENS1_25partition_config_selectorILNS1_17partition_subalgoE8EtNS0_10empty_typeEbEEZZNS1_14partition_implILS5_8ELb0ES3_jN6thrust23THRUST_200600_302600_NS6detail15normal_iteratorINSA_10device_ptrItEEEEPS6_PKS6_NS0_5tupleIJSF_S6_EEENSJ_IJSG_SG_EEENS0_18inequality_wrapperINSA_8equal_toItEEEEPmJS6_EEE10hipError_tPvRmT3_T4_T5_T6_T7_T9_mT8_P12ihipStream_tbDpT10_ENKUlT_T0_E_clISt17integral_constantIbLb0EES19_IbLb1EEEEDaS15_S16_EUlS15_E_NS1_11comp_targetILNS1_3genE4ELNS1_11target_archE910ELNS1_3gpuE8ELNS1_3repE0EEENS1_30default_config_static_selectorELNS0_4arch9wavefront6targetE1EEEvT1_: ; @_ZN7rocprim17ROCPRIM_400000_NS6detail17trampoline_kernelINS0_14default_configENS1_25partition_config_selectorILNS1_17partition_subalgoE8EtNS0_10empty_typeEbEEZZNS1_14partition_implILS5_8ELb0ES3_jN6thrust23THRUST_200600_302600_NS6detail15normal_iteratorINSA_10device_ptrItEEEEPS6_PKS6_NS0_5tupleIJSF_S6_EEENSJ_IJSG_SG_EEENS0_18inequality_wrapperINSA_8equal_toItEEEEPmJS6_EEE10hipError_tPvRmT3_T4_T5_T6_T7_T9_mT8_P12ihipStream_tbDpT10_ENKUlT_T0_E_clISt17integral_constantIbLb0EES19_IbLb1EEEEDaS15_S16_EUlS15_E_NS1_11comp_targetILNS1_3genE4ELNS1_11target_archE910ELNS1_3gpuE8ELNS1_3repE0EEENS1_30default_config_static_selectorELNS0_4arch9wavefront6targetE1EEEvT1_
; %bb.0:
	.section	.rodata,"a",@progbits
	.p2align	6, 0x0
	.amdhsa_kernel _ZN7rocprim17ROCPRIM_400000_NS6detail17trampoline_kernelINS0_14default_configENS1_25partition_config_selectorILNS1_17partition_subalgoE8EtNS0_10empty_typeEbEEZZNS1_14partition_implILS5_8ELb0ES3_jN6thrust23THRUST_200600_302600_NS6detail15normal_iteratorINSA_10device_ptrItEEEEPS6_PKS6_NS0_5tupleIJSF_S6_EEENSJ_IJSG_SG_EEENS0_18inequality_wrapperINSA_8equal_toItEEEEPmJS6_EEE10hipError_tPvRmT3_T4_T5_T6_T7_T9_mT8_P12ihipStream_tbDpT10_ENKUlT_T0_E_clISt17integral_constantIbLb0EES19_IbLb1EEEEDaS15_S16_EUlS15_E_NS1_11comp_targetILNS1_3genE4ELNS1_11target_archE910ELNS1_3gpuE8ELNS1_3repE0EEENS1_30default_config_static_selectorELNS0_4arch9wavefront6targetE1EEEvT1_
		.amdhsa_group_segment_fixed_size 0
		.amdhsa_private_segment_fixed_size 0
		.amdhsa_kernarg_size 128
		.amdhsa_user_sgpr_count 6
		.amdhsa_user_sgpr_private_segment_buffer 1
		.amdhsa_user_sgpr_dispatch_ptr 0
		.amdhsa_user_sgpr_queue_ptr 0
		.amdhsa_user_sgpr_kernarg_segment_ptr 1
		.amdhsa_user_sgpr_dispatch_id 0
		.amdhsa_user_sgpr_flat_scratch_init 0
		.amdhsa_user_sgpr_private_segment_size 0
		.amdhsa_uses_dynamic_stack 0
		.amdhsa_system_sgpr_private_segment_wavefront_offset 0
		.amdhsa_system_sgpr_workgroup_id_x 1
		.amdhsa_system_sgpr_workgroup_id_y 0
		.amdhsa_system_sgpr_workgroup_id_z 0
		.amdhsa_system_sgpr_workgroup_info 0
		.amdhsa_system_vgpr_workitem_id 0
		.amdhsa_next_free_vgpr 1
		.amdhsa_next_free_sgpr 0
		.amdhsa_reserve_vcc 0
		.amdhsa_reserve_flat_scratch 0
		.amdhsa_float_round_mode_32 0
		.amdhsa_float_round_mode_16_64 0
		.amdhsa_float_denorm_mode_32 3
		.amdhsa_float_denorm_mode_16_64 3
		.amdhsa_dx10_clamp 1
		.amdhsa_ieee_mode 1
		.amdhsa_fp16_overflow 0
		.amdhsa_exception_fp_ieee_invalid_op 0
		.amdhsa_exception_fp_denorm_src 0
		.amdhsa_exception_fp_ieee_div_zero 0
		.amdhsa_exception_fp_ieee_overflow 0
		.amdhsa_exception_fp_ieee_underflow 0
		.amdhsa_exception_fp_ieee_inexact 0
		.amdhsa_exception_int_div_zero 0
	.end_amdhsa_kernel
	.section	.text._ZN7rocprim17ROCPRIM_400000_NS6detail17trampoline_kernelINS0_14default_configENS1_25partition_config_selectorILNS1_17partition_subalgoE8EtNS0_10empty_typeEbEEZZNS1_14partition_implILS5_8ELb0ES3_jN6thrust23THRUST_200600_302600_NS6detail15normal_iteratorINSA_10device_ptrItEEEEPS6_PKS6_NS0_5tupleIJSF_S6_EEENSJ_IJSG_SG_EEENS0_18inequality_wrapperINSA_8equal_toItEEEEPmJS6_EEE10hipError_tPvRmT3_T4_T5_T6_T7_T9_mT8_P12ihipStream_tbDpT10_ENKUlT_T0_E_clISt17integral_constantIbLb0EES19_IbLb1EEEEDaS15_S16_EUlS15_E_NS1_11comp_targetILNS1_3genE4ELNS1_11target_archE910ELNS1_3gpuE8ELNS1_3repE0EEENS1_30default_config_static_selectorELNS0_4arch9wavefront6targetE1EEEvT1_,"axG",@progbits,_ZN7rocprim17ROCPRIM_400000_NS6detail17trampoline_kernelINS0_14default_configENS1_25partition_config_selectorILNS1_17partition_subalgoE8EtNS0_10empty_typeEbEEZZNS1_14partition_implILS5_8ELb0ES3_jN6thrust23THRUST_200600_302600_NS6detail15normal_iteratorINSA_10device_ptrItEEEEPS6_PKS6_NS0_5tupleIJSF_S6_EEENSJ_IJSG_SG_EEENS0_18inequality_wrapperINSA_8equal_toItEEEEPmJS6_EEE10hipError_tPvRmT3_T4_T5_T6_T7_T9_mT8_P12ihipStream_tbDpT10_ENKUlT_T0_E_clISt17integral_constantIbLb0EES19_IbLb1EEEEDaS15_S16_EUlS15_E_NS1_11comp_targetILNS1_3genE4ELNS1_11target_archE910ELNS1_3gpuE8ELNS1_3repE0EEENS1_30default_config_static_selectorELNS0_4arch9wavefront6targetE1EEEvT1_,comdat
.Lfunc_end301:
	.size	_ZN7rocprim17ROCPRIM_400000_NS6detail17trampoline_kernelINS0_14default_configENS1_25partition_config_selectorILNS1_17partition_subalgoE8EtNS0_10empty_typeEbEEZZNS1_14partition_implILS5_8ELb0ES3_jN6thrust23THRUST_200600_302600_NS6detail15normal_iteratorINSA_10device_ptrItEEEEPS6_PKS6_NS0_5tupleIJSF_S6_EEENSJ_IJSG_SG_EEENS0_18inequality_wrapperINSA_8equal_toItEEEEPmJS6_EEE10hipError_tPvRmT3_T4_T5_T6_T7_T9_mT8_P12ihipStream_tbDpT10_ENKUlT_T0_E_clISt17integral_constantIbLb0EES19_IbLb1EEEEDaS15_S16_EUlS15_E_NS1_11comp_targetILNS1_3genE4ELNS1_11target_archE910ELNS1_3gpuE8ELNS1_3repE0EEENS1_30default_config_static_selectorELNS0_4arch9wavefront6targetE1EEEvT1_, .Lfunc_end301-_ZN7rocprim17ROCPRIM_400000_NS6detail17trampoline_kernelINS0_14default_configENS1_25partition_config_selectorILNS1_17partition_subalgoE8EtNS0_10empty_typeEbEEZZNS1_14partition_implILS5_8ELb0ES3_jN6thrust23THRUST_200600_302600_NS6detail15normal_iteratorINSA_10device_ptrItEEEEPS6_PKS6_NS0_5tupleIJSF_S6_EEENSJ_IJSG_SG_EEENS0_18inequality_wrapperINSA_8equal_toItEEEEPmJS6_EEE10hipError_tPvRmT3_T4_T5_T6_T7_T9_mT8_P12ihipStream_tbDpT10_ENKUlT_T0_E_clISt17integral_constantIbLb0EES19_IbLb1EEEEDaS15_S16_EUlS15_E_NS1_11comp_targetILNS1_3genE4ELNS1_11target_archE910ELNS1_3gpuE8ELNS1_3repE0EEENS1_30default_config_static_selectorELNS0_4arch9wavefront6targetE1EEEvT1_
                                        ; -- End function
	.set _ZN7rocprim17ROCPRIM_400000_NS6detail17trampoline_kernelINS0_14default_configENS1_25partition_config_selectorILNS1_17partition_subalgoE8EtNS0_10empty_typeEbEEZZNS1_14partition_implILS5_8ELb0ES3_jN6thrust23THRUST_200600_302600_NS6detail15normal_iteratorINSA_10device_ptrItEEEEPS6_PKS6_NS0_5tupleIJSF_S6_EEENSJ_IJSG_SG_EEENS0_18inequality_wrapperINSA_8equal_toItEEEEPmJS6_EEE10hipError_tPvRmT3_T4_T5_T6_T7_T9_mT8_P12ihipStream_tbDpT10_ENKUlT_T0_E_clISt17integral_constantIbLb0EES19_IbLb1EEEEDaS15_S16_EUlS15_E_NS1_11comp_targetILNS1_3genE4ELNS1_11target_archE910ELNS1_3gpuE8ELNS1_3repE0EEENS1_30default_config_static_selectorELNS0_4arch9wavefront6targetE1EEEvT1_.num_vgpr, 0
	.set _ZN7rocprim17ROCPRIM_400000_NS6detail17trampoline_kernelINS0_14default_configENS1_25partition_config_selectorILNS1_17partition_subalgoE8EtNS0_10empty_typeEbEEZZNS1_14partition_implILS5_8ELb0ES3_jN6thrust23THRUST_200600_302600_NS6detail15normal_iteratorINSA_10device_ptrItEEEEPS6_PKS6_NS0_5tupleIJSF_S6_EEENSJ_IJSG_SG_EEENS0_18inequality_wrapperINSA_8equal_toItEEEEPmJS6_EEE10hipError_tPvRmT3_T4_T5_T6_T7_T9_mT8_P12ihipStream_tbDpT10_ENKUlT_T0_E_clISt17integral_constantIbLb0EES19_IbLb1EEEEDaS15_S16_EUlS15_E_NS1_11comp_targetILNS1_3genE4ELNS1_11target_archE910ELNS1_3gpuE8ELNS1_3repE0EEENS1_30default_config_static_selectorELNS0_4arch9wavefront6targetE1EEEvT1_.num_agpr, 0
	.set _ZN7rocprim17ROCPRIM_400000_NS6detail17trampoline_kernelINS0_14default_configENS1_25partition_config_selectorILNS1_17partition_subalgoE8EtNS0_10empty_typeEbEEZZNS1_14partition_implILS5_8ELb0ES3_jN6thrust23THRUST_200600_302600_NS6detail15normal_iteratorINSA_10device_ptrItEEEEPS6_PKS6_NS0_5tupleIJSF_S6_EEENSJ_IJSG_SG_EEENS0_18inequality_wrapperINSA_8equal_toItEEEEPmJS6_EEE10hipError_tPvRmT3_T4_T5_T6_T7_T9_mT8_P12ihipStream_tbDpT10_ENKUlT_T0_E_clISt17integral_constantIbLb0EES19_IbLb1EEEEDaS15_S16_EUlS15_E_NS1_11comp_targetILNS1_3genE4ELNS1_11target_archE910ELNS1_3gpuE8ELNS1_3repE0EEENS1_30default_config_static_selectorELNS0_4arch9wavefront6targetE1EEEvT1_.numbered_sgpr, 0
	.set _ZN7rocprim17ROCPRIM_400000_NS6detail17trampoline_kernelINS0_14default_configENS1_25partition_config_selectorILNS1_17partition_subalgoE8EtNS0_10empty_typeEbEEZZNS1_14partition_implILS5_8ELb0ES3_jN6thrust23THRUST_200600_302600_NS6detail15normal_iteratorINSA_10device_ptrItEEEEPS6_PKS6_NS0_5tupleIJSF_S6_EEENSJ_IJSG_SG_EEENS0_18inequality_wrapperINSA_8equal_toItEEEEPmJS6_EEE10hipError_tPvRmT3_T4_T5_T6_T7_T9_mT8_P12ihipStream_tbDpT10_ENKUlT_T0_E_clISt17integral_constantIbLb0EES19_IbLb1EEEEDaS15_S16_EUlS15_E_NS1_11comp_targetILNS1_3genE4ELNS1_11target_archE910ELNS1_3gpuE8ELNS1_3repE0EEENS1_30default_config_static_selectorELNS0_4arch9wavefront6targetE1EEEvT1_.num_named_barrier, 0
	.set _ZN7rocprim17ROCPRIM_400000_NS6detail17trampoline_kernelINS0_14default_configENS1_25partition_config_selectorILNS1_17partition_subalgoE8EtNS0_10empty_typeEbEEZZNS1_14partition_implILS5_8ELb0ES3_jN6thrust23THRUST_200600_302600_NS6detail15normal_iteratorINSA_10device_ptrItEEEEPS6_PKS6_NS0_5tupleIJSF_S6_EEENSJ_IJSG_SG_EEENS0_18inequality_wrapperINSA_8equal_toItEEEEPmJS6_EEE10hipError_tPvRmT3_T4_T5_T6_T7_T9_mT8_P12ihipStream_tbDpT10_ENKUlT_T0_E_clISt17integral_constantIbLb0EES19_IbLb1EEEEDaS15_S16_EUlS15_E_NS1_11comp_targetILNS1_3genE4ELNS1_11target_archE910ELNS1_3gpuE8ELNS1_3repE0EEENS1_30default_config_static_selectorELNS0_4arch9wavefront6targetE1EEEvT1_.private_seg_size, 0
	.set _ZN7rocprim17ROCPRIM_400000_NS6detail17trampoline_kernelINS0_14default_configENS1_25partition_config_selectorILNS1_17partition_subalgoE8EtNS0_10empty_typeEbEEZZNS1_14partition_implILS5_8ELb0ES3_jN6thrust23THRUST_200600_302600_NS6detail15normal_iteratorINSA_10device_ptrItEEEEPS6_PKS6_NS0_5tupleIJSF_S6_EEENSJ_IJSG_SG_EEENS0_18inequality_wrapperINSA_8equal_toItEEEEPmJS6_EEE10hipError_tPvRmT3_T4_T5_T6_T7_T9_mT8_P12ihipStream_tbDpT10_ENKUlT_T0_E_clISt17integral_constantIbLb0EES19_IbLb1EEEEDaS15_S16_EUlS15_E_NS1_11comp_targetILNS1_3genE4ELNS1_11target_archE910ELNS1_3gpuE8ELNS1_3repE0EEENS1_30default_config_static_selectorELNS0_4arch9wavefront6targetE1EEEvT1_.uses_vcc, 0
	.set _ZN7rocprim17ROCPRIM_400000_NS6detail17trampoline_kernelINS0_14default_configENS1_25partition_config_selectorILNS1_17partition_subalgoE8EtNS0_10empty_typeEbEEZZNS1_14partition_implILS5_8ELb0ES3_jN6thrust23THRUST_200600_302600_NS6detail15normal_iteratorINSA_10device_ptrItEEEEPS6_PKS6_NS0_5tupleIJSF_S6_EEENSJ_IJSG_SG_EEENS0_18inequality_wrapperINSA_8equal_toItEEEEPmJS6_EEE10hipError_tPvRmT3_T4_T5_T6_T7_T9_mT8_P12ihipStream_tbDpT10_ENKUlT_T0_E_clISt17integral_constantIbLb0EES19_IbLb1EEEEDaS15_S16_EUlS15_E_NS1_11comp_targetILNS1_3genE4ELNS1_11target_archE910ELNS1_3gpuE8ELNS1_3repE0EEENS1_30default_config_static_selectorELNS0_4arch9wavefront6targetE1EEEvT1_.uses_flat_scratch, 0
	.set _ZN7rocprim17ROCPRIM_400000_NS6detail17trampoline_kernelINS0_14default_configENS1_25partition_config_selectorILNS1_17partition_subalgoE8EtNS0_10empty_typeEbEEZZNS1_14partition_implILS5_8ELb0ES3_jN6thrust23THRUST_200600_302600_NS6detail15normal_iteratorINSA_10device_ptrItEEEEPS6_PKS6_NS0_5tupleIJSF_S6_EEENSJ_IJSG_SG_EEENS0_18inequality_wrapperINSA_8equal_toItEEEEPmJS6_EEE10hipError_tPvRmT3_T4_T5_T6_T7_T9_mT8_P12ihipStream_tbDpT10_ENKUlT_T0_E_clISt17integral_constantIbLb0EES19_IbLb1EEEEDaS15_S16_EUlS15_E_NS1_11comp_targetILNS1_3genE4ELNS1_11target_archE910ELNS1_3gpuE8ELNS1_3repE0EEENS1_30default_config_static_selectorELNS0_4arch9wavefront6targetE1EEEvT1_.has_dyn_sized_stack, 0
	.set _ZN7rocprim17ROCPRIM_400000_NS6detail17trampoline_kernelINS0_14default_configENS1_25partition_config_selectorILNS1_17partition_subalgoE8EtNS0_10empty_typeEbEEZZNS1_14partition_implILS5_8ELb0ES3_jN6thrust23THRUST_200600_302600_NS6detail15normal_iteratorINSA_10device_ptrItEEEEPS6_PKS6_NS0_5tupleIJSF_S6_EEENSJ_IJSG_SG_EEENS0_18inequality_wrapperINSA_8equal_toItEEEEPmJS6_EEE10hipError_tPvRmT3_T4_T5_T6_T7_T9_mT8_P12ihipStream_tbDpT10_ENKUlT_T0_E_clISt17integral_constantIbLb0EES19_IbLb1EEEEDaS15_S16_EUlS15_E_NS1_11comp_targetILNS1_3genE4ELNS1_11target_archE910ELNS1_3gpuE8ELNS1_3repE0EEENS1_30default_config_static_selectorELNS0_4arch9wavefront6targetE1EEEvT1_.has_recursion, 0
	.set _ZN7rocprim17ROCPRIM_400000_NS6detail17trampoline_kernelINS0_14default_configENS1_25partition_config_selectorILNS1_17partition_subalgoE8EtNS0_10empty_typeEbEEZZNS1_14partition_implILS5_8ELb0ES3_jN6thrust23THRUST_200600_302600_NS6detail15normal_iteratorINSA_10device_ptrItEEEEPS6_PKS6_NS0_5tupleIJSF_S6_EEENSJ_IJSG_SG_EEENS0_18inequality_wrapperINSA_8equal_toItEEEEPmJS6_EEE10hipError_tPvRmT3_T4_T5_T6_T7_T9_mT8_P12ihipStream_tbDpT10_ENKUlT_T0_E_clISt17integral_constantIbLb0EES19_IbLb1EEEEDaS15_S16_EUlS15_E_NS1_11comp_targetILNS1_3genE4ELNS1_11target_archE910ELNS1_3gpuE8ELNS1_3repE0EEENS1_30default_config_static_selectorELNS0_4arch9wavefront6targetE1EEEvT1_.has_indirect_call, 0
	.section	.AMDGPU.csdata,"",@progbits
; Kernel info:
; codeLenInByte = 0
; TotalNumSgprs: 4
; NumVgprs: 0
; ScratchSize: 0
; MemoryBound: 0
; FloatMode: 240
; IeeeMode: 1
; LDSByteSize: 0 bytes/workgroup (compile time only)
; SGPRBlocks: 0
; VGPRBlocks: 0
; NumSGPRsForWavesPerEU: 4
; NumVGPRsForWavesPerEU: 1
; Occupancy: 10
; WaveLimiterHint : 0
; COMPUTE_PGM_RSRC2:SCRATCH_EN: 0
; COMPUTE_PGM_RSRC2:USER_SGPR: 6
; COMPUTE_PGM_RSRC2:TRAP_HANDLER: 0
; COMPUTE_PGM_RSRC2:TGID_X_EN: 1
; COMPUTE_PGM_RSRC2:TGID_Y_EN: 0
; COMPUTE_PGM_RSRC2:TGID_Z_EN: 0
; COMPUTE_PGM_RSRC2:TIDIG_COMP_CNT: 0
	.section	.text._ZN7rocprim17ROCPRIM_400000_NS6detail17trampoline_kernelINS0_14default_configENS1_25partition_config_selectorILNS1_17partition_subalgoE8EtNS0_10empty_typeEbEEZZNS1_14partition_implILS5_8ELb0ES3_jN6thrust23THRUST_200600_302600_NS6detail15normal_iteratorINSA_10device_ptrItEEEEPS6_PKS6_NS0_5tupleIJSF_S6_EEENSJ_IJSG_SG_EEENS0_18inequality_wrapperINSA_8equal_toItEEEEPmJS6_EEE10hipError_tPvRmT3_T4_T5_T6_T7_T9_mT8_P12ihipStream_tbDpT10_ENKUlT_T0_E_clISt17integral_constantIbLb0EES19_IbLb1EEEEDaS15_S16_EUlS15_E_NS1_11comp_targetILNS1_3genE3ELNS1_11target_archE908ELNS1_3gpuE7ELNS1_3repE0EEENS1_30default_config_static_selectorELNS0_4arch9wavefront6targetE1EEEvT1_,"axG",@progbits,_ZN7rocprim17ROCPRIM_400000_NS6detail17trampoline_kernelINS0_14default_configENS1_25partition_config_selectorILNS1_17partition_subalgoE8EtNS0_10empty_typeEbEEZZNS1_14partition_implILS5_8ELb0ES3_jN6thrust23THRUST_200600_302600_NS6detail15normal_iteratorINSA_10device_ptrItEEEEPS6_PKS6_NS0_5tupleIJSF_S6_EEENSJ_IJSG_SG_EEENS0_18inequality_wrapperINSA_8equal_toItEEEEPmJS6_EEE10hipError_tPvRmT3_T4_T5_T6_T7_T9_mT8_P12ihipStream_tbDpT10_ENKUlT_T0_E_clISt17integral_constantIbLb0EES19_IbLb1EEEEDaS15_S16_EUlS15_E_NS1_11comp_targetILNS1_3genE3ELNS1_11target_archE908ELNS1_3gpuE7ELNS1_3repE0EEENS1_30default_config_static_selectorELNS0_4arch9wavefront6targetE1EEEvT1_,comdat
	.protected	_ZN7rocprim17ROCPRIM_400000_NS6detail17trampoline_kernelINS0_14default_configENS1_25partition_config_selectorILNS1_17partition_subalgoE8EtNS0_10empty_typeEbEEZZNS1_14partition_implILS5_8ELb0ES3_jN6thrust23THRUST_200600_302600_NS6detail15normal_iteratorINSA_10device_ptrItEEEEPS6_PKS6_NS0_5tupleIJSF_S6_EEENSJ_IJSG_SG_EEENS0_18inequality_wrapperINSA_8equal_toItEEEEPmJS6_EEE10hipError_tPvRmT3_T4_T5_T6_T7_T9_mT8_P12ihipStream_tbDpT10_ENKUlT_T0_E_clISt17integral_constantIbLb0EES19_IbLb1EEEEDaS15_S16_EUlS15_E_NS1_11comp_targetILNS1_3genE3ELNS1_11target_archE908ELNS1_3gpuE7ELNS1_3repE0EEENS1_30default_config_static_selectorELNS0_4arch9wavefront6targetE1EEEvT1_ ; -- Begin function _ZN7rocprim17ROCPRIM_400000_NS6detail17trampoline_kernelINS0_14default_configENS1_25partition_config_selectorILNS1_17partition_subalgoE8EtNS0_10empty_typeEbEEZZNS1_14partition_implILS5_8ELb0ES3_jN6thrust23THRUST_200600_302600_NS6detail15normal_iteratorINSA_10device_ptrItEEEEPS6_PKS6_NS0_5tupleIJSF_S6_EEENSJ_IJSG_SG_EEENS0_18inequality_wrapperINSA_8equal_toItEEEEPmJS6_EEE10hipError_tPvRmT3_T4_T5_T6_T7_T9_mT8_P12ihipStream_tbDpT10_ENKUlT_T0_E_clISt17integral_constantIbLb0EES19_IbLb1EEEEDaS15_S16_EUlS15_E_NS1_11comp_targetILNS1_3genE3ELNS1_11target_archE908ELNS1_3gpuE7ELNS1_3repE0EEENS1_30default_config_static_selectorELNS0_4arch9wavefront6targetE1EEEvT1_
	.globl	_ZN7rocprim17ROCPRIM_400000_NS6detail17trampoline_kernelINS0_14default_configENS1_25partition_config_selectorILNS1_17partition_subalgoE8EtNS0_10empty_typeEbEEZZNS1_14partition_implILS5_8ELb0ES3_jN6thrust23THRUST_200600_302600_NS6detail15normal_iteratorINSA_10device_ptrItEEEEPS6_PKS6_NS0_5tupleIJSF_S6_EEENSJ_IJSG_SG_EEENS0_18inequality_wrapperINSA_8equal_toItEEEEPmJS6_EEE10hipError_tPvRmT3_T4_T5_T6_T7_T9_mT8_P12ihipStream_tbDpT10_ENKUlT_T0_E_clISt17integral_constantIbLb0EES19_IbLb1EEEEDaS15_S16_EUlS15_E_NS1_11comp_targetILNS1_3genE3ELNS1_11target_archE908ELNS1_3gpuE7ELNS1_3repE0EEENS1_30default_config_static_selectorELNS0_4arch9wavefront6targetE1EEEvT1_
	.p2align	8
	.type	_ZN7rocprim17ROCPRIM_400000_NS6detail17trampoline_kernelINS0_14default_configENS1_25partition_config_selectorILNS1_17partition_subalgoE8EtNS0_10empty_typeEbEEZZNS1_14partition_implILS5_8ELb0ES3_jN6thrust23THRUST_200600_302600_NS6detail15normal_iteratorINSA_10device_ptrItEEEEPS6_PKS6_NS0_5tupleIJSF_S6_EEENSJ_IJSG_SG_EEENS0_18inequality_wrapperINSA_8equal_toItEEEEPmJS6_EEE10hipError_tPvRmT3_T4_T5_T6_T7_T9_mT8_P12ihipStream_tbDpT10_ENKUlT_T0_E_clISt17integral_constantIbLb0EES19_IbLb1EEEEDaS15_S16_EUlS15_E_NS1_11comp_targetILNS1_3genE3ELNS1_11target_archE908ELNS1_3gpuE7ELNS1_3repE0EEENS1_30default_config_static_selectorELNS0_4arch9wavefront6targetE1EEEvT1_,@function
_ZN7rocprim17ROCPRIM_400000_NS6detail17trampoline_kernelINS0_14default_configENS1_25partition_config_selectorILNS1_17partition_subalgoE8EtNS0_10empty_typeEbEEZZNS1_14partition_implILS5_8ELb0ES3_jN6thrust23THRUST_200600_302600_NS6detail15normal_iteratorINSA_10device_ptrItEEEEPS6_PKS6_NS0_5tupleIJSF_S6_EEENSJ_IJSG_SG_EEENS0_18inequality_wrapperINSA_8equal_toItEEEEPmJS6_EEE10hipError_tPvRmT3_T4_T5_T6_T7_T9_mT8_P12ihipStream_tbDpT10_ENKUlT_T0_E_clISt17integral_constantIbLb0EES19_IbLb1EEEEDaS15_S16_EUlS15_E_NS1_11comp_targetILNS1_3genE3ELNS1_11target_archE908ELNS1_3gpuE7ELNS1_3repE0EEENS1_30default_config_static_selectorELNS0_4arch9wavefront6targetE1EEEvT1_: ; @_ZN7rocprim17ROCPRIM_400000_NS6detail17trampoline_kernelINS0_14default_configENS1_25partition_config_selectorILNS1_17partition_subalgoE8EtNS0_10empty_typeEbEEZZNS1_14partition_implILS5_8ELb0ES3_jN6thrust23THRUST_200600_302600_NS6detail15normal_iteratorINSA_10device_ptrItEEEEPS6_PKS6_NS0_5tupleIJSF_S6_EEENSJ_IJSG_SG_EEENS0_18inequality_wrapperINSA_8equal_toItEEEEPmJS6_EEE10hipError_tPvRmT3_T4_T5_T6_T7_T9_mT8_P12ihipStream_tbDpT10_ENKUlT_T0_E_clISt17integral_constantIbLb0EES19_IbLb1EEEEDaS15_S16_EUlS15_E_NS1_11comp_targetILNS1_3genE3ELNS1_11target_archE908ELNS1_3gpuE7ELNS1_3repE0EEENS1_30default_config_static_selectorELNS0_4arch9wavefront6targetE1EEEvT1_
; %bb.0:
	.section	.rodata,"a",@progbits
	.p2align	6, 0x0
	.amdhsa_kernel _ZN7rocprim17ROCPRIM_400000_NS6detail17trampoline_kernelINS0_14default_configENS1_25partition_config_selectorILNS1_17partition_subalgoE8EtNS0_10empty_typeEbEEZZNS1_14partition_implILS5_8ELb0ES3_jN6thrust23THRUST_200600_302600_NS6detail15normal_iteratorINSA_10device_ptrItEEEEPS6_PKS6_NS0_5tupleIJSF_S6_EEENSJ_IJSG_SG_EEENS0_18inequality_wrapperINSA_8equal_toItEEEEPmJS6_EEE10hipError_tPvRmT3_T4_T5_T6_T7_T9_mT8_P12ihipStream_tbDpT10_ENKUlT_T0_E_clISt17integral_constantIbLb0EES19_IbLb1EEEEDaS15_S16_EUlS15_E_NS1_11comp_targetILNS1_3genE3ELNS1_11target_archE908ELNS1_3gpuE7ELNS1_3repE0EEENS1_30default_config_static_selectorELNS0_4arch9wavefront6targetE1EEEvT1_
		.amdhsa_group_segment_fixed_size 0
		.amdhsa_private_segment_fixed_size 0
		.amdhsa_kernarg_size 128
		.amdhsa_user_sgpr_count 6
		.amdhsa_user_sgpr_private_segment_buffer 1
		.amdhsa_user_sgpr_dispatch_ptr 0
		.amdhsa_user_sgpr_queue_ptr 0
		.amdhsa_user_sgpr_kernarg_segment_ptr 1
		.amdhsa_user_sgpr_dispatch_id 0
		.amdhsa_user_sgpr_flat_scratch_init 0
		.amdhsa_user_sgpr_private_segment_size 0
		.amdhsa_uses_dynamic_stack 0
		.amdhsa_system_sgpr_private_segment_wavefront_offset 0
		.amdhsa_system_sgpr_workgroup_id_x 1
		.amdhsa_system_sgpr_workgroup_id_y 0
		.amdhsa_system_sgpr_workgroup_id_z 0
		.amdhsa_system_sgpr_workgroup_info 0
		.amdhsa_system_vgpr_workitem_id 0
		.amdhsa_next_free_vgpr 1
		.amdhsa_next_free_sgpr 0
		.amdhsa_reserve_vcc 0
		.amdhsa_reserve_flat_scratch 0
		.amdhsa_float_round_mode_32 0
		.amdhsa_float_round_mode_16_64 0
		.amdhsa_float_denorm_mode_32 3
		.amdhsa_float_denorm_mode_16_64 3
		.amdhsa_dx10_clamp 1
		.amdhsa_ieee_mode 1
		.amdhsa_fp16_overflow 0
		.amdhsa_exception_fp_ieee_invalid_op 0
		.amdhsa_exception_fp_denorm_src 0
		.amdhsa_exception_fp_ieee_div_zero 0
		.amdhsa_exception_fp_ieee_overflow 0
		.amdhsa_exception_fp_ieee_underflow 0
		.amdhsa_exception_fp_ieee_inexact 0
		.amdhsa_exception_int_div_zero 0
	.end_amdhsa_kernel
	.section	.text._ZN7rocprim17ROCPRIM_400000_NS6detail17trampoline_kernelINS0_14default_configENS1_25partition_config_selectorILNS1_17partition_subalgoE8EtNS0_10empty_typeEbEEZZNS1_14partition_implILS5_8ELb0ES3_jN6thrust23THRUST_200600_302600_NS6detail15normal_iteratorINSA_10device_ptrItEEEEPS6_PKS6_NS0_5tupleIJSF_S6_EEENSJ_IJSG_SG_EEENS0_18inequality_wrapperINSA_8equal_toItEEEEPmJS6_EEE10hipError_tPvRmT3_T4_T5_T6_T7_T9_mT8_P12ihipStream_tbDpT10_ENKUlT_T0_E_clISt17integral_constantIbLb0EES19_IbLb1EEEEDaS15_S16_EUlS15_E_NS1_11comp_targetILNS1_3genE3ELNS1_11target_archE908ELNS1_3gpuE7ELNS1_3repE0EEENS1_30default_config_static_selectorELNS0_4arch9wavefront6targetE1EEEvT1_,"axG",@progbits,_ZN7rocprim17ROCPRIM_400000_NS6detail17trampoline_kernelINS0_14default_configENS1_25partition_config_selectorILNS1_17partition_subalgoE8EtNS0_10empty_typeEbEEZZNS1_14partition_implILS5_8ELb0ES3_jN6thrust23THRUST_200600_302600_NS6detail15normal_iteratorINSA_10device_ptrItEEEEPS6_PKS6_NS0_5tupleIJSF_S6_EEENSJ_IJSG_SG_EEENS0_18inequality_wrapperINSA_8equal_toItEEEEPmJS6_EEE10hipError_tPvRmT3_T4_T5_T6_T7_T9_mT8_P12ihipStream_tbDpT10_ENKUlT_T0_E_clISt17integral_constantIbLb0EES19_IbLb1EEEEDaS15_S16_EUlS15_E_NS1_11comp_targetILNS1_3genE3ELNS1_11target_archE908ELNS1_3gpuE7ELNS1_3repE0EEENS1_30default_config_static_selectorELNS0_4arch9wavefront6targetE1EEEvT1_,comdat
.Lfunc_end302:
	.size	_ZN7rocprim17ROCPRIM_400000_NS6detail17trampoline_kernelINS0_14default_configENS1_25partition_config_selectorILNS1_17partition_subalgoE8EtNS0_10empty_typeEbEEZZNS1_14partition_implILS5_8ELb0ES3_jN6thrust23THRUST_200600_302600_NS6detail15normal_iteratorINSA_10device_ptrItEEEEPS6_PKS6_NS0_5tupleIJSF_S6_EEENSJ_IJSG_SG_EEENS0_18inequality_wrapperINSA_8equal_toItEEEEPmJS6_EEE10hipError_tPvRmT3_T4_T5_T6_T7_T9_mT8_P12ihipStream_tbDpT10_ENKUlT_T0_E_clISt17integral_constantIbLb0EES19_IbLb1EEEEDaS15_S16_EUlS15_E_NS1_11comp_targetILNS1_3genE3ELNS1_11target_archE908ELNS1_3gpuE7ELNS1_3repE0EEENS1_30default_config_static_selectorELNS0_4arch9wavefront6targetE1EEEvT1_, .Lfunc_end302-_ZN7rocprim17ROCPRIM_400000_NS6detail17trampoline_kernelINS0_14default_configENS1_25partition_config_selectorILNS1_17partition_subalgoE8EtNS0_10empty_typeEbEEZZNS1_14partition_implILS5_8ELb0ES3_jN6thrust23THRUST_200600_302600_NS6detail15normal_iteratorINSA_10device_ptrItEEEEPS6_PKS6_NS0_5tupleIJSF_S6_EEENSJ_IJSG_SG_EEENS0_18inequality_wrapperINSA_8equal_toItEEEEPmJS6_EEE10hipError_tPvRmT3_T4_T5_T6_T7_T9_mT8_P12ihipStream_tbDpT10_ENKUlT_T0_E_clISt17integral_constantIbLb0EES19_IbLb1EEEEDaS15_S16_EUlS15_E_NS1_11comp_targetILNS1_3genE3ELNS1_11target_archE908ELNS1_3gpuE7ELNS1_3repE0EEENS1_30default_config_static_selectorELNS0_4arch9wavefront6targetE1EEEvT1_
                                        ; -- End function
	.set _ZN7rocprim17ROCPRIM_400000_NS6detail17trampoline_kernelINS0_14default_configENS1_25partition_config_selectorILNS1_17partition_subalgoE8EtNS0_10empty_typeEbEEZZNS1_14partition_implILS5_8ELb0ES3_jN6thrust23THRUST_200600_302600_NS6detail15normal_iteratorINSA_10device_ptrItEEEEPS6_PKS6_NS0_5tupleIJSF_S6_EEENSJ_IJSG_SG_EEENS0_18inequality_wrapperINSA_8equal_toItEEEEPmJS6_EEE10hipError_tPvRmT3_T4_T5_T6_T7_T9_mT8_P12ihipStream_tbDpT10_ENKUlT_T0_E_clISt17integral_constantIbLb0EES19_IbLb1EEEEDaS15_S16_EUlS15_E_NS1_11comp_targetILNS1_3genE3ELNS1_11target_archE908ELNS1_3gpuE7ELNS1_3repE0EEENS1_30default_config_static_selectorELNS0_4arch9wavefront6targetE1EEEvT1_.num_vgpr, 0
	.set _ZN7rocprim17ROCPRIM_400000_NS6detail17trampoline_kernelINS0_14default_configENS1_25partition_config_selectorILNS1_17partition_subalgoE8EtNS0_10empty_typeEbEEZZNS1_14partition_implILS5_8ELb0ES3_jN6thrust23THRUST_200600_302600_NS6detail15normal_iteratorINSA_10device_ptrItEEEEPS6_PKS6_NS0_5tupleIJSF_S6_EEENSJ_IJSG_SG_EEENS0_18inequality_wrapperINSA_8equal_toItEEEEPmJS6_EEE10hipError_tPvRmT3_T4_T5_T6_T7_T9_mT8_P12ihipStream_tbDpT10_ENKUlT_T0_E_clISt17integral_constantIbLb0EES19_IbLb1EEEEDaS15_S16_EUlS15_E_NS1_11comp_targetILNS1_3genE3ELNS1_11target_archE908ELNS1_3gpuE7ELNS1_3repE0EEENS1_30default_config_static_selectorELNS0_4arch9wavefront6targetE1EEEvT1_.num_agpr, 0
	.set _ZN7rocprim17ROCPRIM_400000_NS6detail17trampoline_kernelINS0_14default_configENS1_25partition_config_selectorILNS1_17partition_subalgoE8EtNS0_10empty_typeEbEEZZNS1_14partition_implILS5_8ELb0ES3_jN6thrust23THRUST_200600_302600_NS6detail15normal_iteratorINSA_10device_ptrItEEEEPS6_PKS6_NS0_5tupleIJSF_S6_EEENSJ_IJSG_SG_EEENS0_18inequality_wrapperINSA_8equal_toItEEEEPmJS6_EEE10hipError_tPvRmT3_T4_T5_T6_T7_T9_mT8_P12ihipStream_tbDpT10_ENKUlT_T0_E_clISt17integral_constantIbLb0EES19_IbLb1EEEEDaS15_S16_EUlS15_E_NS1_11comp_targetILNS1_3genE3ELNS1_11target_archE908ELNS1_3gpuE7ELNS1_3repE0EEENS1_30default_config_static_selectorELNS0_4arch9wavefront6targetE1EEEvT1_.numbered_sgpr, 0
	.set _ZN7rocprim17ROCPRIM_400000_NS6detail17trampoline_kernelINS0_14default_configENS1_25partition_config_selectorILNS1_17partition_subalgoE8EtNS0_10empty_typeEbEEZZNS1_14partition_implILS5_8ELb0ES3_jN6thrust23THRUST_200600_302600_NS6detail15normal_iteratorINSA_10device_ptrItEEEEPS6_PKS6_NS0_5tupleIJSF_S6_EEENSJ_IJSG_SG_EEENS0_18inequality_wrapperINSA_8equal_toItEEEEPmJS6_EEE10hipError_tPvRmT3_T4_T5_T6_T7_T9_mT8_P12ihipStream_tbDpT10_ENKUlT_T0_E_clISt17integral_constantIbLb0EES19_IbLb1EEEEDaS15_S16_EUlS15_E_NS1_11comp_targetILNS1_3genE3ELNS1_11target_archE908ELNS1_3gpuE7ELNS1_3repE0EEENS1_30default_config_static_selectorELNS0_4arch9wavefront6targetE1EEEvT1_.num_named_barrier, 0
	.set _ZN7rocprim17ROCPRIM_400000_NS6detail17trampoline_kernelINS0_14default_configENS1_25partition_config_selectorILNS1_17partition_subalgoE8EtNS0_10empty_typeEbEEZZNS1_14partition_implILS5_8ELb0ES3_jN6thrust23THRUST_200600_302600_NS6detail15normal_iteratorINSA_10device_ptrItEEEEPS6_PKS6_NS0_5tupleIJSF_S6_EEENSJ_IJSG_SG_EEENS0_18inequality_wrapperINSA_8equal_toItEEEEPmJS6_EEE10hipError_tPvRmT3_T4_T5_T6_T7_T9_mT8_P12ihipStream_tbDpT10_ENKUlT_T0_E_clISt17integral_constantIbLb0EES19_IbLb1EEEEDaS15_S16_EUlS15_E_NS1_11comp_targetILNS1_3genE3ELNS1_11target_archE908ELNS1_3gpuE7ELNS1_3repE0EEENS1_30default_config_static_selectorELNS0_4arch9wavefront6targetE1EEEvT1_.private_seg_size, 0
	.set _ZN7rocprim17ROCPRIM_400000_NS6detail17trampoline_kernelINS0_14default_configENS1_25partition_config_selectorILNS1_17partition_subalgoE8EtNS0_10empty_typeEbEEZZNS1_14partition_implILS5_8ELb0ES3_jN6thrust23THRUST_200600_302600_NS6detail15normal_iteratorINSA_10device_ptrItEEEEPS6_PKS6_NS0_5tupleIJSF_S6_EEENSJ_IJSG_SG_EEENS0_18inequality_wrapperINSA_8equal_toItEEEEPmJS6_EEE10hipError_tPvRmT3_T4_T5_T6_T7_T9_mT8_P12ihipStream_tbDpT10_ENKUlT_T0_E_clISt17integral_constantIbLb0EES19_IbLb1EEEEDaS15_S16_EUlS15_E_NS1_11comp_targetILNS1_3genE3ELNS1_11target_archE908ELNS1_3gpuE7ELNS1_3repE0EEENS1_30default_config_static_selectorELNS0_4arch9wavefront6targetE1EEEvT1_.uses_vcc, 0
	.set _ZN7rocprim17ROCPRIM_400000_NS6detail17trampoline_kernelINS0_14default_configENS1_25partition_config_selectorILNS1_17partition_subalgoE8EtNS0_10empty_typeEbEEZZNS1_14partition_implILS5_8ELb0ES3_jN6thrust23THRUST_200600_302600_NS6detail15normal_iteratorINSA_10device_ptrItEEEEPS6_PKS6_NS0_5tupleIJSF_S6_EEENSJ_IJSG_SG_EEENS0_18inequality_wrapperINSA_8equal_toItEEEEPmJS6_EEE10hipError_tPvRmT3_T4_T5_T6_T7_T9_mT8_P12ihipStream_tbDpT10_ENKUlT_T0_E_clISt17integral_constantIbLb0EES19_IbLb1EEEEDaS15_S16_EUlS15_E_NS1_11comp_targetILNS1_3genE3ELNS1_11target_archE908ELNS1_3gpuE7ELNS1_3repE0EEENS1_30default_config_static_selectorELNS0_4arch9wavefront6targetE1EEEvT1_.uses_flat_scratch, 0
	.set _ZN7rocprim17ROCPRIM_400000_NS6detail17trampoline_kernelINS0_14default_configENS1_25partition_config_selectorILNS1_17partition_subalgoE8EtNS0_10empty_typeEbEEZZNS1_14partition_implILS5_8ELb0ES3_jN6thrust23THRUST_200600_302600_NS6detail15normal_iteratorINSA_10device_ptrItEEEEPS6_PKS6_NS0_5tupleIJSF_S6_EEENSJ_IJSG_SG_EEENS0_18inequality_wrapperINSA_8equal_toItEEEEPmJS6_EEE10hipError_tPvRmT3_T4_T5_T6_T7_T9_mT8_P12ihipStream_tbDpT10_ENKUlT_T0_E_clISt17integral_constantIbLb0EES19_IbLb1EEEEDaS15_S16_EUlS15_E_NS1_11comp_targetILNS1_3genE3ELNS1_11target_archE908ELNS1_3gpuE7ELNS1_3repE0EEENS1_30default_config_static_selectorELNS0_4arch9wavefront6targetE1EEEvT1_.has_dyn_sized_stack, 0
	.set _ZN7rocprim17ROCPRIM_400000_NS6detail17trampoline_kernelINS0_14default_configENS1_25partition_config_selectorILNS1_17partition_subalgoE8EtNS0_10empty_typeEbEEZZNS1_14partition_implILS5_8ELb0ES3_jN6thrust23THRUST_200600_302600_NS6detail15normal_iteratorINSA_10device_ptrItEEEEPS6_PKS6_NS0_5tupleIJSF_S6_EEENSJ_IJSG_SG_EEENS0_18inequality_wrapperINSA_8equal_toItEEEEPmJS6_EEE10hipError_tPvRmT3_T4_T5_T6_T7_T9_mT8_P12ihipStream_tbDpT10_ENKUlT_T0_E_clISt17integral_constantIbLb0EES19_IbLb1EEEEDaS15_S16_EUlS15_E_NS1_11comp_targetILNS1_3genE3ELNS1_11target_archE908ELNS1_3gpuE7ELNS1_3repE0EEENS1_30default_config_static_selectorELNS0_4arch9wavefront6targetE1EEEvT1_.has_recursion, 0
	.set _ZN7rocprim17ROCPRIM_400000_NS6detail17trampoline_kernelINS0_14default_configENS1_25partition_config_selectorILNS1_17partition_subalgoE8EtNS0_10empty_typeEbEEZZNS1_14partition_implILS5_8ELb0ES3_jN6thrust23THRUST_200600_302600_NS6detail15normal_iteratorINSA_10device_ptrItEEEEPS6_PKS6_NS0_5tupleIJSF_S6_EEENSJ_IJSG_SG_EEENS0_18inequality_wrapperINSA_8equal_toItEEEEPmJS6_EEE10hipError_tPvRmT3_T4_T5_T6_T7_T9_mT8_P12ihipStream_tbDpT10_ENKUlT_T0_E_clISt17integral_constantIbLb0EES19_IbLb1EEEEDaS15_S16_EUlS15_E_NS1_11comp_targetILNS1_3genE3ELNS1_11target_archE908ELNS1_3gpuE7ELNS1_3repE0EEENS1_30default_config_static_selectorELNS0_4arch9wavefront6targetE1EEEvT1_.has_indirect_call, 0
	.section	.AMDGPU.csdata,"",@progbits
; Kernel info:
; codeLenInByte = 0
; TotalNumSgprs: 4
; NumVgprs: 0
; ScratchSize: 0
; MemoryBound: 0
; FloatMode: 240
; IeeeMode: 1
; LDSByteSize: 0 bytes/workgroup (compile time only)
; SGPRBlocks: 0
; VGPRBlocks: 0
; NumSGPRsForWavesPerEU: 4
; NumVGPRsForWavesPerEU: 1
; Occupancy: 10
; WaveLimiterHint : 0
; COMPUTE_PGM_RSRC2:SCRATCH_EN: 0
; COMPUTE_PGM_RSRC2:USER_SGPR: 6
; COMPUTE_PGM_RSRC2:TRAP_HANDLER: 0
; COMPUTE_PGM_RSRC2:TGID_X_EN: 1
; COMPUTE_PGM_RSRC2:TGID_Y_EN: 0
; COMPUTE_PGM_RSRC2:TGID_Z_EN: 0
; COMPUTE_PGM_RSRC2:TIDIG_COMP_CNT: 0
	.section	.text._ZN7rocprim17ROCPRIM_400000_NS6detail17trampoline_kernelINS0_14default_configENS1_25partition_config_selectorILNS1_17partition_subalgoE8EtNS0_10empty_typeEbEEZZNS1_14partition_implILS5_8ELb0ES3_jN6thrust23THRUST_200600_302600_NS6detail15normal_iteratorINSA_10device_ptrItEEEEPS6_PKS6_NS0_5tupleIJSF_S6_EEENSJ_IJSG_SG_EEENS0_18inequality_wrapperINSA_8equal_toItEEEEPmJS6_EEE10hipError_tPvRmT3_T4_T5_T6_T7_T9_mT8_P12ihipStream_tbDpT10_ENKUlT_T0_E_clISt17integral_constantIbLb0EES19_IbLb1EEEEDaS15_S16_EUlS15_E_NS1_11comp_targetILNS1_3genE2ELNS1_11target_archE906ELNS1_3gpuE6ELNS1_3repE0EEENS1_30default_config_static_selectorELNS0_4arch9wavefront6targetE1EEEvT1_,"axG",@progbits,_ZN7rocprim17ROCPRIM_400000_NS6detail17trampoline_kernelINS0_14default_configENS1_25partition_config_selectorILNS1_17partition_subalgoE8EtNS0_10empty_typeEbEEZZNS1_14partition_implILS5_8ELb0ES3_jN6thrust23THRUST_200600_302600_NS6detail15normal_iteratorINSA_10device_ptrItEEEEPS6_PKS6_NS0_5tupleIJSF_S6_EEENSJ_IJSG_SG_EEENS0_18inequality_wrapperINSA_8equal_toItEEEEPmJS6_EEE10hipError_tPvRmT3_T4_T5_T6_T7_T9_mT8_P12ihipStream_tbDpT10_ENKUlT_T0_E_clISt17integral_constantIbLb0EES19_IbLb1EEEEDaS15_S16_EUlS15_E_NS1_11comp_targetILNS1_3genE2ELNS1_11target_archE906ELNS1_3gpuE6ELNS1_3repE0EEENS1_30default_config_static_selectorELNS0_4arch9wavefront6targetE1EEEvT1_,comdat
	.protected	_ZN7rocprim17ROCPRIM_400000_NS6detail17trampoline_kernelINS0_14default_configENS1_25partition_config_selectorILNS1_17partition_subalgoE8EtNS0_10empty_typeEbEEZZNS1_14partition_implILS5_8ELb0ES3_jN6thrust23THRUST_200600_302600_NS6detail15normal_iteratorINSA_10device_ptrItEEEEPS6_PKS6_NS0_5tupleIJSF_S6_EEENSJ_IJSG_SG_EEENS0_18inequality_wrapperINSA_8equal_toItEEEEPmJS6_EEE10hipError_tPvRmT3_T4_T5_T6_T7_T9_mT8_P12ihipStream_tbDpT10_ENKUlT_T0_E_clISt17integral_constantIbLb0EES19_IbLb1EEEEDaS15_S16_EUlS15_E_NS1_11comp_targetILNS1_3genE2ELNS1_11target_archE906ELNS1_3gpuE6ELNS1_3repE0EEENS1_30default_config_static_selectorELNS0_4arch9wavefront6targetE1EEEvT1_ ; -- Begin function _ZN7rocprim17ROCPRIM_400000_NS6detail17trampoline_kernelINS0_14default_configENS1_25partition_config_selectorILNS1_17partition_subalgoE8EtNS0_10empty_typeEbEEZZNS1_14partition_implILS5_8ELb0ES3_jN6thrust23THRUST_200600_302600_NS6detail15normal_iteratorINSA_10device_ptrItEEEEPS6_PKS6_NS0_5tupleIJSF_S6_EEENSJ_IJSG_SG_EEENS0_18inequality_wrapperINSA_8equal_toItEEEEPmJS6_EEE10hipError_tPvRmT3_T4_T5_T6_T7_T9_mT8_P12ihipStream_tbDpT10_ENKUlT_T0_E_clISt17integral_constantIbLb0EES19_IbLb1EEEEDaS15_S16_EUlS15_E_NS1_11comp_targetILNS1_3genE2ELNS1_11target_archE906ELNS1_3gpuE6ELNS1_3repE0EEENS1_30default_config_static_selectorELNS0_4arch9wavefront6targetE1EEEvT1_
	.globl	_ZN7rocprim17ROCPRIM_400000_NS6detail17trampoline_kernelINS0_14default_configENS1_25partition_config_selectorILNS1_17partition_subalgoE8EtNS0_10empty_typeEbEEZZNS1_14partition_implILS5_8ELb0ES3_jN6thrust23THRUST_200600_302600_NS6detail15normal_iteratorINSA_10device_ptrItEEEEPS6_PKS6_NS0_5tupleIJSF_S6_EEENSJ_IJSG_SG_EEENS0_18inequality_wrapperINSA_8equal_toItEEEEPmJS6_EEE10hipError_tPvRmT3_T4_T5_T6_T7_T9_mT8_P12ihipStream_tbDpT10_ENKUlT_T0_E_clISt17integral_constantIbLb0EES19_IbLb1EEEEDaS15_S16_EUlS15_E_NS1_11comp_targetILNS1_3genE2ELNS1_11target_archE906ELNS1_3gpuE6ELNS1_3repE0EEENS1_30default_config_static_selectorELNS0_4arch9wavefront6targetE1EEEvT1_
	.p2align	8
	.type	_ZN7rocprim17ROCPRIM_400000_NS6detail17trampoline_kernelINS0_14default_configENS1_25partition_config_selectorILNS1_17partition_subalgoE8EtNS0_10empty_typeEbEEZZNS1_14partition_implILS5_8ELb0ES3_jN6thrust23THRUST_200600_302600_NS6detail15normal_iteratorINSA_10device_ptrItEEEEPS6_PKS6_NS0_5tupleIJSF_S6_EEENSJ_IJSG_SG_EEENS0_18inequality_wrapperINSA_8equal_toItEEEEPmJS6_EEE10hipError_tPvRmT3_T4_T5_T6_T7_T9_mT8_P12ihipStream_tbDpT10_ENKUlT_T0_E_clISt17integral_constantIbLb0EES19_IbLb1EEEEDaS15_S16_EUlS15_E_NS1_11comp_targetILNS1_3genE2ELNS1_11target_archE906ELNS1_3gpuE6ELNS1_3repE0EEENS1_30default_config_static_selectorELNS0_4arch9wavefront6targetE1EEEvT1_,@function
_ZN7rocprim17ROCPRIM_400000_NS6detail17trampoline_kernelINS0_14default_configENS1_25partition_config_selectorILNS1_17partition_subalgoE8EtNS0_10empty_typeEbEEZZNS1_14partition_implILS5_8ELb0ES3_jN6thrust23THRUST_200600_302600_NS6detail15normal_iteratorINSA_10device_ptrItEEEEPS6_PKS6_NS0_5tupleIJSF_S6_EEENSJ_IJSG_SG_EEENS0_18inequality_wrapperINSA_8equal_toItEEEEPmJS6_EEE10hipError_tPvRmT3_T4_T5_T6_T7_T9_mT8_P12ihipStream_tbDpT10_ENKUlT_T0_E_clISt17integral_constantIbLb0EES19_IbLb1EEEEDaS15_S16_EUlS15_E_NS1_11comp_targetILNS1_3genE2ELNS1_11target_archE906ELNS1_3gpuE6ELNS1_3repE0EEENS1_30default_config_static_selectorELNS0_4arch9wavefront6targetE1EEEvT1_: ; @_ZN7rocprim17ROCPRIM_400000_NS6detail17trampoline_kernelINS0_14default_configENS1_25partition_config_selectorILNS1_17partition_subalgoE8EtNS0_10empty_typeEbEEZZNS1_14partition_implILS5_8ELb0ES3_jN6thrust23THRUST_200600_302600_NS6detail15normal_iteratorINSA_10device_ptrItEEEEPS6_PKS6_NS0_5tupleIJSF_S6_EEENSJ_IJSG_SG_EEENS0_18inequality_wrapperINSA_8equal_toItEEEEPmJS6_EEE10hipError_tPvRmT3_T4_T5_T6_T7_T9_mT8_P12ihipStream_tbDpT10_ENKUlT_T0_E_clISt17integral_constantIbLb0EES19_IbLb1EEEEDaS15_S16_EUlS15_E_NS1_11comp_targetILNS1_3genE2ELNS1_11target_archE906ELNS1_3gpuE6ELNS1_3repE0EEENS1_30default_config_static_selectorELNS0_4arch9wavefront6targetE1EEEvT1_
; %bb.0:
	s_load_dwordx2 s[44:45], s[4:5], 0x28
	s_load_dwordx4 s[40:43], s[4:5], 0x40
	s_load_dwordx2 s[6:7], s[4:5], 0x50
	s_load_dwordx2 s[48:49], s[4:5], 0x60
	v_cmp_ne_u32_e64 s[2:3], 0, v0
	v_cmp_eq_u32_e64 s[0:1], 0, v0
	s_and_saveexec_b64 s[8:9], s[0:1]
	s_cbranch_execz .LBB303_4
; %bb.1:
	s_mov_b64 s[12:13], exec
	v_mbcnt_lo_u32_b32 v1, s12, 0
	v_mbcnt_hi_u32_b32 v1, s13, v1
	v_cmp_eq_u32_e32 vcc, 0, v1
                                        ; implicit-def: $vgpr2
	s_and_saveexec_b64 s[10:11], vcc
	s_cbranch_execz .LBB303_3
; %bb.2:
	s_load_dwordx2 s[14:15], s[4:5], 0x70
	s_bcnt1_i32_b64 s12, s[12:13]
	v_mov_b32_e32 v2, 0
	v_mov_b32_e32 v3, s12
	s_waitcnt lgkmcnt(0)
	global_atomic_add v2, v2, v3, s[14:15] glc
.LBB303_3:
	s_or_b64 exec, exec, s[10:11]
	s_waitcnt vmcnt(0)
	v_readfirstlane_b32 s10, v2
	v_add_u32_e32 v1, s10, v1
	v_mov_b32_e32 v2, 0
	ds_write_b32 v2, v1
.LBB303_4:
	s_or_b64 exec, exec, s[8:9]
	v_mov_b32_e32 v2, 0
	s_load_dwordx4 s[8:11], s[4:5], 0x8
	s_load_dword s12, s[4:5], 0x68
	s_waitcnt lgkmcnt(0)
	s_barrier
	ds_read_b32 v1, v2
	s_waitcnt lgkmcnt(0)
	s_barrier
	global_load_dwordx2 v[17:18], v2, s[42:43]
	s_lshl_b64 s[4:5], s[10:11], 1
	s_add_u32 s8, s8, s4
	s_movk_i32 s4, 0xd80
	v_readfirstlane_b32 s33, v1
	v_mul_lo_u32 v1, v1, s4
	s_mul_i32 s4, s12, 0xd80
	s_addc_u32 s9, s9, s5
	s_add_i32 s5, s4, s10
	s_add_i32 s13, s12, -1
	s_sub_i32 s60, s6, s5
	s_add_u32 s4, s10, s4
	s_addc_u32 s5, s11, 0
	v_mov_b32_e32 v3, s4
	v_mov_b32_e32 v4, s5
	v_cmp_le_u64_e32 vcc, s[6:7], v[3:4]
	s_cmp_eq_u32 s33, s13
	v_lshlrev_b64 v[1:2], 1, v[1:2]
	s_cselect_b64 s[42:43], -1, 0
	s_and_b64 s[50:51], vcc, s[42:43]
	v_mov_b32_e32 v3, s9
	v_add_co_u32_e32 v19, vcc, s8, v1
	s_xor_b64 s[46:47], s[50:51], -1
	v_addc_co_u32_e32 v20, vcc, v3, v2, vcc
	s_mov_b64 s[4:5], -1
	s_and_b64 vcc, exec, s[46:47]
	v_lshlrev_b32_e32 v53, 1, v0
	s_cbranch_vccz .LBB303_6
; %bb.5:
	v_lshlrev_b32_e32 v5, 1, v0
	v_add_co_u32_e32 v1, vcc, v19, v5
	v_addc_co_u32_e32 v2, vcc, 0, v20, vcc
	v_add_co_u32_e32 v3, vcc, 0x1000, v1
	flat_load_ushort v6, v[1:2]
	flat_load_ushort v7, v[1:2] offset:384
	flat_load_ushort v8, v[1:2] offset:768
	;; [unrolled: 1-line block ×7, first 2 shown]
	v_addc_co_u32_e32 v4, vcc, 0, v2, vcc
	flat_load_ushort v14, v[1:2] offset:3072
	flat_load_ushort v15, v[1:2] offset:3456
	;; [unrolled: 1-line block ×10, first 2 shown]
	s_mov_b64 s[4:5], 0
	s_waitcnt vmcnt(0) lgkmcnt(0)
	ds_write_b16 v5, v6
	ds_write_b16 v5, v7 offset:384
	ds_write_b16 v5, v8 offset:768
	;; [unrolled: 1-line block ×17, first 2 shown]
	s_waitcnt lgkmcnt(0)
	s_barrier
.LBB303_6:
	s_andn2_b64 vcc, exec, s[4:5]
	s_addk_i32 s60, 0xd80
	s_cbranch_vccnz .LBB303_44
; %bb.7:
	v_mov_b32_e32 v1, 0
	v_cmp_gt_u32_e32 vcc, s60, v0
	v_mov_b32_e32 v2, v1
	v_mov_b32_e32 v3, v1
	;; [unrolled: 1-line block ×8, first 2 shown]
	s_and_saveexec_b64 s[4:5], vcc
	s_cbranch_execz .LBB303_9
; %bb.8:
	v_lshlrev_b32_e32 v2, 1, v0
	v_add_co_u32_e32 v2, vcc, v19, v2
	v_addc_co_u32_e32 v3, vcc, 0, v20, vcc
	flat_load_ushort v10, v[2:3]
	v_mov_b32_e32 v2, v1
	v_mov_b32_e32 v3, v1
	;; [unrolled: 1-line block ×8, first 2 shown]
	s_waitcnt vmcnt(0) lgkmcnt(0)
	v_and_b32_e32 v1, 0xffff, v10
.LBB303_9:
	s_or_b64 exec, exec, s[4:5]
	v_add_u32_e32 v10, 0xc0, v0
	v_cmp_gt_u32_e32 vcc, s60, v10
	s_and_saveexec_b64 s[4:5], vcc
	s_cbranch_execz .LBB303_11
; %bb.10:
	v_lshlrev_b32_e32 v10, 1, v0
	v_add_co_u32_e32 v10, vcc, v19, v10
	v_addc_co_u32_e32 v11, vcc, 0, v20, vcc
	flat_load_ushort v10, v[10:11] offset:384
	s_mov_b32 s6, 0x5040100
	s_waitcnt vmcnt(0) lgkmcnt(0)
	v_perm_b32 v1, v10, v1, s6
.LBB303_11:
	s_or_b64 exec, exec, s[4:5]
	v_add_u32_e32 v10, 0x180, v0
	v_cmp_gt_u32_e32 vcc, s60, v10
	s_and_saveexec_b64 s[4:5], vcc
	s_cbranch_execz .LBB303_13
; %bb.12:
	v_lshlrev_b32_e32 v10, 1, v0
	v_add_co_u32_e32 v10, vcc, v19, v10
	v_addc_co_u32_e32 v11, vcc, 0, v20, vcc
	flat_load_ushort v10, v[10:11] offset:768
	s_mov_b32 s6, 0xffff
	s_waitcnt vmcnt(0) lgkmcnt(0)
	v_bfi_b32 v2, s6, v10, v2
.LBB303_13:
	s_or_b64 exec, exec, s[4:5]
	v_add_u32_e32 v10, 0x240, v0
	v_cmp_gt_u32_e32 vcc, s60, v10
	s_and_saveexec_b64 s[4:5], vcc
	s_cbranch_execz .LBB303_15
; %bb.14:
	v_lshlrev_b32_e32 v10, 1, v0
	v_add_co_u32_e32 v10, vcc, v19, v10
	v_addc_co_u32_e32 v11, vcc, 0, v20, vcc
	flat_load_ushort v10, v[10:11] offset:1152
	s_mov_b32 s6, 0x5040100
	s_waitcnt vmcnt(0) lgkmcnt(0)
	v_perm_b32 v2, v10, v2, s6
.LBB303_15:
	s_or_b64 exec, exec, s[4:5]
	v_or_b32_e32 v10, 0x300, v0
	v_cmp_gt_u32_e32 vcc, s60, v10
	s_and_saveexec_b64 s[4:5], vcc
	s_cbranch_execz .LBB303_17
; %bb.16:
	v_lshlrev_b32_e32 v10, 1, v0
	v_add_co_u32_e32 v10, vcc, v19, v10
	v_addc_co_u32_e32 v11, vcc, 0, v20, vcc
	flat_load_ushort v10, v[10:11] offset:1536
	s_mov_b32 s6, 0xffff
	s_waitcnt vmcnt(0) lgkmcnt(0)
	v_bfi_b32 v3, s6, v10, v3
.LBB303_17:
	s_or_b64 exec, exec, s[4:5]
	v_add_u32_e32 v10, 0x3c0, v0
	v_cmp_gt_u32_e32 vcc, s60, v10
	s_and_saveexec_b64 s[4:5], vcc
	s_cbranch_execz .LBB303_19
; %bb.18:
	v_lshlrev_b32_e32 v10, 1, v0
	v_add_co_u32_e32 v10, vcc, v19, v10
	v_addc_co_u32_e32 v11, vcc, 0, v20, vcc
	flat_load_ushort v10, v[10:11] offset:1920
	s_mov_b32 s6, 0x5040100
	s_waitcnt vmcnt(0) lgkmcnt(0)
	v_perm_b32 v3, v10, v3, s6
.LBB303_19:
	s_or_b64 exec, exec, s[4:5]
	v_add_u32_e32 v10, 0x480, v0
	v_cmp_gt_u32_e32 vcc, s60, v10
	s_and_saveexec_b64 s[4:5], vcc
	s_cbranch_execz .LBB303_21
; %bb.20:
	v_lshlrev_b32_e32 v10, 1, v0
	v_add_co_u32_e32 v10, vcc, v19, v10
	v_addc_co_u32_e32 v11, vcc, 0, v20, vcc
	flat_load_ushort v10, v[10:11] offset:2304
	s_mov_b32 s6, 0xffff
	s_waitcnt vmcnt(0) lgkmcnt(0)
	v_bfi_b32 v4, s6, v10, v4
.LBB303_21:
	s_or_b64 exec, exec, s[4:5]
	v_add_u32_e32 v10, 0x540, v0
	v_cmp_gt_u32_e32 vcc, s60, v10
	s_and_saveexec_b64 s[4:5], vcc
	s_cbranch_execz .LBB303_23
; %bb.22:
	v_lshlrev_b32_e32 v10, 1, v0
	v_add_co_u32_e32 v10, vcc, v19, v10
	v_addc_co_u32_e32 v11, vcc, 0, v20, vcc
	flat_load_ushort v10, v[10:11] offset:2688
	s_mov_b32 s6, 0x5040100
	s_waitcnt vmcnt(0) lgkmcnt(0)
	v_perm_b32 v4, v10, v4, s6
.LBB303_23:
	s_or_b64 exec, exec, s[4:5]
	v_or_b32_e32 v10, 0x600, v0
	v_cmp_gt_u32_e32 vcc, s60, v10
	s_and_saveexec_b64 s[4:5], vcc
	s_cbranch_execz .LBB303_25
; %bb.24:
	v_lshlrev_b32_e32 v10, 1, v0
	v_add_co_u32_e32 v10, vcc, v19, v10
	v_addc_co_u32_e32 v11, vcc, 0, v20, vcc
	flat_load_ushort v10, v[10:11] offset:3072
	s_mov_b32 s6, 0xffff
	s_waitcnt vmcnt(0) lgkmcnt(0)
	v_bfi_b32 v5, s6, v10, v5
.LBB303_25:
	s_or_b64 exec, exec, s[4:5]
	v_add_u32_e32 v10, 0x6c0, v0
	v_cmp_gt_u32_e32 vcc, s60, v10
	s_and_saveexec_b64 s[4:5], vcc
	s_cbranch_execz .LBB303_27
; %bb.26:
	v_lshlrev_b32_e32 v10, 1, v0
	v_add_co_u32_e32 v10, vcc, v19, v10
	v_addc_co_u32_e32 v11, vcc, 0, v20, vcc
	flat_load_ushort v10, v[10:11] offset:3456
	s_mov_b32 s6, 0x5040100
	s_waitcnt vmcnt(0) lgkmcnt(0)
	v_perm_b32 v5, v10, v5, s6
.LBB303_27:
	s_or_b64 exec, exec, s[4:5]
	v_add_u32_e32 v10, 0x780, v0
	v_cmp_gt_u32_e32 vcc, s60, v10
	s_and_saveexec_b64 s[4:5], vcc
	s_cbranch_execz .LBB303_29
; %bb.28:
	v_lshlrev_b32_e32 v10, 1, v0
	v_add_co_u32_e32 v10, vcc, v19, v10
	v_addc_co_u32_e32 v11, vcc, 0, v20, vcc
	flat_load_ushort v10, v[10:11] offset:3840
	s_mov_b32 s6, 0xffff
	s_waitcnt vmcnt(0) lgkmcnt(0)
	v_bfi_b32 v6, s6, v10, v6
.LBB303_29:
	s_or_b64 exec, exec, s[4:5]
	v_add_u32_e32 v10, 0x840, v0
	v_cmp_gt_u32_e32 vcc, s60, v10
	s_and_saveexec_b64 s[4:5], vcc
	s_cbranch_execz .LBB303_31
; %bb.30:
	v_lshlrev_b32_e32 v10, 1, v10
	v_add_co_u32_e32 v10, vcc, v19, v10
	v_addc_co_u32_e32 v11, vcc, 0, v20, vcc
	flat_load_ushort v10, v[10:11]
	s_mov_b32 s6, 0x5040100
	s_waitcnt vmcnt(0) lgkmcnt(0)
	v_perm_b32 v6, v10, v6, s6
.LBB303_31:
	s_or_b64 exec, exec, s[4:5]
	v_or_b32_e32 v10, 0x900, v0
	v_cmp_gt_u32_e32 vcc, s60, v10
	s_and_saveexec_b64 s[4:5], vcc
	s_cbranch_execz .LBB303_33
; %bb.32:
	v_lshlrev_b32_e32 v10, 1, v10
	v_add_co_u32_e32 v10, vcc, v19, v10
	v_addc_co_u32_e32 v11, vcc, 0, v20, vcc
	flat_load_ushort v10, v[10:11]
	s_mov_b32 s6, 0xffff
	s_waitcnt vmcnt(0) lgkmcnt(0)
	v_bfi_b32 v7, s6, v10, v7
.LBB303_33:
	s_or_b64 exec, exec, s[4:5]
	v_add_u32_e32 v10, 0x9c0, v0
	v_cmp_gt_u32_e32 vcc, s60, v10
	s_and_saveexec_b64 s[4:5], vcc
	s_cbranch_execz .LBB303_35
; %bb.34:
	v_lshlrev_b32_e32 v10, 1, v10
	v_add_co_u32_e32 v10, vcc, v19, v10
	v_addc_co_u32_e32 v11, vcc, 0, v20, vcc
	flat_load_ushort v10, v[10:11]
	s_mov_b32 s6, 0x5040100
	s_waitcnt vmcnt(0) lgkmcnt(0)
	v_perm_b32 v7, v10, v7, s6
.LBB303_35:
	s_or_b64 exec, exec, s[4:5]
	v_add_u32_e32 v10, 0xa80, v0
	v_cmp_gt_u32_e32 vcc, s60, v10
	s_and_saveexec_b64 s[4:5], vcc
	s_cbranch_execz .LBB303_37
; %bb.36:
	v_lshlrev_b32_e32 v10, 1, v10
	v_add_co_u32_e32 v10, vcc, v19, v10
	v_addc_co_u32_e32 v11, vcc, 0, v20, vcc
	flat_load_ushort v10, v[10:11]
	s_mov_b32 s6, 0xffff
	s_waitcnt vmcnt(0) lgkmcnt(0)
	v_bfi_b32 v8, s6, v10, v8
.LBB303_37:
	s_or_b64 exec, exec, s[4:5]
	v_add_u32_e32 v10, 0xb40, v0
	v_cmp_gt_u32_e32 vcc, s60, v10
	s_and_saveexec_b64 s[4:5], vcc
	s_cbranch_execz .LBB303_39
; %bb.38:
	v_lshlrev_b32_e32 v10, 1, v10
	v_add_co_u32_e32 v10, vcc, v19, v10
	v_addc_co_u32_e32 v11, vcc, 0, v20, vcc
	flat_load_ushort v10, v[10:11]
	s_mov_b32 s6, 0x5040100
	s_waitcnt vmcnt(0) lgkmcnt(0)
	v_perm_b32 v8, v10, v8, s6
.LBB303_39:
	s_or_b64 exec, exec, s[4:5]
	v_or_b32_e32 v10, 0xc00, v0
	v_cmp_gt_u32_e32 vcc, s60, v10
	s_and_saveexec_b64 s[4:5], vcc
	s_cbranch_execz .LBB303_41
; %bb.40:
	v_lshlrev_b32_e32 v10, 1, v10
	v_add_co_u32_e32 v10, vcc, v19, v10
	v_addc_co_u32_e32 v11, vcc, 0, v20, vcc
	flat_load_ushort v10, v[10:11]
	s_mov_b32 s6, 0xffff
	s_waitcnt vmcnt(0) lgkmcnt(0)
	v_bfi_b32 v9, s6, v10, v9
.LBB303_41:
	s_or_b64 exec, exec, s[4:5]
	v_add_u32_e32 v10, 0xcc0, v0
	v_cmp_gt_u32_e32 vcc, s60, v10
	s_and_saveexec_b64 s[4:5], vcc
	s_cbranch_execz .LBB303_43
; %bb.42:
	v_lshlrev_b32_e32 v10, 1, v10
	v_add_co_u32_e32 v10, vcc, v19, v10
	v_addc_co_u32_e32 v11, vcc, 0, v20, vcc
	flat_load_ushort v10, v[10:11]
	s_mov_b32 s6, 0x5040100
	s_waitcnt vmcnt(0) lgkmcnt(0)
	v_perm_b32 v9, v10, v9, s6
.LBB303_43:
	s_or_b64 exec, exec, s[4:5]
	v_lshlrev_b32_e32 v10, 1, v0
	ds_write_b16 v10, v1
	ds_write_b16_d16_hi v10, v1 offset:384
	ds_write_b16 v10, v2 offset:768
	ds_write_b16_d16_hi v10, v2 offset:1152
	ds_write_b16 v10, v3 offset:1536
	;; [unrolled: 2-line block ×8, first 2 shown]
	ds_write_b16_d16_hi v10, v9 offset:6528
	s_waitcnt vmcnt(0) lgkmcnt(0)
	s_barrier
.LBB303_44:
	v_mul_u32_u24_e32 v9, 18, v0
	v_lshlrev_b32_e32 v10, 1, v9
	ds_read2_b32 v[7:8], v10 offset1:1
	ds_read2_b32 v[5:6], v10 offset0:2 offset1:3
	ds_read2_b32 v[3:4], v10 offset0:4 offset1:5
	;; [unrolled: 1-line block ×3, first 2 shown]
	ds_read_b32 v55, v10 offset:32
	s_cmp_lg_u32 s33, 0
	s_cselect_b64 s[52:53], -1, 0
	s_cmp_lg_u64 s[10:11], 0
	s_cselect_b64 s[4:5], -1, 0
	s_or_b64 s[4:5], s[4:5], s[52:53]
	s_waitcnt lgkmcnt(4)
	v_lshrrev_b32_e32 v63, 16, v7
	v_lshrrev_b32_e32 v62, 16, v8
	s_waitcnt lgkmcnt(3)
	v_lshrrev_b32_e32 v61, 16, v5
	v_lshrrev_b32_e32 v60, 16, v6
	s_waitcnt lgkmcnt(2)
	v_lshrrev_b32_e32 v59, 16, v3
	v_lshrrev_b32_e32 v58, 16, v4
	s_waitcnt lgkmcnt(1)
	v_lshrrev_b32_e32 v57, 16, v1
	v_lshrrev_b32_e32 v56, 16, v2
	s_waitcnt lgkmcnt(0)
	v_lshrrev_b32_e32 v54, 16, v55
	s_mov_b64 s[56:57], 0
	s_and_b64 vcc, exec, s[4:5]
	s_waitcnt vmcnt(0)
	s_barrier
	s_cbranch_vccz .LBB303_49
; %bb.45:
	v_add_co_u32_e32 v11, vcc, -2, v19
	v_addc_co_u32_e32 v12, vcc, -1, v20, vcc
	flat_load_ushort v11, v[11:12]
	v_lshlrev_b32_e32 v12, 1, v0
	s_and_b64 vcc, exec, s[46:47]
	ds_write_b16 v12, v54
	s_cbranch_vccz .LBB303_50
; %bb.46:
	s_waitcnt vmcnt(0) lgkmcnt(0)
	v_mov_b32_e32 v13, v11
	s_barrier
	s_and_saveexec_b64 s[4:5], s[2:3]
; %bb.47:
	v_add_u32_e32 v13, -2, v12
	ds_read_u16 v13, v13
; %bb.48:
	s_or_b64 exec, exec, s[4:5]
	v_cmp_ne_u16_e32 vcc, v55, v54
	v_cndmask_b32_e64 v64, 0, 1, vcc
	v_cmp_ne_u16_e32 vcc, v56, v55
	v_cndmask_b32_e64 v65, 0, 1, vcc
	v_cmp_ne_u16_e32 vcc, v2, v56
	v_cndmask_b32_e64 v66, 0, 1, vcc
	v_cmp_ne_u16_e32 vcc, v57, v2
	v_cndmask_b32_e64 v67, 0, 1, vcc
	v_cmp_ne_u16_e32 vcc, v1, v57
	v_cndmask_b32_e64 v68, 0, 1, vcc
	v_cmp_ne_u16_e32 vcc, v58, v1
	v_cndmask_b32_e64 v69, 0, 1, vcc
	v_cmp_ne_u16_e32 vcc, v4, v58
	v_cndmask_b32_e64 v70, 0, 1, vcc
	v_cmp_ne_u16_e32 vcc, v59, v4
	v_cndmask_b32_e64 v71, 0, 1, vcc
	v_cmp_ne_u16_e32 vcc, v3, v59
	v_cndmask_b32_e64 v72, 0, 1, vcc
	v_cmp_ne_u16_e32 vcc, v60, v3
	v_cndmask_b32_e64 v73, 0, 1, vcc
	v_cmp_ne_u16_e32 vcc, v6, v60
	v_cndmask_b32_e64 v74, 0, 1, vcc
	v_cmp_ne_u16_e32 vcc, v61, v6
	v_cndmask_b32_e64 v75, 0, 1, vcc
	v_cmp_ne_u16_e32 vcc, v5, v61
	v_cndmask_b32_e64 v76, 0, 1, vcc
	v_cmp_ne_u16_e32 vcc, v62, v5
	v_cndmask_b32_e64 v77, 0, 1, vcc
	v_cmp_ne_u16_e32 vcc, v8, v62
	v_cndmask_b32_e64 v78, 0, 1, vcc
	v_cmp_ne_u16_e32 vcc, v63, v8
	v_cndmask_b32_e64 v79, 0, 1, vcc
	v_cmp_ne_u16_e32 vcc, v7, v63
	v_cndmask_b32_e64 v80, 0, 1, vcc
	s_waitcnt lgkmcnt(0)
	v_cmp_ne_u16_e64 s[54:55], v13, v7
	s_branch .LBB303_54
.LBB303_49:
                                        ; implicit-def: $sgpr54_sgpr55
                                        ; implicit-def: $vgpr64
                                        ; implicit-def: $vgpr65
                                        ; implicit-def: $vgpr66
                                        ; implicit-def: $vgpr67
                                        ; implicit-def: $vgpr68
                                        ; implicit-def: $vgpr69
                                        ; implicit-def: $vgpr70
                                        ; implicit-def: $vgpr71
                                        ; implicit-def: $vgpr72
                                        ; implicit-def: $vgpr80
                                        ; implicit-def: $vgpr79
                                        ; implicit-def: $vgpr78
                                        ; implicit-def: $vgpr77
                                        ; implicit-def: $vgpr76
                                        ; implicit-def: $vgpr75
                                        ; implicit-def: $vgpr74
                                        ; implicit-def: $vgpr73
	s_branch .LBB303_55
.LBB303_50:
                                        ; implicit-def: $sgpr54_sgpr55
                                        ; implicit-def: $vgpr64
                                        ; implicit-def: $vgpr65
                                        ; implicit-def: $vgpr66
                                        ; implicit-def: $vgpr67
                                        ; implicit-def: $vgpr68
                                        ; implicit-def: $vgpr69
                                        ; implicit-def: $vgpr70
                                        ; implicit-def: $vgpr71
                                        ; implicit-def: $vgpr72
                                        ; implicit-def: $vgpr80
                                        ; implicit-def: $vgpr79
                                        ; implicit-def: $vgpr78
                                        ; implicit-def: $vgpr77
                                        ; implicit-def: $vgpr76
                                        ; implicit-def: $vgpr75
                                        ; implicit-def: $vgpr74
                                        ; implicit-def: $vgpr73
	s_cbranch_execz .LBB303_54
; %bb.51:
	s_waitcnt vmcnt(0) lgkmcnt(0)
	s_barrier
	s_and_saveexec_b64 s[4:5], s[2:3]
; %bb.52:
	v_add_u32_e32 v11, -2, v12
	ds_read_u16 v11, v11
; %bb.53:
	s_or_b64 exec, exec, s[4:5]
	v_add_u32_e32 v12, 17, v9
	v_cmp_gt_u32_e32 vcc, s60, v12
	v_cmp_ne_u16_e64 s[4:5], v55, v54
	s_and_b64 s[4:5], vcc, s[4:5]
	v_add_u32_e32 v12, 16, v9
	v_cndmask_b32_e64 v64, 0, 1, s[4:5]
	v_cmp_gt_u32_e32 vcc, s60, v12
	v_cmp_ne_u16_e64 s[4:5], v56, v55
	s_and_b64 s[4:5], vcc, s[4:5]
	v_add_u32_e32 v12, 15, v9
	v_cndmask_b32_e64 v65, 0, 1, s[4:5]
	;; [unrolled: 5-line block ×15, first 2 shown]
	v_cmp_gt_u32_e32 vcc, s60, v12
	v_cmp_ne_u16_e64 s[4:5], v63, v8
	s_and_b64 s[4:5], vcc, s[4:5]
	v_or_b32_e32 v12, 1, v9
	v_cndmask_b32_e64 v79, 0, 1, s[4:5]
	v_cmp_gt_u32_e32 vcc, s60, v12
	v_cmp_ne_u16_e64 s[4:5], v7, v63
	s_and_b64 s[4:5], vcc, s[4:5]
	v_cndmask_b32_e64 v80, 0, 1, s[4:5]
	v_cmp_gt_u32_e32 vcc, s60, v9
	s_waitcnt lgkmcnt(0)
	v_cmp_ne_u16_e64 s[4:5], v11, v7
	s_and_b64 s[54:55], vcc, s[4:5]
.LBB303_54:
	s_mov_b64 s[56:57], -1
	s_cbranch_execnz .LBB303_63
.LBB303_55:
	s_movk_i32 s4, 0xffde
	v_mad_i32_i24 v10, v0, s4, v10
	s_and_b64 vcc, exec, s[46:47]
	v_cmp_ne_u16_e64 s[4:5], v55, v54
	v_cmp_ne_u16_e64 s[6:7], v56, v55
	;; [unrolled: 1-line block ×17, first 2 shown]
	ds_write_b16 v10, v54
	s_cbranch_vccz .LBB303_59
; %bb.56:
	s_waitcnt vmcnt(0) lgkmcnt(0)
	s_barrier
                                        ; implicit-def: $sgpr54_sgpr55
	s_and_saveexec_b64 s[58:59], s[2:3]
	s_xor_b64 s[58:59], exec, s[58:59]
	s_cbranch_execz .LBB303_58
; %bb.57:
	v_add_u32_e32 v11, -2, v10
	ds_read_u16 v11, v11
	s_or_b64 s[56:57], s[56:57], exec
	s_waitcnt lgkmcnt(0)
	v_cmp_ne_u16_e64 s[54:55], v11, v7
.LBB303_58:
	s_or_b64 exec, exec, s[58:59]
	v_cndmask_b32_e64 v64, 0, 1, s[4:5]
	v_cndmask_b32_e64 v65, 0, 1, s[6:7]
	;; [unrolled: 1-line block ×17, first 2 shown]
	s_branch .LBB303_63
.LBB303_59:
                                        ; implicit-def: $sgpr54_sgpr55
                                        ; implicit-def: $vgpr64
                                        ; implicit-def: $vgpr65
                                        ; implicit-def: $vgpr66
                                        ; implicit-def: $vgpr67
                                        ; implicit-def: $vgpr68
                                        ; implicit-def: $vgpr69
                                        ; implicit-def: $vgpr70
                                        ; implicit-def: $vgpr71
                                        ; implicit-def: $vgpr72
                                        ; implicit-def: $vgpr80
                                        ; implicit-def: $vgpr79
                                        ; implicit-def: $vgpr78
                                        ; implicit-def: $vgpr77
                                        ; implicit-def: $vgpr76
                                        ; implicit-def: $vgpr75
                                        ; implicit-def: $vgpr74
                                        ; implicit-def: $vgpr73
	s_cbranch_execz .LBB303_63
; %bb.60:
	s_waitcnt vmcnt(0) lgkmcnt(0)
	v_add_u32_e32 v11, 17, v9
	v_cmp_gt_u32_e32 vcc, s60, v11
	v_cmp_ne_u16_e64 s[4:5], v55, v54
	v_add_u32_e32 v11, 16, v9
	s_and_b64 s[6:7], vcc, s[4:5]
	v_cmp_gt_u32_e32 vcc, s60, v11
	v_cmp_ne_u16_e64 s[4:5], v56, v55
	v_add_u32_e32 v11, 15, v9
	s_and_b64 s[8:9], vcc, s[4:5]
	;; [unrolled: 4-line block ×15, first 2 shown]
	v_cmp_gt_u32_e32 vcc, s60, v11
	v_cmp_ne_u16_e64 s[4:5], v63, v8
	v_or_b32_e32 v11, 1, v9
	s_and_b64 s[38:39], vcc, s[4:5]
	v_cmp_gt_u32_e32 vcc, s60, v11
	v_cmp_ne_u16_e64 s[4:5], v7, v63
	s_and_b64 s[4:5], vcc, s[4:5]
	s_barrier
                                        ; implicit-def: $sgpr54_sgpr55
	s_and_saveexec_b64 s[58:59], s[2:3]
	s_cbranch_execz .LBB303_62
; %bb.61:
	v_add_u32_e32 v10, -2, v10
	ds_read_u16 v10, v10
	v_cmp_gt_u32_e32 vcc, s60, v9
	s_or_b64 s[56:57], s[56:57], exec
	s_waitcnt lgkmcnt(0)
	v_cmp_ne_u16_e64 s[2:3], v10, v7
	s_and_b64 s[54:55], vcc, s[2:3]
.LBB303_62:
	s_or_b64 exec, exec, s[58:59]
	v_cndmask_b32_e64 v64, 0, 1, s[6:7]
	v_cndmask_b32_e64 v65, 0, 1, s[8:9]
	;; [unrolled: 1-line block ×17, first 2 shown]
.LBB303_63:
	v_mov_b32_e32 v22, 1
	s_and_saveexec_b64 s[2:3], s[56:57]
; %bb.64:
	v_cndmask_b32_e64 v22, 0, 1, s[54:55]
; %bb.65:
	s_or_b64 exec, exec, s[2:3]
	s_andn2_b64 vcc, exec, s[50:51]
	s_cbranch_vccnz .LBB303_67
; %bb.66:
	v_cmp_gt_u32_e32 vcc, s60, v9
	v_or_b32_e32 v10, 1, v9
	v_cndmask_b32_e32 v22, 0, v22, vcc
	v_cmp_gt_u32_e32 vcc, s60, v10
	v_add_u32_e32 v10, 2, v9
	v_cndmask_b32_e32 v80, 0, v80, vcc
	v_cmp_gt_u32_e32 vcc, s60, v10
	v_add_u32_e32 v10, 3, v9
	;; [unrolled: 3-line block ×16, first 2 shown]
	v_cndmask_b32_e32 v65, 0, v65, vcc
	v_cmp_gt_u32_e32 vcc, s60, v9
	v_cndmask_b32_e32 v64, 0, v64, vcc
.LBB303_67:
	v_and_b32_e32 v35, 0xff, v76
	v_and_b32_e32 v36, 0xff, v75
	v_add_u32_sdwa v10, v74, v73 dst_sel:DWORD dst_unused:UNUSED_PAD src0_sel:BYTE_0 src1_sel:BYTE_0
	v_and_b32_e32 v33, 0xff, v78
	v_and_b32_e32 v34, 0xff, v77
	v_add3_u32 v10, v10, v36, v35
	v_and_b32_e32 v29, 0xff, v80
	v_and_b32_e32 v31, 0xff, v79
	v_add3_u32 v10, v10, v34, v33
	;; [unrolled: 3-line block ×7, first 2 shown]
	v_add3_u32 v39, v10, v32, v9
	v_mbcnt_lo_u32_b32 v9, -1, 0
	v_mbcnt_hi_u32_b32 v37, -1, v9
	v_and_b32_e32 v9, 15, v37
	v_cmp_eq_u32_e64 s[14:15], 0, v9
	v_cmp_lt_u32_e64 s[12:13], 1, v9
	v_cmp_lt_u32_e64 s[10:11], 3, v9
	;; [unrolled: 1-line block ×3, first 2 shown]
	v_and_b32_e32 v9, 16, v37
	v_cmp_eq_u32_e64 s[4:5], 0, v9
	v_and_b32_e32 v9, 0xc0, v0
	v_min_u32_e32 v9, 0x80, v9
	v_or_b32_e32 v9, 63, v9
	v_cmp_lt_u32_e64 s[2:3], 31, v37
	v_lshrrev_b32_e32 v38, 6, v0
	v_cmp_eq_u32_e64 s[6:7], v0, v9
	s_and_b64 vcc, exec, s[52:53]
	s_waitcnt vmcnt(0) lgkmcnt(0)
	s_barrier
	s_cbranch_vccz .LBB303_89
; %bb.68:
	v_mov_b32_dpp v9, v39 row_shr:1 row_mask:0xf bank_mask:0xf
	v_cndmask_b32_e64 v9, v9, 0, s[14:15]
	v_add_u32_e32 v9, v9, v39
	s_nop 1
	v_mov_b32_dpp v10, v9 row_shr:2 row_mask:0xf bank_mask:0xf
	v_cndmask_b32_e64 v10, 0, v10, s[12:13]
	v_add_u32_e32 v9, v9, v10
	s_nop 1
	;; [unrolled: 4-line block ×4, first 2 shown]
	v_mov_b32_dpp v10, v9 row_bcast:15 row_mask:0xf bank_mask:0xf
	v_cndmask_b32_e64 v10, v10, 0, s[4:5]
	v_add_u32_e32 v9, v9, v10
	s_nop 1
	v_mov_b32_dpp v10, v9 row_bcast:31 row_mask:0xf bank_mask:0xf
	v_cndmask_b32_e64 v10, 0, v10, s[2:3]
	v_add_u32_e32 v9, v9, v10
	s_and_saveexec_b64 s[16:17], s[6:7]
; %bb.69:
	v_lshlrev_b32_e32 v10, 2, v38
	ds_write_b32 v10, v9
; %bb.70:
	s_or_b64 exec, exec, s[16:17]
	v_cmp_gt_u32_e32 vcc, 3, v0
	s_waitcnt lgkmcnt(0)
	s_barrier
	s_and_saveexec_b64 s[16:17], vcc
	s_cbranch_execz .LBB303_72
; %bb.71:
	v_lshlrev_b32_e32 v10, 2, v0
	ds_read_b32 v11, v10
	v_and_b32_e32 v12, 3, v37
	v_cmp_ne_u32_e32 vcc, 0, v12
	s_waitcnt lgkmcnt(0)
	v_mov_b32_dpp v13, v11 row_shr:1 row_mask:0xf bank_mask:0xf
	v_cndmask_b32_e32 v13, 0, v13, vcc
	v_add_u32_e32 v11, v13, v11
	v_cmp_lt_u32_e32 vcc, 1, v12
	s_nop 0
	v_mov_b32_dpp v13, v11 row_shr:2 row_mask:0xf bank_mask:0xf
	v_cndmask_b32_e32 v12, 0, v13, vcc
	v_add_u32_e32 v11, v11, v12
	ds_write_b32 v10, v11
.LBB303_72:
	s_or_b64 exec, exec, s[16:17]
	v_cmp_gt_u32_e32 vcc, 64, v0
	v_cmp_lt_u32_e64 s[16:17], 63, v0
	s_waitcnt lgkmcnt(0)
	s_barrier
                                        ; implicit-def: $vgpr40
	s_and_saveexec_b64 s[18:19], s[16:17]
	s_cbranch_execz .LBB303_74
; %bb.73:
	v_lshl_add_u32 v10, v38, 2, -4
	ds_read_b32 v40, v10
	s_waitcnt lgkmcnt(0)
	v_add_u32_e32 v9, v40, v9
.LBB303_74:
	s_or_b64 exec, exec, s[18:19]
	v_subrev_co_u32_e64 v10, s[16:17], 1, v37
	v_and_b32_e32 v11, 64, v37
	v_cmp_lt_i32_e64 s[18:19], v10, v11
	v_cndmask_b32_e64 v10, v10, v37, s[18:19]
	v_lshlrev_b32_e32 v10, 2, v10
	ds_bpermute_b32 v41, v10, v9
	s_and_saveexec_b64 s[18:19], vcc
	s_cbranch_execz .LBB303_94
; %bb.75:
	v_mov_b32_e32 v15, 0
	ds_read_b32 v9, v15 offset:8
	s_and_saveexec_b64 s[20:21], s[16:17]
	s_cbranch_execz .LBB303_77
; %bb.76:
	s_add_i32 s22, s33, 64
	s_mov_b32 s23, 0
	s_lshl_b64 s[22:23], s[22:23], 3
	s_add_u32 s22, s48, s22
	v_mov_b32_e32 v10, 1
	s_addc_u32 s23, s49, s23
	s_waitcnt lgkmcnt(0)
	global_store_dwordx2 v15, v[9:10], s[22:23]
.LBB303_77:
	s_or_b64 exec, exec, s[20:21]
	v_xad_u32 v11, v37, -1, s33
	v_add_u32_e32 v14, 64, v11
	v_lshlrev_b64 v[12:13], 3, v[14:15]
	v_mov_b32_e32 v10, s49
	v_add_co_u32_e32 v19, vcc, s48, v12
	v_addc_co_u32_e32 v20, vcc, v10, v13, vcc
	global_load_dwordx2 v[13:14], v[19:20], off glc
	s_waitcnt vmcnt(0)
	v_cmp_eq_u16_sdwa s[22:23], v14, v15 src0_sel:BYTE_0 src1_sel:DWORD
	s_and_saveexec_b64 s[20:21], s[22:23]
	s_cbranch_execz .LBB303_81
; %bb.78:
	s_mov_b64 s[22:23], 0
	v_mov_b32_e32 v10, 0
.LBB303_79:                             ; =>This Inner Loop Header: Depth=1
	global_load_dwordx2 v[13:14], v[19:20], off glc
	s_waitcnt vmcnt(0)
	v_cmp_ne_u16_sdwa s[24:25], v14, v10 src0_sel:BYTE_0 src1_sel:DWORD
	s_or_b64 s[22:23], s[24:25], s[22:23]
	s_andn2_b64 exec, exec, s[22:23]
	s_cbranch_execnz .LBB303_79
; %bb.80:
	s_or_b64 exec, exec, s[22:23]
.LBB303_81:
	s_or_b64 exec, exec, s[20:21]
	v_and_b32_e32 v43, 63, v37
	v_mov_b32_e32 v42, 2
	v_lshlrev_b64 v[15:16], v37, -1
	v_cmp_ne_u32_e32 vcc, 63, v43
	v_cmp_eq_u16_sdwa s[20:21], v14, v42 src0_sel:BYTE_0 src1_sel:DWORD
	v_addc_co_u32_e32 v19, vcc, 0, v37, vcc
	v_and_b32_e32 v10, s21, v16
	v_lshlrev_b32_e32 v44, 2, v19
	v_or_b32_e32 v10, 0x80000000, v10
	ds_bpermute_b32 v19, v44, v13
	v_and_b32_e32 v12, s20, v15
	v_ffbl_b32_e32 v10, v10
	v_add_u32_e32 v10, 32, v10
	v_ffbl_b32_e32 v12, v12
	v_min_u32_e32 v10, v12, v10
	v_cmp_lt_u32_e32 vcc, v43, v10
	s_waitcnt lgkmcnt(0)
	v_cndmask_b32_e32 v12, 0, v19, vcc
	v_cmp_gt_u32_e32 vcc, 62, v43
	v_add_u32_e32 v12, v12, v13
	v_cndmask_b32_e64 v13, 0, 2, vcc
	v_add_lshl_u32 v45, v13, v37, 2
	ds_bpermute_b32 v13, v45, v12
	v_add_u32_e32 v46, 2, v43
	v_cmp_le_u32_e32 vcc, v46, v10
	v_add_u32_e32 v48, 4, v43
	v_add_u32_e32 v50, 8, v43
	s_waitcnt lgkmcnt(0)
	v_cndmask_b32_e32 v13, 0, v13, vcc
	v_cmp_gt_u32_e32 vcc, 60, v43
	v_add_u32_e32 v12, v12, v13
	v_cndmask_b32_e64 v13, 0, 4, vcc
	v_add_lshl_u32 v47, v13, v37, 2
	ds_bpermute_b32 v13, v47, v12
	v_cmp_le_u32_e32 vcc, v48, v10
	v_add_u32_e32 v52, 16, v43
	v_add_u32_e32 v82, 32, v43
	s_waitcnt lgkmcnt(0)
	v_cndmask_b32_e32 v13, 0, v13, vcc
	v_cmp_gt_u32_e32 vcc, 56, v43
	v_add_u32_e32 v12, v12, v13
	v_cndmask_b32_e64 v13, 0, 8, vcc
	v_add_lshl_u32 v49, v13, v37, 2
	ds_bpermute_b32 v13, v49, v12
	v_cmp_le_u32_e32 vcc, v50, v10
	s_waitcnt lgkmcnt(0)
	v_cndmask_b32_e32 v13, 0, v13, vcc
	v_cmp_gt_u32_e32 vcc, 48, v43
	v_add_u32_e32 v12, v12, v13
	v_cndmask_b32_e64 v13, 0, 16, vcc
	v_add_lshl_u32 v51, v13, v37, 2
	ds_bpermute_b32 v13, v51, v12
	v_cmp_le_u32_e32 vcc, v52, v10
	s_waitcnt lgkmcnt(0)
	v_cndmask_b32_e32 v13, 0, v13, vcc
	v_add_u32_e32 v12, v12, v13
	v_mov_b32_e32 v13, 0x80
	v_lshl_or_b32 v81, v37, 2, v13
	ds_bpermute_b32 v13, v81, v12
	v_cmp_le_u32_e32 vcc, v82, v10
	s_waitcnt lgkmcnt(0)
	v_cndmask_b32_e32 v10, 0, v13, vcc
	v_add_u32_e32 v13, v12, v10
	v_mov_b32_e32 v12, 0
	s_branch .LBB303_84
.LBB303_82:                             ;   in Loop: Header=BB303_84 Depth=1
	s_or_b64 exec, exec, s[20:21]
	v_cmp_eq_u16_sdwa s[20:21], v14, v42 src0_sel:BYTE_0 src1_sel:DWORD
	v_and_b32_e32 v19, s21, v16
	v_or_b32_e32 v19, 0x80000000, v19
	v_and_b32_e32 v20, s20, v15
	v_ffbl_b32_e32 v19, v19
	v_add_u32_e32 v19, 32, v19
	v_ffbl_b32_e32 v20, v20
	v_min_u32_e32 v19, v20, v19
	ds_bpermute_b32 v20, v44, v13
	v_cmp_lt_u32_e32 vcc, v43, v19
	v_subrev_u32_e32 v11, 64, v11
	s_mov_b64 s[20:21], 0
	s_waitcnt lgkmcnt(0)
	v_cndmask_b32_e32 v20, 0, v20, vcc
	v_add_u32_e32 v13, v20, v13
	ds_bpermute_b32 v20, v45, v13
	v_cmp_le_u32_e32 vcc, v46, v19
	s_waitcnt lgkmcnt(0)
	v_cndmask_b32_e32 v20, 0, v20, vcc
	v_add_u32_e32 v13, v13, v20
	ds_bpermute_b32 v20, v47, v13
	v_cmp_le_u32_e32 vcc, v48, v19
	;; [unrolled: 5-line block ×5, first 2 shown]
	s_waitcnt lgkmcnt(0)
	v_cndmask_b32_e32 v19, 0, v20, vcc
	v_add3_u32 v13, v19, v10, v13
.LBB303_83:                             ;   in Loop: Header=BB303_84 Depth=1
	s_and_b64 vcc, exec, s[20:21]
	s_cbranch_vccnz .LBB303_90
.LBB303_84:                             ; =>This Loop Header: Depth=1
                                        ;     Child Loop BB303_87 Depth 2
	v_cmp_ne_u16_sdwa s[20:21], v14, v42 src0_sel:BYTE_0 src1_sel:DWORD
	v_mov_b32_e32 v10, v13
	s_cmp_lg_u64 s[20:21], exec
	s_mov_b64 s[20:21], -1
                                        ; implicit-def: $vgpr13
                                        ; implicit-def: $vgpr14
	s_cbranch_scc1 .LBB303_83
; %bb.85:                               ;   in Loop: Header=BB303_84 Depth=1
	v_lshlrev_b64 v[13:14], 3, v[11:12]
	v_mov_b32_e32 v20, s49
	v_add_co_u32_e32 v19, vcc, s48, v13
	v_addc_co_u32_e32 v20, vcc, v20, v14, vcc
	global_load_dwordx2 v[13:14], v[19:20], off glc
	s_waitcnt vmcnt(0)
	v_cmp_eq_u16_sdwa s[22:23], v14, v12 src0_sel:BYTE_0 src1_sel:DWORD
	s_and_saveexec_b64 s[20:21], s[22:23]
	s_cbranch_execz .LBB303_82
; %bb.86:                               ;   in Loop: Header=BB303_84 Depth=1
	s_mov_b64 s[22:23], 0
.LBB303_87:                             ;   Parent Loop BB303_84 Depth=1
                                        ; =>  This Inner Loop Header: Depth=2
	global_load_dwordx2 v[13:14], v[19:20], off glc
	s_waitcnt vmcnt(0)
	v_cmp_ne_u16_sdwa s[24:25], v14, v12 src0_sel:BYTE_0 src1_sel:DWORD
	s_or_b64 s[22:23], s[24:25], s[22:23]
	s_andn2_b64 exec, exec, s[22:23]
	s_cbranch_execnz .LBB303_87
; %bb.88:                               ;   in Loop: Header=BB303_84 Depth=1
	s_or_b64 exec, exec, s[22:23]
	s_branch .LBB303_82
.LBB303_89:
                                        ; implicit-def: $vgpr10
                                        ; implicit-def: $vgpr9
                                        ; implicit-def: $vgpr45
	s_cbranch_execnz .LBB303_95
	s_branch .LBB303_104
.LBB303_90:
	s_and_saveexec_b64 s[20:21], s[16:17]
	s_cbranch_execz .LBB303_92
; %bb.91:
	s_add_i32 s22, s33, 64
	s_mov_b32 s23, 0
	s_lshl_b64 s[22:23], s[22:23], 3
	s_add_u32 s22, s48, s22
	v_add_u32_e32 v11, v10, v9
	v_mov_b32_e32 v12, 2
	s_addc_u32 s23, s49, s23
	v_mov_b32_e32 v13, 0
	global_store_dwordx2 v13, v[11:12], s[22:23]
	ds_write_b64 v13, v[9:10] offset:6912
.LBB303_92:
	s_or_b64 exec, exec, s[20:21]
	s_and_b64 exec, exec, s[0:1]
; %bb.93:
	v_mov_b32_e32 v9, 0
	ds_write_b32 v9, v10 offset:8
.LBB303_94:
	s_or_b64 exec, exec, s[18:19]
	v_mov_b32_e32 v9, 0
	s_waitcnt vmcnt(0) lgkmcnt(0)
	s_barrier
	ds_read_b32 v11, v9 offset:8
	s_waitcnt lgkmcnt(0)
	s_barrier
	ds_read_b64 v[9:10], v9 offset:6912
	v_cndmask_b32_e64 v12, v41, v40, s[16:17]
	v_cndmask_b32_e64 v12, v12, 0, s[0:1]
	v_add_u32_e32 v45, v11, v12
	s_branch .LBB303_104
.LBB303_95:
	s_waitcnt lgkmcnt(0)
	v_mov_b32_dpp v9, v39 row_shr:1 row_mask:0xf bank_mask:0xf
	v_cndmask_b32_e64 v9, v9, 0, s[14:15]
	v_add_u32_e32 v9, v9, v39
	s_nop 1
	v_mov_b32_dpp v10, v9 row_shr:2 row_mask:0xf bank_mask:0xf
	v_cndmask_b32_e64 v10, 0, v10, s[12:13]
	v_add_u32_e32 v9, v9, v10
	s_nop 1
	;; [unrolled: 4-line block ×4, first 2 shown]
	v_mov_b32_dpp v10, v9 row_bcast:15 row_mask:0xf bank_mask:0xf
	v_cndmask_b32_e64 v10, v10, 0, s[4:5]
	v_add_u32_e32 v9, v9, v10
	s_nop 1
	v_mov_b32_dpp v10, v9 row_bcast:31 row_mask:0xf bank_mask:0xf
	v_cndmask_b32_e64 v10, 0, v10, s[2:3]
	v_add_u32_e32 v9, v9, v10
	s_and_saveexec_b64 s[2:3], s[6:7]
; %bb.96:
	v_lshlrev_b32_e32 v10, 2, v38
	ds_write_b32 v10, v9
; %bb.97:
	s_or_b64 exec, exec, s[2:3]
	v_cmp_gt_u32_e32 vcc, 3, v0
	s_waitcnt lgkmcnt(0)
	s_barrier
	s_and_saveexec_b64 s[2:3], vcc
	s_cbranch_execz .LBB303_99
; %bb.98:
	v_lshlrev_b32_e32 v10, 2, v0
	ds_read_b32 v11, v10
	v_and_b32_e32 v12, 3, v37
	v_cmp_ne_u32_e32 vcc, 0, v12
	s_waitcnt lgkmcnt(0)
	v_mov_b32_dpp v13, v11 row_shr:1 row_mask:0xf bank_mask:0xf
	v_cndmask_b32_e32 v13, 0, v13, vcc
	v_add_u32_e32 v11, v13, v11
	v_cmp_lt_u32_e32 vcc, 1, v12
	s_nop 0
	v_mov_b32_dpp v13, v11 row_shr:2 row_mask:0xf bank_mask:0xf
	v_cndmask_b32_e32 v12, 0, v13, vcc
	v_add_u32_e32 v11, v11, v12
	ds_write_b32 v10, v11
.LBB303_99:
	s_or_b64 exec, exec, s[2:3]
	v_cmp_lt_u32_e32 vcc, 63, v0
	v_mov_b32_e32 v10, 0
	v_mov_b32_e32 v11, 0
	s_waitcnt lgkmcnt(0)
	s_barrier
	s_and_saveexec_b64 s[2:3], vcc
; %bb.100:
	v_lshl_add_u32 v11, v38, 2, -4
	ds_read_b32 v11, v11
; %bb.101:
	s_or_b64 exec, exec, s[2:3]
	v_subrev_co_u32_e32 v12, vcc, 1, v37
	v_and_b32_e32 v13, 64, v37
	v_cmp_lt_i32_e64 s[2:3], v12, v13
	v_cndmask_b32_e64 v12, v12, v37, s[2:3]
	s_waitcnt lgkmcnt(0)
	v_add_u32_e32 v9, v11, v9
	v_lshlrev_b32_e32 v12, 2, v12
	ds_bpermute_b32 v12, v12, v9
	ds_read_b32 v9, v10 offset:8
	s_and_saveexec_b64 s[2:3], s[0:1]
	s_cbranch_execz .LBB303_103
; %bb.102:
	v_mov_b32_e32 v13, 0
	v_mov_b32_e32 v10, 2
	s_waitcnt lgkmcnt(0)
	global_store_dwordx2 v13, v[9:10], s[48:49] offset:512
.LBB303_103:
	s_or_b64 exec, exec, s[2:3]
	s_waitcnt lgkmcnt(1)
	v_cndmask_b32_e32 v10, v12, v11, vcc
	v_cndmask_b32_e64 v45, v10, 0, s[0:1]
	s_waitcnt vmcnt(0) lgkmcnt(0)
	s_barrier
	v_mov_b32_e32 v10, 0
.LBB303_104:
	v_add_u32_e32 v51, v45, v27
	v_add_u32_e32 v49, v51, v29
	;; [unrolled: 1-line block ×7, first 2 shown]
	v_add_u32_sdwa v35, v37, v74 dst_sel:DWORD dst_unused:UNUSED_PAD src0_sel:DWORD src1_sel:BYTE_0
	v_add_u32_sdwa v33, v35, v73 dst_sel:DWORD dst_unused:UNUSED_PAD src0_sel:DWORD src1_sel:BYTE_0
	v_add_u32_e32 v31, v33, v21
	v_add_u32_e32 v29, v31, v23
	;; [unrolled: 1-line block ×6, first 2 shown]
	s_movk_i32 s4, 0xc1
	v_add_u32_e32 v19, v21, v30
	s_waitcnt lgkmcnt(0)
	v_cmp_gt_u32_e32 vcc, s4, v9
	v_lshlrev_b64 v[12:13], 1, v[17:18]
	v_add_u32_e32 v14, v19, v32
	s_mov_b64 s[2:3], -1
	v_and_b32_e32 v11, 1, v22
	s_cbranch_vccnz .LBB303_108
; %bb.105:
	s_and_b64 vcc, exec, s[2:3]
	s_cbranch_vccnz .LBB303_145
.LBB303_106:
	s_and_b64 s[0:1], s[0:1], s[42:43]
	s_and_saveexec_b64 s[2:3], s[0:1]
	s_cbranch_execnz .LBB303_184
.LBB303_107:
	s_endpgm
.LBB303_108:
	v_mov_b32_e32 v20, s45
	v_add_co_u32_e32 v16, vcc, s44, v12
	v_add_u32_e32 v15, v10, v9
	v_addc_co_u32_e32 v81, vcc, v20, v13, vcc
	v_cmp_lt_u32_e32 vcc, v45, v15
	s_or_b64 s[2:3], s[46:47], vcc
	v_cmp_eq_u32_e32 vcc, 1, v11
	s_and_b64 s[4:5], s[2:3], vcc
	s_and_saveexec_b64 s[2:3], s[4:5]
	s_cbranch_execz .LBB303_110
; %bb.109:
	v_mov_b32_e32 v46, 0
	v_lshlrev_b64 v[82:83], 1, v[45:46]
	v_add_co_u32_e32 v82, vcc, v16, v82
	v_addc_co_u32_e32 v83, vcc, v81, v83, vcc
	global_store_short v[82:83], v7, off
.LBB303_110:
	s_or_b64 exec, exec, s[2:3]
	v_cmp_lt_u32_e32 vcc, v51, v15
	v_and_b32_e32 v20, 1, v80
	s_or_b64 s[2:3], s[46:47], vcc
	v_cmp_eq_u32_e32 vcc, 1, v20
	s_and_b64 s[4:5], s[2:3], vcc
	s_and_saveexec_b64 s[2:3], s[4:5]
	s_cbranch_execz .LBB303_112
; %bb.111:
	v_mov_b32_e32 v52, 0
	v_lshlrev_b64 v[82:83], 1, v[51:52]
	v_add_co_u32_e32 v82, vcc, v16, v82
	v_addc_co_u32_e32 v83, vcc, v81, v83, vcc
	global_store_short v[82:83], v63, off
.LBB303_112:
	s_or_b64 exec, exec, s[2:3]
	v_cmp_lt_u32_e32 vcc, v49, v15
	v_and_b32_e32 v20, 1, v79
	;; [unrolled: 15-line block ×17, first 2 shown]
	s_or_b64 s[2:3], s[46:47], vcc
	v_cmp_eq_u32_e32 vcc, 1, v15
	s_and_b64 s[4:5], s[2:3], vcc
	s_and_saveexec_b64 s[2:3], s[4:5]
	s_cbranch_execz .LBB303_144
; %bb.143:
	v_mov_b32_e32 v15, 0
	v_lshlrev_b64 v[82:83], 1, v[14:15]
	v_add_co_u32_e32 v15, vcc, v16, v82
	v_addc_co_u32_e32 v16, vcc, v81, v83, vcc
	global_store_short v[15:16], v54, off
.LBB303_144:
	s_or_b64 exec, exec, s[2:3]
	s_branch .LBB303_106
.LBB303_145:
	v_cmp_eq_u32_e32 vcc, 1, v11
	s_and_saveexec_b64 s[2:3], vcc
; %bb.146:
	v_sub_u32_e32 v11, v45, v10
	v_lshlrev_b32_e32 v11, 1, v11
	ds_write_b16 v11, v7
; %bb.147:
	s_or_b64 exec, exec, s[2:3]
	v_and_b32_e32 v7, 1, v80
	v_cmp_eq_u32_e32 vcc, 1, v7
	s_and_saveexec_b64 s[2:3], vcc
; %bb.148:
	v_sub_u32_e32 v7, v51, v10
	v_lshlrev_b32_e32 v7, 1, v7
	ds_write_b16 v7, v63
; %bb.149:
	s_or_b64 exec, exec, s[2:3]
	v_and_b32_e32 v7, 1, v79
	;; [unrolled: 9-line block ×17, first 2 shown]
	v_cmp_eq_u32_e32 vcc, 1, v1
	s_and_saveexec_b64 s[2:3], vcc
; %bb.180:
	v_sub_u32_e32 v1, v14, v10
	v_lshlrev_b32_e32 v1, 1, v1
	ds_write_b16 v1, v54
; %bb.181:
	s_or_b64 exec, exec, s[2:3]
	v_mov_b32_e32 v1, 0
	v_mov_b32_e32 v11, v1
	;; [unrolled: 1-line block ×3, first 2 shown]
	v_add_co_u32_e32 v4, vcc, s44, v12
	v_addc_co_u32_e32 v5, vcc, v2, v13, vcc
	v_lshlrev_b64 v[2:3], 1, v[10:11]
	s_mov_b64 s[4:5], 0
	v_add_co_u32_e32 v2, vcc, v4, v2
	v_addc_co_u32_e32 v3, vcc, v5, v3, vcc
	s_waitcnt vmcnt(0) lgkmcnt(0)
	s_barrier
.LBB303_182:                            ; =>This Inner Loop Header: Depth=1
	ds_read_u16 v6, v53
	v_lshlrev_b64 v[4:5], 1, v[0:1]
	v_add_u32_e32 v0, 0xc0, v0
	v_cmp_ge_u32_e32 vcc, v0, v9
	v_add_co_u32_e64 v4, s[2:3], v2, v4
	v_add_u32_e32 v53, 0x180, v53
	v_addc_co_u32_e64 v5, s[2:3], v3, v5, s[2:3]
	s_or_b64 s[4:5], vcc, s[4:5]
	s_waitcnt lgkmcnt(0)
	global_store_short v[4:5], v6, off
	s_andn2_b64 exec, exec, s[4:5]
	s_cbranch_execnz .LBB303_182
; %bb.183:
	s_or_b64 exec, exec, s[4:5]
	s_and_b64 s[0:1], s[0:1], s[42:43]
	s_and_saveexec_b64 s[2:3], s[0:1]
	s_cbranch_execz .LBB303_107
.LBB303_184:
	v_add_co_u32_e32 v0, vcc, v17, v9
	v_addc_co_u32_e32 v1, vcc, 0, v18, vcc
	v_add_co_u32_e32 v0, vcc, v0, v10
	v_mov_b32_e32 v2, 0
	v_addc_co_u32_e32 v1, vcc, 0, v1, vcc
	global_store_dwordx2 v2, v[0:1], s[40:41]
	s_endpgm
	.section	.rodata,"a",@progbits
	.p2align	6, 0x0
	.amdhsa_kernel _ZN7rocprim17ROCPRIM_400000_NS6detail17trampoline_kernelINS0_14default_configENS1_25partition_config_selectorILNS1_17partition_subalgoE8EtNS0_10empty_typeEbEEZZNS1_14partition_implILS5_8ELb0ES3_jN6thrust23THRUST_200600_302600_NS6detail15normal_iteratorINSA_10device_ptrItEEEEPS6_PKS6_NS0_5tupleIJSF_S6_EEENSJ_IJSG_SG_EEENS0_18inequality_wrapperINSA_8equal_toItEEEEPmJS6_EEE10hipError_tPvRmT3_T4_T5_T6_T7_T9_mT8_P12ihipStream_tbDpT10_ENKUlT_T0_E_clISt17integral_constantIbLb0EES19_IbLb1EEEEDaS15_S16_EUlS15_E_NS1_11comp_targetILNS1_3genE2ELNS1_11target_archE906ELNS1_3gpuE6ELNS1_3repE0EEENS1_30default_config_static_selectorELNS0_4arch9wavefront6targetE1EEEvT1_
		.amdhsa_group_segment_fixed_size 6920
		.amdhsa_private_segment_fixed_size 0
		.amdhsa_kernarg_size 128
		.amdhsa_user_sgpr_count 6
		.amdhsa_user_sgpr_private_segment_buffer 1
		.amdhsa_user_sgpr_dispatch_ptr 0
		.amdhsa_user_sgpr_queue_ptr 0
		.amdhsa_user_sgpr_kernarg_segment_ptr 1
		.amdhsa_user_sgpr_dispatch_id 0
		.amdhsa_user_sgpr_flat_scratch_init 0
		.amdhsa_user_sgpr_private_segment_size 0
		.amdhsa_uses_dynamic_stack 0
		.amdhsa_system_sgpr_private_segment_wavefront_offset 0
		.amdhsa_system_sgpr_workgroup_id_x 1
		.amdhsa_system_sgpr_workgroup_id_y 0
		.amdhsa_system_sgpr_workgroup_id_z 0
		.amdhsa_system_sgpr_workgroup_info 0
		.amdhsa_system_vgpr_workitem_id 0
		.amdhsa_next_free_vgpr 84
		.amdhsa_next_free_sgpr 77
		.amdhsa_reserve_vcc 1
		.amdhsa_reserve_flat_scratch 0
		.amdhsa_float_round_mode_32 0
		.amdhsa_float_round_mode_16_64 0
		.amdhsa_float_denorm_mode_32 3
		.amdhsa_float_denorm_mode_16_64 3
		.amdhsa_dx10_clamp 1
		.amdhsa_ieee_mode 1
		.amdhsa_fp16_overflow 0
		.amdhsa_exception_fp_ieee_invalid_op 0
		.amdhsa_exception_fp_denorm_src 0
		.amdhsa_exception_fp_ieee_div_zero 0
		.amdhsa_exception_fp_ieee_overflow 0
		.amdhsa_exception_fp_ieee_underflow 0
		.amdhsa_exception_fp_ieee_inexact 0
		.amdhsa_exception_int_div_zero 0
	.end_amdhsa_kernel
	.section	.text._ZN7rocprim17ROCPRIM_400000_NS6detail17trampoline_kernelINS0_14default_configENS1_25partition_config_selectorILNS1_17partition_subalgoE8EtNS0_10empty_typeEbEEZZNS1_14partition_implILS5_8ELb0ES3_jN6thrust23THRUST_200600_302600_NS6detail15normal_iteratorINSA_10device_ptrItEEEEPS6_PKS6_NS0_5tupleIJSF_S6_EEENSJ_IJSG_SG_EEENS0_18inequality_wrapperINSA_8equal_toItEEEEPmJS6_EEE10hipError_tPvRmT3_T4_T5_T6_T7_T9_mT8_P12ihipStream_tbDpT10_ENKUlT_T0_E_clISt17integral_constantIbLb0EES19_IbLb1EEEEDaS15_S16_EUlS15_E_NS1_11comp_targetILNS1_3genE2ELNS1_11target_archE906ELNS1_3gpuE6ELNS1_3repE0EEENS1_30default_config_static_selectorELNS0_4arch9wavefront6targetE1EEEvT1_,"axG",@progbits,_ZN7rocprim17ROCPRIM_400000_NS6detail17trampoline_kernelINS0_14default_configENS1_25partition_config_selectorILNS1_17partition_subalgoE8EtNS0_10empty_typeEbEEZZNS1_14partition_implILS5_8ELb0ES3_jN6thrust23THRUST_200600_302600_NS6detail15normal_iteratorINSA_10device_ptrItEEEEPS6_PKS6_NS0_5tupleIJSF_S6_EEENSJ_IJSG_SG_EEENS0_18inequality_wrapperINSA_8equal_toItEEEEPmJS6_EEE10hipError_tPvRmT3_T4_T5_T6_T7_T9_mT8_P12ihipStream_tbDpT10_ENKUlT_T0_E_clISt17integral_constantIbLb0EES19_IbLb1EEEEDaS15_S16_EUlS15_E_NS1_11comp_targetILNS1_3genE2ELNS1_11target_archE906ELNS1_3gpuE6ELNS1_3repE0EEENS1_30default_config_static_selectorELNS0_4arch9wavefront6targetE1EEEvT1_,comdat
.Lfunc_end303:
	.size	_ZN7rocprim17ROCPRIM_400000_NS6detail17trampoline_kernelINS0_14default_configENS1_25partition_config_selectorILNS1_17partition_subalgoE8EtNS0_10empty_typeEbEEZZNS1_14partition_implILS5_8ELb0ES3_jN6thrust23THRUST_200600_302600_NS6detail15normal_iteratorINSA_10device_ptrItEEEEPS6_PKS6_NS0_5tupleIJSF_S6_EEENSJ_IJSG_SG_EEENS0_18inequality_wrapperINSA_8equal_toItEEEEPmJS6_EEE10hipError_tPvRmT3_T4_T5_T6_T7_T9_mT8_P12ihipStream_tbDpT10_ENKUlT_T0_E_clISt17integral_constantIbLb0EES19_IbLb1EEEEDaS15_S16_EUlS15_E_NS1_11comp_targetILNS1_3genE2ELNS1_11target_archE906ELNS1_3gpuE6ELNS1_3repE0EEENS1_30default_config_static_selectorELNS0_4arch9wavefront6targetE1EEEvT1_, .Lfunc_end303-_ZN7rocprim17ROCPRIM_400000_NS6detail17trampoline_kernelINS0_14default_configENS1_25partition_config_selectorILNS1_17partition_subalgoE8EtNS0_10empty_typeEbEEZZNS1_14partition_implILS5_8ELb0ES3_jN6thrust23THRUST_200600_302600_NS6detail15normal_iteratorINSA_10device_ptrItEEEEPS6_PKS6_NS0_5tupleIJSF_S6_EEENSJ_IJSG_SG_EEENS0_18inequality_wrapperINSA_8equal_toItEEEEPmJS6_EEE10hipError_tPvRmT3_T4_T5_T6_T7_T9_mT8_P12ihipStream_tbDpT10_ENKUlT_T0_E_clISt17integral_constantIbLb0EES19_IbLb1EEEEDaS15_S16_EUlS15_E_NS1_11comp_targetILNS1_3genE2ELNS1_11target_archE906ELNS1_3gpuE6ELNS1_3repE0EEENS1_30default_config_static_selectorELNS0_4arch9wavefront6targetE1EEEvT1_
                                        ; -- End function
	.set _ZN7rocprim17ROCPRIM_400000_NS6detail17trampoline_kernelINS0_14default_configENS1_25partition_config_selectorILNS1_17partition_subalgoE8EtNS0_10empty_typeEbEEZZNS1_14partition_implILS5_8ELb0ES3_jN6thrust23THRUST_200600_302600_NS6detail15normal_iteratorINSA_10device_ptrItEEEEPS6_PKS6_NS0_5tupleIJSF_S6_EEENSJ_IJSG_SG_EEENS0_18inequality_wrapperINSA_8equal_toItEEEEPmJS6_EEE10hipError_tPvRmT3_T4_T5_T6_T7_T9_mT8_P12ihipStream_tbDpT10_ENKUlT_T0_E_clISt17integral_constantIbLb0EES19_IbLb1EEEEDaS15_S16_EUlS15_E_NS1_11comp_targetILNS1_3genE2ELNS1_11target_archE906ELNS1_3gpuE6ELNS1_3repE0EEENS1_30default_config_static_selectorELNS0_4arch9wavefront6targetE1EEEvT1_.num_vgpr, 84
	.set _ZN7rocprim17ROCPRIM_400000_NS6detail17trampoline_kernelINS0_14default_configENS1_25partition_config_selectorILNS1_17partition_subalgoE8EtNS0_10empty_typeEbEEZZNS1_14partition_implILS5_8ELb0ES3_jN6thrust23THRUST_200600_302600_NS6detail15normal_iteratorINSA_10device_ptrItEEEEPS6_PKS6_NS0_5tupleIJSF_S6_EEENSJ_IJSG_SG_EEENS0_18inequality_wrapperINSA_8equal_toItEEEEPmJS6_EEE10hipError_tPvRmT3_T4_T5_T6_T7_T9_mT8_P12ihipStream_tbDpT10_ENKUlT_T0_E_clISt17integral_constantIbLb0EES19_IbLb1EEEEDaS15_S16_EUlS15_E_NS1_11comp_targetILNS1_3genE2ELNS1_11target_archE906ELNS1_3gpuE6ELNS1_3repE0EEENS1_30default_config_static_selectorELNS0_4arch9wavefront6targetE1EEEvT1_.num_agpr, 0
	.set _ZN7rocprim17ROCPRIM_400000_NS6detail17trampoline_kernelINS0_14default_configENS1_25partition_config_selectorILNS1_17partition_subalgoE8EtNS0_10empty_typeEbEEZZNS1_14partition_implILS5_8ELb0ES3_jN6thrust23THRUST_200600_302600_NS6detail15normal_iteratorINSA_10device_ptrItEEEEPS6_PKS6_NS0_5tupleIJSF_S6_EEENSJ_IJSG_SG_EEENS0_18inequality_wrapperINSA_8equal_toItEEEEPmJS6_EEE10hipError_tPvRmT3_T4_T5_T6_T7_T9_mT8_P12ihipStream_tbDpT10_ENKUlT_T0_E_clISt17integral_constantIbLb0EES19_IbLb1EEEEDaS15_S16_EUlS15_E_NS1_11comp_targetILNS1_3genE2ELNS1_11target_archE906ELNS1_3gpuE6ELNS1_3repE0EEENS1_30default_config_static_selectorELNS0_4arch9wavefront6targetE1EEEvT1_.numbered_sgpr, 61
	.set _ZN7rocprim17ROCPRIM_400000_NS6detail17trampoline_kernelINS0_14default_configENS1_25partition_config_selectorILNS1_17partition_subalgoE8EtNS0_10empty_typeEbEEZZNS1_14partition_implILS5_8ELb0ES3_jN6thrust23THRUST_200600_302600_NS6detail15normal_iteratorINSA_10device_ptrItEEEEPS6_PKS6_NS0_5tupleIJSF_S6_EEENSJ_IJSG_SG_EEENS0_18inequality_wrapperINSA_8equal_toItEEEEPmJS6_EEE10hipError_tPvRmT3_T4_T5_T6_T7_T9_mT8_P12ihipStream_tbDpT10_ENKUlT_T0_E_clISt17integral_constantIbLb0EES19_IbLb1EEEEDaS15_S16_EUlS15_E_NS1_11comp_targetILNS1_3genE2ELNS1_11target_archE906ELNS1_3gpuE6ELNS1_3repE0EEENS1_30default_config_static_selectorELNS0_4arch9wavefront6targetE1EEEvT1_.num_named_barrier, 0
	.set _ZN7rocprim17ROCPRIM_400000_NS6detail17trampoline_kernelINS0_14default_configENS1_25partition_config_selectorILNS1_17partition_subalgoE8EtNS0_10empty_typeEbEEZZNS1_14partition_implILS5_8ELb0ES3_jN6thrust23THRUST_200600_302600_NS6detail15normal_iteratorINSA_10device_ptrItEEEEPS6_PKS6_NS0_5tupleIJSF_S6_EEENSJ_IJSG_SG_EEENS0_18inequality_wrapperINSA_8equal_toItEEEEPmJS6_EEE10hipError_tPvRmT3_T4_T5_T6_T7_T9_mT8_P12ihipStream_tbDpT10_ENKUlT_T0_E_clISt17integral_constantIbLb0EES19_IbLb1EEEEDaS15_S16_EUlS15_E_NS1_11comp_targetILNS1_3genE2ELNS1_11target_archE906ELNS1_3gpuE6ELNS1_3repE0EEENS1_30default_config_static_selectorELNS0_4arch9wavefront6targetE1EEEvT1_.private_seg_size, 0
	.set _ZN7rocprim17ROCPRIM_400000_NS6detail17trampoline_kernelINS0_14default_configENS1_25partition_config_selectorILNS1_17partition_subalgoE8EtNS0_10empty_typeEbEEZZNS1_14partition_implILS5_8ELb0ES3_jN6thrust23THRUST_200600_302600_NS6detail15normal_iteratorINSA_10device_ptrItEEEEPS6_PKS6_NS0_5tupleIJSF_S6_EEENSJ_IJSG_SG_EEENS0_18inequality_wrapperINSA_8equal_toItEEEEPmJS6_EEE10hipError_tPvRmT3_T4_T5_T6_T7_T9_mT8_P12ihipStream_tbDpT10_ENKUlT_T0_E_clISt17integral_constantIbLb0EES19_IbLb1EEEEDaS15_S16_EUlS15_E_NS1_11comp_targetILNS1_3genE2ELNS1_11target_archE906ELNS1_3gpuE6ELNS1_3repE0EEENS1_30default_config_static_selectorELNS0_4arch9wavefront6targetE1EEEvT1_.uses_vcc, 1
	.set _ZN7rocprim17ROCPRIM_400000_NS6detail17trampoline_kernelINS0_14default_configENS1_25partition_config_selectorILNS1_17partition_subalgoE8EtNS0_10empty_typeEbEEZZNS1_14partition_implILS5_8ELb0ES3_jN6thrust23THRUST_200600_302600_NS6detail15normal_iteratorINSA_10device_ptrItEEEEPS6_PKS6_NS0_5tupleIJSF_S6_EEENSJ_IJSG_SG_EEENS0_18inequality_wrapperINSA_8equal_toItEEEEPmJS6_EEE10hipError_tPvRmT3_T4_T5_T6_T7_T9_mT8_P12ihipStream_tbDpT10_ENKUlT_T0_E_clISt17integral_constantIbLb0EES19_IbLb1EEEEDaS15_S16_EUlS15_E_NS1_11comp_targetILNS1_3genE2ELNS1_11target_archE906ELNS1_3gpuE6ELNS1_3repE0EEENS1_30default_config_static_selectorELNS0_4arch9wavefront6targetE1EEEvT1_.uses_flat_scratch, 0
	.set _ZN7rocprim17ROCPRIM_400000_NS6detail17trampoline_kernelINS0_14default_configENS1_25partition_config_selectorILNS1_17partition_subalgoE8EtNS0_10empty_typeEbEEZZNS1_14partition_implILS5_8ELb0ES3_jN6thrust23THRUST_200600_302600_NS6detail15normal_iteratorINSA_10device_ptrItEEEEPS6_PKS6_NS0_5tupleIJSF_S6_EEENSJ_IJSG_SG_EEENS0_18inequality_wrapperINSA_8equal_toItEEEEPmJS6_EEE10hipError_tPvRmT3_T4_T5_T6_T7_T9_mT8_P12ihipStream_tbDpT10_ENKUlT_T0_E_clISt17integral_constantIbLb0EES19_IbLb1EEEEDaS15_S16_EUlS15_E_NS1_11comp_targetILNS1_3genE2ELNS1_11target_archE906ELNS1_3gpuE6ELNS1_3repE0EEENS1_30default_config_static_selectorELNS0_4arch9wavefront6targetE1EEEvT1_.has_dyn_sized_stack, 0
	.set _ZN7rocprim17ROCPRIM_400000_NS6detail17trampoline_kernelINS0_14default_configENS1_25partition_config_selectorILNS1_17partition_subalgoE8EtNS0_10empty_typeEbEEZZNS1_14partition_implILS5_8ELb0ES3_jN6thrust23THRUST_200600_302600_NS6detail15normal_iteratorINSA_10device_ptrItEEEEPS6_PKS6_NS0_5tupleIJSF_S6_EEENSJ_IJSG_SG_EEENS0_18inequality_wrapperINSA_8equal_toItEEEEPmJS6_EEE10hipError_tPvRmT3_T4_T5_T6_T7_T9_mT8_P12ihipStream_tbDpT10_ENKUlT_T0_E_clISt17integral_constantIbLb0EES19_IbLb1EEEEDaS15_S16_EUlS15_E_NS1_11comp_targetILNS1_3genE2ELNS1_11target_archE906ELNS1_3gpuE6ELNS1_3repE0EEENS1_30default_config_static_selectorELNS0_4arch9wavefront6targetE1EEEvT1_.has_recursion, 0
	.set _ZN7rocprim17ROCPRIM_400000_NS6detail17trampoline_kernelINS0_14default_configENS1_25partition_config_selectorILNS1_17partition_subalgoE8EtNS0_10empty_typeEbEEZZNS1_14partition_implILS5_8ELb0ES3_jN6thrust23THRUST_200600_302600_NS6detail15normal_iteratorINSA_10device_ptrItEEEEPS6_PKS6_NS0_5tupleIJSF_S6_EEENSJ_IJSG_SG_EEENS0_18inequality_wrapperINSA_8equal_toItEEEEPmJS6_EEE10hipError_tPvRmT3_T4_T5_T6_T7_T9_mT8_P12ihipStream_tbDpT10_ENKUlT_T0_E_clISt17integral_constantIbLb0EES19_IbLb1EEEEDaS15_S16_EUlS15_E_NS1_11comp_targetILNS1_3genE2ELNS1_11target_archE906ELNS1_3gpuE6ELNS1_3repE0EEENS1_30default_config_static_selectorELNS0_4arch9wavefront6targetE1EEEvT1_.has_indirect_call, 0
	.section	.AMDGPU.csdata,"",@progbits
; Kernel info:
; codeLenInByte = 8172
; TotalNumSgprs: 65
; NumVgprs: 84
; ScratchSize: 0
; MemoryBound: 0
; FloatMode: 240
; IeeeMode: 1
; LDSByteSize: 6920 bytes/workgroup (compile time only)
; SGPRBlocks: 10
; VGPRBlocks: 20
; NumSGPRsForWavesPerEU: 81
; NumVGPRsForWavesPerEU: 84
; Occupancy: 3
; WaveLimiterHint : 1
; COMPUTE_PGM_RSRC2:SCRATCH_EN: 0
; COMPUTE_PGM_RSRC2:USER_SGPR: 6
; COMPUTE_PGM_RSRC2:TRAP_HANDLER: 0
; COMPUTE_PGM_RSRC2:TGID_X_EN: 1
; COMPUTE_PGM_RSRC2:TGID_Y_EN: 0
; COMPUTE_PGM_RSRC2:TGID_Z_EN: 0
; COMPUTE_PGM_RSRC2:TIDIG_COMP_CNT: 0
	.section	.text._ZN7rocprim17ROCPRIM_400000_NS6detail17trampoline_kernelINS0_14default_configENS1_25partition_config_selectorILNS1_17partition_subalgoE8EtNS0_10empty_typeEbEEZZNS1_14partition_implILS5_8ELb0ES3_jN6thrust23THRUST_200600_302600_NS6detail15normal_iteratorINSA_10device_ptrItEEEEPS6_PKS6_NS0_5tupleIJSF_S6_EEENSJ_IJSG_SG_EEENS0_18inequality_wrapperINSA_8equal_toItEEEEPmJS6_EEE10hipError_tPvRmT3_T4_T5_T6_T7_T9_mT8_P12ihipStream_tbDpT10_ENKUlT_T0_E_clISt17integral_constantIbLb0EES19_IbLb1EEEEDaS15_S16_EUlS15_E_NS1_11comp_targetILNS1_3genE10ELNS1_11target_archE1200ELNS1_3gpuE4ELNS1_3repE0EEENS1_30default_config_static_selectorELNS0_4arch9wavefront6targetE1EEEvT1_,"axG",@progbits,_ZN7rocprim17ROCPRIM_400000_NS6detail17trampoline_kernelINS0_14default_configENS1_25partition_config_selectorILNS1_17partition_subalgoE8EtNS0_10empty_typeEbEEZZNS1_14partition_implILS5_8ELb0ES3_jN6thrust23THRUST_200600_302600_NS6detail15normal_iteratorINSA_10device_ptrItEEEEPS6_PKS6_NS0_5tupleIJSF_S6_EEENSJ_IJSG_SG_EEENS0_18inequality_wrapperINSA_8equal_toItEEEEPmJS6_EEE10hipError_tPvRmT3_T4_T5_T6_T7_T9_mT8_P12ihipStream_tbDpT10_ENKUlT_T0_E_clISt17integral_constantIbLb0EES19_IbLb1EEEEDaS15_S16_EUlS15_E_NS1_11comp_targetILNS1_3genE10ELNS1_11target_archE1200ELNS1_3gpuE4ELNS1_3repE0EEENS1_30default_config_static_selectorELNS0_4arch9wavefront6targetE1EEEvT1_,comdat
	.protected	_ZN7rocprim17ROCPRIM_400000_NS6detail17trampoline_kernelINS0_14default_configENS1_25partition_config_selectorILNS1_17partition_subalgoE8EtNS0_10empty_typeEbEEZZNS1_14partition_implILS5_8ELb0ES3_jN6thrust23THRUST_200600_302600_NS6detail15normal_iteratorINSA_10device_ptrItEEEEPS6_PKS6_NS0_5tupleIJSF_S6_EEENSJ_IJSG_SG_EEENS0_18inequality_wrapperINSA_8equal_toItEEEEPmJS6_EEE10hipError_tPvRmT3_T4_T5_T6_T7_T9_mT8_P12ihipStream_tbDpT10_ENKUlT_T0_E_clISt17integral_constantIbLb0EES19_IbLb1EEEEDaS15_S16_EUlS15_E_NS1_11comp_targetILNS1_3genE10ELNS1_11target_archE1200ELNS1_3gpuE4ELNS1_3repE0EEENS1_30default_config_static_selectorELNS0_4arch9wavefront6targetE1EEEvT1_ ; -- Begin function _ZN7rocprim17ROCPRIM_400000_NS6detail17trampoline_kernelINS0_14default_configENS1_25partition_config_selectorILNS1_17partition_subalgoE8EtNS0_10empty_typeEbEEZZNS1_14partition_implILS5_8ELb0ES3_jN6thrust23THRUST_200600_302600_NS6detail15normal_iteratorINSA_10device_ptrItEEEEPS6_PKS6_NS0_5tupleIJSF_S6_EEENSJ_IJSG_SG_EEENS0_18inequality_wrapperINSA_8equal_toItEEEEPmJS6_EEE10hipError_tPvRmT3_T4_T5_T6_T7_T9_mT8_P12ihipStream_tbDpT10_ENKUlT_T0_E_clISt17integral_constantIbLb0EES19_IbLb1EEEEDaS15_S16_EUlS15_E_NS1_11comp_targetILNS1_3genE10ELNS1_11target_archE1200ELNS1_3gpuE4ELNS1_3repE0EEENS1_30default_config_static_selectorELNS0_4arch9wavefront6targetE1EEEvT1_
	.globl	_ZN7rocprim17ROCPRIM_400000_NS6detail17trampoline_kernelINS0_14default_configENS1_25partition_config_selectorILNS1_17partition_subalgoE8EtNS0_10empty_typeEbEEZZNS1_14partition_implILS5_8ELb0ES3_jN6thrust23THRUST_200600_302600_NS6detail15normal_iteratorINSA_10device_ptrItEEEEPS6_PKS6_NS0_5tupleIJSF_S6_EEENSJ_IJSG_SG_EEENS0_18inequality_wrapperINSA_8equal_toItEEEEPmJS6_EEE10hipError_tPvRmT3_T4_T5_T6_T7_T9_mT8_P12ihipStream_tbDpT10_ENKUlT_T0_E_clISt17integral_constantIbLb0EES19_IbLb1EEEEDaS15_S16_EUlS15_E_NS1_11comp_targetILNS1_3genE10ELNS1_11target_archE1200ELNS1_3gpuE4ELNS1_3repE0EEENS1_30default_config_static_selectorELNS0_4arch9wavefront6targetE1EEEvT1_
	.p2align	8
	.type	_ZN7rocprim17ROCPRIM_400000_NS6detail17trampoline_kernelINS0_14default_configENS1_25partition_config_selectorILNS1_17partition_subalgoE8EtNS0_10empty_typeEbEEZZNS1_14partition_implILS5_8ELb0ES3_jN6thrust23THRUST_200600_302600_NS6detail15normal_iteratorINSA_10device_ptrItEEEEPS6_PKS6_NS0_5tupleIJSF_S6_EEENSJ_IJSG_SG_EEENS0_18inequality_wrapperINSA_8equal_toItEEEEPmJS6_EEE10hipError_tPvRmT3_T4_T5_T6_T7_T9_mT8_P12ihipStream_tbDpT10_ENKUlT_T0_E_clISt17integral_constantIbLb0EES19_IbLb1EEEEDaS15_S16_EUlS15_E_NS1_11comp_targetILNS1_3genE10ELNS1_11target_archE1200ELNS1_3gpuE4ELNS1_3repE0EEENS1_30default_config_static_selectorELNS0_4arch9wavefront6targetE1EEEvT1_,@function
_ZN7rocprim17ROCPRIM_400000_NS6detail17trampoline_kernelINS0_14default_configENS1_25partition_config_selectorILNS1_17partition_subalgoE8EtNS0_10empty_typeEbEEZZNS1_14partition_implILS5_8ELb0ES3_jN6thrust23THRUST_200600_302600_NS6detail15normal_iteratorINSA_10device_ptrItEEEEPS6_PKS6_NS0_5tupleIJSF_S6_EEENSJ_IJSG_SG_EEENS0_18inequality_wrapperINSA_8equal_toItEEEEPmJS6_EEE10hipError_tPvRmT3_T4_T5_T6_T7_T9_mT8_P12ihipStream_tbDpT10_ENKUlT_T0_E_clISt17integral_constantIbLb0EES19_IbLb1EEEEDaS15_S16_EUlS15_E_NS1_11comp_targetILNS1_3genE10ELNS1_11target_archE1200ELNS1_3gpuE4ELNS1_3repE0EEENS1_30default_config_static_selectorELNS0_4arch9wavefront6targetE1EEEvT1_: ; @_ZN7rocprim17ROCPRIM_400000_NS6detail17trampoline_kernelINS0_14default_configENS1_25partition_config_selectorILNS1_17partition_subalgoE8EtNS0_10empty_typeEbEEZZNS1_14partition_implILS5_8ELb0ES3_jN6thrust23THRUST_200600_302600_NS6detail15normal_iteratorINSA_10device_ptrItEEEEPS6_PKS6_NS0_5tupleIJSF_S6_EEENSJ_IJSG_SG_EEENS0_18inequality_wrapperINSA_8equal_toItEEEEPmJS6_EEE10hipError_tPvRmT3_T4_T5_T6_T7_T9_mT8_P12ihipStream_tbDpT10_ENKUlT_T0_E_clISt17integral_constantIbLb0EES19_IbLb1EEEEDaS15_S16_EUlS15_E_NS1_11comp_targetILNS1_3genE10ELNS1_11target_archE1200ELNS1_3gpuE4ELNS1_3repE0EEENS1_30default_config_static_selectorELNS0_4arch9wavefront6targetE1EEEvT1_
; %bb.0:
	.section	.rodata,"a",@progbits
	.p2align	6, 0x0
	.amdhsa_kernel _ZN7rocprim17ROCPRIM_400000_NS6detail17trampoline_kernelINS0_14default_configENS1_25partition_config_selectorILNS1_17partition_subalgoE8EtNS0_10empty_typeEbEEZZNS1_14partition_implILS5_8ELb0ES3_jN6thrust23THRUST_200600_302600_NS6detail15normal_iteratorINSA_10device_ptrItEEEEPS6_PKS6_NS0_5tupleIJSF_S6_EEENSJ_IJSG_SG_EEENS0_18inequality_wrapperINSA_8equal_toItEEEEPmJS6_EEE10hipError_tPvRmT3_T4_T5_T6_T7_T9_mT8_P12ihipStream_tbDpT10_ENKUlT_T0_E_clISt17integral_constantIbLb0EES19_IbLb1EEEEDaS15_S16_EUlS15_E_NS1_11comp_targetILNS1_3genE10ELNS1_11target_archE1200ELNS1_3gpuE4ELNS1_3repE0EEENS1_30default_config_static_selectorELNS0_4arch9wavefront6targetE1EEEvT1_
		.amdhsa_group_segment_fixed_size 0
		.amdhsa_private_segment_fixed_size 0
		.amdhsa_kernarg_size 128
		.amdhsa_user_sgpr_count 6
		.amdhsa_user_sgpr_private_segment_buffer 1
		.amdhsa_user_sgpr_dispatch_ptr 0
		.amdhsa_user_sgpr_queue_ptr 0
		.amdhsa_user_sgpr_kernarg_segment_ptr 1
		.amdhsa_user_sgpr_dispatch_id 0
		.amdhsa_user_sgpr_flat_scratch_init 0
		.amdhsa_user_sgpr_private_segment_size 0
		.amdhsa_uses_dynamic_stack 0
		.amdhsa_system_sgpr_private_segment_wavefront_offset 0
		.amdhsa_system_sgpr_workgroup_id_x 1
		.amdhsa_system_sgpr_workgroup_id_y 0
		.amdhsa_system_sgpr_workgroup_id_z 0
		.amdhsa_system_sgpr_workgroup_info 0
		.amdhsa_system_vgpr_workitem_id 0
		.amdhsa_next_free_vgpr 1
		.amdhsa_next_free_sgpr 0
		.amdhsa_reserve_vcc 0
		.amdhsa_reserve_flat_scratch 0
		.amdhsa_float_round_mode_32 0
		.amdhsa_float_round_mode_16_64 0
		.amdhsa_float_denorm_mode_32 3
		.amdhsa_float_denorm_mode_16_64 3
		.amdhsa_dx10_clamp 1
		.amdhsa_ieee_mode 1
		.amdhsa_fp16_overflow 0
		.amdhsa_exception_fp_ieee_invalid_op 0
		.amdhsa_exception_fp_denorm_src 0
		.amdhsa_exception_fp_ieee_div_zero 0
		.amdhsa_exception_fp_ieee_overflow 0
		.amdhsa_exception_fp_ieee_underflow 0
		.amdhsa_exception_fp_ieee_inexact 0
		.amdhsa_exception_int_div_zero 0
	.end_amdhsa_kernel
	.section	.text._ZN7rocprim17ROCPRIM_400000_NS6detail17trampoline_kernelINS0_14default_configENS1_25partition_config_selectorILNS1_17partition_subalgoE8EtNS0_10empty_typeEbEEZZNS1_14partition_implILS5_8ELb0ES3_jN6thrust23THRUST_200600_302600_NS6detail15normal_iteratorINSA_10device_ptrItEEEEPS6_PKS6_NS0_5tupleIJSF_S6_EEENSJ_IJSG_SG_EEENS0_18inequality_wrapperINSA_8equal_toItEEEEPmJS6_EEE10hipError_tPvRmT3_T4_T5_T6_T7_T9_mT8_P12ihipStream_tbDpT10_ENKUlT_T0_E_clISt17integral_constantIbLb0EES19_IbLb1EEEEDaS15_S16_EUlS15_E_NS1_11comp_targetILNS1_3genE10ELNS1_11target_archE1200ELNS1_3gpuE4ELNS1_3repE0EEENS1_30default_config_static_selectorELNS0_4arch9wavefront6targetE1EEEvT1_,"axG",@progbits,_ZN7rocprim17ROCPRIM_400000_NS6detail17trampoline_kernelINS0_14default_configENS1_25partition_config_selectorILNS1_17partition_subalgoE8EtNS0_10empty_typeEbEEZZNS1_14partition_implILS5_8ELb0ES3_jN6thrust23THRUST_200600_302600_NS6detail15normal_iteratorINSA_10device_ptrItEEEEPS6_PKS6_NS0_5tupleIJSF_S6_EEENSJ_IJSG_SG_EEENS0_18inequality_wrapperINSA_8equal_toItEEEEPmJS6_EEE10hipError_tPvRmT3_T4_T5_T6_T7_T9_mT8_P12ihipStream_tbDpT10_ENKUlT_T0_E_clISt17integral_constantIbLb0EES19_IbLb1EEEEDaS15_S16_EUlS15_E_NS1_11comp_targetILNS1_3genE10ELNS1_11target_archE1200ELNS1_3gpuE4ELNS1_3repE0EEENS1_30default_config_static_selectorELNS0_4arch9wavefront6targetE1EEEvT1_,comdat
.Lfunc_end304:
	.size	_ZN7rocprim17ROCPRIM_400000_NS6detail17trampoline_kernelINS0_14default_configENS1_25partition_config_selectorILNS1_17partition_subalgoE8EtNS0_10empty_typeEbEEZZNS1_14partition_implILS5_8ELb0ES3_jN6thrust23THRUST_200600_302600_NS6detail15normal_iteratorINSA_10device_ptrItEEEEPS6_PKS6_NS0_5tupleIJSF_S6_EEENSJ_IJSG_SG_EEENS0_18inequality_wrapperINSA_8equal_toItEEEEPmJS6_EEE10hipError_tPvRmT3_T4_T5_T6_T7_T9_mT8_P12ihipStream_tbDpT10_ENKUlT_T0_E_clISt17integral_constantIbLb0EES19_IbLb1EEEEDaS15_S16_EUlS15_E_NS1_11comp_targetILNS1_3genE10ELNS1_11target_archE1200ELNS1_3gpuE4ELNS1_3repE0EEENS1_30default_config_static_selectorELNS0_4arch9wavefront6targetE1EEEvT1_, .Lfunc_end304-_ZN7rocprim17ROCPRIM_400000_NS6detail17trampoline_kernelINS0_14default_configENS1_25partition_config_selectorILNS1_17partition_subalgoE8EtNS0_10empty_typeEbEEZZNS1_14partition_implILS5_8ELb0ES3_jN6thrust23THRUST_200600_302600_NS6detail15normal_iteratorINSA_10device_ptrItEEEEPS6_PKS6_NS0_5tupleIJSF_S6_EEENSJ_IJSG_SG_EEENS0_18inequality_wrapperINSA_8equal_toItEEEEPmJS6_EEE10hipError_tPvRmT3_T4_T5_T6_T7_T9_mT8_P12ihipStream_tbDpT10_ENKUlT_T0_E_clISt17integral_constantIbLb0EES19_IbLb1EEEEDaS15_S16_EUlS15_E_NS1_11comp_targetILNS1_3genE10ELNS1_11target_archE1200ELNS1_3gpuE4ELNS1_3repE0EEENS1_30default_config_static_selectorELNS0_4arch9wavefront6targetE1EEEvT1_
                                        ; -- End function
	.set _ZN7rocprim17ROCPRIM_400000_NS6detail17trampoline_kernelINS0_14default_configENS1_25partition_config_selectorILNS1_17partition_subalgoE8EtNS0_10empty_typeEbEEZZNS1_14partition_implILS5_8ELb0ES3_jN6thrust23THRUST_200600_302600_NS6detail15normal_iteratorINSA_10device_ptrItEEEEPS6_PKS6_NS0_5tupleIJSF_S6_EEENSJ_IJSG_SG_EEENS0_18inequality_wrapperINSA_8equal_toItEEEEPmJS6_EEE10hipError_tPvRmT3_T4_T5_T6_T7_T9_mT8_P12ihipStream_tbDpT10_ENKUlT_T0_E_clISt17integral_constantIbLb0EES19_IbLb1EEEEDaS15_S16_EUlS15_E_NS1_11comp_targetILNS1_3genE10ELNS1_11target_archE1200ELNS1_3gpuE4ELNS1_3repE0EEENS1_30default_config_static_selectorELNS0_4arch9wavefront6targetE1EEEvT1_.num_vgpr, 0
	.set _ZN7rocprim17ROCPRIM_400000_NS6detail17trampoline_kernelINS0_14default_configENS1_25partition_config_selectorILNS1_17partition_subalgoE8EtNS0_10empty_typeEbEEZZNS1_14partition_implILS5_8ELb0ES3_jN6thrust23THRUST_200600_302600_NS6detail15normal_iteratorINSA_10device_ptrItEEEEPS6_PKS6_NS0_5tupleIJSF_S6_EEENSJ_IJSG_SG_EEENS0_18inequality_wrapperINSA_8equal_toItEEEEPmJS6_EEE10hipError_tPvRmT3_T4_T5_T6_T7_T9_mT8_P12ihipStream_tbDpT10_ENKUlT_T0_E_clISt17integral_constantIbLb0EES19_IbLb1EEEEDaS15_S16_EUlS15_E_NS1_11comp_targetILNS1_3genE10ELNS1_11target_archE1200ELNS1_3gpuE4ELNS1_3repE0EEENS1_30default_config_static_selectorELNS0_4arch9wavefront6targetE1EEEvT1_.num_agpr, 0
	.set _ZN7rocprim17ROCPRIM_400000_NS6detail17trampoline_kernelINS0_14default_configENS1_25partition_config_selectorILNS1_17partition_subalgoE8EtNS0_10empty_typeEbEEZZNS1_14partition_implILS5_8ELb0ES3_jN6thrust23THRUST_200600_302600_NS6detail15normal_iteratorINSA_10device_ptrItEEEEPS6_PKS6_NS0_5tupleIJSF_S6_EEENSJ_IJSG_SG_EEENS0_18inequality_wrapperINSA_8equal_toItEEEEPmJS6_EEE10hipError_tPvRmT3_T4_T5_T6_T7_T9_mT8_P12ihipStream_tbDpT10_ENKUlT_T0_E_clISt17integral_constantIbLb0EES19_IbLb1EEEEDaS15_S16_EUlS15_E_NS1_11comp_targetILNS1_3genE10ELNS1_11target_archE1200ELNS1_3gpuE4ELNS1_3repE0EEENS1_30default_config_static_selectorELNS0_4arch9wavefront6targetE1EEEvT1_.numbered_sgpr, 0
	.set _ZN7rocprim17ROCPRIM_400000_NS6detail17trampoline_kernelINS0_14default_configENS1_25partition_config_selectorILNS1_17partition_subalgoE8EtNS0_10empty_typeEbEEZZNS1_14partition_implILS5_8ELb0ES3_jN6thrust23THRUST_200600_302600_NS6detail15normal_iteratorINSA_10device_ptrItEEEEPS6_PKS6_NS0_5tupleIJSF_S6_EEENSJ_IJSG_SG_EEENS0_18inequality_wrapperINSA_8equal_toItEEEEPmJS6_EEE10hipError_tPvRmT3_T4_T5_T6_T7_T9_mT8_P12ihipStream_tbDpT10_ENKUlT_T0_E_clISt17integral_constantIbLb0EES19_IbLb1EEEEDaS15_S16_EUlS15_E_NS1_11comp_targetILNS1_3genE10ELNS1_11target_archE1200ELNS1_3gpuE4ELNS1_3repE0EEENS1_30default_config_static_selectorELNS0_4arch9wavefront6targetE1EEEvT1_.num_named_barrier, 0
	.set _ZN7rocprim17ROCPRIM_400000_NS6detail17trampoline_kernelINS0_14default_configENS1_25partition_config_selectorILNS1_17partition_subalgoE8EtNS0_10empty_typeEbEEZZNS1_14partition_implILS5_8ELb0ES3_jN6thrust23THRUST_200600_302600_NS6detail15normal_iteratorINSA_10device_ptrItEEEEPS6_PKS6_NS0_5tupleIJSF_S6_EEENSJ_IJSG_SG_EEENS0_18inequality_wrapperINSA_8equal_toItEEEEPmJS6_EEE10hipError_tPvRmT3_T4_T5_T6_T7_T9_mT8_P12ihipStream_tbDpT10_ENKUlT_T0_E_clISt17integral_constantIbLb0EES19_IbLb1EEEEDaS15_S16_EUlS15_E_NS1_11comp_targetILNS1_3genE10ELNS1_11target_archE1200ELNS1_3gpuE4ELNS1_3repE0EEENS1_30default_config_static_selectorELNS0_4arch9wavefront6targetE1EEEvT1_.private_seg_size, 0
	.set _ZN7rocprim17ROCPRIM_400000_NS6detail17trampoline_kernelINS0_14default_configENS1_25partition_config_selectorILNS1_17partition_subalgoE8EtNS0_10empty_typeEbEEZZNS1_14partition_implILS5_8ELb0ES3_jN6thrust23THRUST_200600_302600_NS6detail15normal_iteratorINSA_10device_ptrItEEEEPS6_PKS6_NS0_5tupleIJSF_S6_EEENSJ_IJSG_SG_EEENS0_18inequality_wrapperINSA_8equal_toItEEEEPmJS6_EEE10hipError_tPvRmT3_T4_T5_T6_T7_T9_mT8_P12ihipStream_tbDpT10_ENKUlT_T0_E_clISt17integral_constantIbLb0EES19_IbLb1EEEEDaS15_S16_EUlS15_E_NS1_11comp_targetILNS1_3genE10ELNS1_11target_archE1200ELNS1_3gpuE4ELNS1_3repE0EEENS1_30default_config_static_selectorELNS0_4arch9wavefront6targetE1EEEvT1_.uses_vcc, 0
	.set _ZN7rocprim17ROCPRIM_400000_NS6detail17trampoline_kernelINS0_14default_configENS1_25partition_config_selectorILNS1_17partition_subalgoE8EtNS0_10empty_typeEbEEZZNS1_14partition_implILS5_8ELb0ES3_jN6thrust23THRUST_200600_302600_NS6detail15normal_iteratorINSA_10device_ptrItEEEEPS6_PKS6_NS0_5tupleIJSF_S6_EEENSJ_IJSG_SG_EEENS0_18inequality_wrapperINSA_8equal_toItEEEEPmJS6_EEE10hipError_tPvRmT3_T4_T5_T6_T7_T9_mT8_P12ihipStream_tbDpT10_ENKUlT_T0_E_clISt17integral_constantIbLb0EES19_IbLb1EEEEDaS15_S16_EUlS15_E_NS1_11comp_targetILNS1_3genE10ELNS1_11target_archE1200ELNS1_3gpuE4ELNS1_3repE0EEENS1_30default_config_static_selectorELNS0_4arch9wavefront6targetE1EEEvT1_.uses_flat_scratch, 0
	.set _ZN7rocprim17ROCPRIM_400000_NS6detail17trampoline_kernelINS0_14default_configENS1_25partition_config_selectorILNS1_17partition_subalgoE8EtNS0_10empty_typeEbEEZZNS1_14partition_implILS5_8ELb0ES3_jN6thrust23THRUST_200600_302600_NS6detail15normal_iteratorINSA_10device_ptrItEEEEPS6_PKS6_NS0_5tupleIJSF_S6_EEENSJ_IJSG_SG_EEENS0_18inequality_wrapperINSA_8equal_toItEEEEPmJS6_EEE10hipError_tPvRmT3_T4_T5_T6_T7_T9_mT8_P12ihipStream_tbDpT10_ENKUlT_T0_E_clISt17integral_constantIbLb0EES19_IbLb1EEEEDaS15_S16_EUlS15_E_NS1_11comp_targetILNS1_3genE10ELNS1_11target_archE1200ELNS1_3gpuE4ELNS1_3repE0EEENS1_30default_config_static_selectorELNS0_4arch9wavefront6targetE1EEEvT1_.has_dyn_sized_stack, 0
	.set _ZN7rocprim17ROCPRIM_400000_NS6detail17trampoline_kernelINS0_14default_configENS1_25partition_config_selectorILNS1_17partition_subalgoE8EtNS0_10empty_typeEbEEZZNS1_14partition_implILS5_8ELb0ES3_jN6thrust23THRUST_200600_302600_NS6detail15normal_iteratorINSA_10device_ptrItEEEEPS6_PKS6_NS0_5tupleIJSF_S6_EEENSJ_IJSG_SG_EEENS0_18inequality_wrapperINSA_8equal_toItEEEEPmJS6_EEE10hipError_tPvRmT3_T4_T5_T6_T7_T9_mT8_P12ihipStream_tbDpT10_ENKUlT_T0_E_clISt17integral_constantIbLb0EES19_IbLb1EEEEDaS15_S16_EUlS15_E_NS1_11comp_targetILNS1_3genE10ELNS1_11target_archE1200ELNS1_3gpuE4ELNS1_3repE0EEENS1_30default_config_static_selectorELNS0_4arch9wavefront6targetE1EEEvT1_.has_recursion, 0
	.set _ZN7rocprim17ROCPRIM_400000_NS6detail17trampoline_kernelINS0_14default_configENS1_25partition_config_selectorILNS1_17partition_subalgoE8EtNS0_10empty_typeEbEEZZNS1_14partition_implILS5_8ELb0ES3_jN6thrust23THRUST_200600_302600_NS6detail15normal_iteratorINSA_10device_ptrItEEEEPS6_PKS6_NS0_5tupleIJSF_S6_EEENSJ_IJSG_SG_EEENS0_18inequality_wrapperINSA_8equal_toItEEEEPmJS6_EEE10hipError_tPvRmT3_T4_T5_T6_T7_T9_mT8_P12ihipStream_tbDpT10_ENKUlT_T0_E_clISt17integral_constantIbLb0EES19_IbLb1EEEEDaS15_S16_EUlS15_E_NS1_11comp_targetILNS1_3genE10ELNS1_11target_archE1200ELNS1_3gpuE4ELNS1_3repE0EEENS1_30default_config_static_selectorELNS0_4arch9wavefront6targetE1EEEvT1_.has_indirect_call, 0
	.section	.AMDGPU.csdata,"",@progbits
; Kernel info:
; codeLenInByte = 0
; TotalNumSgprs: 4
; NumVgprs: 0
; ScratchSize: 0
; MemoryBound: 0
; FloatMode: 240
; IeeeMode: 1
; LDSByteSize: 0 bytes/workgroup (compile time only)
; SGPRBlocks: 0
; VGPRBlocks: 0
; NumSGPRsForWavesPerEU: 4
; NumVGPRsForWavesPerEU: 1
; Occupancy: 10
; WaveLimiterHint : 0
; COMPUTE_PGM_RSRC2:SCRATCH_EN: 0
; COMPUTE_PGM_RSRC2:USER_SGPR: 6
; COMPUTE_PGM_RSRC2:TRAP_HANDLER: 0
; COMPUTE_PGM_RSRC2:TGID_X_EN: 1
; COMPUTE_PGM_RSRC2:TGID_Y_EN: 0
; COMPUTE_PGM_RSRC2:TGID_Z_EN: 0
; COMPUTE_PGM_RSRC2:TIDIG_COMP_CNT: 0
	.section	.text._ZN7rocprim17ROCPRIM_400000_NS6detail17trampoline_kernelINS0_14default_configENS1_25partition_config_selectorILNS1_17partition_subalgoE8EtNS0_10empty_typeEbEEZZNS1_14partition_implILS5_8ELb0ES3_jN6thrust23THRUST_200600_302600_NS6detail15normal_iteratorINSA_10device_ptrItEEEEPS6_PKS6_NS0_5tupleIJSF_S6_EEENSJ_IJSG_SG_EEENS0_18inequality_wrapperINSA_8equal_toItEEEEPmJS6_EEE10hipError_tPvRmT3_T4_T5_T6_T7_T9_mT8_P12ihipStream_tbDpT10_ENKUlT_T0_E_clISt17integral_constantIbLb0EES19_IbLb1EEEEDaS15_S16_EUlS15_E_NS1_11comp_targetILNS1_3genE9ELNS1_11target_archE1100ELNS1_3gpuE3ELNS1_3repE0EEENS1_30default_config_static_selectorELNS0_4arch9wavefront6targetE1EEEvT1_,"axG",@progbits,_ZN7rocprim17ROCPRIM_400000_NS6detail17trampoline_kernelINS0_14default_configENS1_25partition_config_selectorILNS1_17partition_subalgoE8EtNS0_10empty_typeEbEEZZNS1_14partition_implILS5_8ELb0ES3_jN6thrust23THRUST_200600_302600_NS6detail15normal_iteratorINSA_10device_ptrItEEEEPS6_PKS6_NS0_5tupleIJSF_S6_EEENSJ_IJSG_SG_EEENS0_18inequality_wrapperINSA_8equal_toItEEEEPmJS6_EEE10hipError_tPvRmT3_T4_T5_T6_T7_T9_mT8_P12ihipStream_tbDpT10_ENKUlT_T0_E_clISt17integral_constantIbLb0EES19_IbLb1EEEEDaS15_S16_EUlS15_E_NS1_11comp_targetILNS1_3genE9ELNS1_11target_archE1100ELNS1_3gpuE3ELNS1_3repE0EEENS1_30default_config_static_selectorELNS0_4arch9wavefront6targetE1EEEvT1_,comdat
	.protected	_ZN7rocprim17ROCPRIM_400000_NS6detail17trampoline_kernelINS0_14default_configENS1_25partition_config_selectorILNS1_17partition_subalgoE8EtNS0_10empty_typeEbEEZZNS1_14partition_implILS5_8ELb0ES3_jN6thrust23THRUST_200600_302600_NS6detail15normal_iteratorINSA_10device_ptrItEEEEPS6_PKS6_NS0_5tupleIJSF_S6_EEENSJ_IJSG_SG_EEENS0_18inequality_wrapperINSA_8equal_toItEEEEPmJS6_EEE10hipError_tPvRmT3_T4_T5_T6_T7_T9_mT8_P12ihipStream_tbDpT10_ENKUlT_T0_E_clISt17integral_constantIbLb0EES19_IbLb1EEEEDaS15_S16_EUlS15_E_NS1_11comp_targetILNS1_3genE9ELNS1_11target_archE1100ELNS1_3gpuE3ELNS1_3repE0EEENS1_30default_config_static_selectorELNS0_4arch9wavefront6targetE1EEEvT1_ ; -- Begin function _ZN7rocprim17ROCPRIM_400000_NS6detail17trampoline_kernelINS0_14default_configENS1_25partition_config_selectorILNS1_17partition_subalgoE8EtNS0_10empty_typeEbEEZZNS1_14partition_implILS5_8ELb0ES3_jN6thrust23THRUST_200600_302600_NS6detail15normal_iteratorINSA_10device_ptrItEEEEPS6_PKS6_NS0_5tupleIJSF_S6_EEENSJ_IJSG_SG_EEENS0_18inequality_wrapperINSA_8equal_toItEEEEPmJS6_EEE10hipError_tPvRmT3_T4_T5_T6_T7_T9_mT8_P12ihipStream_tbDpT10_ENKUlT_T0_E_clISt17integral_constantIbLb0EES19_IbLb1EEEEDaS15_S16_EUlS15_E_NS1_11comp_targetILNS1_3genE9ELNS1_11target_archE1100ELNS1_3gpuE3ELNS1_3repE0EEENS1_30default_config_static_selectorELNS0_4arch9wavefront6targetE1EEEvT1_
	.globl	_ZN7rocprim17ROCPRIM_400000_NS6detail17trampoline_kernelINS0_14default_configENS1_25partition_config_selectorILNS1_17partition_subalgoE8EtNS0_10empty_typeEbEEZZNS1_14partition_implILS5_8ELb0ES3_jN6thrust23THRUST_200600_302600_NS6detail15normal_iteratorINSA_10device_ptrItEEEEPS6_PKS6_NS0_5tupleIJSF_S6_EEENSJ_IJSG_SG_EEENS0_18inequality_wrapperINSA_8equal_toItEEEEPmJS6_EEE10hipError_tPvRmT3_T4_T5_T6_T7_T9_mT8_P12ihipStream_tbDpT10_ENKUlT_T0_E_clISt17integral_constantIbLb0EES19_IbLb1EEEEDaS15_S16_EUlS15_E_NS1_11comp_targetILNS1_3genE9ELNS1_11target_archE1100ELNS1_3gpuE3ELNS1_3repE0EEENS1_30default_config_static_selectorELNS0_4arch9wavefront6targetE1EEEvT1_
	.p2align	8
	.type	_ZN7rocprim17ROCPRIM_400000_NS6detail17trampoline_kernelINS0_14default_configENS1_25partition_config_selectorILNS1_17partition_subalgoE8EtNS0_10empty_typeEbEEZZNS1_14partition_implILS5_8ELb0ES3_jN6thrust23THRUST_200600_302600_NS6detail15normal_iteratorINSA_10device_ptrItEEEEPS6_PKS6_NS0_5tupleIJSF_S6_EEENSJ_IJSG_SG_EEENS0_18inequality_wrapperINSA_8equal_toItEEEEPmJS6_EEE10hipError_tPvRmT3_T4_T5_T6_T7_T9_mT8_P12ihipStream_tbDpT10_ENKUlT_T0_E_clISt17integral_constantIbLb0EES19_IbLb1EEEEDaS15_S16_EUlS15_E_NS1_11comp_targetILNS1_3genE9ELNS1_11target_archE1100ELNS1_3gpuE3ELNS1_3repE0EEENS1_30default_config_static_selectorELNS0_4arch9wavefront6targetE1EEEvT1_,@function
_ZN7rocprim17ROCPRIM_400000_NS6detail17trampoline_kernelINS0_14default_configENS1_25partition_config_selectorILNS1_17partition_subalgoE8EtNS0_10empty_typeEbEEZZNS1_14partition_implILS5_8ELb0ES3_jN6thrust23THRUST_200600_302600_NS6detail15normal_iteratorINSA_10device_ptrItEEEEPS6_PKS6_NS0_5tupleIJSF_S6_EEENSJ_IJSG_SG_EEENS0_18inequality_wrapperINSA_8equal_toItEEEEPmJS6_EEE10hipError_tPvRmT3_T4_T5_T6_T7_T9_mT8_P12ihipStream_tbDpT10_ENKUlT_T0_E_clISt17integral_constantIbLb0EES19_IbLb1EEEEDaS15_S16_EUlS15_E_NS1_11comp_targetILNS1_3genE9ELNS1_11target_archE1100ELNS1_3gpuE3ELNS1_3repE0EEENS1_30default_config_static_selectorELNS0_4arch9wavefront6targetE1EEEvT1_: ; @_ZN7rocprim17ROCPRIM_400000_NS6detail17trampoline_kernelINS0_14default_configENS1_25partition_config_selectorILNS1_17partition_subalgoE8EtNS0_10empty_typeEbEEZZNS1_14partition_implILS5_8ELb0ES3_jN6thrust23THRUST_200600_302600_NS6detail15normal_iteratorINSA_10device_ptrItEEEEPS6_PKS6_NS0_5tupleIJSF_S6_EEENSJ_IJSG_SG_EEENS0_18inequality_wrapperINSA_8equal_toItEEEEPmJS6_EEE10hipError_tPvRmT3_T4_T5_T6_T7_T9_mT8_P12ihipStream_tbDpT10_ENKUlT_T0_E_clISt17integral_constantIbLb0EES19_IbLb1EEEEDaS15_S16_EUlS15_E_NS1_11comp_targetILNS1_3genE9ELNS1_11target_archE1100ELNS1_3gpuE3ELNS1_3repE0EEENS1_30default_config_static_selectorELNS0_4arch9wavefront6targetE1EEEvT1_
; %bb.0:
	.section	.rodata,"a",@progbits
	.p2align	6, 0x0
	.amdhsa_kernel _ZN7rocprim17ROCPRIM_400000_NS6detail17trampoline_kernelINS0_14default_configENS1_25partition_config_selectorILNS1_17partition_subalgoE8EtNS0_10empty_typeEbEEZZNS1_14partition_implILS5_8ELb0ES3_jN6thrust23THRUST_200600_302600_NS6detail15normal_iteratorINSA_10device_ptrItEEEEPS6_PKS6_NS0_5tupleIJSF_S6_EEENSJ_IJSG_SG_EEENS0_18inequality_wrapperINSA_8equal_toItEEEEPmJS6_EEE10hipError_tPvRmT3_T4_T5_T6_T7_T9_mT8_P12ihipStream_tbDpT10_ENKUlT_T0_E_clISt17integral_constantIbLb0EES19_IbLb1EEEEDaS15_S16_EUlS15_E_NS1_11comp_targetILNS1_3genE9ELNS1_11target_archE1100ELNS1_3gpuE3ELNS1_3repE0EEENS1_30default_config_static_selectorELNS0_4arch9wavefront6targetE1EEEvT1_
		.amdhsa_group_segment_fixed_size 0
		.amdhsa_private_segment_fixed_size 0
		.amdhsa_kernarg_size 128
		.amdhsa_user_sgpr_count 6
		.amdhsa_user_sgpr_private_segment_buffer 1
		.amdhsa_user_sgpr_dispatch_ptr 0
		.amdhsa_user_sgpr_queue_ptr 0
		.amdhsa_user_sgpr_kernarg_segment_ptr 1
		.amdhsa_user_sgpr_dispatch_id 0
		.amdhsa_user_sgpr_flat_scratch_init 0
		.amdhsa_user_sgpr_private_segment_size 0
		.amdhsa_uses_dynamic_stack 0
		.amdhsa_system_sgpr_private_segment_wavefront_offset 0
		.amdhsa_system_sgpr_workgroup_id_x 1
		.amdhsa_system_sgpr_workgroup_id_y 0
		.amdhsa_system_sgpr_workgroup_id_z 0
		.amdhsa_system_sgpr_workgroup_info 0
		.amdhsa_system_vgpr_workitem_id 0
		.amdhsa_next_free_vgpr 1
		.amdhsa_next_free_sgpr 0
		.amdhsa_reserve_vcc 0
		.amdhsa_reserve_flat_scratch 0
		.amdhsa_float_round_mode_32 0
		.amdhsa_float_round_mode_16_64 0
		.amdhsa_float_denorm_mode_32 3
		.amdhsa_float_denorm_mode_16_64 3
		.amdhsa_dx10_clamp 1
		.amdhsa_ieee_mode 1
		.amdhsa_fp16_overflow 0
		.amdhsa_exception_fp_ieee_invalid_op 0
		.amdhsa_exception_fp_denorm_src 0
		.amdhsa_exception_fp_ieee_div_zero 0
		.amdhsa_exception_fp_ieee_overflow 0
		.amdhsa_exception_fp_ieee_underflow 0
		.amdhsa_exception_fp_ieee_inexact 0
		.amdhsa_exception_int_div_zero 0
	.end_amdhsa_kernel
	.section	.text._ZN7rocprim17ROCPRIM_400000_NS6detail17trampoline_kernelINS0_14default_configENS1_25partition_config_selectorILNS1_17partition_subalgoE8EtNS0_10empty_typeEbEEZZNS1_14partition_implILS5_8ELb0ES3_jN6thrust23THRUST_200600_302600_NS6detail15normal_iteratorINSA_10device_ptrItEEEEPS6_PKS6_NS0_5tupleIJSF_S6_EEENSJ_IJSG_SG_EEENS0_18inequality_wrapperINSA_8equal_toItEEEEPmJS6_EEE10hipError_tPvRmT3_T4_T5_T6_T7_T9_mT8_P12ihipStream_tbDpT10_ENKUlT_T0_E_clISt17integral_constantIbLb0EES19_IbLb1EEEEDaS15_S16_EUlS15_E_NS1_11comp_targetILNS1_3genE9ELNS1_11target_archE1100ELNS1_3gpuE3ELNS1_3repE0EEENS1_30default_config_static_selectorELNS0_4arch9wavefront6targetE1EEEvT1_,"axG",@progbits,_ZN7rocprim17ROCPRIM_400000_NS6detail17trampoline_kernelINS0_14default_configENS1_25partition_config_selectorILNS1_17partition_subalgoE8EtNS0_10empty_typeEbEEZZNS1_14partition_implILS5_8ELb0ES3_jN6thrust23THRUST_200600_302600_NS6detail15normal_iteratorINSA_10device_ptrItEEEEPS6_PKS6_NS0_5tupleIJSF_S6_EEENSJ_IJSG_SG_EEENS0_18inequality_wrapperINSA_8equal_toItEEEEPmJS6_EEE10hipError_tPvRmT3_T4_T5_T6_T7_T9_mT8_P12ihipStream_tbDpT10_ENKUlT_T0_E_clISt17integral_constantIbLb0EES19_IbLb1EEEEDaS15_S16_EUlS15_E_NS1_11comp_targetILNS1_3genE9ELNS1_11target_archE1100ELNS1_3gpuE3ELNS1_3repE0EEENS1_30default_config_static_selectorELNS0_4arch9wavefront6targetE1EEEvT1_,comdat
.Lfunc_end305:
	.size	_ZN7rocprim17ROCPRIM_400000_NS6detail17trampoline_kernelINS0_14default_configENS1_25partition_config_selectorILNS1_17partition_subalgoE8EtNS0_10empty_typeEbEEZZNS1_14partition_implILS5_8ELb0ES3_jN6thrust23THRUST_200600_302600_NS6detail15normal_iteratorINSA_10device_ptrItEEEEPS6_PKS6_NS0_5tupleIJSF_S6_EEENSJ_IJSG_SG_EEENS0_18inequality_wrapperINSA_8equal_toItEEEEPmJS6_EEE10hipError_tPvRmT3_T4_T5_T6_T7_T9_mT8_P12ihipStream_tbDpT10_ENKUlT_T0_E_clISt17integral_constantIbLb0EES19_IbLb1EEEEDaS15_S16_EUlS15_E_NS1_11comp_targetILNS1_3genE9ELNS1_11target_archE1100ELNS1_3gpuE3ELNS1_3repE0EEENS1_30default_config_static_selectorELNS0_4arch9wavefront6targetE1EEEvT1_, .Lfunc_end305-_ZN7rocprim17ROCPRIM_400000_NS6detail17trampoline_kernelINS0_14default_configENS1_25partition_config_selectorILNS1_17partition_subalgoE8EtNS0_10empty_typeEbEEZZNS1_14partition_implILS5_8ELb0ES3_jN6thrust23THRUST_200600_302600_NS6detail15normal_iteratorINSA_10device_ptrItEEEEPS6_PKS6_NS0_5tupleIJSF_S6_EEENSJ_IJSG_SG_EEENS0_18inequality_wrapperINSA_8equal_toItEEEEPmJS6_EEE10hipError_tPvRmT3_T4_T5_T6_T7_T9_mT8_P12ihipStream_tbDpT10_ENKUlT_T0_E_clISt17integral_constantIbLb0EES19_IbLb1EEEEDaS15_S16_EUlS15_E_NS1_11comp_targetILNS1_3genE9ELNS1_11target_archE1100ELNS1_3gpuE3ELNS1_3repE0EEENS1_30default_config_static_selectorELNS0_4arch9wavefront6targetE1EEEvT1_
                                        ; -- End function
	.set _ZN7rocprim17ROCPRIM_400000_NS6detail17trampoline_kernelINS0_14default_configENS1_25partition_config_selectorILNS1_17partition_subalgoE8EtNS0_10empty_typeEbEEZZNS1_14partition_implILS5_8ELb0ES3_jN6thrust23THRUST_200600_302600_NS6detail15normal_iteratorINSA_10device_ptrItEEEEPS6_PKS6_NS0_5tupleIJSF_S6_EEENSJ_IJSG_SG_EEENS0_18inequality_wrapperINSA_8equal_toItEEEEPmJS6_EEE10hipError_tPvRmT3_T4_T5_T6_T7_T9_mT8_P12ihipStream_tbDpT10_ENKUlT_T0_E_clISt17integral_constantIbLb0EES19_IbLb1EEEEDaS15_S16_EUlS15_E_NS1_11comp_targetILNS1_3genE9ELNS1_11target_archE1100ELNS1_3gpuE3ELNS1_3repE0EEENS1_30default_config_static_selectorELNS0_4arch9wavefront6targetE1EEEvT1_.num_vgpr, 0
	.set _ZN7rocprim17ROCPRIM_400000_NS6detail17trampoline_kernelINS0_14default_configENS1_25partition_config_selectorILNS1_17partition_subalgoE8EtNS0_10empty_typeEbEEZZNS1_14partition_implILS5_8ELb0ES3_jN6thrust23THRUST_200600_302600_NS6detail15normal_iteratorINSA_10device_ptrItEEEEPS6_PKS6_NS0_5tupleIJSF_S6_EEENSJ_IJSG_SG_EEENS0_18inequality_wrapperINSA_8equal_toItEEEEPmJS6_EEE10hipError_tPvRmT3_T4_T5_T6_T7_T9_mT8_P12ihipStream_tbDpT10_ENKUlT_T0_E_clISt17integral_constantIbLb0EES19_IbLb1EEEEDaS15_S16_EUlS15_E_NS1_11comp_targetILNS1_3genE9ELNS1_11target_archE1100ELNS1_3gpuE3ELNS1_3repE0EEENS1_30default_config_static_selectorELNS0_4arch9wavefront6targetE1EEEvT1_.num_agpr, 0
	.set _ZN7rocprim17ROCPRIM_400000_NS6detail17trampoline_kernelINS0_14default_configENS1_25partition_config_selectorILNS1_17partition_subalgoE8EtNS0_10empty_typeEbEEZZNS1_14partition_implILS5_8ELb0ES3_jN6thrust23THRUST_200600_302600_NS6detail15normal_iteratorINSA_10device_ptrItEEEEPS6_PKS6_NS0_5tupleIJSF_S6_EEENSJ_IJSG_SG_EEENS0_18inequality_wrapperINSA_8equal_toItEEEEPmJS6_EEE10hipError_tPvRmT3_T4_T5_T6_T7_T9_mT8_P12ihipStream_tbDpT10_ENKUlT_T0_E_clISt17integral_constantIbLb0EES19_IbLb1EEEEDaS15_S16_EUlS15_E_NS1_11comp_targetILNS1_3genE9ELNS1_11target_archE1100ELNS1_3gpuE3ELNS1_3repE0EEENS1_30default_config_static_selectorELNS0_4arch9wavefront6targetE1EEEvT1_.numbered_sgpr, 0
	.set _ZN7rocprim17ROCPRIM_400000_NS6detail17trampoline_kernelINS0_14default_configENS1_25partition_config_selectorILNS1_17partition_subalgoE8EtNS0_10empty_typeEbEEZZNS1_14partition_implILS5_8ELb0ES3_jN6thrust23THRUST_200600_302600_NS6detail15normal_iteratorINSA_10device_ptrItEEEEPS6_PKS6_NS0_5tupleIJSF_S6_EEENSJ_IJSG_SG_EEENS0_18inequality_wrapperINSA_8equal_toItEEEEPmJS6_EEE10hipError_tPvRmT3_T4_T5_T6_T7_T9_mT8_P12ihipStream_tbDpT10_ENKUlT_T0_E_clISt17integral_constantIbLb0EES19_IbLb1EEEEDaS15_S16_EUlS15_E_NS1_11comp_targetILNS1_3genE9ELNS1_11target_archE1100ELNS1_3gpuE3ELNS1_3repE0EEENS1_30default_config_static_selectorELNS0_4arch9wavefront6targetE1EEEvT1_.num_named_barrier, 0
	.set _ZN7rocprim17ROCPRIM_400000_NS6detail17trampoline_kernelINS0_14default_configENS1_25partition_config_selectorILNS1_17partition_subalgoE8EtNS0_10empty_typeEbEEZZNS1_14partition_implILS5_8ELb0ES3_jN6thrust23THRUST_200600_302600_NS6detail15normal_iteratorINSA_10device_ptrItEEEEPS6_PKS6_NS0_5tupleIJSF_S6_EEENSJ_IJSG_SG_EEENS0_18inequality_wrapperINSA_8equal_toItEEEEPmJS6_EEE10hipError_tPvRmT3_T4_T5_T6_T7_T9_mT8_P12ihipStream_tbDpT10_ENKUlT_T0_E_clISt17integral_constantIbLb0EES19_IbLb1EEEEDaS15_S16_EUlS15_E_NS1_11comp_targetILNS1_3genE9ELNS1_11target_archE1100ELNS1_3gpuE3ELNS1_3repE0EEENS1_30default_config_static_selectorELNS0_4arch9wavefront6targetE1EEEvT1_.private_seg_size, 0
	.set _ZN7rocprim17ROCPRIM_400000_NS6detail17trampoline_kernelINS0_14default_configENS1_25partition_config_selectorILNS1_17partition_subalgoE8EtNS0_10empty_typeEbEEZZNS1_14partition_implILS5_8ELb0ES3_jN6thrust23THRUST_200600_302600_NS6detail15normal_iteratorINSA_10device_ptrItEEEEPS6_PKS6_NS0_5tupleIJSF_S6_EEENSJ_IJSG_SG_EEENS0_18inequality_wrapperINSA_8equal_toItEEEEPmJS6_EEE10hipError_tPvRmT3_T4_T5_T6_T7_T9_mT8_P12ihipStream_tbDpT10_ENKUlT_T0_E_clISt17integral_constantIbLb0EES19_IbLb1EEEEDaS15_S16_EUlS15_E_NS1_11comp_targetILNS1_3genE9ELNS1_11target_archE1100ELNS1_3gpuE3ELNS1_3repE0EEENS1_30default_config_static_selectorELNS0_4arch9wavefront6targetE1EEEvT1_.uses_vcc, 0
	.set _ZN7rocprim17ROCPRIM_400000_NS6detail17trampoline_kernelINS0_14default_configENS1_25partition_config_selectorILNS1_17partition_subalgoE8EtNS0_10empty_typeEbEEZZNS1_14partition_implILS5_8ELb0ES3_jN6thrust23THRUST_200600_302600_NS6detail15normal_iteratorINSA_10device_ptrItEEEEPS6_PKS6_NS0_5tupleIJSF_S6_EEENSJ_IJSG_SG_EEENS0_18inequality_wrapperINSA_8equal_toItEEEEPmJS6_EEE10hipError_tPvRmT3_T4_T5_T6_T7_T9_mT8_P12ihipStream_tbDpT10_ENKUlT_T0_E_clISt17integral_constantIbLb0EES19_IbLb1EEEEDaS15_S16_EUlS15_E_NS1_11comp_targetILNS1_3genE9ELNS1_11target_archE1100ELNS1_3gpuE3ELNS1_3repE0EEENS1_30default_config_static_selectorELNS0_4arch9wavefront6targetE1EEEvT1_.uses_flat_scratch, 0
	.set _ZN7rocprim17ROCPRIM_400000_NS6detail17trampoline_kernelINS0_14default_configENS1_25partition_config_selectorILNS1_17partition_subalgoE8EtNS0_10empty_typeEbEEZZNS1_14partition_implILS5_8ELb0ES3_jN6thrust23THRUST_200600_302600_NS6detail15normal_iteratorINSA_10device_ptrItEEEEPS6_PKS6_NS0_5tupleIJSF_S6_EEENSJ_IJSG_SG_EEENS0_18inequality_wrapperINSA_8equal_toItEEEEPmJS6_EEE10hipError_tPvRmT3_T4_T5_T6_T7_T9_mT8_P12ihipStream_tbDpT10_ENKUlT_T0_E_clISt17integral_constantIbLb0EES19_IbLb1EEEEDaS15_S16_EUlS15_E_NS1_11comp_targetILNS1_3genE9ELNS1_11target_archE1100ELNS1_3gpuE3ELNS1_3repE0EEENS1_30default_config_static_selectorELNS0_4arch9wavefront6targetE1EEEvT1_.has_dyn_sized_stack, 0
	.set _ZN7rocprim17ROCPRIM_400000_NS6detail17trampoline_kernelINS0_14default_configENS1_25partition_config_selectorILNS1_17partition_subalgoE8EtNS0_10empty_typeEbEEZZNS1_14partition_implILS5_8ELb0ES3_jN6thrust23THRUST_200600_302600_NS6detail15normal_iteratorINSA_10device_ptrItEEEEPS6_PKS6_NS0_5tupleIJSF_S6_EEENSJ_IJSG_SG_EEENS0_18inequality_wrapperINSA_8equal_toItEEEEPmJS6_EEE10hipError_tPvRmT3_T4_T5_T6_T7_T9_mT8_P12ihipStream_tbDpT10_ENKUlT_T0_E_clISt17integral_constantIbLb0EES19_IbLb1EEEEDaS15_S16_EUlS15_E_NS1_11comp_targetILNS1_3genE9ELNS1_11target_archE1100ELNS1_3gpuE3ELNS1_3repE0EEENS1_30default_config_static_selectorELNS0_4arch9wavefront6targetE1EEEvT1_.has_recursion, 0
	.set _ZN7rocprim17ROCPRIM_400000_NS6detail17trampoline_kernelINS0_14default_configENS1_25partition_config_selectorILNS1_17partition_subalgoE8EtNS0_10empty_typeEbEEZZNS1_14partition_implILS5_8ELb0ES3_jN6thrust23THRUST_200600_302600_NS6detail15normal_iteratorINSA_10device_ptrItEEEEPS6_PKS6_NS0_5tupleIJSF_S6_EEENSJ_IJSG_SG_EEENS0_18inequality_wrapperINSA_8equal_toItEEEEPmJS6_EEE10hipError_tPvRmT3_T4_T5_T6_T7_T9_mT8_P12ihipStream_tbDpT10_ENKUlT_T0_E_clISt17integral_constantIbLb0EES19_IbLb1EEEEDaS15_S16_EUlS15_E_NS1_11comp_targetILNS1_3genE9ELNS1_11target_archE1100ELNS1_3gpuE3ELNS1_3repE0EEENS1_30default_config_static_selectorELNS0_4arch9wavefront6targetE1EEEvT1_.has_indirect_call, 0
	.section	.AMDGPU.csdata,"",@progbits
; Kernel info:
; codeLenInByte = 0
; TotalNumSgprs: 4
; NumVgprs: 0
; ScratchSize: 0
; MemoryBound: 0
; FloatMode: 240
; IeeeMode: 1
; LDSByteSize: 0 bytes/workgroup (compile time only)
; SGPRBlocks: 0
; VGPRBlocks: 0
; NumSGPRsForWavesPerEU: 4
; NumVGPRsForWavesPerEU: 1
; Occupancy: 10
; WaveLimiterHint : 0
; COMPUTE_PGM_RSRC2:SCRATCH_EN: 0
; COMPUTE_PGM_RSRC2:USER_SGPR: 6
; COMPUTE_PGM_RSRC2:TRAP_HANDLER: 0
; COMPUTE_PGM_RSRC2:TGID_X_EN: 1
; COMPUTE_PGM_RSRC2:TGID_Y_EN: 0
; COMPUTE_PGM_RSRC2:TGID_Z_EN: 0
; COMPUTE_PGM_RSRC2:TIDIG_COMP_CNT: 0
	.section	.text._ZN7rocprim17ROCPRIM_400000_NS6detail17trampoline_kernelINS0_14default_configENS1_25partition_config_selectorILNS1_17partition_subalgoE8EtNS0_10empty_typeEbEEZZNS1_14partition_implILS5_8ELb0ES3_jN6thrust23THRUST_200600_302600_NS6detail15normal_iteratorINSA_10device_ptrItEEEEPS6_PKS6_NS0_5tupleIJSF_S6_EEENSJ_IJSG_SG_EEENS0_18inequality_wrapperINSA_8equal_toItEEEEPmJS6_EEE10hipError_tPvRmT3_T4_T5_T6_T7_T9_mT8_P12ihipStream_tbDpT10_ENKUlT_T0_E_clISt17integral_constantIbLb0EES19_IbLb1EEEEDaS15_S16_EUlS15_E_NS1_11comp_targetILNS1_3genE8ELNS1_11target_archE1030ELNS1_3gpuE2ELNS1_3repE0EEENS1_30default_config_static_selectorELNS0_4arch9wavefront6targetE1EEEvT1_,"axG",@progbits,_ZN7rocprim17ROCPRIM_400000_NS6detail17trampoline_kernelINS0_14default_configENS1_25partition_config_selectorILNS1_17partition_subalgoE8EtNS0_10empty_typeEbEEZZNS1_14partition_implILS5_8ELb0ES3_jN6thrust23THRUST_200600_302600_NS6detail15normal_iteratorINSA_10device_ptrItEEEEPS6_PKS6_NS0_5tupleIJSF_S6_EEENSJ_IJSG_SG_EEENS0_18inequality_wrapperINSA_8equal_toItEEEEPmJS6_EEE10hipError_tPvRmT3_T4_T5_T6_T7_T9_mT8_P12ihipStream_tbDpT10_ENKUlT_T0_E_clISt17integral_constantIbLb0EES19_IbLb1EEEEDaS15_S16_EUlS15_E_NS1_11comp_targetILNS1_3genE8ELNS1_11target_archE1030ELNS1_3gpuE2ELNS1_3repE0EEENS1_30default_config_static_selectorELNS0_4arch9wavefront6targetE1EEEvT1_,comdat
	.protected	_ZN7rocprim17ROCPRIM_400000_NS6detail17trampoline_kernelINS0_14default_configENS1_25partition_config_selectorILNS1_17partition_subalgoE8EtNS0_10empty_typeEbEEZZNS1_14partition_implILS5_8ELb0ES3_jN6thrust23THRUST_200600_302600_NS6detail15normal_iteratorINSA_10device_ptrItEEEEPS6_PKS6_NS0_5tupleIJSF_S6_EEENSJ_IJSG_SG_EEENS0_18inequality_wrapperINSA_8equal_toItEEEEPmJS6_EEE10hipError_tPvRmT3_T4_T5_T6_T7_T9_mT8_P12ihipStream_tbDpT10_ENKUlT_T0_E_clISt17integral_constantIbLb0EES19_IbLb1EEEEDaS15_S16_EUlS15_E_NS1_11comp_targetILNS1_3genE8ELNS1_11target_archE1030ELNS1_3gpuE2ELNS1_3repE0EEENS1_30default_config_static_selectorELNS0_4arch9wavefront6targetE1EEEvT1_ ; -- Begin function _ZN7rocprim17ROCPRIM_400000_NS6detail17trampoline_kernelINS0_14default_configENS1_25partition_config_selectorILNS1_17partition_subalgoE8EtNS0_10empty_typeEbEEZZNS1_14partition_implILS5_8ELb0ES3_jN6thrust23THRUST_200600_302600_NS6detail15normal_iteratorINSA_10device_ptrItEEEEPS6_PKS6_NS0_5tupleIJSF_S6_EEENSJ_IJSG_SG_EEENS0_18inequality_wrapperINSA_8equal_toItEEEEPmJS6_EEE10hipError_tPvRmT3_T4_T5_T6_T7_T9_mT8_P12ihipStream_tbDpT10_ENKUlT_T0_E_clISt17integral_constantIbLb0EES19_IbLb1EEEEDaS15_S16_EUlS15_E_NS1_11comp_targetILNS1_3genE8ELNS1_11target_archE1030ELNS1_3gpuE2ELNS1_3repE0EEENS1_30default_config_static_selectorELNS0_4arch9wavefront6targetE1EEEvT1_
	.globl	_ZN7rocprim17ROCPRIM_400000_NS6detail17trampoline_kernelINS0_14default_configENS1_25partition_config_selectorILNS1_17partition_subalgoE8EtNS0_10empty_typeEbEEZZNS1_14partition_implILS5_8ELb0ES3_jN6thrust23THRUST_200600_302600_NS6detail15normal_iteratorINSA_10device_ptrItEEEEPS6_PKS6_NS0_5tupleIJSF_S6_EEENSJ_IJSG_SG_EEENS0_18inequality_wrapperINSA_8equal_toItEEEEPmJS6_EEE10hipError_tPvRmT3_T4_T5_T6_T7_T9_mT8_P12ihipStream_tbDpT10_ENKUlT_T0_E_clISt17integral_constantIbLb0EES19_IbLb1EEEEDaS15_S16_EUlS15_E_NS1_11comp_targetILNS1_3genE8ELNS1_11target_archE1030ELNS1_3gpuE2ELNS1_3repE0EEENS1_30default_config_static_selectorELNS0_4arch9wavefront6targetE1EEEvT1_
	.p2align	8
	.type	_ZN7rocprim17ROCPRIM_400000_NS6detail17trampoline_kernelINS0_14default_configENS1_25partition_config_selectorILNS1_17partition_subalgoE8EtNS0_10empty_typeEbEEZZNS1_14partition_implILS5_8ELb0ES3_jN6thrust23THRUST_200600_302600_NS6detail15normal_iteratorINSA_10device_ptrItEEEEPS6_PKS6_NS0_5tupleIJSF_S6_EEENSJ_IJSG_SG_EEENS0_18inequality_wrapperINSA_8equal_toItEEEEPmJS6_EEE10hipError_tPvRmT3_T4_T5_T6_T7_T9_mT8_P12ihipStream_tbDpT10_ENKUlT_T0_E_clISt17integral_constantIbLb0EES19_IbLb1EEEEDaS15_S16_EUlS15_E_NS1_11comp_targetILNS1_3genE8ELNS1_11target_archE1030ELNS1_3gpuE2ELNS1_3repE0EEENS1_30default_config_static_selectorELNS0_4arch9wavefront6targetE1EEEvT1_,@function
_ZN7rocprim17ROCPRIM_400000_NS6detail17trampoline_kernelINS0_14default_configENS1_25partition_config_selectorILNS1_17partition_subalgoE8EtNS0_10empty_typeEbEEZZNS1_14partition_implILS5_8ELb0ES3_jN6thrust23THRUST_200600_302600_NS6detail15normal_iteratorINSA_10device_ptrItEEEEPS6_PKS6_NS0_5tupleIJSF_S6_EEENSJ_IJSG_SG_EEENS0_18inequality_wrapperINSA_8equal_toItEEEEPmJS6_EEE10hipError_tPvRmT3_T4_T5_T6_T7_T9_mT8_P12ihipStream_tbDpT10_ENKUlT_T0_E_clISt17integral_constantIbLb0EES19_IbLb1EEEEDaS15_S16_EUlS15_E_NS1_11comp_targetILNS1_3genE8ELNS1_11target_archE1030ELNS1_3gpuE2ELNS1_3repE0EEENS1_30default_config_static_selectorELNS0_4arch9wavefront6targetE1EEEvT1_: ; @_ZN7rocprim17ROCPRIM_400000_NS6detail17trampoline_kernelINS0_14default_configENS1_25partition_config_selectorILNS1_17partition_subalgoE8EtNS0_10empty_typeEbEEZZNS1_14partition_implILS5_8ELb0ES3_jN6thrust23THRUST_200600_302600_NS6detail15normal_iteratorINSA_10device_ptrItEEEEPS6_PKS6_NS0_5tupleIJSF_S6_EEENSJ_IJSG_SG_EEENS0_18inequality_wrapperINSA_8equal_toItEEEEPmJS6_EEE10hipError_tPvRmT3_T4_T5_T6_T7_T9_mT8_P12ihipStream_tbDpT10_ENKUlT_T0_E_clISt17integral_constantIbLb0EES19_IbLb1EEEEDaS15_S16_EUlS15_E_NS1_11comp_targetILNS1_3genE8ELNS1_11target_archE1030ELNS1_3gpuE2ELNS1_3repE0EEENS1_30default_config_static_selectorELNS0_4arch9wavefront6targetE1EEEvT1_
; %bb.0:
	.section	.rodata,"a",@progbits
	.p2align	6, 0x0
	.amdhsa_kernel _ZN7rocprim17ROCPRIM_400000_NS6detail17trampoline_kernelINS0_14default_configENS1_25partition_config_selectorILNS1_17partition_subalgoE8EtNS0_10empty_typeEbEEZZNS1_14partition_implILS5_8ELb0ES3_jN6thrust23THRUST_200600_302600_NS6detail15normal_iteratorINSA_10device_ptrItEEEEPS6_PKS6_NS0_5tupleIJSF_S6_EEENSJ_IJSG_SG_EEENS0_18inequality_wrapperINSA_8equal_toItEEEEPmJS6_EEE10hipError_tPvRmT3_T4_T5_T6_T7_T9_mT8_P12ihipStream_tbDpT10_ENKUlT_T0_E_clISt17integral_constantIbLb0EES19_IbLb1EEEEDaS15_S16_EUlS15_E_NS1_11comp_targetILNS1_3genE8ELNS1_11target_archE1030ELNS1_3gpuE2ELNS1_3repE0EEENS1_30default_config_static_selectorELNS0_4arch9wavefront6targetE1EEEvT1_
		.amdhsa_group_segment_fixed_size 0
		.amdhsa_private_segment_fixed_size 0
		.amdhsa_kernarg_size 128
		.amdhsa_user_sgpr_count 6
		.amdhsa_user_sgpr_private_segment_buffer 1
		.amdhsa_user_sgpr_dispatch_ptr 0
		.amdhsa_user_sgpr_queue_ptr 0
		.amdhsa_user_sgpr_kernarg_segment_ptr 1
		.amdhsa_user_sgpr_dispatch_id 0
		.amdhsa_user_sgpr_flat_scratch_init 0
		.amdhsa_user_sgpr_private_segment_size 0
		.amdhsa_uses_dynamic_stack 0
		.amdhsa_system_sgpr_private_segment_wavefront_offset 0
		.amdhsa_system_sgpr_workgroup_id_x 1
		.amdhsa_system_sgpr_workgroup_id_y 0
		.amdhsa_system_sgpr_workgroup_id_z 0
		.amdhsa_system_sgpr_workgroup_info 0
		.amdhsa_system_vgpr_workitem_id 0
		.amdhsa_next_free_vgpr 1
		.amdhsa_next_free_sgpr 0
		.amdhsa_reserve_vcc 0
		.amdhsa_reserve_flat_scratch 0
		.amdhsa_float_round_mode_32 0
		.amdhsa_float_round_mode_16_64 0
		.amdhsa_float_denorm_mode_32 3
		.amdhsa_float_denorm_mode_16_64 3
		.amdhsa_dx10_clamp 1
		.amdhsa_ieee_mode 1
		.amdhsa_fp16_overflow 0
		.amdhsa_exception_fp_ieee_invalid_op 0
		.amdhsa_exception_fp_denorm_src 0
		.amdhsa_exception_fp_ieee_div_zero 0
		.amdhsa_exception_fp_ieee_overflow 0
		.amdhsa_exception_fp_ieee_underflow 0
		.amdhsa_exception_fp_ieee_inexact 0
		.amdhsa_exception_int_div_zero 0
	.end_amdhsa_kernel
	.section	.text._ZN7rocprim17ROCPRIM_400000_NS6detail17trampoline_kernelINS0_14default_configENS1_25partition_config_selectorILNS1_17partition_subalgoE8EtNS0_10empty_typeEbEEZZNS1_14partition_implILS5_8ELb0ES3_jN6thrust23THRUST_200600_302600_NS6detail15normal_iteratorINSA_10device_ptrItEEEEPS6_PKS6_NS0_5tupleIJSF_S6_EEENSJ_IJSG_SG_EEENS0_18inequality_wrapperINSA_8equal_toItEEEEPmJS6_EEE10hipError_tPvRmT3_T4_T5_T6_T7_T9_mT8_P12ihipStream_tbDpT10_ENKUlT_T0_E_clISt17integral_constantIbLb0EES19_IbLb1EEEEDaS15_S16_EUlS15_E_NS1_11comp_targetILNS1_3genE8ELNS1_11target_archE1030ELNS1_3gpuE2ELNS1_3repE0EEENS1_30default_config_static_selectorELNS0_4arch9wavefront6targetE1EEEvT1_,"axG",@progbits,_ZN7rocprim17ROCPRIM_400000_NS6detail17trampoline_kernelINS0_14default_configENS1_25partition_config_selectorILNS1_17partition_subalgoE8EtNS0_10empty_typeEbEEZZNS1_14partition_implILS5_8ELb0ES3_jN6thrust23THRUST_200600_302600_NS6detail15normal_iteratorINSA_10device_ptrItEEEEPS6_PKS6_NS0_5tupleIJSF_S6_EEENSJ_IJSG_SG_EEENS0_18inequality_wrapperINSA_8equal_toItEEEEPmJS6_EEE10hipError_tPvRmT3_T4_T5_T6_T7_T9_mT8_P12ihipStream_tbDpT10_ENKUlT_T0_E_clISt17integral_constantIbLb0EES19_IbLb1EEEEDaS15_S16_EUlS15_E_NS1_11comp_targetILNS1_3genE8ELNS1_11target_archE1030ELNS1_3gpuE2ELNS1_3repE0EEENS1_30default_config_static_selectorELNS0_4arch9wavefront6targetE1EEEvT1_,comdat
.Lfunc_end306:
	.size	_ZN7rocprim17ROCPRIM_400000_NS6detail17trampoline_kernelINS0_14default_configENS1_25partition_config_selectorILNS1_17partition_subalgoE8EtNS0_10empty_typeEbEEZZNS1_14partition_implILS5_8ELb0ES3_jN6thrust23THRUST_200600_302600_NS6detail15normal_iteratorINSA_10device_ptrItEEEEPS6_PKS6_NS0_5tupleIJSF_S6_EEENSJ_IJSG_SG_EEENS0_18inequality_wrapperINSA_8equal_toItEEEEPmJS6_EEE10hipError_tPvRmT3_T4_T5_T6_T7_T9_mT8_P12ihipStream_tbDpT10_ENKUlT_T0_E_clISt17integral_constantIbLb0EES19_IbLb1EEEEDaS15_S16_EUlS15_E_NS1_11comp_targetILNS1_3genE8ELNS1_11target_archE1030ELNS1_3gpuE2ELNS1_3repE0EEENS1_30default_config_static_selectorELNS0_4arch9wavefront6targetE1EEEvT1_, .Lfunc_end306-_ZN7rocprim17ROCPRIM_400000_NS6detail17trampoline_kernelINS0_14default_configENS1_25partition_config_selectorILNS1_17partition_subalgoE8EtNS0_10empty_typeEbEEZZNS1_14partition_implILS5_8ELb0ES3_jN6thrust23THRUST_200600_302600_NS6detail15normal_iteratorINSA_10device_ptrItEEEEPS6_PKS6_NS0_5tupleIJSF_S6_EEENSJ_IJSG_SG_EEENS0_18inequality_wrapperINSA_8equal_toItEEEEPmJS6_EEE10hipError_tPvRmT3_T4_T5_T6_T7_T9_mT8_P12ihipStream_tbDpT10_ENKUlT_T0_E_clISt17integral_constantIbLb0EES19_IbLb1EEEEDaS15_S16_EUlS15_E_NS1_11comp_targetILNS1_3genE8ELNS1_11target_archE1030ELNS1_3gpuE2ELNS1_3repE0EEENS1_30default_config_static_selectorELNS0_4arch9wavefront6targetE1EEEvT1_
                                        ; -- End function
	.set _ZN7rocprim17ROCPRIM_400000_NS6detail17trampoline_kernelINS0_14default_configENS1_25partition_config_selectorILNS1_17partition_subalgoE8EtNS0_10empty_typeEbEEZZNS1_14partition_implILS5_8ELb0ES3_jN6thrust23THRUST_200600_302600_NS6detail15normal_iteratorINSA_10device_ptrItEEEEPS6_PKS6_NS0_5tupleIJSF_S6_EEENSJ_IJSG_SG_EEENS0_18inequality_wrapperINSA_8equal_toItEEEEPmJS6_EEE10hipError_tPvRmT3_T4_T5_T6_T7_T9_mT8_P12ihipStream_tbDpT10_ENKUlT_T0_E_clISt17integral_constantIbLb0EES19_IbLb1EEEEDaS15_S16_EUlS15_E_NS1_11comp_targetILNS1_3genE8ELNS1_11target_archE1030ELNS1_3gpuE2ELNS1_3repE0EEENS1_30default_config_static_selectorELNS0_4arch9wavefront6targetE1EEEvT1_.num_vgpr, 0
	.set _ZN7rocprim17ROCPRIM_400000_NS6detail17trampoline_kernelINS0_14default_configENS1_25partition_config_selectorILNS1_17partition_subalgoE8EtNS0_10empty_typeEbEEZZNS1_14partition_implILS5_8ELb0ES3_jN6thrust23THRUST_200600_302600_NS6detail15normal_iteratorINSA_10device_ptrItEEEEPS6_PKS6_NS0_5tupleIJSF_S6_EEENSJ_IJSG_SG_EEENS0_18inequality_wrapperINSA_8equal_toItEEEEPmJS6_EEE10hipError_tPvRmT3_T4_T5_T6_T7_T9_mT8_P12ihipStream_tbDpT10_ENKUlT_T0_E_clISt17integral_constantIbLb0EES19_IbLb1EEEEDaS15_S16_EUlS15_E_NS1_11comp_targetILNS1_3genE8ELNS1_11target_archE1030ELNS1_3gpuE2ELNS1_3repE0EEENS1_30default_config_static_selectorELNS0_4arch9wavefront6targetE1EEEvT1_.num_agpr, 0
	.set _ZN7rocprim17ROCPRIM_400000_NS6detail17trampoline_kernelINS0_14default_configENS1_25partition_config_selectorILNS1_17partition_subalgoE8EtNS0_10empty_typeEbEEZZNS1_14partition_implILS5_8ELb0ES3_jN6thrust23THRUST_200600_302600_NS6detail15normal_iteratorINSA_10device_ptrItEEEEPS6_PKS6_NS0_5tupleIJSF_S6_EEENSJ_IJSG_SG_EEENS0_18inequality_wrapperINSA_8equal_toItEEEEPmJS6_EEE10hipError_tPvRmT3_T4_T5_T6_T7_T9_mT8_P12ihipStream_tbDpT10_ENKUlT_T0_E_clISt17integral_constantIbLb0EES19_IbLb1EEEEDaS15_S16_EUlS15_E_NS1_11comp_targetILNS1_3genE8ELNS1_11target_archE1030ELNS1_3gpuE2ELNS1_3repE0EEENS1_30default_config_static_selectorELNS0_4arch9wavefront6targetE1EEEvT1_.numbered_sgpr, 0
	.set _ZN7rocprim17ROCPRIM_400000_NS6detail17trampoline_kernelINS0_14default_configENS1_25partition_config_selectorILNS1_17partition_subalgoE8EtNS0_10empty_typeEbEEZZNS1_14partition_implILS5_8ELb0ES3_jN6thrust23THRUST_200600_302600_NS6detail15normal_iteratorINSA_10device_ptrItEEEEPS6_PKS6_NS0_5tupleIJSF_S6_EEENSJ_IJSG_SG_EEENS0_18inequality_wrapperINSA_8equal_toItEEEEPmJS6_EEE10hipError_tPvRmT3_T4_T5_T6_T7_T9_mT8_P12ihipStream_tbDpT10_ENKUlT_T0_E_clISt17integral_constantIbLb0EES19_IbLb1EEEEDaS15_S16_EUlS15_E_NS1_11comp_targetILNS1_3genE8ELNS1_11target_archE1030ELNS1_3gpuE2ELNS1_3repE0EEENS1_30default_config_static_selectorELNS0_4arch9wavefront6targetE1EEEvT1_.num_named_barrier, 0
	.set _ZN7rocprim17ROCPRIM_400000_NS6detail17trampoline_kernelINS0_14default_configENS1_25partition_config_selectorILNS1_17partition_subalgoE8EtNS0_10empty_typeEbEEZZNS1_14partition_implILS5_8ELb0ES3_jN6thrust23THRUST_200600_302600_NS6detail15normal_iteratorINSA_10device_ptrItEEEEPS6_PKS6_NS0_5tupleIJSF_S6_EEENSJ_IJSG_SG_EEENS0_18inequality_wrapperINSA_8equal_toItEEEEPmJS6_EEE10hipError_tPvRmT3_T4_T5_T6_T7_T9_mT8_P12ihipStream_tbDpT10_ENKUlT_T0_E_clISt17integral_constantIbLb0EES19_IbLb1EEEEDaS15_S16_EUlS15_E_NS1_11comp_targetILNS1_3genE8ELNS1_11target_archE1030ELNS1_3gpuE2ELNS1_3repE0EEENS1_30default_config_static_selectorELNS0_4arch9wavefront6targetE1EEEvT1_.private_seg_size, 0
	.set _ZN7rocprim17ROCPRIM_400000_NS6detail17trampoline_kernelINS0_14default_configENS1_25partition_config_selectorILNS1_17partition_subalgoE8EtNS0_10empty_typeEbEEZZNS1_14partition_implILS5_8ELb0ES3_jN6thrust23THRUST_200600_302600_NS6detail15normal_iteratorINSA_10device_ptrItEEEEPS6_PKS6_NS0_5tupleIJSF_S6_EEENSJ_IJSG_SG_EEENS0_18inequality_wrapperINSA_8equal_toItEEEEPmJS6_EEE10hipError_tPvRmT3_T4_T5_T6_T7_T9_mT8_P12ihipStream_tbDpT10_ENKUlT_T0_E_clISt17integral_constantIbLb0EES19_IbLb1EEEEDaS15_S16_EUlS15_E_NS1_11comp_targetILNS1_3genE8ELNS1_11target_archE1030ELNS1_3gpuE2ELNS1_3repE0EEENS1_30default_config_static_selectorELNS0_4arch9wavefront6targetE1EEEvT1_.uses_vcc, 0
	.set _ZN7rocprim17ROCPRIM_400000_NS6detail17trampoline_kernelINS0_14default_configENS1_25partition_config_selectorILNS1_17partition_subalgoE8EtNS0_10empty_typeEbEEZZNS1_14partition_implILS5_8ELb0ES3_jN6thrust23THRUST_200600_302600_NS6detail15normal_iteratorINSA_10device_ptrItEEEEPS6_PKS6_NS0_5tupleIJSF_S6_EEENSJ_IJSG_SG_EEENS0_18inequality_wrapperINSA_8equal_toItEEEEPmJS6_EEE10hipError_tPvRmT3_T4_T5_T6_T7_T9_mT8_P12ihipStream_tbDpT10_ENKUlT_T0_E_clISt17integral_constantIbLb0EES19_IbLb1EEEEDaS15_S16_EUlS15_E_NS1_11comp_targetILNS1_3genE8ELNS1_11target_archE1030ELNS1_3gpuE2ELNS1_3repE0EEENS1_30default_config_static_selectorELNS0_4arch9wavefront6targetE1EEEvT1_.uses_flat_scratch, 0
	.set _ZN7rocprim17ROCPRIM_400000_NS6detail17trampoline_kernelINS0_14default_configENS1_25partition_config_selectorILNS1_17partition_subalgoE8EtNS0_10empty_typeEbEEZZNS1_14partition_implILS5_8ELb0ES3_jN6thrust23THRUST_200600_302600_NS6detail15normal_iteratorINSA_10device_ptrItEEEEPS6_PKS6_NS0_5tupleIJSF_S6_EEENSJ_IJSG_SG_EEENS0_18inequality_wrapperINSA_8equal_toItEEEEPmJS6_EEE10hipError_tPvRmT3_T4_T5_T6_T7_T9_mT8_P12ihipStream_tbDpT10_ENKUlT_T0_E_clISt17integral_constantIbLb0EES19_IbLb1EEEEDaS15_S16_EUlS15_E_NS1_11comp_targetILNS1_3genE8ELNS1_11target_archE1030ELNS1_3gpuE2ELNS1_3repE0EEENS1_30default_config_static_selectorELNS0_4arch9wavefront6targetE1EEEvT1_.has_dyn_sized_stack, 0
	.set _ZN7rocprim17ROCPRIM_400000_NS6detail17trampoline_kernelINS0_14default_configENS1_25partition_config_selectorILNS1_17partition_subalgoE8EtNS0_10empty_typeEbEEZZNS1_14partition_implILS5_8ELb0ES3_jN6thrust23THRUST_200600_302600_NS6detail15normal_iteratorINSA_10device_ptrItEEEEPS6_PKS6_NS0_5tupleIJSF_S6_EEENSJ_IJSG_SG_EEENS0_18inequality_wrapperINSA_8equal_toItEEEEPmJS6_EEE10hipError_tPvRmT3_T4_T5_T6_T7_T9_mT8_P12ihipStream_tbDpT10_ENKUlT_T0_E_clISt17integral_constantIbLb0EES19_IbLb1EEEEDaS15_S16_EUlS15_E_NS1_11comp_targetILNS1_3genE8ELNS1_11target_archE1030ELNS1_3gpuE2ELNS1_3repE0EEENS1_30default_config_static_selectorELNS0_4arch9wavefront6targetE1EEEvT1_.has_recursion, 0
	.set _ZN7rocprim17ROCPRIM_400000_NS6detail17trampoline_kernelINS0_14default_configENS1_25partition_config_selectorILNS1_17partition_subalgoE8EtNS0_10empty_typeEbEEZZNS1_14partition_implILS5_8ELb0ES3_jN6thrust23THRUST_200600_302600_NS6detail15normal_iteratorINSA_10device_ptrItEEEEPS6_PKS6_NS0_5tupleIJSF_S6_EEENSJ_IJSG_SG_EEENS0_18inequality_wrapperINSA_8equal_toItEEEEPmJS6_EEE10hipError_tPvRmT3_T4_T5_T6_T7_T9_mT8_P12ihipStream_tbDpT10_ENKUlT_T0_E_clISt17integral_constantIbLb0EES19_IbLb1EEEEDaS15_S16_EUlS15_E_NS1_11comp_targetILNS1_3genE8ELNS1_11target_archE1030ELNS1_3gpuE2ELNS1_3repE0EEENS1_30default_config_static_selectorELNS0_4arch9wavefront6targetE1EEEvT1_.has_indirect_call, 0
	.section	.AMDGPU.csdata,"",@progbits
; Kernel info:
; codeLenInByte = 0
; TotalNumSgprs: 4
; NumVgprs: 0
; ScratchSize: 0
; MemoryBound: 0
; FloatMode: 240
; IeeeMode: 1
; LDSByteSize: 0 bytes/workgroup (compile time only)
; SGPRBlocks: 0
; VGPRBlocks: 0
; NumSGPRsForWavesPerEU: 4
; NumVGPRsForWavesPerEU: 1
; Occupancy: 10
; WaveLimiterHint : 0
; COMPUTE_PGM_RSRC2:SCRATCH_EN: 0
; COMPUTE_PGM_RSRC2:USER_SGPR: 6
; COMPUTE_PGM_RSRC2:TRAP_HANDLER: 0
; COMPUTE_PGM_RSRC2:TGID_X_EN: 1
; COMPUTE_PGM_RSRC2:TGID_Y_EN: 0
; COMPUTE_PGM_RSRC2:TGID_Z_EN: 0
; COMPUTE_PGM_RSRC2:TIDIG_COMP_CNT: 0
	.section	.text._ZN7rocprim17ROCPRIM_400000_NS6detail17trampoline_kernelINS0_14default_configENS1_25partition_config_selectorILNS1_17partition_subalgoE8EtNS0_10empty_typeEbEEZZNS1_14partition_implILS5_8ELb0ES3_jN6thrust23THRUST_200600_302600_NS6detail15normal_iteratorINSA_10device_ptrItEEEEPS6_PKS6_NS0_5tupleIJSF_S6_EEENSJ_IJSG_SG_EEENS0_18inequality_wrapperI22is_equal_div_10_uniqueItEEEPmJS6_EEE10hipError_tPvRmT3_T4_T5_T6_T7_T9_mT8_P12ihipStream_tbDpT10_ENKUlT_T0_E_clISt17integral_constantIbLb0EES1A_EEDaS15_S16_EUlS15_E_NS1_11comp_targetILNS1_3genE0ELNS1_11target_archE4294967295ELNS1_3gpuE0ELNS1_3repE0EEENS1_30default_config_static_selectorELNS0_4arch9wavefront6targetE1EEEvT1_,"axG",@progbits,_ZN7rocprim17ROCPRIM_400000_NS6detail17trampoline_kernelINS0_14default_configENS1_25partition_config_selectorILNS1_17partition_subalgoE8EtNS0_10empty_typeEbEEZZNS1_14partition_implILS5_8ELb0ES3_jN6thrust23THRUST_200600_302600_NS6detail15normal_iteratorINSA_10device_ptrItEEEEPS6_PKS6_NS0_5tupleIJSF_S6_EEENSJ_IJSG_SG_EEENS0_18inequality_wrapperI22is_equal_div_10_uniqueItEEEPmJS6_EEE10hipError_tPvRmT3_T4_T5_T6_T7_T9_mT8_P12ihipStream_tbDpT10_ENKUlT_T0_E_clISt17integral_constantIbLb0EES1A_EEDaS15_S16_EUlS15_E_NS1_11comp_targetILNS1_3genE0ELNS1_11target_archE4294967295ELNS1_3gpuE0ELNS1_3repE0EEENS1_30default_config_static_selectorELNS0_4arch9wavefront6targetE1EEEvT1_,comdat
	.protected	_ZN7rocprim17ROCPRIM_400000_NS6detail17trampoline_kernelINS0_14default_configENS1_25partition_config_selectorILNS1_17partition_subalgoE8EtNS0_10empty_typeEbEEZZNS1_14partition_implILS5_8ELb0ES3_jN6thrust23THRUST_200600_302600_NS6detail15normal_iteratorINSA_10device_ptrItEEEEPS6_PKS6_NS0_5tupleIJSF_S6_EEENSJ_IJSG_SG_EEENS0_18inequality_wrapperI22is_equal_div_10_uniqueItEEEPmJS6_EEE10hipError_tPvRmT3_T4_T5_T6_T7_T9_mT8_P12ihipStream_tbDpT10_ENKUlT_T0_E_clISt17integral_constantIbLb0EES1A_EEDaS15_S16_EUlS15_E_NS1_11comp_targetILNS1_3genE0ELNS1_11target_archE4294967295ELNS1_3gpuE0ELNS1_3repE0EEENS1_30default_config_static_selectorELNS0_4arch9wavefront6targetE1EEEvT1_ ; -- Begin function _ZN7rocprim17ROCPRIM_400000_NS6detail17trampoline_kernelINS0_14default_configENS1_25partition_config_selectorILNS1_17partition_subalgoE8EtNS0_10empty_typeEbEEZZNS1_14partition_implILS5_8ELb0ES3_jN6thrust23THRUST_200600_302600_NS6detail15normal_iteratorINSA_10device_ptrItEEEEPS6_PKS6_NS0_5tupleIJSF_S6_EEENSJ_IJSG_SG_EEENS0_18inequality_wrapperI22is_equal_div_10_uniqueItEEEPmJS6_EEE10hipError_tPvRmT3_T4_T5_T6_T7_T9_mT8_P12ihipStream_tbDpT10_ENKUlT_T0_E_clISt17integral_constantIbLb0EES1A_EEDaS15_S16_EUlS15_E_NS1_11comp_targetILNS1_3genE0ELNS1_11target_archE4294967295ELNS1_3gpuE0ELNS1_3repE0EEENS1_30default_config_static_selectorELNS0_4arch9wavefront6targetE1EEEvT1_
	.globl	_ZN7rocprim17ROCPRIM_400000_NS6detail17trampoline_kernelINS0_14default_configENS1_25partition_config_selectorILNS1_17partition_subalgoE8EtNS0_10empty_typeEbEEZZNS1_14partition_implILS5_8ELb0ES3_jN6thrust23THRUST_200600_302600_NS6detail15normal_iteratorINSA_10device_ptrItEEEEPS6_PKS6_NS0_5tupleIJSF_S6_EEENSJ_IJSG_SG_EEENS0_18inequality_wrapperI22is_equal_div_10_uniqueItEEEPmJS6_EEE10hipError_tPvRmT3_T4_T5_T6_T7_T9_mT8_P12ihipStream_tbDpT10_ENKUlT_T0_E_clISt17integral_constantIbLb0EES1A_EEDaS15_S16_EUlS15_E_NS1_11comp_targetILNS1_3genE0ELNS1_11target_archE4294967295ELNS1_3gpuE0ELNS1_3repE0EEENS1_30default_config_static_selectorELNS0_4arch9wavefront6targetE1EEEvT1_
	.p2align	8
	.type	_ZN7rocprim17ROCPRIM_400000_NS6detail17trampoline_kernelINS0_14default_configENS1_25partition_config_selectorILNS1_17partition_subalgoE8EtNS0_10empty_typeEbEEZZNS1_14partition_implILS5_8ELb0ES3_jN6thrust23THRUST_200600_302600_NS6detail15normal_iteratorINSA_10device_ptrItEEEEPS6_PKS6_NS0_5tupleIJSF_S6_EEENSJ_IJSG_SG_EEENS0_18inequality_wrapperI22is_equal_div_10_uniqueItEEEPmJS6_EEE10hipError_tPvRmT3_T4_T5_T6_T7_T9_mT8_P12ihipStream_tbDpT10_ENKUlT_T0_E_clISt17integral_constantIbLb0EES1A_EEDaS15_S16_EUlS15_E_NS1_11comp_targetILNS1_3genE0ELNS1_11target_archE4294967295ELNS1_3gpuE0ELNS1_3repE0EEENS1_30default_config_static_selectorELNS0_4arch9wavefront6targetE1EEEvT1_,@function
_ZN7rocprim17ROCPRIM_400000_NS6detail17trampoline_kernelINS0_14default_configENS1_25partition_config_selectorILNS1_17partition_subalgoE8EtNS0_10empty_typeEbEEZZNS1_14partition_implILS5_8ELb0ES3_jN6thrust23THRUST_200600_302600_NS6detail15normal_iteratorINSA_10device_ptrItEEEEPS6_PKS6_NS0_5tupleIJSF_S6_EEENSJ_IJSG_SG_EEENS0_18inequality_wrapperI22is_equal_div_10_uniqueItEEEPmJS6_EEE10hipError_tPvRmT3_T4_T5_T6_T7_T9_mT8_P12ihipStream_tbDpT10_ENKUlT_T0_E_clISt17integral_constantIbLb0EES1A_EEDaS15_S16_EUlS15_E_NS1_11comp_targetILNS1_3genE0ELNS1_11target_archE4294967295ELNS1_3gpuE0ELNS1_3repE0EEENS1_30default_config_static_selectorELNS0_4arch9wavefront6targetE1EEEvT1_: ; @_ZN7rocprim17ROCPRIM_400000_NS6detail17trampoline_kernelINS0_14default_configENS1_25partition_config_selectorILNS1_17partition_subalgoE8EtNS0_10empty_typeEbEEZZNS1_14partition_implILS5_8ELb0ES3_jN6thrust23THRUST_200600_302600_NS6detail15normal_iteratorINSA_10device_ptrItEEEEPS6_PKS6_NS0_5tupleIJSF_S6_EEENSJ_IJSG_SG_EEENS0_18inequality_wrapperI22is_equal_div_10_uniqueItEEEPmJS6_EEE10hipError_tPvRmT3_T4_T5_T6_T7_T9_mT8_P12ihipStream_tbDpT10_ENKUlT_T0_E_clISt17integral_constantIbLb0EES1A_EEDaS15_S16_EUlS15_E_NS1_11comp_targetILNS1_3genE0ELNS1_11target_archE4294967295ELNS1_3gpuE0ELNS1_3repE0EEENS1_30default_config_static_selectorELNS0_4arch9wavefront6targetE1EEEvT1_
; %bb.0:
	.section	.rodata,"a",@progbits
	.p2align	6, 0x0
	.amdhsa_kernel _ZN7rocprim17ROCPRIM_400000_NS6detail17trampoline_kernelINS0_14default_configENS1_25partition_config_selectorILNS1_17partition_subalgoE8EtNS0_10empty_typeEbEEZZNS1_14partition_implILS5_8ELb0ES3_jN6thrust23THRUST_200600_302600_NS6detail15normal_iteratorINSA_10device_ptrItEEEEPS6_PKS6_NS0_5tupleIJSF_S6_EEENSJ_IJSG_SG_EEENS0_18inequality_wrapperI22is_equal_div_10_uniqueItEEEPmJS6_EEE10hipError_tPvRmT3_T4_T5_T6_T7_T9_mT8_P12ihipStream_tbDpT10_ENKUlT_T0_E_clISt17integral_constantIbLb0EES1A_EEDaS15_S16_EUlS15_E_NS1_11comp_targetILNS1_3genE0ELNS1_11target_archE4294967295ELNS1_3gpuE0ELNS1_3repE0EEENS1_30default_config_static_selectorELNS0_4arch9wavefront6targetE1EEEvT1_
		.amdhsa_group_segment_fixed_size 0
		.amdhsa_private_segment_fixed_size 0
		.amdhsa_kernarg_size 112
		.amdhsa_user_sgpr_count 6
		.amdhsa_user_sgpr_private_segment_buffer 1
		.amdhsa_user_sgpr_dispatch_ptr 0
		.amdhsa_user_sgpr_queue_ptr 0
		.amdhsa_user_sgpr_kernarg_segment_ptr 1
		.amdhsa_user_sgpr_dispatch_id 0
		.amdhsa_user_sgpr_flat_scratch_init 0
		.amdhsa_user_sgpr_private_segment_size 0
		.amdhsa_uses_dynamic_stack 0
		.amdhsa_system_sgpr_private_segment_wavefront_offset 0
		.amdhsa_system_sgpr_workgroup_id_x 1
		.amdhsa_system_sgpr_workgroup_id_y 0
		.amdhsa_system_sgpr_workgroup_id_z 0
		.amdhsa_system_sgpr_workgroup_info 0
		.amdhsa_system_vgpr_workitem_id 0
		.amdhsa_next_free_vgpr 1
		.amdhsa_next_free_sgpr 0
		.amdhsa_reserve_vcc 0
		.amdhsa_reserve_flat_scratch 0
		.amdhsa_float_round_mode_32 0
		.amdhsa_float_round_mode_16_64 0
		.amdhsa_float_denorm_mode_32 3
		.amdhsa_float_denorm_mode_16_64 3
		.amdhsa_dx10_clamp 1
		.amdhsa_ieee_mode 1
		.amdhsa_fp16_overflow 0
		.amdhsa_exception_fp_ieee_invalid_op 0
		.amdhsa_exception_fp_denorm_src 0
		.amdhsa_exception_fp_ieee_div_zero 0
		.amdhsa_exception_fp_ieee_overflow 0
		.amdhsa_exception_fp_ieee_underflow 0
		.amdhsa_exception_fp_ieee_inexact 0
		.amdhsa_exception_int_div_zero 0
	.end_amdhsa_kernel
	.section	.text._ZN7rocprim17ROCPRIM_400000_NS6detail17trampoline_kernelINS0_14default_configENS1_25partition_config_selectorILNS1_17partition_subalgoE8EtNS0_10empty_typeEbEEZZNS1_14partition_implILS5_8ELb0ES3_jN6thrust23THRUST_200600_302600_NS6detail15normal_iteratorINSA_10device_ptrItEEEEPS6_PKS6_NS0_5tupleIJSF_S6_EEENSJ_IJSG_SG_EEENS0_18inequality_wrapperI22is_equal_div_10_uniqueItEEEPmJS6_EEE10hipError_tPvRmT3_T4_T5_T6_T7_T9_mT8_P12ihipStream_tbDpT10_ENKUlT_T0_E_clISt17integral_constantIbLb0EES1A_EEDaS15_S16_EUlS15_E_NS1_11comp_targetILNS1_3genE0ELNS1_11target_archE4294967295ELNS1_3gpuE0ELNS1_3repE0EEENS1_30default_config_static_selectorELNS0_4arch9wavefront6targetE1EEEvT1_,"axG",@progbits,_ZN7rocprim17ROCPRIM_400000_NS6detail17trampoline_kernelINS0_14default_configENS1_25partition_config_selectorILNS1_17partition_subalgoE8EtNS0_10empty_typeEbEEZZNS1_14partition_implILS5_8ELb0ES3_jN6thrust23THRUST_200600_302600_NS6detail15normal_iteratorINSA_10device_ptrItEEEEPS6_PKS6_NS0_5tupleIJSF_S6_EEENSJ_IJSG_SG_EEENS0_18inequality_wrapperI22is_equal_div_10_uniqueItEEEPmJS6_EEE10hipError_tPvRmT3_T4_T5_T6_T7_T9_mT8_P12ihipStream_tbDpT10_ENKUlT_T0_E_clISt17integral_constantIbLb0EES1A_EEDaS15_S16_EUlS15_E_NS1_11comp_targetILNS1_3genE0ELNS1_11target_archE4294967295ELNS1_3gpuE0ELNS1_3repE0EEENS1_30default_config_static_selectorELNS0_4arch9wavefront6targetE1EEEvT1_,comdat
.Lfunc_end307:
	.size	_ZN7rocprim17ROCPRIM_400000_NS6detail17trampoline_kernelINS0_14default_configENS1_25partition_config_selectorILNS1_17partition_subalgoE8EtNS0_10empty_typeEbEEZZNS1_14partition_implILS5_8ELb0ES3_jN6thrust23THRUST_200600_302600_NS6detail15normal_iteratorINSA_10device_ptrItEEEEPS6_PKS6_NS0_5tupleIJSF_S6_EEENSJ_IJSG_SG_EEENS0_18inequality_wrapperI22is_equal_div_10_uniqueItEEEPmJS6_EEE10hipError_tPvRmT3_T4_T5_T6_T7_T9_mT8_P12ihipStream_tbDpT10_ENKUlT_T0_E_clISt17integral_constantIbLb0EES1A_EEDaS15_S16_EUlS15_E_NS1_11comp_targetILNS1_3genE0ELNS1_11target_archE4294967295ELNS1_3gpuE0ELNS1_3repE0EEENS1_30default_config_static_selectorELNS0_4arch9wavefront6targetE1EEEvT1_, .Lfunc_end307-_ZN7rocprim17ROCPRIM_400000_NS6detail17trampoline_kernelINS0_14default_configENS1_25partition_config_selectorILNS1_17partition_subalgoE8EtNS0_10empty_typeEbEEZZNS1_14partition_implILS5_8ELb0ES3_jN6thrust23THRUST_200600_302600_NS6detail15normal_iteratorINSA_10device_ptrItEEEEPS6_PKS6_NS0_5tupleIJSF_S6_EEENSJ_IJSG_SG_EEENS0_18inequality_wrapperI22is_equal_div_10_uniqueItEEEPmJS6_EEE10hipError_tPvRmT3_T4_T5_T6_T7_T9_mT8_P12ihipStream_tbDpT10_ENKUlT_T0_E_clISt17integral_constantIbLb0EES1A_EEDaS15_S16_EUlS15_E_NS1_11comp_targetILNS1_3genE0ELNS1_11target_archE4294967295ELNS1_3gpuE0ELNS1_3repE0EEENS1_30default_config_static_selectorELNS0_4arch9wavefront6targetE1EEEvT1_
                                        ; -- End function
	.set _ZN7rocprim17ROCPRIM_400000_NS6detail17trampoline_kernelINS0_14default_configENS1_25partition_config_selectorILNS1_17partition_subalgoE8EtNS0_10empty_typeEbEEZZNS1_14partition_implILS5_8ELb0ES3_jN6thrust23THRUST_200600_302600_NS6detail15normal_iteratorINSA_10device_ptrItEEEEPS6_PKS6_NS0_5tupleIJSF_S6_EEENSJ_IJSG_SG_EEENS0_18inequality_wrapperI22is_equal_div_10_uniqueItEEEPmJS6_EEE10hipError_tPvRmT3_T4_T5_T6_T7_T9_mT8_P12ihipStream_tbDpT10_ENKUlT_T0_E_clISt17integral_constantIbLb0EES1A_EEDaS15_S16_EUlS15_E_NS1_11comp_targetILNS1_3genE0ELNS1_11target_archE4294967295ELNS1_3gpuE0ELNS1_3repE0EEENS1_30default_config_static_selectorELNS0_4arch9wavefront6targetE1EEEvT1_.num_vgpr, 0
	.set _ZN7rocprim17ROCPRIM_400000_NS6detail17trampoline_kernelINS0_14default_configENS1_25partition_config_selectorILNS1_17partition_subalgoE8EtNS0_10empty_typeEbEEZZNS1_14partition_implILS5_8ELb0ES3_jN6thrust23THRUST_200600_302600_NS6detail15normal_iteratorINSA_10device_ptrItEEEEPS6_PKS6_NS0_5tupleIJSF_S6_EEENSJ_IJSG_SG_EEENS0_18inequality_wrapperI22is_equal_div_10_uniqueItEEEPmJS6_EEE10hipError_tPvRmT3_T4_T5_T6_T7_T9_mT8_P12ihipStream_tbDpT10_ENKUlT_T0_E_clISt17integral_constantIbLb0EES1A_EEDaS15_S16_EUlS15_E_NS1_11comp_targetILNS1_3genE0ELNS1_11target_archE4294967295ELNS1_3gpuE0ELNS1_3repE0EEENS1_30default_config_static_selectorELNS0_4arch9wavefront6targetE1EEEvT1_.num_agpr, 0
	.set _ZN7rocprim17ROCPRIM_400000_NS6detail17trampoline_kernelINS0_14default_configENS1_25partition_config_selectorILNS1_17partition_subalgoE8EtNS0_10empty_typeEbEEZZNS1_14partition_implILS5_8ELb0ES3_jN6thrust23THRUST_200600_302600_NS6detail15normal_iteratorINSA_10device_ptrItEEEEPS6_PKS6_NS0_5tupleIJSF_S6_EEENSJ_IJSG_SG_EEENS0_18inequality_wrapperI22is_equal_div_10_uniqueItEEEPmJS6_EEE10hipError_tPvRmT3_T4_T5_T6_T7_T9_mT8_P12ihipStream_tbDpT10_ENKUlT_T0_E_clISt17integral_constantIbLb0EES1A_EEDaS15_S16_EUlS15_E_NS1_11comp_targetILNS1_3genE0ELNS1_11target_archE4294967295ELNS1_3gpuE0ELNS1_3repE0EEENS1_30default_config_static_selectorELNS0_4arch9wavefront6targetE1EEEvT1_.numbered_sgpr, 0
	.set _ZN7rocprim17ROCPRIM_400000_NS6detail17trampoline_kernelINS0_14default_configENS1_25partition_config_selectorILNS1_17partition_subalgoE8EtNS0_10empty_typeEbEEZZNS1_14partition_implILS5_8ELb0ES3_jN6thrust23THRUST_200600_302600_NS6detail15normal_iteratorINSA_10device_ptrItEEEEPS6_PKS6_NS0_5tupleIJSF_S6_EEENSJ_IJSG_SG_EEENS0_18inequality_wrapperI22is_equal_div_10_uniqueItEEEPmJS6_EEE10hipError_tPvRmT3_T4_T5_T6_T7_T9_mT8_P12ihipStream_tbDpT10_ENKUlT_T0_E_clISt17integral_constantIbLb0EES1A_EEDaS15_S16_EUlS15_E_NS1_11comp_targetILNS1_3genE0ELNS1_11target_archE4294967295ELNS1_3gpuE0ELNS1_3repE0EEENS1_30default_config_static_selectorELNS0_4arch9wavefront6targetE1EEEvT1_.num_named_barrier, 0
	.set _ZN7rocprim17ROCPRIM_400000_NS6detail17trampoline_kernelINS0_14default_configENS1_25partition_config_selectorILNS1_17partition_subalgoE8EtNS0_10empty_typeEbEEZZNS1_14partition_implILS5_8ELb0ES3_jN6thrust23THRUST_200600_302600_NS6detail15normal_iteratorINSA_10device_ptrItEEEEPS6_PKS6_NS0_5tupleIJSF_S6_EEENSJ_IJSG_SG_EEENS0_18inequality_wrapperI22is_equal_div_10_uniqueItEEEPmJS6_EEE10hipError_tPvRmT3_T4_T5_T6_T7_T9_mT8_P12ihipStream_tbDpT10_ENKUlT_T0_E_clISt17integral_constantIbLb0EES1A_EEDaS15_S16_EUlS15_E_NS1_11comp_targetILNS1_3genE0ELNS1_11target_archE4294967295ELNS1_3gpuE0ELNS1_3repE0EEENS1_30default_config_static_selectorELNS0_4arch9wavefront6targetE1EEEvT1_.private_seg_size, 0
	.set _ZN7rocprim17ROCPRIM_400000_NS6detail17trampoline_kernelINS0_14default_configENS1_25partition_config_selectorILNS1_17partition_subalgoE8EtNS0_10empty_typeEbEEZZNS1_14partition_implILS5_8ELb0ES3_jN6thrust23THRUST_200600_302600_NS6detail15normal_iteratorINSA_10device_ptrItEEEEPS6_PKS6_NS0_5tupleIJSF_S6_EEENSJ_IJSG_SG_EEENS0_18inequality_wrapperI22is_equal_div_10_uniqueItEEEPmJS6_EEE10hipError_tPvRmT3_T4_T5_T6_T7_T9_mT8_P12ihipStream_tbDpT10_ENKUlT_T0_E_clISt17integral_constantIbLb0EES1A_EEDaS15_S16_EUlS15_E_NS1_11comp_targetILNS1_3genE0ELNS1_11target_archE4294967295ELNS1_3gpuE0ELNS1_3repE0EEENS1_30default_config_static_selectorELNS0_4arch9wavefront6targetE1EEEvT1_.uses_vcc, 0
	.set _ZN7rocprim17ROCPRIM_400000_NS6detail17trampoline_kernelINS0_14default_configENS1_25partition_config_selectorILNS1_17partition_subalgoE8EtNS0_10empty_typeEbEEZZNS1_14partition_implILS5_8ELb0ES3_jN6thrust23THRUST_200600_302600_NS6detail15normal_iteratorINSA_10device_ptrItEEEEPS6_PKS6_NS0_5tupleIJSF_S6_EEENSJ_IJSG_SG_EEENS0_18inequality_wrapperI22is_equal_div_10_uniqueItEEEPmJS6_EEE10hipError_tPvRmT3_T4_T5_T6_T7_T9_mT8_P12ihipStream_tbDpT10_ENKUlT_T0_E_clISt17integral_constantIbLb0EES1A_EEDaS15_S16_EUlS15_E_NS1_11comp_targetILNS1_3genE0ELNS1_11target_archE4294967295ELNS1_3gpuE0ELNS1_3repE0EEENS1_30default_config_static_selectorELNS0_4arch9wavefront6targetE1EEEvT1_.uses_flat_scratch, 0
	.set _ZN7rocprim17ROCPRIM_400000_NS6detail17trampoline_kernelINS0_14default_configENS1_25partition_config_selectorILNS1_17partition_subalgoE8EtNS0_10empty_typeEbEEZZNS1_14partition_implILS5_8ELb0ES3_jN6thrust23THRUST_200600_302600_NS6detail15normal_iteratorINSA_10device_ptrItEEEEPS6_PKS6_NS0_5tupleIJSF_S6_EEENSJ_IJSG_SG_EEENS0_18inequality_wrapperI22is_equal_div_10_uniqueItEEEPmJS6_EEE10hipError_tPvRmT3_T4_T5_T6_T7_T9_mT8_P12ihipStream_tbDpT10_ENKUlT_T0_E_clISt17integral_constantIbLb0EES1A_EEDaS15_S16_EUlS15_E_NS1_11comp_targetILNS1_3genE0ELNS1_11target_archE4294967295ELNS1_3gpuE0ELNS1_3repE0EEENS1_30default_config_static_selectorELNS0_4arch9wavefront6targetE1EEEvT1_.has_dyn_sized_stack, 0
	.set _ZN7rocprim17ROCPRIM_400000_NS6detail17trampoline_kernelINS0_14default_configENS1_25partition_config_selectorILNS1_17partition_subalgoE8EtNS0_10empty_typeEbEEZZNS1_14partition_implILS5_8ELb0ES3_jN6thrust23THRUST_200600_302600_NS6detail15normal_iteratorINSA_10device_ptrItEEEEPS6_PKS6_NS0_5tupleIJSF_S6_EEENSJ_IJSG_SG_EEENS0_18inequality_wrapperI22is_equal_div_10_uniqueItEEEPmJS6_EEE10hipError_tPvRmT3_T4_T5_T6_T7_T9_mT8_P12ihipStream_tbDpT10_ENKUlT_T0_E_clISt17integral_constantIbLb0EES1A_EEDaS15_S16_EUlS15_E_NS1_11comp_targetILNS1_3genE0ELNS1_11target_archE4294967295ELNS1_3gpuE0ELNS1_3repE0EEENS1_30default_config_static_selectorELNS0_4arch9wavefront6targetE1EEEvT1_.has_recursion, 0
	.set _ZN7rocprim17ROCPRIM_400000_NS6detail17trampoline_kernelINS0_14default_configENS1_25partition_config_selectorILNS1_17partition_subalgoE8EtNS0_10empty_typeEbEEZZNS1_14partition_implILS5_8ELb0ES3_jN6thrust23THRUST_200600_302600_NS6detail15normal_iteratorINSA_10device_ptrItEEEEPS6_PKS6_NS0_5tupleIJSF_S6_EEENSJ_IJSG_SG_EEENS0_18inequality_wrapperI22is_equal_div_10_uniqueItEEEPmJS6_EEE10hipError_tPvRmT3_T4_T5_T6_T7_T9_mT8_P12ihipStream_tbDpT10_ENKUlT_T0_E_clISt17integral_constantIbLb0EES1A_EEDaS15_S16_EUlS15_E_NS1_11comp_targetILNS1_3genE0ELNS1_11target_archE4294967295ELNS1_3gpuE0ELNS1_3repE0EEENS1_30default_config_static_selectorELNS0_4arch9wavefront6targetE1EEEvT1_.has_indirect_call, 0
	.section	.AMDGPU.csdata,"",@progbits
; Kernel info:
; codeLenInByte = 0
; TotalNumSgprs: 4
; NumVgprs: 0
; ScratchSize: 0
; MemoryBound: 0
; FloatMode: 240
; IeeeMode: 1
; LDSByteSize: 0 bytes/workgroup (compile time only)
; SGPRBlocks: 0
; VGPRBlocks: 0
; NumSGPRsForWavesPerEU: 4
; NumVGPRsForWavesPerEU: 1
; Occupancy: 10
; WaveLimiterHint : 0
; COMPUTE_PGM_RSRC2:SCRATCH_EN: 0
; COMPUTE_PGM_RSRC2:USER_SGPR: 6
; COMPUTE_PGM_RSRC2:TRAP_HANDLER: 0
; COMPUTE_PGM_RSRC2:TGID_X_EN: 1
; COMPUTE_PGM_RSRC2:TGID_Y_EN: 0
; COMPUTE_PGM_RSRC2:TGID_Z_EN: 0
; COMPUTE_PGM_RSRC2:TIDIG_COMP_CNT: 0
	.section	.text._ZN7rocprim17ROCPRIM_400000_NS6detail17trampoline_kernelINS0_14default_configENS1_25partition_config_selectorILNS1_17partition_subalgoE8EtNS0_10empty_typeEbEEZZNS1_14partition_implILS5_8ELb0ES3_jN6thrust23THRUST_200600_302600_NS6detail15normal_iteratorINSA_10device_ptrItEEEEPS6_PKS6_NS0_5tupleIJSF_S6_EEENSJ_IJSG_SG_EEENS0_18inequality_wrapperI22is_equal_div_10_uniqueItEEEPmJS6_EEE10hipError_tPvRmT3_T4_T5_T6_T7_T9_mT8_P12ihipStream_tbDpT10_ENKUlT_T0_E_clISt17integral_constantIbLb0EES1A_EEDaS15_S16_EUlS15_E_NS1_11comp_targetILNS1_3genE5ELNS1_11target_archE942ELNS1_3gpuE9ELNS1_3repE0EEENS1_30default_config_static_selectorELNS0_4arch9wavefront6targetE1EEEvT1_,"axG",@progbits,_ZN7rocprim17ROCPRIM_400000_NS6detail17trampoline_kernelINS0_14default_configENS1_25partition_config_selectorILNS1_17partition_subalgoE8EtNS0_10empty_typeEbEEZZNS1_14partition_implILS5_8ELb0ES3_jN6thrust23THRUST_200600_302600_NS6detail15normal_iteratorINSA_10device_ptrItEEEEPS6_PKS6_NS0_5tupleIJSF_S6_EEENSJ_IJSG_SG_EEENS0_18inequality_wrapperI22is_equal_div_10_uniqueItEEEPmJS6_EEE10hipError_tPvRmT3_T4_T5_T6_T7_T9_mT8_P12ihipStream_tbDpT10_ENKUlT_T0_E_clISt17integral_constantIbLb0EES1A_EEDaS15_S16_EUlS15_E_NS1_11comp_targetILNS1_3genE5ELNS1_11target_archE942ELNS1_3gpuE9ELNS1_3repE0EEENS1_30default_config_static_selectorELNS0_4arch9wavefront6targetE1EEEvT1_,comdat
	.protected	_ZN7rocprim17ROCPRIM_400000_NS6detail17trampoline_kernelINS0_14default_configENS1_25partition_config_selectorILNS1_17partition_subalgoE8EtNS0_10empty_typeEbEEZZNS1_14partition_implILS5_8ELb0ES3_jN6thrust23THRUST_200600_302600_NS6detail15normal_iteratorINSA_10device_ptrItEEEEPS6_PKS6_NS0_5tupleIJSF_S6_EEENSJ_IJSG_SG_EEENS0_18inequality_wrapperI22is_equal_div_10_uniqueItEEEPmJS6_EEE10hipError_tPvRmT3_T4_T5_T6_T7_T9_mT8_P12ihipStream_tbDpT10_ENKUlT_T0_E_clISt17integral_constantIbLb0EES1A_EEDaS15_S16_EUlS15_E_NS1_11comp_targetILNS1_3genE5ELNS1_11target_archE942ELNS1_3gpuE9ELNS1_3repE0EEENS1_30default_config_static_selectorELNS0_4arch9wavefront6targetE1EEEvT1_ ; -- Begin function _ZN7rocprim17ROCPRIM_400000_NS6detail17trampoline_kernelINS0_14default_configENS1_25partition_config_selectorILNS1_17partition_subalgoE8EtNS0_10empty_typeEbEEZZNS1_14partition_implILS5_8ELb0ES3_jN6thrust23THRUST_200600_302600_NS6detail15normal_iteratorINSA_10device_ptrItEEEEPS6_PKS6_NS0_5tupleIJSF_S6_EEENSJ_IJSG_SG_EEENS0_18inequality_wrapperI22is_equal_div_10_uniqueItEEEPmJS6_EEE10hipError_tPvRmT3_T4_T5_T6_T7_T9_mT8_P12ihipStream_tbDpT10_ENKUlT_T0_E_clISt17integral_constantIbLb0EES1A_EEDaS15_S16_EUlS15_E_NS1_11comp_targetILNS1_3genE5ELNS1_11target_archE942ELNS1_3gpuE9ELNS1_3repE0EEENS1_30default_config_static_selectorELNS0_4arch9wavefront6targetE1EEEvT1_
	.globl	_ZN7rocprim17ROCPRIM_400000_NS6detail17trampoline_kernelINS0_14default_configENS1_25partition_config_selectorILNS1_17partition_subalgoE8EtNS0_10empty_typeEbEEZZNS1_14partition_implILS5_8ELb0ES3_jN6thrust23THRUST_200600_302600_NS6detail15normal_iteratorINSA_10device_ptrItEEEEPS6_PKS6_NS0_5tupleIJSF_S6_EEENSJ_IJSG_SG_EEENS0_18inequality_wrapperI22is_equal_div_10_uniqueItEEEPmJS6_EEE10hipError_tPvRmT3_T4_T5_T6_T7_T9_mT8_P12ihipStream_tbDpT10_ENKUlT_T0_E_clISt17integral_constantIbLb0EES1A_EEDaS15_S16_EUlS15_E_NS1_11comp_targetILNS1_3genE5ELNS1_11target_archE942ELNS1_3gpuE9ELNS1_3repE0EEENS1_30default_config_static_selectorELNS0_4arch9wavefront6targetE1EEEvT1_
	.p2align	8
	.type	_ZN7rocprim17ROCPRIM_400000_NS6detail17trampoline_kernelINS0_14default_configENS1_25partition_config_selectorILNS1_17partition_subalgoE8EtNS0_10empty_typeEbEEZZNS1_14partition_implILS5_8ELb0ES3_jN6thrust23THRUST_200600_302600_NS6detail15normal_iteratorINSA_10device_ptrItEEEEPS6_PKS6_NS0_5tupleIJSF_S6_EEENSJ_IJSG_SG_EEENS0_18inequality_wrapperI22is_equal_div_10_uniqueItEEEPmJS6_EEE10hipError_tPvRmT3_T4_T5_T6_T7_T9_mT8_P12ihipStream_tbDpT10_ENKUlT_T0_E_clISt17integral_constantIbLb0EES1A_EEDaS15_S16_EUlS15_E_NS1_11comp_targetILNS1_3genE5ELNS1_11target_archE942ELNS1_3gpuE9ELNS1_3repE0EEENS1_30default_config_static_selectorELNS0_4arch9wavefront6targetE1EEEvT1_,@function
_ZN7rocprim17ROCPRIM_400000_NS6detail17trampoline_kernelINS0_14default_configENS1_25partition_config_selectorILNS1_17partition_subalgoE8EtNS0_10empty_typeEbEEZZNS1_14partition_implILS5_8ELb0ES3_jN6thrust23THRUST_200600_302600_NS6detail15normal_iteratorINSA_10device_ptrItEEEEPS6_PKS6_NS0_5tupleIJSF_S6_EEENSJ_IJSG_SG_EEENS0_18inequality_wrapperI22is_equal_div_10_uniqueItEEEPmJS6_EEE10hipError_tPvRmT3_T4_T5_T6_T7_T9_mT8_P12ihipStream_tbDpT10_ENKUlT_T0_E_clISt17integral_constantIbLb0EES1A_EEDaS15_S16_EUlS15_E_NS1_11comp_targetILNS1_3genE5ELNS1_11target_archE942ELNS1_3gpuE9ELNS1_3repE0EEENS1_30default_config_static_selectorELNS0_4arch9wavefront6targetE1EEEvT1_: ; @_ZN7rocprim17ROCPRIM_400000_NS6detail17trampoline_kernelINS0_14default_configENS1_25partition_config_selectorILNS1_17partition_subalgoE8EtNS0_10empty_typeEbEEZZNS1_14partition_implILS5_8ELb0ES3_jN6thrust23THRUST_200600_302600_NS6detail15normal_iteratorINSA_10device_ptrItEEEEPS6_PKS6_NS0_5tupleIJSF_S6_EEENSJ_IJSG_SG_EEENS0_18inequality_wrapperI22is_equal_div_10_uniqueItEEEPmJS6_EEE10hipError_tPvRmT3_T4_T5_T6_T7_T9_mT8_P12ihipStream_tbDpT10_ENKUlT_T0_E_clISt17integral_constantIbLb0EES1A_EEDaS15_S16_EUlS15_E_NS1_11comp_targetILNS1_3genE5ELNS1_11target_archE942ELNS1_3gpuE9ELNS1_3repE0EEENS1_30default_config_static_selectorELNS0_4arch9wavefront6targetE1EEEvT1_
; %bb.0:
	.section	.rodata,"a",@progbits
	.p2align	6, 0x0
	.amdhsa_kernel _ZN7rocprim17ROCPRIM_400000_NS6detail17trampoline_kernelINS0_14default_configENS1_25partition_config_selectorILNS1_17partition_subalgoE8EtNS0_10empty_typeEbEEZZNS1_14partition_implILS5_8ELb0ES3_jN6thrust23THRUST_200600_302600_NS6detail15normal_iteratorINSA_10device_ptrItEEEEPS6_PKS6_NS0_5tupleIJSF_S6_EEENSJ_IJSG_SG_EEENS0_18inequality_wrapperI22is_equal_div_10_uniqueItEEEPmJS6_EEE10hipError_tPvRmT3_T4_T5_T6_T7_T9_mT8_P12ihipStream_tbDpT10_ENKUlT_T0_E_clISt17integral_constantIbLb0EES1A_EEDaS15_S16_EUlS15_E_NS1_11comp_targetILNS1_3genE5ELNS1_11target_archE942ELNS1_3gpuE9ELNS1_3repE0EEENS1_30default_config_static_selectorELNS0_4arch9wavefront6targetE1EEEvT1_
		.amdhsa_group_segment_fixed_size 0
		.amdhsa_private_segment_fixed_size 0
		.amdhsa_kernarg_size 112
		.amdhsa_user_sgpr_count 6
		.amdhsa_user_sgpr_private_segment_buffer 1
		.amdhsa_user_sgpr_dispatch_ptr 0
		.amdhsa_user_sgpr_queue_ptr 0
		.amdhsa_user_sgpr_kernarg_segment_ptr 1
		.amdhsa_user_sgpr_dispatch_id 0
		.amdhsa_user_sgpr_flat_scratch_init 0
		.amdhsa_user_sgpr_private_segment_size 0
		.amdhsa_uses_dynamic_stack 0
		.amdhsa_system_sgpr_private_segment_wavefront_offset 0
		.amdhsa_system_sgpr_workgroup_id_x 1
		.amdhsa_system_sgpr_workgroup_id_y 0
		.amdhsa_system_sgpr_workgroup_id_z 0
		.amdhsa_system_sgpr_workgroup_info 0
		.amdhsa_system_vgpr_workitem_id 0
		.amdhsa_next_free_vgpr 1
		.amdhsa_next_free_sgpr 0
		.amdhsa_reserve_vcc 0
		.amdhsa_reserve_flat_scratch 0
		.amdhsa_float_round_mode_32 0
		.amdhsa_float_round_mode_16_64 0
		.amdhsa_float_denorm_mode_32 3
		.amdhsa_float_denorm_mode_16_64 3
		.amdhsa_dx10_clamp 1
		.amdhsa_ieee_mode 1
		.amdhsa_fp16_overflow 0
		.amdhsa_exception_fp_ieee_invalid_op 0
		.amdhsa_exception_fp_denorm_src 0
		.amdhsa_exception_fp_ieee_div_zero 0
		.amdhsa_exception_fp_ieee_overflow 0
		.amdhsa_exception_fp_ieee_underflow 0
		.amdhsa_exception_fp_ieee_inexact 0
		.amdhsa_exception_int_div_zero 0
	.end_amdhsa_kernel
	.section	.text._ZN7rocprim17ROCPRIM_400000_NS6detail17trampoline_kernelINS0_14default_configENS1_25partition_config_selectorILNS1_17partition_subalgoE8EtNS0_10empty_typeEbEEZZNS1_14partition_implILS5_8ELb0ES3_jN6thrust23THRUST_200600_302600_NS6detail15normal_iteratorINSA_10device_ptrItEEEEPS6_PKS6_NS0_5tupleIJSF_S6_EEENSJ_IJSG_SG_EEENS0_18inequality_wrapperI22is_equal_div_10_uniqueItEEEPmJS6_EEE10hipError_tPvRmT3_T4_T5_T6_T7_T9_mT8_P12ihipStream_tbDpT10_ENKUlT_T0_E_clISt17integral_constantIbLb0EES1A_EEDaS15_S16_EUlS15_E_NS1_11comp_targetILNS1_3genE5ELNS1_11target_archE942ELNS1_3gpuE9ELNS1_3repE0EEENS1_30default_config_static_selectorELNS0_4arch9wavefront6targetE1EEEvT1_,"axG",@progbits,_ZN7rocprim17ROCPRIM_400000_NS6detail17trampoline_kernelINS0_14default_configENS1_25partition_config_selectorILNS1_17partition_subalgoE8EtNS0_10empty_typeEbEEZZNS1_14partition_implILS5_8ELb0ES3_jN6thrust23THRUST_200600_302600_NS6detail15normal_iteratorINSA_10device_ptrItEEEEPS6_PKS6_NS0_5tupleIJSF_S6_EEENSJ_IJSG_SG_EEENS0_18inequality_wrapperI22is_equal_div_10_uniqueItEEEPmJS6_EEE10hipError_tPvRmT3_T4_T5_T6_T7_T9_mT8_P12ihipStream_tbDpT10_ENKUlT_T0_E_clISt17integral_constantIbLb0EES1A_EEDaS15_S16_EUlS15_E_NS1_11comp_targetILNS1_3genE5ELNS1_11target_archE942ELNS1_3gpuE9ELNS1_3repE0EEENS1_30default_config_static_selectorELNS0_4arch9wavefront6targetE1EEEvT1_,comdat
.Lfunc_end308:
	.size	_ZN7rocprim17ROCPRIM_400000_NS6detail17trampoline_kernelINS0_14default_configENS1_25partition_config_selectorILNS1_17partition_subalgoE8EtNS0_10empty_typeEbEEZZNS1_14partition_implILS5_8ELb0ES3_jN6thrust23THRUST_200600_302600_NS6detail15normal_iteratorINSA_10device_ptrItEEEEPS6_PKS6_NS0_5tupleIJSF_S6_EEENSJ_IJSG_SG_EEENS0_18inequality_wrapperI22is_equal_div_10_uniqueItEEEPmJS6_EEE10hipError_tPvRmT3_T4_T5_T6_T7_T9_mT8_P12ihipStream_tbDpT10_ENKUlT_T0_E_clISt17integral_constantIbLb0EES1A_EEDaS15_S16_EUlS15_E_NS1_11comp_targetILNS1_3genE5ELNS1_11target_archE942ELNS1_3gpuE9ELNS1_3repE0EEENS1_30default_config_static_selectorELNS0_4arch9wavefront6targetE1EEEvT1_, .Lfunc_end308-_ZN7rocprim17ROCPRIM_400000_NS6detail17trampoline_kernelINS0_14default_configENS1_25partition_config_selectorILNS1_17partition_subalgoE8EtNS0_10empty_typeEbEEZZNS1_14partition_implILS5_8ELb0ES3_jN6thrust23THRUST_200600_302600_NS6detail15normal_iteratorINSA_10device_ptrItEEEEPS6_PKS6_NS0_5tupleIJSF_S6_EEENSJ_IJSG_SG_EEENS0_18inequality_wrapperI22is_equal_div_10_uniqueItEEEPmJS6_EEE10hipError_tPvRmT3_T4_T5_T6_T7_T9_mT8_P12ihipStream_tbDpT10_ENKUlT_T0_E_clISt17integral_constantIbLb0EES1A_EEDaS15_S16_EUlS15_E_NS1_11comp_targetILNS1_3genE5ELNS1_11target_archE942ELNS1_3gpuE9ELNS1_3repE0EEENS1_30default_config_static_selectorELNS0_4arch9wavefront6targetE1EEEvT1_
                                        ; -- End function
	.set _ZN7rocprim17ROCPRIM_400000_NS6detail17trampoline_kernelINS0_14default_configENS1_25partition_config_selectorILNS1_17partition_subalgoE8EtNS0_10empty_typeEbEEZZNS1_14partition_implILS5_8ELb0ES3_jN6thrust23THRUST_200600_302600_NS6detail15normal_iteratorINSA_10device_ptrItEEEEPS6_PKS6_NS0_5tupleIJSF_S6_EEENSJ_IJSG_SG_EEENS0_18inequality_wrapperI22is_equal_div_10_uniqueItEEEPmJS6_EEE10hipError_tPvRmT3_T4_T5_T6_T7_T9_mT8_P12ihipStream_tbDpT10_ENKUlT_T0_E_clISt17integral_constantIbLb0EES1A_EEDaS15_S16_EUlS15_E_NS1_11comp_targetILNS1_3genE5ELNS1_11target_archE942ELNS1_3gpuE9ELNS1_3repE0EEENS1_30default_config_static_selectorELNS0_4arch9wavefront6targetE1EEEvT1_.num_vgpr, 0
	.set _ZN7rocprim17ROCPRIM_400000_NS6detail17trampoline_kernelINS0_14default_configENS1_25partition_config_selectorILNS1_17partition_subalgoE8EtNS0_10empty_typeEbEEZZNS1_14partition_implILS5_8ELb0ES3_jN6thrust23THRUST_200600_302600_NS6detail15normal_iteratorINSA_10device_ptrItEEEEPS6_PKS6_NS0_5tupleIJSF_S6_EEENSJ_IJSG_SG_EEENS0_18inequality_wrapperI22is_equal_div_10_uniqueItEEEPmJS6_EEE10hipError_tPvRmT3_T4_T5_T6_T7_T9_mT8_P12ihipStream_tbDpT10_ENKUlT_T0_E_clISt17integral_constantIbLb0EES1A_EEDaS15_S16_EUlS15_E_NS1_11comp_targetILNS1_3genE5ELNS1_11target_archE942ELNS1_3gpuE9ELNS1_3repE0EEENS1_30default_config_static_selectorELNS0_4arch9wavefront6targetE1EEEvT1_.num_agpr, 0
	.set _ZN7rocprim17ROCPRIM_400000_NS6detail17trampoline_kernelINS0_14default_configENS1_25partition_config_selectorILNS1_17partition_subalgoE8EtNS0_10empty_typeEbEEZZNS1_14partition_implILS5_8ELb0ES3_jN6thrust23THRUST_200600_302600_NS6detail15normal_iteratorINSA_10device_ptrItEEEEPS6_PKS6_NS0_5tupleIJSF_S6_EEENSJ_IJSG_SG_EEENS0_18inequality_wrapperI22is_equal_div_10_uniqueItEEEPmJS6_EEE10hipError_tPvRmT3_T4_T5_T6_T7_T9_mT8_P12ihipStream_tbDpT10_ENKUlT_T0_E_clISt17integral_constantIbLb0EES1A_EEDaS15_S16_EUlS15_E_NS1_11comp_targetILNS1_3genE5ELNS1_11target_archE942ELNS1_3gpuE9ELNS1_3repE0EEENS1_30default_config_static_selectorELNS0_4arch9wavefront6targetE1EEEvT1_.numbered_sgpr, 0
	.set _ZN7rocprim17ROCPRIM_400000_NS6detail17trampoline_kernelINS0_14default_configENS1_25partition_config_selectorILNS1_17partition_subalgoE8EtNS0_10empty_typeEbEEZZNS1_14partition_implILS5_8ELb0ES3_jN6thrust23THRUST_200600_302600_NS6detail15normal_iteratorINSA_10device_ptrItEEEEPS6_PKS6_NS0_5tupleIJSF_S6_EEENSJ_IJSG_SG_EEENS0_18inequality_wrapperI22is_equal_div_10_uniqueItEEEPmJS6_EEE10hipError_tPvRmT3_T4_T5_T6_T7_T9_mT8_P12ihipStream_tbDpT10_ENKUlT_T0_E_clISt17integral_constantIbLb0EES1A_EEDaS15_S16_EUlS15_E_NS1_11comp_targetILNS1_3genE5ELNS1_11target_archE942ELNS1_3gpuE9ELNS1_3repE0EEENS1_30default_config_static_selectorELNS0_4arch9wavefront6targetE1EEEvT1_.num_named_barrier, 0
	.set _ZN7rocprim17ROCPRIM_400000_NS6detail17trampoline_kernelINS0_14default_configENS1_25partition_config_selectorILNS1_17partition_subalgoE8EtNS0_10empty_typeEbEEZZNS1_14partition_implILS5_8ELb0ES3_jN6thrust23THRUST_200600_302600_NS6detail15normal_iteratorINSA_10device_ptrItEEEEPS6_PKS6_NS0_5tupleIJSF_S6_EEENSJ_IJSG_SG_EEENS0_18inequality_wrapperI22is_equal_div_10_uniqueItEEEPmJS6_EEE10hipError_tPvRmT3_T4_T5_T6_T7_T9_mT8_P12ihipStream_tbDpT10_ENKUlT_T0_E_clISt17integral_constantIbLb0EES1A_EEDaS15_S16_EUlS15_E_NS1_11comp_targetILNS1_3genE5ELNS1_11target_archE942ELNS1_3gpuE9ELNS1_3repE0EEENS1_30default_config_static_selectorELNS0_4arch9wavefront6targetE1EEEvT1_.private_seg_size, 0
	.set _ZN7rocprim17ROCPRIM_400000_NS6detail17trampoline_kernelINS0_14default_configENS1_25partition_config_selectorILNS1_17partition_subalgoE8EtNS0_10empty_typeEbEEZZNS1_14partition_implILS5_8ELb0ES3_jN6thrust23THRUST_200600_302600_NS6detail15normal_iteratorINSA_10device_ptrItEEEEPS6_PKS6_NS0_5tupleIJSF_S6_EEENSJ_IJSG_SG_EEENS0_18inequality_wrapperI22is_equal_div_10_uniqueItEEEPmJS6_EEE10hipError_tPvRmT3_T4_T5_T6_T7_T9_mT8_P12ihipStream_tbDpT10_ENKUlT_T0_E_clISt17integral_constantIbLb0EES1A_EEDaS15_S16_EUlS15_E_NS1_11comp_targetILNS1_3genE5ELNS1_11target_archE942ELNS1_3gpuE9ELNS1_3repE0EEENS1_30default_config_static_selectorELNS0_4arch9wavefront6targetE1EEEvT1_.uses_vcc, 0
	.set _ZN7rocprim17ROCPRIM_400000_NS6detail17trampoline_kernelINS0_14default_configENS1_25partition_config_selectorILNS1_17partition_subalgoE8EtNS0_10empty_typeEbEEZZNS1_14partition_implILS5_8ELb0ES3_jN6thrust23THRUST_200600_302600_NS6detail15normal_iteratorINSA_10device_ptrItEEEEPS6_PKS6_NS0_5tupleIJSF_S6_EEENSJ_IJSG_SG_EEENS0_18inequality_wrapperI22is_equal_div_10_uniqueItEEEPmJS6_EEE10hipError_tPvRmT3_T4_T5_T6_T7_T9_mT8_P12ihipStream_tbDpT10_ENKUlT_T0_E_clISt17integral_constantIbLb0EES1A_EEDaS15_S16_EUlS15_E_NS1_11comp_targetILNS1_3genE5ELNS1_11target_archE942ELNS1_3gpuE9ELNS1_3repE0EEENS1_30default_config_static_selectorELNS0_4arch9wavefront6targetE1EEEvT1_.uses_flat_scratch, 0
	.set _ZN7rocprim17ROCPRIM_400000_NS6detail17trampoline_kernelINS0_14default_configENS1_25partition_config_selectorILNS1_17partition_subalgoE8EtNS0_10empty_typeEbEEZZNS1_14partition_implILS5_8ELb0ES3_jN6thrust23THRUST_200600_302600_NS6detail15normal_iteratorINSA_10device_ptrItEEEEPS6_PKS6_NS0_5tupleIJSF_S6_EEENSJ_IJSG_SG_EEENS0_18inequality_wrapperI22is_equal_div_10_uniqueItEEEPmJS6_EEE10hipError_tPvRmT3_T4_T5_T6_T7_T9_mT8_P12ihipStream_tbDpT10_ENKUlT_T0_E_clISt17integral_constantIbLb0EES1A_EEDaS15_S16_EUlS15_E_NS1_11comp_targetILNS1_3genE5ELNS1_11target_archE942ELNS1_3gpuE9ELNS1_3repE0EEENS1_30default_config_static_selectorELNS0_4arch9wavefront6targetE1EEEvT1_.has_dyn_sized_stack, 0
	.set _ZN7rocprim17ROCPRIM_400000_NS6detail17trampoline_kernelINS0_14default_configENS1_25partition_config_selectorILNS1_17partition_subalgoE8EtNS0_10empty_typeEbEEZZNS1_14partition_implILS5_8ELb0ES3_jN6thrust23THRUST_200600_302600_NS6detail15normal_iteratorINSA_10device_ptrItEEEEPS6_PKS6_NS0_5tupleIJSF_S6_EEENSJ_IJSG_SG_EEENS0_18inequality_wrapperI22is_equal_div_10_uniqueItEEEPmJS6_EEE10hipError_tPvRmT3_T4_T5_T6_T7_T9_mT8_P12ihipStream_tbDpT10_ENKUlT_T0_E_clISt17integral_constantIbLb0EES1A_EEDaS15_S16_EUlS15_E_NS1_11comp_targetILNS1_3genE5ELNS1_11target_archE942ELNS1_3gpuE9ELNS1_3repE0EEENS1_30default_config_static_selectorELNS0_4arch9wavefront6targetE1EEEvT1_.has_recursion, 0
	.set _ZN7rocprim17ROCPRIM_400000_NS6detail17trampoline_kernelINS0_14default_configENS1_25partition_config_selectorILNS1_17partition_subalgoE8EtNS0_10empty_typeEbEEZZNS1_14partition_implILS5_8ELb0ES3_jN6thrust23THRUST_200600_302600_NS6detail15normal_iteratorINSA_10device_ptrItEEEEPS6_PKS6_NS0_5tupleIJSF_S6_EEENSJ_IJSG_SG_EEENS0_18inequality_wrapperI22is_equal_div_10_uniqueItEEEPmJS6_EEE10hipError_tPvRmT3_T4_T5_T6_T7_T9_mT8_P12ihipStream_tbDpT10_ENKUlT_T0_E_clISt17integral_constantIbLb0EES1A_EEDaS15_S16_EUlS15_E_NS1_11comp_targetILNS1_3genE5ELNS1_11target_archE942ELNS1_3gpuE9ELNS1_3repE0EEENS1_30default_config_static_selectorELNS0_4arch9wavefront6targetE1EEEvT1_.has_indirect_call, 0
	.section	.AMDGPU.csdata,"",@progbits
; Kernel info:
; codeLenInByte = 0
; TotalNumSgprs: 4
; NumVgprs: 0
; ScratchSize: 0
; MemoryBound: 0
; FloatMode: 240
; IeeeMode: 1
; LDSByteSize: 0 bytes/workgroup (compile time only)
; SGPRBlocks: 0
; VGPRBlocks: 0
; NumSGPRsForWavesPerEU: 4
; NumVGPRsForWavesPerEU: 1
; Occupancy: 10
; WaveLimiterHint : 0
; COMPUTE_PGM_RSRC2:SCRATCH_EN: 0
; COMPUTE_PGM_RSRC2:USER_SGPR: 6
; COMPUTE_PGM_RSRC2:TRAP_HANDLER: 0
; COMPUTE_PGM_RSRC2:TGID_X_EN: 1
; COMPUTE_PGM_RSRC2:TGID_Y_EN: 0
; COMPUTE_PGM_RSRC2:TGID_Z_EN: 0
; COMPUTE_PGM_RSRC2:TIDIG_COMP_CNT: 0
	.section	.text._ZN7rocprim17ROCPRIM_400000_NS6detail17trampoline_kernelINS0_14default_configENS1_25partition_config_selectorILNS1_17partition_subalgoE8EtNS0_10empty_typeEbEEZZNS1_14partition_implILS5_8ELb0ES3_jN6thrust23THRUST_200600_302600_NS6detail15normal_iteratorINSA_10device_ptrItEEEEPS6_PKS6_NS0_5tupleIJSF_S6_EEENSJ_IJSG_SG_EEENS0_18inequality_wrapperI22is_equal_div_10_uniqueItEEEPmJS6_EEE10hipError_tPvRmT3_T4_T5_T6_T7_T9_mT8_P12ihipStream_tbDpT10_ENKUlT_T0_E_clISt17integral_constantIbLb0EES1A_EEDaS15_S16_EUlS15_E_NS1_11comp_targetILNS1_3genE4ELNS1_11target_archE910ELNS1_3gpuE8ELNS1_3repE0EEENS1_30default_config_static_selectorELNS0_4arch9wavefront6targetE1EEEvT1_,"axG",@progbits,_ZN7rocprim17ROCPRIM_400000_NS6detail17trampoline_kernelINS0_14default_configENS1_25partition_config_selectorILNS1_17partition_subalgoE8EtNS0_10empty_typeEbEEZZNS1_14partition_implILS5_8ELb0ES3_jN6thrust23THRUST_200600_302600_NS6detail15normal_iteratorINSA_10device_ptrItEEEEPS6_PKS6_NS0_5tupleIJSF_S6_EEENSJ_IJSG_SG_EEENS0_18inequality_wrapperI22is_equal_div_10_uniqueItEEEPmJS6_EEE10hipError_tPvRmT3_T4_T5_T6_T7_T9_mT8_P12ihipStream_tbDpT10_ENKUlT_T0_E_clISt17integral_constantIbLb0EES1A_EEDaS15_S16_EUlS15_E_NS1_11comp_targetILNS1_3genE4ELNS1_11target_archE910ELNS1_3gpuE8ELNS1_3repE0EEENS1_30default_config_static_selectorELNS0_4arch9wavefront6targetE1EEEvT1_,comdat
	.protected	_ZN7rocprim17ROCPRIM_400000_NS6detail17trampoline_kernelINS0_14default_configENS1_25partition_config_selectorILNS1_17partition_subalgoE8EtNS0_10empty_typeEbEEZZNS1_14partition_implILS5_8ELb0ES3_jN6thrust23THRUST_200600_302600_NS6detail15normal_iteratorINSA_10device_ptrItEEEEPS6_PKS6_NS0_5tupleIJSF_S6_EEENSJ_IJSG_SG_EEENS0_18inequality_wrapperI22is_equal_div_10_uniqueItEEEPmJS6_EEE10hipError_tPvRmT3_T4_T5_T6_T7_T9_mT8_P12ihipStream_tbDpT10_ENKUlT_T0_E_clISt17integral_constantIbLb0EES1A_EEDaS15_S16_EUlS15_E_NS1_11comp_targetILNS1_3genE4ELNS1_11target_archE910ELNS1_3gpuE8ELNS1_3repE0EEENS1_30default_config_static_selectorELNS0_4arch9wavefront6targetE1EEEvT1_ ; -- Begin function _ZN7rocprim17ROCPRIM_400000_NS6detail17trampoline_kernelINS0_14default_configENS1_25partition_config_selectorILNS1_17partition_subalgoE8EtNS0_10empty_typeEbEEZZNS1_14partition_implILS5_8ELb0ES3_jN6thrust23THRUST_200600_302600_NS6detail15normal_iteratorINSA_10device_ptrItEEEEPS6_PKS6_NS0_5tupleIJSF_S6_EEENSJ_IJSG_SG_EEENS0_18inequality_wrapperI22is_equal_div_10_uniqueItEEEPmJS6_EEE10hipError_tPvRmT3_T4_T5_T6_T7_T9_mT8_P12ihipStream_tbDpT10_ENKUlT_T0_E_clISt17integral_constantIbLb0EES1A_EEDaS15_S16_EUlS15_E_NS1_11comp_targetILNS1_3genE4ELNS1_11target_archE910ELNS1_3gpuE8ELNS1_3repE0EEENS1_30default_config_static_selectorELNS0_4arch9wavefront6targetE1EEEvT1_
	.globl	_ZN7rocprim17ROCPRIM_400000_NS6detail17trampoline_kernelINS0_14default_configENS1_25partition_config_selectorILNS1_17partition_subalgoE8EtNS0_10empty_typeEbEEZZNS1_14partition_implILS5_8ELb0ES3_jN6thrust23THRUST_200600_302600_NS6detail15normal_iteratorINSA_10device_ptrItEEEEPS6_PKS6_NS0_5tupleIJSF_S6_EEENSJ_IJSG_SG_EEENS0_18inequality_wrapperI22is_equal_div_10_uniqueItEEEPmJS6_EEE10hipError_tPvRmT3_T4_T5_T6_T7_T9_mT8_P12ihipStream_tbDpT10_ENKUlT_T0_E_clISt17integral_constantIbLb0EES1A_EEDaS15_S16_EUlS15_E_NS1_11comp_targetILNS1_3genE4ELNS1_11target_archE910ELNS1_3gpuE8ELNS1_3repE0EEENS1_30default_config_static_selectorELNS0_4arch9wavefront6targetE1EEEvT1_
	.p2align	8
	.type	_ZN7rocprim17ROCPRIM_400000_NS6detail17trampoline_kernelINS0_14default_configENS1_25partition_config_selectorILNS1_17partition_subalgoE8EtNS0_10empty_typeEbEEZZNS1_14partition_implILS5_8ELb0ES3_jN6thrust23THRUST_200600_302600_NS6detail15normal_iteratorINSA_10device_ptrItEEEEPS6_PKS6_NS0_5tupleIJSF_S6_EEENSJ_IJSG_SG_EEENS0_18inequality_wrapperI22is_equal_div_10_uniqueItEEEPmJS6_EEE10hipError_tPvRmT3_T4_T5_T6_T7_T9_mT8_P12ihipStream_tbDpT10_ENKUlT_T0_E_clISt17integral_constantIbLb0EES1A_EEDaS15_S16_EUlS15_E_NS1_11comp_targetILNS1_3genE4ELNS1_11target_archE910ELNS1_3gpuE8ELNS1_3repE0EEENS1_30default_config_static_selectorELNS0_4arch9wavefront6targetE1EEEvT1_,@function
_ZN7rocprim17ROCPRIM_400000_NS6detail17trampoline_kernelINS0_14default_configENS1_25partition_config_selectorILNS1_17partition_subalgoE8EtNS0_10empty_typeEbEEZZNS1_14partition_implILS5_8ELb0ES3_jN6thrust23THRUST_200600_302600_NS6detail15normal_iteratorINSA_10device_ptrItEEEEPS6_PKS6_NS0_5tupleIJSF_S6_EEENSJ_IJSG_SG_EEENS0_18inequality_wrapperI22is_equal_div_10_uniqueItEEEPmJS6_EEE10hipError_tPvRmT3_T4_T5_T6_T7_T9_mT8_P12ihipStream_tbDpT10_ENKUlT_T0_E_clISt17integral_constantIbLb0EES1A_EEDaS15_S16_EUlS15_E_NS1_11comp_targetILNS1_3genE4ELNS1_11target_archE910ELNS1_3gpuE8ELNS1_3repE0EEENS1_30default_config_static_selectorELNS0_4arch9wavefront6targetE1EEEvT1_: ; @_ZN7rocprim17ROCPRIM_400000_NS6detail17trampoline_kernelINS0_14default_configENS1_25partition_config_selectorILNS1_17partition_subalgoE8EtNS0_10empty_typeEbEEZZNS1_14partition_implILS5_8ELb0ES3_jN6thrust23THRUST_200600_302600_NS6detail15normal_iteratorINSA_10device_ptrItEEEEPS6_PKS6_NS0_5tupleIJSF_S6_EEENSJ_IJSG_SG_EEENS0_18inequality_wrapperI22is_equal_div_10_uniqueItEEEPmJS6_EEE10hipError_tPvRmT3_T4_T5_T6_T7_T9_mT8_P12ihipStream_tbDpT10_ENKUlT_T0_E_clISt17integral_constantIbLb0EES1A_EEDaS15_S16_EUlS15_E_NS1_11comp_targetILNS1_3genE4ELNS1_11target_archE910ELNS1_3gpuE8ELNS1_3repE0EEENS1_30default_config_static_selectorELNS0_4arch9wavefront6targetE1EEEvT1_
; %bb.0:
	.section	.rodata,"a",@progbits
	.p2align	6, 0x0
	.amdhsa_kernel _ZN7rocprim17ROCPRIM_400000_NS6detail17trampoline_kernelINS0_14default_configENS1_25partition_config_selectorILNS1_17partition_subalgoE8EtNS0_10empty_typeEbEEZZNS1_14partition_implILS5_8ELb0ES3_jN6thrust23THRUST_200600_302600_NS6detail15normal_iteratorINSA_10device_ptrItEEEEPS6_PKS6_NS0_5tupleIJSF_S6_EEENSJ_IJSG_SG_EEENS0_18inequality_wrapperI22is_equal_div_10_uniqueItEEEPmJS6_EEE10hipError_tPvRmT3_T4_T5_T6_T7_T9_mT8_P12ihipStream_tbDpT10_ENKUlT_T0_E_clISt17integral_constantIbLb0EES1A_EEDaS15_S16_EUlS15_E_NS1_11comp_targetILNS1_3genE4ELNS1_11target_archE910ELNS1_3gpuE8ELNS1_3repE0EEENS1_30default_config_static_selectorELNS0_4arch9wavefront6targetE1EEEvT1_
		.amdhsa_group_segment_fixed_size 0
		.amdhsa_private_segment_fixed_size 0
		.amdhsa_kernarg_size 112
		.amdhsa_user_sgpr_count 6
		.amdhsa_user_sgpr_private_segment_buffer 1
		.amdhsa_user_sgpr_dispatch_ptr 0
		.amdhsa_user_sgpr_queue_ptr 0
		.amdhsa_user_sgpr_kernarg_segment_ptr 1
		.amdhsa_user_sgpr_dispatch_id 0
		.amdhsa_user_sgpr_flat_scratch_init 0
		.amdhsa_user_sgpr_private_segment_size 0
		.amdhsa_uses_dynamic_stack 0
		.amdhsa_system_sgpr_private_segment_wavefront_offset 0
		.amdhsa_system_sgpr_workgroup_id_x 1
		.amdhsa_system_sgpr_workgroup_id_y 0
		.amdhsa_system_sgpr_workgroup_id_z 0
		.amdhsa_system_sgpr_workgroup_info 0
		.amdhsa_system_vgpr_workitem_id 0
		.amdhsa_next_free_vgpr 1
		.amdhsa_next_free_sgpr 0
		.amdhsa_reserve_vcc 0
		.amdhsa_reserve_flat_scratch 0
		.amdhsa_float_round_mode_32 0
		.amdhsa_float_round_mode_16_64 0
		.amdhsa_float_denorm_mode_32 3
		.amdhsa_float_denorm_mode_16_64 3
		.amdhsa_dx10_clamp 1
		.amdhsa_ieee_mode 1
		.amdhsa_fp16_overflow 0
		.amdhsa_exception_fp_ieee_invalid_op 0
		.amdhsa_exception_fp_denorm_src 0
		.amdhsa_exception_fp_ieee_div_zero 0
		.amdhsa_exception_fp_ieee_overflow 0
		.amdhsa_exception_fp_ieee_underflow 0
		.amdhsa_exception_fp_ieee_inexact 0
		.amdhsa_exception_int_div_zero 0
	.end_amdhsa_kernel
	.section	.text._ZN7rocprim17ROCPRIM_400000_NS6detail17trampoline_kernelINS0_14default_configENS1_25partition_config_selectorILNS1_17partition_subalgoE8EtNS0_10empty_typeEbEEZZNS1_14partition_implILS5_8ELb0ES3_jN6thrust23THRUST_200600_302600_NS6detail15normal_iteratorINSA_10device_ptrItEEEEPS6_PKS6_NS0_5tupleIJSF_S6_EEENSJ_IJSG_SG_EEENS0_18inequality_wrapperI22is_equal_div_10_uniqueItEEEPmJS6_EEE10hipError_tPvRmT3_T4_T5_T6_T7_T9_mT8_P12ihipStream_tbDpT10_ENKUlT_T0_E_clISt17integral_constantIbLb0EES1A_EEDaS15_S16_EUlS15_E_NS1_11comp_targetILNS1_3genE4ELNS1_11target_archE910ELNS1_3gpuE8ELNS1_3repE0EEENS1_30default_config_static_selectorELNS0_4arch9wavefront6targetE1EEEvT1_,"axG",@progbits,_ZN7rocprim17ROCPRIM_400000_NS6detail17trampoline_kernelINS0_14default_configENS1_25partition_config_selectorILNS1_17partition_subalgoE8EtNS0_10empty_typeEbEEZZNS1_14partition_implILS5_8ELb0ES3_jN6thrust23THRUST_200600_302600_NS6detail15normal_iteratorINSA_10device_ptrItEEEEPS6_PKS6_NS0_5tupleIJSF_S6_EEENSJ_IJSG_SG_EEENS0_18inequality_wrapperI22is_equal_div_10_uniqueItEEEPmJS6_EEE10hipError_tPvRmT3_T4_T5_T6_T7_T9_mT8_P12ihipStream_tbDpT10_ENKUlT_T0_E_clISt17integral_constantIbLb0EES1A_EEDaS15_S16_EUlS15_E_NS1_11comp_targetILNS1_3genE4ELNS1_11target_archE910ELNS1_3gpuE8ELNS1_3repE0EEENS1_30default_config_static_selectorELNS0_4arch9wavefront6targetE1EEEvT1_,comdat
.Lfunc_end309:
	.size	_ZN7rocprim17ROCPRIM_400000_NS6detail17trampoline_kernelINS0_14default_configENS1_25partition_config_selectorILNS1_17partition_subalgoE8EtNS0_10empty_typeEbEEZZNS1_14partition_implILS5_8ELb0ES3_jN6thrust23THRUST_200600_302600_NS6detail15normal_iteratorINSA_10device_ptrItEEEEPS6_PKS6_NS0_5tupleIJSF_S6_EEENSJ_IJSG_SG_EEENS0_18inequality_wrapperI22is_equal_div_10_uniqueItEEEPmJS6_EEE10hipError_tPvRmT3_T4_T5_T6_T7_T9_mT8_P12ihipStream_tbDpT10_ENKUlT_T0_E_clISt17integral_constantIbLb0EES1A_EEDaS15_S16_EUlS15_E_NS1_11comp_targetILNS1_3genE4ELNS1_11target_archE910ELNS1_3gpuE8ELNS1_3repE0EEENS1_30default_config_static_selectorELNS0_4arch9wavefront6targetE1EEEvT1_, .Lfunc_end309-_ZN7rocprim17ROCPRIM_400000_NS6detail17trampoline_kernelINS0_14default_configENS1_25partition_config_selectorILNS1_17partition_subalgoE8EtNS0_10empty_typeEbEEZZNS1_14partition_implILS5_8ELb0ES3_jN6thrust23THRUST_200600_302600_NS6detail15normal_iteratorINSA_10device_ptrItEEEEPS6_PKS6_NS0_5tupleIJSF_S6_EEENSJ_IJSG_SG_EEENS0_18inequality_wrapperI22is_equal_div_10_uniqueItEEEPmJS6_EEE10hipError_tPvRmT3_T4_T5_T6_T7_T9_mT8_P12ihipStream_tbDpT10_ENKUlT_T0_E_clISt17integral_constantIbLb0EES1A_EEDaS15_S16_EUlS15_E_NS1_11comp_targetILNS1_3genE4ELNS1_11target_archE910ELNS1_3gpuE8ELNS1_3repE0EEENS1_30default_config_static_selectorELNS0_4arch9wavefront6targetE1EEEvT1_
                                        ; -- End function
	.set _ZN7rocprim17ROCPRIM_400000_NS6detail17trampoline_kernelINS0_14default_configENS1_25partition_config_selectorILNS1_17partition_subalgoE8EtNS0_10empty_typeEbEEZZNS1_14partition_implILS5_8ELb0ES3_jN6thrust23THRUST_200600_302600_NS6detail15normal_iteratorINSA_10device_ptrItEEEEPS6_PKS6_NS0_5tupleIJSF_S6_EEENSJ_IJSG_SG_EEENS0_18inequality_wrapperI22is_equal_div_10_uniqueItEEEPmJS6_EEE10hipError_tPvRmT3_T4_T5_T6_T7_T9_mT8_P12ihipStream_tbDpT10_ENKUlT_T0_E_clISt17integral_constantIbLb0EES1A_EEDaS15_S16_EUlS15_E_NS1_11comp_targetILNS1_3genE4ELNS1_11target_archE910ELNS1_3gpuE8ELNS1_3repE0EEENS1_30default_config_static_selectorELNS0_4arch9wavefront6targetE1EEEvT1_.num_vgpr, 0
	.set _ZN7rocprim17ROCPRIM_400000_NS6detail17trampoline_kernelINS0_14default_configENS1_25partition_config_selectorILNS1_17partition_subalgoE8EtNS0_10empty_typeEbEEZZNS1_14partition_implILS5_8ELb0ES3_jN6thrust23THRUST_200600_302600_NS6detail15normal_iteratorINSA_10device_ptrItEEEEPS6_PKS6_NS0_5tupleIJSF_S6_EEENSJ_IJSG_SG_EEENS0_18inequality_wrapperI22is_equal_div_10_uniqueItEEEPmJS6_EEE10hipError_tPvRmT3_T4_T5_T6_T7_T9_mT8_P12ihipStream_tbDpT10_ENKUlT_T0_E_clISt17integral_constantIbLb0EES1A_EEDaS15_S16_EUlS15_E_NS1_11comp_targetILNS1_3genE4ELNS1_11target_archE910ELNS1_3gpuE8ELNS1_3repE0EEENS1_30default_config_static_selectorELNS0_4arch9wavefront6targetE1EEEvT1_.num_agpr, 0
	.set _ZN7rocprim17ROCPRIM_400000_NS6detail17trampoline_kernelINS0_14default_configENS1_25partition_config_selectorILNS1_17partition_subalgoE8EtNS0_10empty_typeEbEEZZNS1_14partition_implILS5_8ELb0ES3_jN6thrust23THRUST_200600_302600_NS6detail15normal_iteratorINSA_10device_ptrItEEEEPS6_PKS6_NS0_5tupleIJSF_S6_EEENSJ_IJSG_SG_EEENS0_18inequality_wrapperI22is_equal_div_10_uniqueItEEEPmJS6_EEE10hipError_tPvRmT3_T4_T5_T6_T7_T9_mT8_P12ihipStream_tbDpT10_ENKUlT_T0_E_clISt17integral_constantIbLb0EES1A_EEDaS15_S16_EUlS15_E_NS1_11comp_targetILNS1_3genE4ELNS1_11target_archE910ELNS1_3gpuE8ELNS1_3repE0EEENS1_30default_config_static_selectorELNS0_4arch9wavefront6targetE1EEEvT1_.numbered_sgpr, 0
	.set _ZN7rocprim17ROCPRIM_400000_NS6detail17trampoline_kernelINS0_14default_configENS1_25partition_config_selectorILNS1_17partition_subalgoE8EtNS0_10empty_typeEbEEZZNS1_14partition_implILS5_8ELb0ES3_jN6thrust23THRUST_200600_302600_NS6detail15normal_iteratorINSA_10device_ptrItEEEEPS6_PKS6_NS0_5tupleIJSF_S6_EEENSJ_IJSG_SG_EEENS0_18inequality_wrapperI22is_equal_div_10_uniqueItEEEPmJS6_EEE10hipError_tPvRmT3_T4_T5_T6_T7_T9_mT8_P12ihipStream_tbDpT10_ENKUlT_T0_E_clISt17integral_constantIbLb0EES1A_EEDaS15_S16_EUlS15_E_NS1_11comp_targetILNS1_3genE4ELNS1_11target_archE910ELNS1_3gpuE8ELNS1_3repE0EEENS1_30default_config_static_selectorELNS0_4arch9wavefront6targetE1EEEvT1_.num_named_barrier, 0
	.set _ZN7rocprim17ROCPRIM_400000_NS6detail17trampoline_kernelINS0_14default_configENS1_25partition_config_selectorILNS1_17partition_subalgoE8EtNS0_10empty_typeEbEEZZNS1_14partition_implILS5_8ELb0ES3_jN6thrust23THRUST_200600_302600_NS6detail15normal_iteratorINSA_10device_ptrItEEEEPS6_PKS6_NS0_5tupleIJSF_S6_EEENSJ_IJSG_SG_EEENS0_18inequality_wrapperI22is_equal_div_10_uniqueItEEEPmJS6_EEE10hipError_tPvRmT3_T4_T5_T6_T7_T9_mT8_P12ihipStream_tbDpT10_ENKUlT_T0_E_clISt17integral_constantIbLb0EES1A_EEDaS15_S16_EUlS15_E_NS1_11comp_targetILNS1_3genE4ELNS1_11target_archE910ELNS1_3gpuE8ELNS1_3repE0EEENS1_30default_config_static_selectorELNS0_4arch9wavefront6targetE1EEEvT1_.private_seg_size, 0
	.set _ZN7rocprim17ROCPRIM_400000_NS6detail17trampoline_kernelINS0_14default_configENS1_25partition_config_selectorILNS1_17partition_subalgoE8EtNS0_10empty_typeEbEEZZNS1_14partition_implILS5_8ELb0ES3_jN6thrust23THRUST_200600_302600_NS6detail15normal_iteratorINSA_10device_ptrItEEEEPS6_PKS6_NS0_5tupleIJSF_S6_EEENSJ_IJSG_SG_EEENS0_18inequality_wrapperI22is_equal_div_10_uniqueItEEEPmJS6_EEE10hipError_tPvRmT3_T4_T5_T6_T7_T9_mT8_P12ihipStream_tbDpT10_ENKUlT_T0_E_clISt17integral_constantIbLb0EES1A_EEDaS15_S16_EUlS15_E_NS1_11comp_targetILNS1_3genE4ELNS1_11target_archE910ELNS1_3gpuE8ELNS1_3repE0EEENS1_30default_config_static_selectorELNS0_4arch9wavefront6targetE1EEEvT1_.uses_vcc, 0
	.set _ZN7rocprim17ROCPRIM_400000_NS6detail17trampoline_kernelINS0_14default_configENS1_25partition_config_selectorILNS1_17partition_subalgoE8EtNS0_10empty_typeEbEEZZNS1_14partition_implILS5_8ELb0ES3_jN6thrust23THRUST_200600_302600_NS6detail15normal_iteratorINSA_10device_ptrItEEEEPS6_PKS6_NS0_5tupleIJSF_S6_EEENSJ_IJSG_SG_EEENS0_18inequality_wrapperI22is_equal_div_10_uniqueItEEEPmJS6_EEE10hipError_tPvRmT3_T4_T5_T6_T7_T9_mT8_P12ihipStream_tbDpT10_ENKUlT_T0_E_clISt17integral_constantIbLb0EES1A_EEDaS15_S16_EUlS15_E_NS1_11comp_targetILNS1_3genE4ELNS1_11target_archE910ELNS1_3gpuE8ELNS1_3repE0EEENS1_30default_config_static_selectorELNS0_4arch9wavefront6targetE1EEEvT1_.uses_flat_scratch, 0
	.set _ZN7rocprim17ROCPRIM_400000_NS6detail17trampoline_kernelINS0_14default_configENS1_25partition_config_selectorILNS1_17partition_subalgoE8EtNS0_10empty_typeEbEEZZNS1_14partition_implILS5_8ELb0ES3_jN6thrust23THRUST_200600_302600_NS6detail15normal_iteratorINSA_10device_ptrItEEEEPS6_PKS6_NS0_5tupleIJSF_S6_EEENSJ_IJSG_SG_EEENS0_18inequality_wrapperI22is_equal_div_10_uniqueItEEEPmJS6_EEE10hipError_tPvRmT3_T4_T5_T6_T7_T9_mT8_P12ihipStream_tbDpT10_ENKUlT_T0_E_clISt17integral_constantIbLb0EES1A_EEDaS15_S16_EUlS15_E_NS1_11comp_targetILNS1_3genE4ELNS1_11target_archE910ELNS1_3gpuE8ELNS1_3repE0EEENS1_30default_config_static_selectorELNS0_4arch9wavefront6targetE1EEEvT1_.has_dyn_sized_stack, 0
	.set _ZN7rocprim17ROCPRIM_400000_NS6detail17trampoline_kernelINS0_14default_configENS1_25partition_config_selectorILNS1_17partition_subalgoE8EtNS0_10empty_typeEbEEZZNS1_14partition_implILS5_8ELb0ES3_jN6thrust23THRUST_200600_302600_NS6detail15normal_iteratorINSA_10device_ptrItEEEEPS6_PKS6_NS0_5tupleIJSF_S6_EEENSJ_IJSG_SG_EEENS0_18inequality_wrapperI22is_equal_div_10_uniqueItEEEPmJS6_EEE10hipError_tPvRmT3_T4_T5_T6_T7_T9_mT8_P12ihipStream_tbDpT10_ENKUlT_T0_E_clISt17integral_constantIbLb0EES1A_EEDaS15_S16_EUlS15_E_NS1_11comp_targetILNS1_3genE4ELNS1_11target_archE910ELNS1_3gpuE8ELNS1_3repE0EEENS1_30default_config_static_selectorELNS0_4arch9wavefront6targetE1EEEvT1_.has_recursion, 0
	.set _ZN7rocprim17ROCPRIM_400000_NS6detail17trampoline_kernelINS0_14default_configENS1_25partition_config_selectorILNS1_17partition_subalgoE8EtNS0_10empty_typeEbEEZZNS1_14partition_implILS5_8ELb0ES3_jN6thrust23THRUST_200600_302600_NS6detail15normal_iteratorINSA_10device_ptrItEEEEPS6_PKS6_NS0_5tupleIJSF_S6_EEENSJ_IJSG_SG_EEENS0_18inequality_wrapperI22is_equal_div_10_uniqueItEEEPmJS6_EEE10hipError_tPvRmT3_T4_T5_T6_T7_T9_mT8_P12ihipStream_tbDpT10_ENKUlT_T0_E_clISt17integral_constantIbLb0EES1A_EEDaS15_S16_EUlS15_E_NS1_11comp_targetILNS1_3genE4ELNS1_11target_archE910ELNS1_3gpuE8ELNS1_3repE0EEENS1_30default_config_static_selectorELNS0_4arch9wavefront6targetE1EEEvT1_.has_indirect_call, 0
	.section	.AMDGPU.csdata,"",@progbits
; Kernel info:
; codeLenInByte = 0
; TotalNumSgprs: 4
; NumVgprs: 0
; ScratchSize: 0
; MemoryBound: 0
; FloatMode: 240
; IeeeMode: 1
; LDSByteSize: 0 bytes/workgroup (compile time only)
; SGPRBlocks: 0
; VGPRBlocks: 0
; NumSGPRsForWavesPerEU: 4
; NumVGPRsForWavesPerEU: 1
; Occupancy: 10
; WaveLimiterHint : 0
; COMPUTE_PGM_RSRC2:SCRATCH_EN: 0
; COMPUTE_PGM_RSRC2:USER_SGPR: 6
; COMPUTE_PGM_RSRC2:TRAP_HANDLER: 0
; COMPUTE_PGM_RSRC2:TGID_X_EN: 1
; COMPUTE_PGM_RSRC2:TGID_Y_EN: 0
; COMPUTE_PGM_RSRC2:TGID_Z_EN: 0
; COMPUTE_PGM_RSRC2:TIDIG_COMP_CNT: 0
	.section	.text._ZN7rocprim17ROCPRIM_400000_NS6detail17trampoline_kernelINS0_14default_configENS1_25partition_config_selectorILNS1_17partition_subalgoE8EtNS0_10empty_typeEbEEZZNS1_14partition_implILS5_8ELb0ES3_jN6thrust23THRUST_200600_302600_NS6detail15normal_iteratorINSA_10device_ptrItEEEEPS6_PKS6_NS0_5tupleIJSF_S6_EEENSJ_IJSG_SG_EEENS0_18inequality_wrapperI22is_equal_div_10_uniqueItEEEPmJS6_EEE10hipError_tPvRmT3_T4_T5_T6_T7_T9_mT8_P12ihipStream_tbDpT10_ENKUlT_T0_E_clISt17integral_constantIbLb0EES1A_EEDaS15_S16_EUlS15_E_NS1_11comp_targetILNS1_3genE3ELNS1_11target_archE908ELNS1_3gpuE7ELNS1_3repE0EEENS1_30default_config_static_selectorELNS0_4arch9wavefront6targetE1EEEvT1_,"axG",@progbits,_ZN7rocprim17ROCPRIM_400000_NS6detail17trampoline_kernelINS0_14default_configENS1_25partition_config_selectorILNS1_17partition_subalgoE8EtNS0_10empty_typeEbEEZZNS1_14partition_implILS5_8ELb0ES3_jN6thrust23THRUST_200600_302600_NS6detail15normal_iteratorINSA_10device_ptrItEEEEPS6_PKS6_NS0_5tupleIJSF_S6_EEENSJ_IJSG_SG_EEENS0_18inequality_wrapperI22is_equal_div_10_uniqueItEEEPmJS6_EEE10hipError_tPvRmT3_T4_T5_T6_T7_T9_mT8_P12ihipStream_tbDpT10_ENKUlT_T0_E_clISt17integral_constantIbLb0EES1A_EEDaS15_S16_EUlS15_E_NS1_11comp_targetILNS1_3genE3ELNS1_11target_archE908ELNS1_3gpuE7ELNS1_3repE0EEENS1_30default_config_static_selectorELNS0_4arch9wavefront6targetE1EEEvT1_,comdat
	.protected	_ZN7rocprim17ROCPRIM_400000_NS6detail17trampoline_kernelINS0_14default_configENS1_25partition_config_selectorILNS1_17partition_subalgoE8EtNS0_10empty_typeEbEEZZNS1_14partition_implILS5_8ELb0ES3_jN6thrust23THRUST_200600_302600_NS6detail15normal_iteratorINSA_10device_ptrItEEEEPS6_PKS6_NS0_5tupleIJSF_S6_EEENSJ_IJSG_SG_EEENS0_18inequality_wrapperI22is_equal_div_10_uniqueItEEEPmJS6_EEE10hipError_tPvRmT3_T4_T5_T6_T7_T9_mT8_P12ihipStream_tbDpT10_ENKUlT_T0_E_clISt17integral_constantIbLb0EES1A_EEDaS15_S16_EUlS15_E_NS1_11comp_targetILNS1_3genE3ELNS1_11target_archE908ELNS1_3gpuE7ELNS1_3repE0EEENS1_30default_config_static_selectorELNS0_4arch9wavefront6targetE1EEEvT1_ ; -- Begin function _ZN7rocprim17ROCPRIM_400000_NS6detail17trampoline_kernelINS0_14default_configENS1_25partition_config_selectorILNS1_17partition_subalgoE8EtNS0_10empty_typeEbEEZZNS1_14partition_implILS5_8ELb0ES3_jN6thrust23THRUST_200600_302600_NS6detail15normal_iteratorINSA_10device_ptrItEEEEPS6_PKS6_NS0_5tupleIJSF_S6_EEENSJ_IJSG_SG_EEENS0_18inequality_wrapperI22is_equal_div_10_uniqueItEEEPmJS6_EEE10hipError_tPvRmT3_T4_T5_T6_T7_T9_mT8_P12ihipStream_tbDpT10_ENKUlT_T0_E_clISt17integral_constantIbLb0EES1A_EEDaS15_S16_EUlS15_E_NS1_11comp_targetILNS1_3genE3ELNS1_11target_archE908ELNS1_3gpuE7ELNS1_3repE0EEENS1_30default_config_static_selectorELNS0_4arch9wavefront6targetE1EEEvT1_
	.globl	_ZN7rocprim17ROCPRIM_400000_NS6detail17trampoline_kernelINS0_14default_configENS1_25partition_config_selectorILNS1_17partition_subalgoE8EtNS0_10empty_typeEbEEZZNS1_14partition_implILS5_8ELb0ES3_jN6thrust23THRUST_200600_302600_NS6detail15normal_iteratorINSA_10device_ptrItEEEEPS6_PKS6_NS0_5tupleIJSF_S6_EEENSJ_IJSG_SG_EEENS0_18inequality_wrapperI22is_equal_div_10_uniqueItEEEPmJS6_EEE10hipError_tPvRmT3_T4_T5_T6_T7_T9_mT8_P12ihipStream_tbDpT10_ENKUlT_T0_E_clISt17integral_constantIbLb0EES1A_EEDaS15_S16_EUlS15_E_NS1_11comp_targetILNS1_3genE3ELNS1_11target_archE908ELNS1_3gpuE7ELNS1_3repE0EEENS1_30default_config_static_selectorELNS0_4arch9wavefront6targetE1EEEvT1_
	.p2align	8
	.type	_ZN7rocprim17ROCPRIM_400000_NS6detail17trampoline_kernelINS0_14default_configENS1_25partition_config_selectorILNS1_17partition_subalgoE8EtNS0_10empty_typeEbEEZZNS1_14partition_implILS5_8ELb0ES3_jN6thrust23THRUST_200600_302600_NS6detail15normal_iteratorINSA_10device_ptrItEEEEPS6_PKS6_NS0_5tupleIJSF_S6_EEENSJ_IJSG_SG_EEENS0_18inequality_wrapperI22is_equal_div_10_uniqueItEEEPmJS6_EEE10hipError_tPvRmT3_T4_T5_T6_T7_T9_mT8_P12ihipStream_tbDpT10_ENKUlT_T0_E_clISt17integral_constantIbLb0EES1A_EEDaS15_S16_EUlS15_E_NS1_11comp_targetILNS1_3genE3ELNS1_11target_archE908ELNS1_3gpuE7ELNS1_3repE0EEENS1_30default_config_static_selectorELNS0_4arch9wavefront6targetE1EEEvT1_,@function
_ZN7rocprim17ROCPRIM_400000_NS6detail17trampoline_kernelINS0_14default_configENS1_25partition_config_selectorILNS1_17partition_subalgoE8EtNS0_10empty_typeEbEEZZNS1_14partition_implILS5_8ELb0ES3_jN6thrust23THRUST_200600_302600_NS6detail15normal_iteratorINSA_10device_ptrItEEEEPS6_PKS6_NS0_5tupleIJSF_S6_EEENSJ_IJSG_SG_EEENS0_18inequality_wrapperI22is_equal_div_10_uniqueItEEEPmJS6_EEE10hipError_tPvRmT3_T4_T5_T6_T7_T9_mT8_P12ihipStream_tbDpT10_ENKUlT_T0_E_clISt17integral_constantIbLb0EES1A_EEDaS15_S16_EUlS15_E_NS1_11comp_targetILNS1_3genE3ELNS1_11target_archE908ELNS1_3gpuE7ELNS1_3repE0EEENS1_30default_config_static_selectorELNS0_4arch9wavefront6targetE1EEEvT1_: ; @_ZN7rocprim17ROCPRIM_400000_NS6detail17trampoline_kernelINS0_14default_configENS1_25partition_config_selectorILNS1_17partition_subalgoE8EtNS0_10empty_typeEbEEZZNS1_14partition_implILS5_8ELb0ES3_jN6thrust23THRUST_200600_302600_NS6detail15normal_iteratorINSA_10device_ptrItEEEEPS6_PKS6_NS0_5tupleIJSF_S6_EEENSJ_IJSG_SG_EEENS0_18inequality_wrapperI22is_equal_div_10_uniqueItEEEPmJS6_EEE10hipError_tPvRmT3_T4_T5_T6_T7_T9_mT8_P12ihipStream_tbDpT10_ENKUlT_T0_E_clISt17integral_constantIbLb0EES1A_EEDaS15_S16_EUlS15_E_NS1_11comp_targetILNS1_3genE3ELNS1_11target_archE908ELNS1_3gpuE7ELNS1_3repE0EEENS1_30default_config_static_selectorELNS0_4arch9wavefront6targetE1EEEvT1_
; %bb.0:
	.section	.rodata,"a",@progbits
	.p2align	6, 0x0
	.amdhsa_kernel _ZN7rocprim17ROCPRIM_400000_NS6detail17trampoline_kernelINS0_14default_configENS1_25partition_config_selectorILNS1_17partition_subalgoE8EtNS0_10empty_typeEbEEZZNS1_14partition_implILS5_8ELb0ES3_jN6thrust23THRUST_200600_302600_NS6detail15normal_iteratorINSA_10device_ptrItEEEEPS6_PKS6_NS0_5tupleIJSF_S6_EEENSJ_IJSG_SG_EEENS0_18inequality_wrapperI22is_equal_div_10_uniqueItEEEPmJS6_EEE10hipError_tPvRmT3_T4_T5_T6_T7_T9_mT8_P12ihipStream_tbDpT10_ENKUlT_T0_E_clISt17integral_constantIbLb0EES1A_EEDaS15_S16_EUlS15_E_NS1_11comp_targetILNS1_3genE3ELNS1_11target_archE908ELNS1_3gpuE7ELNS1_3repE0EEENS1_30default_config_static_selectorELNS0_4arch9wavefront6targetE1EEEvT1_
		.amdhsa_group_segment_fixed_size 0
		.amdhsa_private_segment_fixed_size 0
		.amdhsa_kernarg_size 112
		.amdhsa_user_sgpr_count 6
		.amdhsa_user_sgpr_private_segment_buffer 1
		.amdhsa_user_sgpr_dispatch_ptr 0
		.amdhsa_user_sgpr_queue_ptr 0
		.amdhsa_user_sgpr_kernarg_segment_ptr 1
		.amdhsa_user_sgpr_dispatch_id 0
		.amdhsa_user_sgpr_flat_scratch_init 0
		.amdhsa_user_sgpr_private_segment_size 0
		.amdhsa_uses_dynamic_stack 0
		.amdhsa_system_sgpr_private_segment_wavefront_offset 0
		.amdhsa_system_sgpr_workgroup_id_x 1
		.amdhsa_system_sgpr_workgroup_id_y 0
		.amdhsa_system_sgpr_workgroup_id_z 0
		.amdhsa_system_sgpr_workgroup_info 0
		.amdhsa_system_vgpr_workitem_id 0
		.amdhsa_next_free_vgpr 1
		.amdhsa_next_free_sgpr 0
		.amdhsa_reserve_vcc 0
		.amdhsa_reserve_flat_scratch 0
		.amdhsa_float_round_mode_32 0
		.amdhsa_float_round_mode_16_64 0
		.amdhsa_float_denorm_mode_32 3
		.amdhsa_float_denorm_mode_16_64 3
		.amdhsa_dx10_clamp 1
		.amdhsa_ieee_mode 1
		.amdhsa_fp16_overflow 0
		.amdhsa_exception_fp_ieee_invalid_op 0
		.amdhsa_exception_fp_denorm_src 0
		.amdhsa_exception_fp_ieee_div_zero 0
		.amdhsa_exception_fp_ieee_overflow 0
		.amdhsa_exception_fp_ieee_underflow 0
		.amdhsa_exception_fp_ieee_inexact 0
		.amdhsa_exception_int_div_zero 0
	.end_amdhsa_kernel
	.section	.text._ZN7rocprim17ROCPRIM_400000_NS6detail17trampoline_kernelINS0_14default_configENS1_25partition_config_selectorILNS1_17partition_subalgoE8EtNS0_10empty_typeEbEEZZNS1_14partition_implILS5_8ELb0ES3_jN6thrust23THRUST_200600_302600_NS6detail15normal_iteratorINSA_10device_ptrItEEEEPS6_PKS6_NS0_5tupleIJSF_S6_EEENSJ_IJSG_SG_EEENS0_18inequality_wrapperI22is_equal_div_10_uniqueItEEEPmJS6_EEE10hipError_tPvRmT3_T4_T5_T6_T7_T9_mT8_P12ihipStream_tbDpT10_ENKUlT_T0_E_clISt17integral_constantIbLb0EES1A_EEDaS15_S16_EUlS15_E_NS1_11comp_targetILNS1_3genE3ELNS1_11target_archE908ELNS1_3gpuE7ELNS1_3repE0EEENS1_30default_config_static_selectorELNS0_4arch9wavefront6targetE1EEEvT1_,"axG",@progbits,_ZN7rocprim17ROCPRIM_400000_NS6detail17trampoline_kernelINS0_14default_configENS1_25partition_config_selectorILNS1_17partition_subalgoE8EtNS0_10empty_typeEbEEZZNS1_14partition_implILS5_8ELb0ES3_jN6thrust23THRUST_200600_302600_NS6detail15normal_iteratorINSA_10device_ptrItEEEEPS6_PKS6_NS0_5tupleIJSF_S6_EEENSJ_IJSG_SG_EEENS0_18inequality_wrapperI22is_equal_div_10_uniqueItEEEPmJS6_EEE10hipError_tPvRmT3_T4_T5_T6_T7_T9_mT8_P12ihipStream_tbDpT10_ENKUlT_T0_E_clISt17integral_constantIbLb0EES1A_EEDaS15_S16_EUlS15_E_NS1_11comp_targetILNS1_3genE3ELNS1_11target_archE908ELNS1_3gpuE7ELNS1_3repE0EEENS1_30default_config_static_selectorELNS0_4arch9wavefront6targetE1EEEvT1_,comdat
.Lfunc_end310:
	.size	_ZN7rocprim17ROCPRIM_400000_NS6detail17trampoline_kernelINS0_14default_configENS1_25partition_config_selectorILNS1_17partition_subalgoE8EtNS0_10empty_typeEbEEZZNS1_14partition_implILS5_8ELb0ES3_jN6thrust23THRUST_200600_302600_NS6detail15normal_iteratorINSA_10device_ptrItEEEEPS6_PKS6_NS0_5tupleIJSF_S6_EEENSJ_IJSG_SG_EEENS0_18inequality_wrapperI22is_equal_div_10_uniqueItEEEPmJS6_EEE10hipError_tPvRmT3_T4_T5_T6_T7_T9_mT8_P12ihipStream_tbDpT10_ENKUlT_T0_E_clISt17integral_constantIbLb0EES1A_EEDaS15_S16_EUlS15_E_NS1_11comp_targetILNS1_3genE3ELNS1_11target_archE908ELNS1_3gpuE7ELNS1_3repE0EEENS1_30default_config_static_selectorELNS0_4arch9wavefront6targetE1EEEvT1_, .Lfunc_end310-_ZN7rocprim17ROCPRIM_400000_NS6detail17trampoline_kernelINS0_14default_configENS1_25partition_config_selectorILNS1_17partition_subalgoE8EtNS0_10empty_typeEbEEZZNS1_14partition_implILS5_8ELb0ES3_jN6thrust23THRUST_200600_302600_NS6detail15normal_iteratorINSA_10device_ptrItEEEEPS6_PKS6_NS0_5tupleIJSF_S6_EEENSJ_IJSG_SG_EEENS0_18inequality_wrapperI22is_equal_div_10_uniqueItEEEPmJS6_EEE10hipError_tPvRmT3_T4_T5_T6_T7_T9_mT8_P12ihipStream_tbDpT10_ENKUlT_T0_E_clISt17integral_constantIbLb0EES1A_EEDaS15_S16_EUlS15_E_NS1_11comp_targetILNS1_3genE3ELNS1_11target_archE908ELNS1_3gpuE7ELNS1_3repE0EEENS1_30default_config_static_selectorELNS0_4arch9wavefront6targetE1EEEvT1_
                                        ; -- End function
	.set _ZN7rocprim17ROCPRIM_400000_NS6detail17trampoline_kernelINS0_14default_configENS1_25partition_config_selectorILNS1_17partition_subalgoE8EtNS0_10empty_typeEbEEZZNS1_14partition_implILS5_8ELb0ES3_jN6thrust23THRUST_200600_302600_NS6detail15normal_iteratorINSA_10device_ptrItEEEEPS6_PKS6_NS0_5tupleIJSF_S6_EEENSJ_IJSG_SG_EEENS0_18inequality_wrapperI22is_equal_div_10_uniqueItEEEPmJS6_EEE10hipError_tPvRmT3_T4_T5_T6_T7_T9_mT8_P12ihipStream_tbDpT10_ENKUlT_T0_E_clISt17integral_constantIbLb0EES1A_EEDaS15_S16_EUlS15_E_NS1_11comp_targetILNS1_3genE3ELNS1_11target_archE908ELNS1_3gpuE7ELNS1_3repE0EEENS1_30default_config_static_selectorELNS0_4arch9wavefront6targetE1EEEvT1_.num_vgpr, 0
	.set _ZN7rocprim17ROCPRIM_400000_NS6detail17trampoline_kernelINS0_14default_configENS1_25partition_config_selectorILNS1_17partition_subalgoE8EtNS0_10empty_typeEbEEZZNS1_14partition_implILS5_8ELb0ES3_jN6thrust23THRUST_200600_302600_NS6detail15normal_iteratorINSA_10device_ptrItEEEEPS6_PKS6_NS0_5tupleIJSF_S6_EEENSJ_IJSG_SG_EEENS0_18inequality_wrapperI22is_equal_div_10_uniqueItEEEPmJS6_EEE10hipError_tPvRmT3_T4_T5_T6_T7_T9_mT8_P12ihipStream_tbDpT10_ENKUlT_T0_E_clISt17integral_constantIbLb0EES1A_EEDaS15_S16_EUlS15_E_NS1_11comp_targetILNS1_3genE3ELNS1_11target_archE908ELNS1_3gpuE7ELNS1_3repE0EEENS1_30default_config_static_selectorELNS0_4arch9wavefront6targetE1EEEvT1_.num_agpr, 0
	.set _ZN7rocprim17ROCPRIM_400000_NS6detail17trampoline_kernelINS0_14default_configENS1_25partition_config_selectorILNS1_17partition_subalgoE8EtNS0_10empty_typeEbEEZZNS1_14partition_implILS5_8ELb0ES3_jN6thrust23THRUST_200600_302600_NS6detail15normal_iteratorINSA_10device_ptrItEEEEPS6_PKS6_NS0_5tupleIJSF_S6_EEENSJ_IJSG_SG_EEENS0_18inequality_wrapperI22is_equal_div_10_uniqueItEEEPmJS6_EEE10hipError_tPvRmT3_T4_T5_T6_T7_T9_mT8_P12ihipStream_tbDpT10_ENKUlT_T0_E_clISt17integral_constantIbLb0EES1A_EEDaS15_S16_EUlS15_E_NS1_11comp_targetILNS1_3genE3ELNS1_11target_archE908ELNS1_3gpuE7ELNS1_3repE0EEENS1_30default_config_static_selectorELNS0_4arch9wavefront6targetE1EEEvT1_.numbered_sgpr, 0
	.set _ZN7rocprim17ROCPRIM_400000_NS6detail17trampoline_kernelINS0_14default_configENS1_25partition_config_selectorILNS1_17partition_subalgoE8EtNS0_10empty_typeEbEEZZNS1_14partition_implILS5_8ELb0ES3_jN6thrust23THRUST_200600_302600_NS6detail15normal_iteratorINSA_10device_ptrItEEEEPS6_PKS6_NS0_5tupleIJSF_S6_EEENSJ_IJSG_SG_EEENS0_18inequality_wrapperI22is_equal_div_10_uniqueItEEEPmJS6_EEE10hipError_tPvRmT3_T4_T5_T6_T7_T9_mT8_P12ihipStream_tbDpT10_ENKUlT_T0_E_clISt17integral_constantIbLb0EES1A_EEDaS15_S16_EUlS15_E_NS1_11comp_targetILNS1_3genE3ELNS1_11target_archE908ELNS1_3gpuE7ELNS1_3repE0EEENS1_30default_config_static_selectorELNS0_4arch9wavefront6targetE1EEEvT1_.num_named_barrier, 0
	.set _ZN7rocprim17ROCPRIM_400000_NS6detail17trampoline_kernelINS0_14default_configENS1_25partition_config_selectorILNS1_17partition_subalgoE8EtNS0_10empty_typeEbEEZZNS1_14partition_implILS5_8ELb0ES3_jN6thrust23THRUST_200600_302600_NS6detail15normal_iteratorINSA_10device_ptrItEEEEPS6_PKS6_NS0_5tupleIJSF_S6_EEENSJ_IJSG_SG_EEENS0_18inequality_wrapperI22is_equal_div_10_uniqueItEEEPmJS6_EEE10hipError_tPvRmT3_T4_T5_T6_T7_T9_mT8_P12ihipStream_tbDpT10_ENKUlT_T0_E_clISt17integral_constantIbLb0EES1A_EEDaS15_S16_EUlS15_E_NS1_11comp_targetILNS1_3genE3ELNS1_11target_archE908ELNS1_3gpuE7ELNS1_3repE0EEENS1_30default_config_static_selectorELNS0_4arch9wavefront6targetE1EEEvT1_.private_seg_size, 0
	.set _ZN7rocprim17ROCPRIM_400000_NS6detail17trampoline_kernelINS0_14default_configENS1_25partition_config_selectorILNS1_17partition_subalgoE8EtNS0_10empty_typeEbEEZZNS1_14partition_implILS5_8ELb0ES3_jN6thrust23THRUST_200600_302600_NS6detail15normal_iteratorINSA_10device_ptrItEEEEPS6_PKS6_NS0_5tupleIJSF_S6_EEENSJ_IJSG_SG_EEENS0_18inequality_wrapperI22is_equal_div_10_uniqueItEEEPmJS6_EEE10hipError_tPvRmT3_T4_T5_T6_T7_T9_mT8_P12ihipStream_tbDpT10_ENKUlT_T0_E_clISt17integral_constantIbLb0EES1A_EEDaS15_S16_EUlS15_E_NS1_11comp_targetILNS1_3genE3ELNS1_11target_archE908ELNS1_3gpuE7ELNS1_3repE0EEENS1_30default_config_static_selectorELNS0_4arch9wavefront6targetE1EEEvT1_.uses_vcc, 0
	.set _ZN7rocprim17ROCPRIM_400000_NS6detail17trampoline_kernelINS0_14default_configENS1_25partition_config_selectorILNS1_17partition_subalgoE8EtNS0_10empty_typeEbEEZZNS1_14partition_implILS5_8ELb0ES3_jN6thrust23THRUST_200600_302600_NS6detail15normal_iteratorINSA_10device_ptrItEEEEPS6_PKS6_NS0_5tupleIJSF_S6_EEENSJ_IJSG_SG_EEENS0_18inequality_wrapperI22is_equal_div_10_uniqueItEEEPmJS6_EEE10hipError_tPvRmT3_T4_T5_T6_T7_T9_mT8_P12ihipStream_tbDpT10_ENKUlT_T0_E_clISt17integral_constantIbLb0EES1A_EEDaS15_S16_EUlS15_E_NS1_11comp_targetILNS1_3genE3ELNS1_11target_archE908ELNS1_3gpuE7ELNS1_3repE0EEENS1_30default_config_static_selectorELNS0_4arch9wavefront6targetE1EEEvT1_.uses_flat_scratch, 0
	.set _ZN7rocprim17ROCPRIM_400000_NS6detail17trampoline_kernelINS0_14default_configENS1_25partition_config_selectorILNS1_17partition_subalgoE8EtNS0_10empty_typeEbEEZZNS1_14partition_implILS5_8ELb0ES3_jN6thrust23THRUST_200600_302600_NS6detail15normal_iteratorINSA_10device_ptrItEEEEPS6_PKS6_NS0_5tupleIJSF_S6_EEENSJ_IJSG_SG_EEENS0_18inequality_wrapperI22is_equal_div_10_uniqueItEEEPmJS6_EEE10hipError_tPvRmT3_T4_T5_T6_T7_T9_mT8_P12ihipStream_tbDpT10_ENKUlT_T0_E_clISt17integral_constantIbLb0EES1A_EEDaS15_S16_EUlS15_E_NS1_11comp_targetILNS1_3genE3ELNS1_11target_archE908ELNS1_3gpuE7ELNS1_3repE0EEENS1_30default_config_static_selectorELNS0_4arch9wavefront6targetE1EEEvT1_.has_dyn_sized_stack, 0
	.set _ZN7rocprim17ROCPRIM_400000_NS6detail17trampoline_kernelINS0_14default_configENS1_25partition_config_selectorILNS1_17partition_subalgoE8EtNS0_10empty_typeEbEEZZNS1_14partition_implILS5_8ELb0ES3_jN6thrust23THRUST_200600_302600_NS6detail15normal_iteratorINSA_10device_ptrItEEEEPS6_PKS6_NS0_5tupleIJSF_S6_EEENSJ_IJSG_SG_EEENS0_18inequality_wrapperI22is_equal_div_10_uniqueItEEEPmJS6_EEE10hipError_tPvRmT3_T4_T5_T6_T7_T9_mT8_P12ihipStream_tbDpT10_ENKUlT_T0_E_clISt17integral_constantIbLb0EES1A_EEDaS15_S16_EUlS15_E_NS1_11comp_targetILNS1_3genE3ELNS1_11target_archE908ELNS1_3gpuE7ELNS1_3repE0EEENS1_30default_config_static_selectorELNS0_4arch9wavefront6targetE1EEEvT1_.has_recursion, 0
	.set _ZN7rocprim17ROCPRIM_400000_NS6detail17trampoline_kernelINS0_14default_configENS1_25partition_config_selectorILNS1_17partition_subalgoE8EtNS0_10empty_typeEbEEZZNS1_14partition_implILS5_8ELb0ES3_jN6thrust23THRUST_200600_302600_NS6detail15normal_iteratorINSA_10device_ptrItEEEEPS6_PKS6_NS0_5tupleIJSF_S6_EEENSJ_IJSG_SG_EEENS0_18inequality_wrapperI22is_equal_div_10_uniqueItEEEPmJS6_EEE10hipError_tPvRmT3_T4_T5_T6_T7_T9_mT8_P12ihipStream_tbDpT10_ENKUlT_T0_E_clISt17integral_constantIbLb0EES1A_EEDaS15_S16_EUlS15_E_NS1_11comp_targetILNS1_3genE3ELNS1_11target_archE908ELNS1_3gpuE7ELNS1_3repE0EEENS1_30default_config_static_selectorELNS0_4arch9wavefront6targetE1EEEvT1_.has_indirect_call, 0
	.section	.AMDGPU.csdata,"",@progbits
; Kernel info:
; codeLenInByte = 0
; TotalNumSgprs: 4
; NumVgprs: 0
; ScratchSize: 0
; MemoryBound: 0
; FloatMode: 240
; IeeeMode: 1
; LDSByteSize: 0 bytes/workgroup (compile time only)
; SGPRBlocks: 0
; VGPRBlocks: 0
; NumSGPRsForWavesPerEU: 4
; NumVGPRsForWavesPerEU: 1
; Occupancy: 10
; WaveLimiterHint : 0
; COMPUTE_PGM_RSRC2:SCRATCH_EN: 0
; COMPUTE_PGM_RSRC2:USER_SGPR: 6
; COMPUTE_PGM_RSRC2:TRAP_HANDLER: 0
; COMPUTE_PGM_RSRC2:TGID_X_EN: 1
; COMPUTE_PGM_RSRC2:TGID_Y_EN: 0
; COMPUTE_PGM_RSRC2:TGID_Z_EN: 0
; COMPUTE_PGM_RSRC2:TIDIG_COMP_CNT: 0
	.section	.text._ZN7rocprim17ROCPRIM_400000_NS6detail17trampoline_kernelINS0_14default_configENS1_25partition_config_selectorILNS1_17partition_subalgoE8EtNS0_10empty_typeEbEEZZNS1_14partition_implILS5_8ELb0ES3_jN6thrust23THRUST_200600_302600_NS6detail15normal_iteratorINSA_10device_ptrItEEEEPS6_PKS6_NS0_5tupleIJSF_S6_EEENSJ_IJSG_SG_EEENS0_18inequality_wrapperI22is_equal_div_10_uniqueItEEEPmJS6_EEE10hipError_tPvRmT3_T4_T5_T6_T7_T9_mT8_P12ihipStream_tbDpT10_ENKUlT_T0_E_clISt17integral_constantIbLb0EES1A_EEDaS15_S16_EUlS15_E_NS1_11comp_targetILNS1_3genE2ELNS1_11target_archE906ELNS1_3gpuE6ELNS1_3repE0EEENS1_30default_config_static_selectorELNS0_4arch9wavefront6targetE1EEEvT1_,"axG",@progbits,_ZN7rocprim17ROCPRIM_400000_NS6detail17trampoline_kernelINS0_14default_configENS1_25partition_config_selectorILNS1_17partition_subalgoE8EtNS0_10empty_typeEbEEZZNS1_14partition_implILS5_8ELb0ES3_jN6thrust23THRUST_200600_302600_NS6detail15normal_iteratorINSA_10device_ptrItEEEEPS6_PKS6_NS0_5tupleIJSF_S6_EEENSJ_IJSG_SG_EEENS0_18inequality_wrapperI22is_equal_div_10_uniqueItEEEPmJS6_EEE10hipError_tPvRmT3_T4_T5_T6_T7_T9_mT8_P12ihipStream_tbDpT10_ENKUlT_T0_E_clISt17integral_constantIbLb0EES1A_EEDaS15_S16_EUlS15_E_NS1_11comp_targetILNS1_3genE2ELNS1_11target_archE906ELNS1_3gpuE6ELNS1_3repE0EEENS1_30default_config_static_selectorELNS0_4arch9wavefront6targetE1EEEvT1_,comdat
	.protected	_ZN7rocprim17ROCPRIM_400000_NS6detail17trampoline_kernelINS0_14default_configENS1_25partition_config_selectorILNS1_17partition_subalgoE8EtNS0_10empty_typeEbEEZZNS1_14partition_implILS5_8ELb0ES3_jN6thrust23THRUST_200600_302600_NS6detail15normal_iteratorINSA_10device_ptrItEEEEPS6_PKS6_NS0_5tupleIJSF_S6_EEENSJ_IJSG_SG_EEENS0_18inequality_wrapperI22is_equal_div_10_uniqueItEEEPmJS6_EEE10hipError_tPvRmT3_T4_T5_T6_T7_T9_mT8_P12ihipStream_tbDpT10_ENKUlT_T0_E_clISt17integral_constantIbLb0EES1A_EEDaS15_S16_EUlS15_E_NS1_11comp_targetILNS1_3genE2ELNS1_11target_archE906ELNS1_3gpuE6ELNS1_3repE0EEENS1_30default_config_static_selectorELNS0_4arch9wavefront6targetE1EEEvT1_ ; -- Begin function _ZN7rocprim17ROCPRIM_400000_NS6detail17trampoline_kernelINS0_14default_configENS1_25partition_config_selectorILNS1_17partition_subalgoE8EtNS0_10empty_typeEbEEZZNS1_14partition_implILS5_8ELb0ES3_jN6thrust23THRUST_200600_302600_NS6detail15normal_iteratorINSA_10device_ptrItEEEEPS6_PKS6_NS0_5tupleIJSF_S6_EEENSJ_IJSG_SG_EEENS0_18inequality_wrapperI22is_equal_div_10_uniqueItEEEPmJS6_EEE10hipError_tPvRmT3_T4_T5_T6_T7_T9_mT8_P12ihipStream_tbDpT10_ENKUlT_T0_E_clISt17integral_constantIbLb0EES1A_EEDaS15_S16_EUlS15_E_NS1_11comp_targetILNS1_3genE2ELNS1_11target_archE906ELNS1_3gpuE6ELNS1_3repE0EEENS1_30default_config_static_selectorELNS0_4arch9wavefront6targetE1EEEvT1_
	.globl	_ZN7rocprim17ROCPRIM_400000_NS6detail17trampoline_kernelINS0_14default_configENS1_25partition_config_selectorILNS1_17partition_subalgoE8EtNS0_10empty_typeEbEEZZNS1_14partition_implILS5_8ELb0ES3_jN6thrust23THRUST_200600_302600_NS6detail15normal_iteratorINSA_10device_ptrItEEEEPS6_PKS6_NS0_5tupleIJSF_S6_EEENSJ_IJSG_SG_EEENS0_18inequality_wrapperI22is_equal_div_10_uniqueItEEEPmJS6_EEE10hipError_tPvRmT3_T4_T5_T6_T7_T9_mT8_P12ihipStream_tbDpT10_ENKUlT_T0_E_clISt17integral_constantIbLb0EES1A_EEDaS15_S16_EUlS15_E_NS1_11comp_targetILNS1_3genE2ELNS1_11target_archE906ELNS1_3gpuE6ELNS1_3repE0EEENS1_30default_config_static_selectorELNS0_4arch9wavefront6targetE1EEEvT1_
	.p2align	8
	.type	_ZN7rocprim17ROCPRIM_400000_NS6detail17trampoline_kernelINS0_14default_configENS1_25partition_config_selectorILNS1_17partition_subalgoE8EtNS0_10empty_typeEbEEZZNS1_14partition_implILS5_8ELb0ES3_jN6thrust23THRUST_200600_302600_NS6detail15normal_iteratorINSA_10device_ptrItEEEEPS6_PKS6_NS0_5tupleIJSF_S6_EEENSJ_IJSG_SG_EEENS0_18inequality_wrapperI22is_equal_div_10_uniqueItEEEPmJS6_EEE10hipError_tPvRmT3_T4_T5_T6_T7_T9_mT8_P12ihipStream_tbDpT10_ENKUlT_T0_E_clISt17integral_constantIbLb0EES1A_EEDaS15_S16_EUlS15_E_NS1_11comp_targetILNS1_3genE2ELNS1_11target_archE906ELNS1_3gpuE6ELNS1_3repE0EEENS1_30default_config_static_selectorELNS0_4arch9wavefront6targetE1EEEvT1_,@function
_ZN7rocprim17ROCPRIM_400000_NS6detail17trampoline_kernelINS0_14default_configENS1_25partition_config_selectorILNS1_17partition_subalgoE8EtNS0_10empty_typeEbEEZZNS1_14partition_implILS5_8ELb0ES3_jN6thrust23THRUST_200600_302600_NS6detail15normal_iteratorINSA_10device_ptrItEEEEPS6_PKS6_NS0_5tupleIJSF_S6_EEENSJ_IJSG_SG_EEENS0_18inequality_wrapperI22is_equal_div_10_uniqueItEEEPmJS6_EEE10hipError_tPvRmT3_T4_T5_T6_T7_T9_mT8_P12ihipStream_tbDpT10_ENKUlT_T0_E_clISt17integral_constantIbLb0EES1A_EEDaS15_S16_EUlS15_E_NS1_11comp_targetILNS1_3genE2ELNS1_11target_archE906ELNS1_3gpuE6ELNS1_3repE0EEENS1_30default_config_static_selectorELNS0_4arch9wavefront6targetE1EEEvT1_: ; @_ZN7rocprim17ROCPRIM_400000_NS6detail17trampoline_kernelINS0_14default_configENS1_25partition_config_selectorILNS1_17partition_subalgoE8EtNS0_10empty_typeEbEEZZNS1_14partition_implILS5_8ELb0ES3_jN6thrust23THRUST_200600_302600_NS6detail15normal_iteratorINSA_10device_ptrItEEEEPS6_PKS6_NS0_5tupleIJSF_S6_EEENSJ_IJSG_SG_EEENS0_18inequality_wrapperI22is_equal_div_10_uniqueItEEEPmJS6_EEE10hipError_tPvRmT3_T4_T5_T6_T7_T9_mT8_P12ihipStream_tbDpT10_ENKUlT_T0_E_clISt17integral_constantIbLb0EES1A_EEDaS15_S16_EUlS15_E_NS1_11comp_targetILNS1_3genE2ELNS1_11target_archE906ELNS1_3gpuE6ELNS1_3repE0EEENS1_30default_config_static_selectorELNS0_4arch9wavefront6targetE1EEEvT1_
; %bb.0:
	s_load_dwordx4 s[0:3], s[4:5], 0x8
	s_load_dwordx4 s[40:43], s[4:5], 0x40
	s_load_dwordx2 s[8:9], s[4:5], 0x50
	s_load_dword s7, s[4:5], 0x68
	v_lshlrev_b32_e32 v47, 1, v0
	s_waitcnt lgkmcnt(0)
	s_lshl_b64 s[10:11], s[2:3], 1
	s_add_u32 s12, s0, s10
	s_addc_u32 s13, s1, s11
	s_mul_i32 s0, s7, 0xd80
	s_add_i32 s1, s0, s2
	s_add_i32 s14, s7, -1
	s_sub_i32 s7, s8, s1
	s_add_u32 s0, s2, s0
	s_addc_u32 s1, s3, 0
	v_mov_b32_e32 v2, s1
	v_mov_b32_e32 v1, s0
	v_cmp_le_u64_e32 vcc, s[8:9], v[1:2]
	s_cmp_eq_u32 s6, s14
	s_load_dwordx2 s[42:43], s[42:43], 0x0
	s_cselect_b64 s[44:45], -1, 0
	s_mul_i32 s10, s6, 0xd80
	s_mov_b32 s11, 0
	s_and_b64 s[48:49], s[44:45], vcc
	s_xor_b64 s[46:47], s[48:49], -1
	s_lshl_b64 s[8:9], s[10:11], 1
	s_add_u32 s8, s12, s8
	s_mov_b64 s[0:1], -1
	s_addc_u32 s9, s13, s9
	s_and_b64 vcc, exec, s[46:47]
	s_cbranch_vccz .LBB311_2
; %bb.1:
	v_lshlrev_b32_e32 v5, 1, v0
	v_mov_b32_e32 v2, s9
	v_add_co_u32_e32 v1, vcc, s8, v5
	v_addc_co_u32_e32 v2, vcc, 0, v2, vcc
	s_movk_i32 s0, 0x1000
	v_add_co_u32_e32 v3, vcc, s0, v1
	flat_load_ushort v6, v[1:2]
	flat_load_ushort v7, v[1:2] offset:384
	flat_load_ushort v8, v[1:2] offset:768
	;; [unrolled: 1-line block ×7, first 2 shown]
	v_addc_co_u32_e32 v4, vcc, 0, v2, vcc
	flat_load_ushort v14, v[1:2] offset:3072
	flat_load_ushort v15, v[1:2] offset:3456
	;; [unrolled: 1-line block ×10, first 2 shown]
	s_mov_b64 s[0:1], 0
	s_waitcnt vmcnt(0) lgkmcnt(0)
	ds_write_b16 v5, v6
	ds_write_b16 v5, v7 offset:384
	ds_write_b16 v5, v8 offset:768
	;; [unrolled: 1-line block ×17, first 2 shown]
	s_waitcnt lgkmcnt(0)
	s_barrier
.LBB311_2:
	s_andn2_b64 vcc, exec, s[0:1]
	s_addk_i32 s7, 0xd80
	s_cbranch_vccnz .LBB311_40
; %bb.3:
	v_mov_b32_e32 v1, 0
	v_cmp_gt_u32_e32 vcc, s7, v0
	v_mov_b32_e32 v2, v1
	v_mov_b32_e32 v3, v1
	;; [unrolled: 1-line block ×8, first 2 shown]
	s_and_saveexec_b64 s[0:1], vcc
	s_cbranch_execz .LBB311_5
; %bb.4:
	v_lshlrev_b32_e32 v2, 1, v0
	v_mov_b32_e32 v3, s9
	v_add_co_u32_e32 v2, vcc, s8, v2
	v_addc_co_u32_e32 v3, vcc, 0, v3, vcc
	flat_load_ushort v10, v[2:3]
	v_mov_b32_e32 v2, v1
	v_mov_b32_e32 v3, v1
	;; [unrolled: 1-line block ×8, first 2 shown]
	s_waitcnt vmcnt(0) lgkmcnt(0)
	v_and_b32_e32 v1, 0xffff, v10
.LBB311_5:
	s_or_b64 exec, exec, s[0:1]
	v_add_u32_e32 v10, 0xc0, v0
	v_cmp_gt_u32_e32 vcc, s7, v10
	s_and_saveexec_b64 s[0:1], vcc
	s_cbranch_execz .LBB311_7
; %bb.6:
	v_lshlrev_b32_e32 v10, 1, v0
	v_mov_b32_e32 v11, s9
	v_add_co_u32_e32 v10, vcc, s8, v10
	v_addc_co_u32_e32 v11, vcc, 0, v11, vcc
	flat_load_ushort v10, v[10:11] offset:384
	s_mov_b32 s10, 0x5040100
	s_waitcnt vmcnt(0) lgkmcnt(0)
	v_perm_b32 v1, v10, v1, s10
.LBB311_7:
	s_or_b64 exec, exec, s[0:1]
	v_add_u32_e32 v10, 0x180, v0
	v_cmp_gt_u32_e32 vcc, s7, v10
	s_and_saveexec_b64 s[0:1], vcc
	s_cbranch_execz .LBB311_9
; %bb.8:
	v_lshlrev_b32_e32 v10, 1, v0
	v_mov_b32_e32 v11, s9
	v_add_co_u32_e32 v10, vcc, s8, v10
	v_addc_co_u32_e32 v11, vcc, 0, v11, vcc
	flat_load_ushort v10, v[10:11] offset:768
	s_mov_b32 s10, 0xffff
	s_waitcnt vmcnt(0) lgkmcnt(0)
	v_bfi_b32 v2, s10, v10, v2
.LBB311_9:
	s_or_b64 exec, exec, s[0:1]
	v_add_u32_e32 v10, 0x240, v0
	v_cmp_gt_u32_e32 vcc, s7, v10
	s_and_saveexec_b64 s[0:1], vcc
	s_cbranch_execz .LBB311_11
; %bb.10:
	v_lshlrev_b32_e32 v10, 1, v0
	v_mov_b32_e32 v11, s9
	v_add_co_u32_e32 v10, vcc, s8, v10
	v_addc_co_u32_e32 v11, vcc, 0, v11, vcc
	flat_load_ushort v10, v[10:11] offset:1152
	s_mov_b32 s10, 0x5040100
	s_waitcnt vmcnt(0) lgkmcnt(0)
	v_perm_b32 v2, v10, v2, s10
.LBB311_11:
	s_or_b64 exec, exec, s[0:1]
	v_or_b32_e32 v10, 0x300, v0
	v_cmp_gt_u32_e32 vcc, s7, v10
	s_and_saveexec_b64 s[0:1], vcc
	s_cbranch_execz .LBB311_13
; %bb.12:
	v_lshlrev_b32_e32 v10, 1, v0
	v_mov_b32_e32 v11, s9
	v_add_co_u32_e32 v10, vcc, s8, v10
	v_addc_co_u32_e32 v11, vcc, 0, v11, vcc
	flat_load_ushort v10, v[10:11] offset:1536
	s_mov_b32 s10, 0xffff
	s_waitcnt vmcnt(0) lgkmcnt(0)
	v_bfi_b32 v3, s10, v10, v3
.LBB311_13:
	s_or_b64 exec, exec, s[0:1]
	v_add_u32_e32 v10, 0x3c0, v0
	v_cmp_gt_u32_e32 vcc, s7, v10
	s_and_saveexec_b64 s[0:1], vcc
	s_cbranch_execz .LBB311_15
; %bb.14:
	v_lshlrev_b32_e32 v10, 1, v0
	v_mov_b32_e32 v11, s9
	v_add_co_u32_e32 v10, vcc, s8, v10
	v_addc_co_u32_e32 v11, vcc, 0, v11, vcc
	flat_load_ushort v10, v[10:11] offset:1920
	s_mov_b32 s10, 0x5040100
	s_waitcnt vmcnt(0) lgkmcnt(0)
	v_perm_b32 v3, v10, v3, s10
.LBB311_15:
	s_or_b64 exec, exec, s[0:1]
	v_add_u32_e32 v10, 0x480, v0
	v_cmp_gt_u32_e32 vcc, s7, v10
	s_and_saveexec_b64 s[0:1], vcc
	s_cbranch_execz .LBB311_17
; %bb.16:
	v_lshlrev_b32_e32 v10, 1, v0
	v_mov_b32_e32 v11, s9
	v_add_co_u32_e32 v10, vcc, s8, v10
	v_addc_co_u32_e32 v11, vcc, 0, v11, vcc
	flat_load_ushort v10, v[10:11] offset:2304
	s_mov_b32 s10, 0xffff
	s_waitcnt vmcnt(0) lgkmcnt(0)
	v_bfi_b32 v4, s10, v10, v4
.LBB311_17:
	s_or_b64 exec, exec, s[0:1]
	v_add_u32_e32 v10, 0x540, v0
	v_cmp_gt_u32_e32 vcc, s7, v10
	s_and_saveexec_b64 s[0:1], vcc
	s_cbranch_execz .LBB311_19
; %bb.18:
	v_lshlrev_b32_e32 v10, 1, v0
	v_mov_b32_e32 v11, s9
	v_add_co_u32_e32 v10, vcc, s8, v10
	v_addc_co_u32_e32 v11, vcc, 0, v11, vcc
	flat_load_ushort v10, v[10:11] offset:2688
	s_mov_b32 s10, 0x5040100
	s_waitcnt vmcnt(0) lgkmcnt(0)
	v_perm_b32 v4, v10, v4, s10
.LBB311_19:
	s_or_b64 exec, exec, s[0:1]
	v_or_b32_e32 v10, 0x600, v0
	v_cmp_gt_u32_e32 vcc, s7, v10
	s_and_saveexec_b64 s[0:1], vcc
	s_cbranch_execz .LBB311_21
; %bb.20:
	v_lshlrev_b32_e32 v10, 1, v0
	v_mov_b32_e32 v11, s9
	v_add_co_u32_e32 v10, vcc, s8, v10
	v_addc_co_u32_e32 v11, vcc, 0, v11, vcc
	flat_load_ushort v10, v[10:11] offset:3072
	s_mov_b32 s10, 0xffff
	s_waitcnt vmcnt(0) lgkmcnt(0)
	v_bfi_b32 v5, s10, v10, v5
.LBB311_21:
	s_or_b64 exec, exec, s[0:1]
	v_add_u32_e32 v10, 0x6c0, v0
	v_cmp_gt_u32_e32 vcc, s7, v10
	s_and_saveexec_b64 s[0:1], vcc
	s_cbranch_execz .LBB311_23
; %bb.22:
	v_lshlrev_b32_e32 v10, 1, v0
	v_mov_b32_e32 v11, s9
	v_add_co_u32_e32 v10, vcc, s8, v10
	v_addc_co_u32_e32 v11, vcc, 0, v11, vcc
	flat_load_ushort v10, v[10:11] offset:3456
	s_mov_b32 s10, 0x5040100
	s_waitcnt vmcnt(0) lgkmcnt(0)
	v_perm_b32 v5, v10, v5, s10
.LBB311_23:
	s_or_b64 exec, exec, s[0:1]
	v_add_u32_e32 v10, 0x780, v0
	v_cmp_gt_u32_e32 vcc, s7, v10
	s_and_saveexec_b64 s[0:1], vcc
	s_cbranch_execz .LBB311_25
; %bb.24:
	v_lshlrev_b32_e32 v10, 1, v0
	v_mov_b32_e32 v11, s9
	v_add_co_u32_e32 v10, vcc, s8, v10
	v_addc_co_u32_e32 v11, vcc, 0, v11, vcc
	flat_load_ushort v10, v[10:11] offset:3840
	s_mov_b32 s10, 0xffff
	s_waitcnt vmcnt(0) lgkmcnt(0)
	v_bfi_b32 v6, s10, v10, v6
.LBB311_25:
	s_or_b64 exec, exec, s[0:1]
	v_add_u32_e32 v10, 0x840, v0
	v_cmp_gt_u32_e32 vcc, s7, v10
	s_and_saveexec_b64 s[0:1], vcc
	s_cbranch_execz .LBB311_27
; %bb.26:
	v_lshlrev_b32_e32 v10, 1, v10
	v_mov_b32_e32 v11, s9
	v_add_co_u32_e32 v10, vcc, s8, v10
	v_addc_co_u32_e32 v11, vcc, 0, v11, vcc
	flat_load_ushort v10, v[10:11]
	s_mov_b32 s10, 0x5040100
	s_waitcnt vmcnt(0) lgkmcnt(0)
	v_perm_b32 v6, v10, v6, s10
.LBB311_27:
	s_or_b64 exec, exec, s[0:1]
	v_or_b32_e32 v10, 0x900, v0
	v_cmp_gt_u32_e32 vcc, s7, v10
	s_and_saveexec_b64 s[0:1], vcc
	s_cbranch_execz .LBB311_29
; %bb.28:
	v_lshlrev_b32_e32 v10, 1, v10
	v_mov_b32_e32 v11, s9
	v_add_co_u32_e32 v10, vcc, s8, v10
	v_addc_co_u32_e32 v11, vcc, 0, v11, vcc
	flat_load_ushort v10, v[10:11]
	s_mov_b32 s10, 0xffff
	s_waitcnt vmcnt(0) lgkmcnt(0)
	v_bfi_b32 v7, s10, v10, v7
.LBB311_29:
	s_or_b64 exec, exec, s[0:1]
	v_add_u32_e32 v10, 0x9c0, v0
	v_cmp_gt_u32_e32 vcc, s7, v10
	s_and_saveexec_b64 s[0:1], vcc
	s_cbranch_execz .LBB311_31
; %bb.30:
	v_lshlrev_b32_e32 v10, 1, v10
	v_mov_b32_e32 v11, s9
	v_add_co_u32_e32 v10, vcc, s8, v10
	v_addc_co_u32_e32 v11, vcc, 0, v11, vcc
	flat_load_ushort v10, v[10:11]
	s_mov_b32 s10, 0x5040100
	s_waitcnt vmcnt(0) lgkmcnt(0)
	v_perm_b32 v7, v10, v7, s10
.LBB311_31:
	s_or_b64 exec, exec, s[0:1]
	v_add_u32_e32 v10, 0xa80, v0
	v_cmp_gt_u32_e32 vcc, s7, v10
	s_and_saveexec_b64 s[0:1], vcc
	s_cbranch_execz .LBB311_33
; %bb.32:
	v_lshlrev_b32_e32 v10, 1, v10
	v_mov_b32_e32 v11, s9
	v_add_co_u32_e32 v10, vcc, s8, v10
	v_addc_co_u32_e32 v11, vcc, 0, v11, vcc
	flat_load_ushort v10, v[10:11]
	s_mov_b32 s10, 0xffff
	s_waitcnt vmcnt(0) lgkmcnt(0)
	v_bfi_b32 v8, s10, v10, v8
.LBB311_33:
	s_or_b64 exec, exec, s[0:1]
	v_add_u32_e32 v10, 0xb40, v0
	v_cmp_gt_u32_e32 vcc, s7, v10
	s_and_saveexec_b64 s[0:1], vcc
	s_cbranch_execz .LBB311_35
; %bb.34:
	v_lshlrev_b32_e32 v10, 1, v10
	v_mov_b32_e32 v11, s9
	v_add_co_u32_e32 v10, vcc, s8, v10
	v_addc_co_u32_e32 v11, vcc, 0, v11, vcc
	flat_load_ushort v10, v[10:11]
	s_mov_b32 s10, 0x5040100
	s_waitcnt vmcnt(0) lgkmcnt(0)
	v_perm_b32 v8, v10, v8, s10
.LBB311_35:
	s_or_b64 exec, exec, s[0:1]
	v_or_b32_e32 v10, 0xc00, v0
	v_cmp_gt_u32_e32 vcc, s7, v10
	s_and_saveexec_b64 s[0:1], vcc
	s_cbranch_execz .LBB311_37
; %bb.36:
	v_lshlrev_b32_e32 v10, 1, v10
	v_mov_b32_e32 v11, s9
	v_add_co_u32_e32 v10, vcc, s8, v10
	v_addc_co_u32_e32 v11, vcc, 0, v11, vcc
	flat_load_ushort v10, v[10:11]
	s_mov_b32 s10, 0xffff
	s_waitcnt vmcnt(0) lgkmcnt(0)
	v_bfi_b32 v9, s10, v10, v9
.LBB311_37:
	s_or_b64 exec, exec, s[0:1]
	v_add_u32_e32 v10, 0xcc0, v0
	v_cmp_gt_u32_e32 vcc, s7, v10
	s_and_saveexec_b64 s[0:1], vcc
	s_cbranch_execz .LBB311_39
; %bb.38:
	v_lshlrev_b32_e32 v10, 1, v10
	v_mov_b32_e32 v11, s9
	v_add_co_u32_e32 v10, vcc, s8, v10
	v_addc_co_u32_e32 v11, vcc, 0, v11, vcc
	flat_load_ushort v10, v[10:11]
	s_mov_b32 s10, 0x5040100
	s_waitcnt vmcnt(0) lgkmcnt(0)
	v_perm_b32 v9, v10, v9, s10
.LBB311_39:
	s_or_b64 exec, exec, s[0:1]
	v_lshlrev_b32_e32 v10, 1, v0
	ds_write_b16 v10, v1
	ds_write_b16_d16_hi v10, v1 offset:384
	ds_write_b16 v10, v2 offset:768
	ds_write_b16_d16_hi v10, v2 offset:1152
	ds_write_b16 v10, v3 offset:1536
	;; [unrolled: 2-line block ×8, first 2 shown]
	ds_write_b16_d16_hi v10, v9 offset:6528
	s_waitcnt lgkmcnt(0)
	s_barrier
.LBB311_40:
	v_mul_u32_u24_e32 v9, 18, v0
	v_lshlrev_b32_e32 v10, 1, v9
	s_waitcnt lgkmcnt(0)
	ds_read2_b32 v[7:8], v10 offset1:1
	ds_read2_b32 v[5:6], v10 offset0:2 offset1:3
	ds_read2_b32 v[3:4], v10 offset0:4 offset1:5
	ds_read2_b32 v[1:2], v10 offset0:6 offset1:7
	ds_read_b32 v49, v10 offset:32
	s_cmp_lg_u32 s6, 0
	s_cselect_b64 s[50:51], -1, 0
	s_cmp_lg_u64 s[2:3], 0
	s_cselect_b64 s[0:1], -1, 0
	s_or_b64 s[0:1], s[50:51], s[0:1]
	s_waitcnt lgkmcnt(4)
	v_lshrrev_b32_e32 v57, 16, v7
	v_lshrrev_b32_e32 v56, 16, v8
	s_waitcnt lgkmcnt(3)
	v_lshrrev_b32_e32 v55, 16, v5
	v_lshrrev_b32_e32 v54, 16, v6
	;; [unrolled: 3-line block ×4, first 2 shown]
	s_waitcnt lgkmcnt(0)
	v_lshrrev_b32_e32 v48, 16, v49
	s_mov_b64 s[52:53], 0
	s_and_b64 vcc, exec, s[0:1]
	s_barrier
	s_cbranch_vccz .LBB311_45
; %bb.41:
	v_mov_b32_e32 v12, s9
	v_add_co_u32_e64 v11, vcc, -2, s8
	v_addc_co_u32_e32 v12, vcc, -1, v12, vcc
	flat_load_ushort v11, v[11:12]
	v_lshlrev_b32_e32 v12, 1, v0
	s_and_b64 vcc, exec, s[46:47]
	ds_write_b16 v12, v48
	s_cbranch_vccz .LBB311_46
; %bb.42:
	v_cmp_ne_u32_e32 vcc, 0, v0
	s_waitcnt vmcnt(0) lgkmcnt(0)
	v_mov_b32_e32 v13, v11
	s_barrier
	s_and_saveexec_b64 s[0:1], vcc
; %bb.43:
	v_add_u32_e32 v13, -2, v12
	ds_read_u16 v13, v13
; %bb.44:
	s_or_b64 exec, exec, s[0:1]
	s_mov_b32 s0, 0xcccd
	v_mul_u32_u24_sdwa v14, v49, s0 dst_sel:DWORD dst_unused:UNUSED_PAD src0_sel:WORD_0 src1_sel:DWORD
	v_mul_u32_u24_sdwa v15, v48, s0 dst_sel:DWORD dst_unused:UNUSED_PAD src0_sel:WORD_0 src1_sel:DWORD
	v_lshrrev_b32_e32 v14, 19, v14
	v_lshrrev_b32_e32 v15, 19, v15
	v_cmp_ne_u16_e32 vcc, v14, v15
	v_mul_u32_u24_sdwa v15, v50, s0 dst_sel:DWORD dst_unused:UNUSED_PAD src0_sel:WORD_0 src1_sel:DWORD
	v_lshrrev_b32_e32 v15, 19, v15
	v_cndmask_b32_e64 v58, 0, 1, vcc
	v_cmp_ne_u16_e32 vcc, v15, v14
	v_mul_u32_u24_sdwa v14, v2, s0 dst_sel:DWORD dst_unused:UNUSED_PAD src0_sel:WORD_0 src1_sel:DWORD
	v_lshrrev_b32_e32 v14, 19, v14
	v_cndmask_b32_e64 v59, 0, 1, vcc
	v_cmp_ne_u16_e32 vcc, v14, v15
	v_mul_u32_u24_sdwa v15, v51, s0 dst_sel:DWORD dst_unused:UNUSED_PAD src0_sel:WORD_0 src1_sel:DWORD
	v_lshrrev_b32_e32 v15, 19, v15
	v_cndmask_b32_e64 v60, 0, 1, vcc
	v_cmp_ne_u16_e32 vcc, v15, v14
	v_mul_u32_u24_sdwa v14, v1, s0 dst_sel:DWORD dst_unused:UNUSED_PAD src0_sel:WORD_0 src1_sel:DWORD
	v_lshrrev_b32_e32 v14, 19, v14
	v_cndmask_b32_e64 v61, 0, 1, vcc
	v_cmp_ne_u16_e32 vcc, v14, v15
	v_mul_u32_u24_sdwa v15, v52, s0 dst_sel:DWORD dst_unused:UNUSED_PAD src0_sel:WORD_0 src1_sel:DWORD
	v_lshrrev_b32_e32 v15, 19, v15
	v_cndmask_b32_e64 v62, 0, 1, vcc
	v_cmp_ne_u16_e32 vcc, v15, v14
	v_mul_u32_u24_sdwa v14, v4, s0 dst_sel:DWORD dst_unused:UNUSED_PAD src0_sel:WORD_0 src1_sel:DWORD
	v_lshrrev_b32_e32 v14, 19, v14
	v_cndmask_b32_e64 v63, 0, 1, vcc
	v_cmp_ne_u16_e32 vcc, v14, v15
	v_mul_u32_u24_sdwa v15, v53, s0 dst_sel:DWORD dst_unused:UNUSED_PAD src0_sel:WORD_0 src1_sel:DWORD
	v_lshrrev_b32_e32 v15, 19, v15
	v_cndmask_b32_e64 v64, 0, 1, vcc
	v_cmp_ne_u16_e32 vcc, v15, v14
	v_mul_u32_u24_sdwa v14, v3, s0 dst_sel:DWORD dst_unused:UNUSED_PAD src0_sel:WORD_0 src1_sel:DWORD
	v_lshrrev_b32_e32 v14, 19, v14
	v_cndmask_b32_e64 v65, 0, 1, vcc
	v_cmp_ne_u16_e32 vcc, v14, v15
	v_mul_u32_u24_sdwa v15, v54, s0 dst_sel:DWORD dst_unused:UNUSED_PAD src0_sel:WORD_0 src1_sel:DWORD
	v_lshrrev_b32_e32 v15, 19, v15
	v_cndmask_b32_e64 v66, 0, 1, vcc
	v_cmp_ne_u16_e32 vcc, v15, v14
	v_mul_u32_u24_sdwa v14, v6, s0 dst_sel:DWORD dst_unused:UNUSED_PAD src0_sel:WORD_0 src1_sel:DWORD
	v_lshrrev_b32_e32 v14, 19, v14
	v_cndmask_b32_e64 v67, 0, 1, vcc
	v_cmp_ne_u16_e32 vcc, v14, v15
	v_mul_u32_u24_sdwa v15, v55, s0 dst_sel:DWORD dst_unused:UNUSED_PAD src0_sel:WORD_0 src1_sel:DWORD
	v_lshrrev_b32_e32 v15, 19, v15
	v_cndmask_b32_e64 v68, 0, 1, vcc
	v_cmp_ne_u16_e32 vcc, v15, v14
	v_mul_u32_u24_sdwa v14, v5, s0 dst_sel:DWORD dst_unused:UNUSED_PAD src0_sel:WORD_0 src1_sel:DWORD
	v_lshrrev_b32_e32 v14, 19, v14
	v_cndmask_b32_e64 v69, 0, 1, vcc
	v_cmp_ne_u16_e32 vcc, v14, v15
	v_mul_u32_u24_sdwa v15, v56, s0 dst_sel:DWORD dst_unused:UNUSED_PAD src0_sel:WORD_0 src1_sel:DWORD
	v_lshrrev_b32_e32 v15, 19, v15
	v_cndmask_b32_e64 v70, 0, 1, vcc
	v_cmp_ne_u16_e32 vcc, v15, v14
	v_mul_u32_u24_sdwa v14, v8, s0 dst_sel:DWORD dst_unused:UNUSED_PAD src0_sel:WORD_0 src1_sel:DWORD
	v_lshrrev_b32_e32 v14, 19, v14
	v_cndmask_b32_e64 v71, 0, 1, vcc
	v_cmp_ne_u16_e32 vcc, v14, v15
	v_mul_u32_u24_sdwa v15, v57, s0 dst_sel:DWORD dst_unused:UNUSED_PAD src0_sel:WORD_0 src1_sel:DWORD
	v_lshrrev_b32_e32 v15, 19, v15
	v_cndmask_b32_e64 v72, 0, 1, vcc
	v_cmp_ne_u16_e32 vcc, v15, v14
	v_mul_u32_u24_sdwa v14, v7, s0 dst_sel:DWORD dst_unused:UNUSED_PAD src0_sel:WORD_0 src1_sel:DWORD
	v_lshrrev_b32_e32 v14, 19, v14
	s_waitcnt lgkmcnt(0)
	v_mul_u32_u24_sdwa v13, v13, s0 dst_sel:DWORD dst_unused:UNUSED_PAD src0_sel:WORD_0 src1_sel:DWORD
	v_cndmask_b32_e64 v73, 0, 1, vcc
	v_cmp_ne_u16_e32 vcc, v14, v15
	v_lshrrev_b32_e32 v13, 19, v13
	v_cndmask_b32_e64 v74, 0, 1, vcc
	v_cmp_ne_u16_e64 s[54:55], v13, v14
	s_branch .LBB311_86
.LBB311_45:
                                        ; implicit-def: $sgpr54_sgpr55
                                        ; implicit-def: $vgpr58
                                        ; implicit-def: $vgpr59
                                        ; implicit-def: $vgpr60
                                        ; implicit-def: $vgpr61
                                        ; implicit-def: $vgpr62
                                        ; implicit-def: $vgpr63
                                        ; implicit-def: $vgpr64
                                        ; implicit-def: $vgpr65
                                        ; implicit-def: $vgpr66
                                        ; implicit-def: $vgpr74
                                        ; implicit-def: $vgpr73
                                        ; implicit-def: $vgpr72
                                        ; implicit-def: $vgpr71
                                        ; implicit-def: $vgpr70
                                        ; implicit-def: $vgpr69
                                        ; implicit-def: $vgpr68
                                        ; implicit-def: $vgpr67
	s_branch .LBB311_87
.LBB311_46:
                                        ; implicit-def: $sgpr54_sgpr55
                                        ; implicit-def: $vgpr58
                                        ; implicit-def: $vgpr59
                                        ; implicit-def: $vgpr60
                                        ; implicit-def: $vgpr61
                                        ; implicit-def: $vgpr62
                                        ; implicit-def: $vgpr63
                                        ; implicit-def: $vgpr64
                                        ; implicit-def: $vgpr65
                                        ; implicit-def: $vgpr66
                                        ; implicit-def: $vgpr74
                                        ; implicit-def: $vgpr73
                                        ; implicit-def: $vgpr72
                                        ; implicit-def: $vgpr71
                                        ; implicit-def: $vgpr70
                                        ; implicit-def: $vgpr69
                                        ; implicit-def: $vgpr68
                                        ; implicit-def: $vgpr67
	s_cbranch_execz .LBB311_86
; %bb.47:
	v_add_u32_e32 v13, 17, v9
	v_cmp_gt_u32_e32 vcc, s7, v13
	s_mov_b64 s[2:3], 0
	s_mov_b64 s[0:1], 0
	s_and_saveexec_b64 s[8:9], vcc
; %bb.48:
	s_mov_b32 s0, 0xcccd
	v_mul_u32_u24_sdwa v13, v49, s0 dst_sel:DWORD dst_unused:UNUSED_PAD src0_sel:WORD_0 src1_sel:DWORD
	v_mul_u32_u24_sdwa v14, v48, s0 dst_sel:DWORD dst_unused:UNUSED_PAD src0_sel:WORD_0 src1_sel:DWORD
	v_lshrrev_b32_e32 v13, 19, v13
	v_lshrrev_b32_e32 v14, 19, v14
	v_cmp_ne_u16_e32 vcc, v13, v14
	s_and_b64 s[0:1], vcc, exec
; %bb.49:
	s_or_b64 exec, exec, s[8:9]
	v_add_u32_e32 v13, 16, v9
	v_cmp_gt_u32_e32 vcc, s7, v13
	s_and_saveexec_b64 s[8:9], vcc
; %bb.50:
	s_mov_b32 s2, 0xcccd
	v_mul_u32_u24_sdwa v13, v50, s2 dst_sel:DWORD dst_unused:UNUSED_PAD src0_sel:WORD_0 src1_sel:DWORD
	v_mul_u32_u24_sdwa v14, v49, s2 dst_sel:DWORD dst_unused:UNUSED_PAD src0_sel:WORD_0 src1_sel:DWORD
	v_lshrrev_b32_e32 v13, 19, v13
	v_lshrrev_b32_e32 v14, 19, v14
	v_cmp_ne_u16_e32 vcc, v13, v14
	s_and_b64 s[2:3], vcc, exec
; %bb.51:
	s_or_b64 exec, exec, s[8:9]
	v_add_u32_e32 v13, 15, v9
	v_cmp_gt_u32_e32 vcc, s7, v13
	s_mov_b64 s[10:11], 0
	s_mov_b64 s[8:9], 0
	s_and_saveexec_b64 s[12:13], vcc
; %bb.52:
	s_mov_b32 s8, 0xcccd
	v_mul_u32_u24_sdwa v13, v2, s8 dst_sel:DWORD dst_unused:UNUSED_PAD src0_sel:WORD_0 src1_sel:DWORD
	v_mul_u32_u24_sdwa v14, v50, s8 dst_sel:DWORD dst_unused:UNUSED_PAD src0_sel:WORD_0 src1_sel:DWORD
	v_lshrrev_b32_e32 v13, 19, v13
	v_lshrrev_b32_e32 v14, 19, v14
	v_cmp_ne_u16_e32 vcc, v13, v14
	s_and_b64 s[8:9], vcc, exec
; %bb.53:
	s_or_b64 exec, exec, s[12:13]
	v_add_u32_e32 v13, 14, v9
	v_cmp_gt_u32_e32 vcc, s7, v13
	s_and_saveexec_b64 s[12:13], vcc
; %bb.54:
	s_mov_b32 s10, 0xcccd
	v_mul_u32_u24_sdwa v13, v51, s10 dst_sel:DWORD dst_unused:UNUSED_PAD src0_sel:WORD_0 src1_sel:DWORD
	v_mul_u32_u24_sdwa v14, v2, s10 dst_sel:DWORD dst_unused:UNUSED_PAD src0_sel:WORD_0 src1_sel:DWORD
	v_lshrrev_b32_e32 v13, 19, v13
	v_lshrrev_b32_e32 v14, 19, v14
	v_cmp_ne_u16_e32 vcc, v13, v14
	s_and_b64 s[10:11], vcc, exec
; %bb.55:
	s_or_b64 exec, exec, s[12:13]
	;; [unrolled: 28-line block ×8, first 2 shown]
	v_or_b32_e32 v13, 1, v9
	v_cmp_gt_u32_e32 vcc, s7, v13
	s_mov_b64 s[38:39], 0
	s_and_saveexec_b64 s[52:53], vcc
; %bb.80:
	s_mov_b32 s33, 0xcccd
	v_mul_u32_u24_sdwa v13, v7, s33 dst_sel:DWORD dst_unused:UNUSED_PAD src0_sel:WORD_0 src1_sel:DWORD
	v_mul_u32_u24_sdwa v14, v57, s33 dst_sel:DWORD dst_unused:UNUSED_PAD src0_sel:WORD_0 src1_sel:DWORD
	v_lshrrev_b32_e32 v13, 19, v13
	v_lshrrev_b32_e32 v14, 19, v14
	v_cmp_ne_u16_e32 vcc, v13, v14
	s_and_b64 s[38:39], vcc, exec
; %bb.81:
	s_or_b64 exec, exec, s[52:53]
	v_cmp_ne_u32_e32 vcc, 0, v0
	s_waitcnt vmcnt(0) lgkmcnt(0)
	s_barrier
	s_and_saveexec_b64 s[52:53], vcc
; %bb.82:
	v_add_u32_e32 v11, -2, v12
	ds_read_u16 v11, v11
; %bb.83:
	s_or_b64 exec, exec, s[52:53]
	v_cmp_gt_u32_e32 vcc, s7, v9
	s_mov_b64 s[54:55], 0
	s_and_saveexec_b64 s[52:53], vcc
	s_cbranch_execz .LBB311_85
; %bb.84:
	s_mov_b32 s33, 0xcccd
	s_waitcnt lgkmcnt(0)
	v_mul_u32_u24_sdwa v11, v11, s33 dst_sel:DWORD dst_unused:UNUSED_PAD src0_sel:WORD_0 src1_sel:DWORD
	v_mul_u32_u24_sdwa v12, v7, s33 dst_sel:DWORD dst_unused:UNUSED_PAD src0_sel:WORD_0 src1_sel:DWORD
	v_lshrrev_b32_e32 v11, 19, v11
	v_lshrrev_b32_e32 v12, 19, v12
	v_cmp_ne_u16_e32 vcc, v11, v12
	s_and_b64 s[54:55], vcc, exec
.LBB311_85:
	s_or_b64 exec, exec, s[52:53]
	v_cndmask_b32_e64 v74, 0, 1, s[38:39]
	v_cndmask_b32_e64 v73, 0, 1, s[36:37]
	;; [unrolled: 1-line block ×17, first 2 shown]
.LBB311_86:
	s_mov_b64 s[52:53], -1
	s_cbranch_execnz .LBB311_131
.LBB311_87:
	s_movk_i32 s0, 0xffde
	v_mad_i32_i24 v10, v0, s0, v10
	s_and_b64 vcc, exec, s[46:47]
	ds_write_b16 v10, v48
	s_cbranch_vccz .LBB311_91
; %bb.88:
	s_mov_b32 s33, 0xcccd
	s_waitcnt vmcnt(0) lgkmcnt(0)
	v_mul_u32_u24_sdwa v11, v49, s33 dst_sel:DWORD dst_unused:UNUSED_PAD src0_sel:WORD_0 src1_sel:DWORD
	v_mul_u32_u24_sdwa v12, v48, s33 dst_sel:DWORD dst_unused:UNUSED_PAD src0_sel:WORD_0 src1_sel:DWORD
	v_lshrrev_b32_e32 v11, 19, v11
	v_lshrrev_b32_e32 v12, 19, v12
	v_cmp_ne_u16_e32 vcc, v11, v12
	v_mul_u32_u24_sdwa v12, v50, s33 dst_sel:DWORD dst_unused:UNUSED_PAD src0_sel:WORD_0 src1_sel:DWORD
	v_lshrrev_b32_e32 v12, 19, v12
	v_cmp_ne_u16_e64 s[0:1], v12, v11
	v_mul_u32_u24_sdwa v11, v2, s33 dst_sel:DWORD dst_unused:UNUSED_PAD src0_sel:WORD_0 src1_sel:DWORD
	v_lshrrev_b32_e32 v11, 19, v11
	v_cmp_ne_u16_e64 s[2:3], v11, v12
	;; [unrolled: 3-line block ×16, first 2 shown]
	v_cmp_ne_u32_e64 s[38:39], 0, v0
	s_barrier
                                        ; implicit-def: $sgpr54_sgpr55
	s_and_saveexec_b64 s[56:57], s[38:39]
	s_xor_b64 s[38:39], exec, s[56:57]
	s_cbranch_execz .LBB311_90
; %bb.89:
	v_add_u32_e32 v12, -2, v10
	ds_read_u16 v12, v12
	s_or_b64 s[52:53], s[52:53], exec
	s_waitcnt lgkmcnt(0)
	v_mul_u32_u24_e32 v12, 0xcccd, v12
	v_lshrrev_b32_e32 v12, 19, v12
	v_cmp_ne_u16_e64 s[54:55], v12, v11
.LBB311_90:
	s_or_b64 exec, exec, s[38:39]
	v_cndmask_b32_e64 v58, 0, 1, vcc
	v_cndmask_b32_e64 v59, 0, 1, s[0:1]
	v_cndmask_b32_e64 v60, 0, 1, s[2:3]
	;; [unrolled: 1-line block ×16, first 2 shown]
	s_branch .LBB311_131
.LBB311_91:
                                        ; implicit-def: $sgpr54_sgpr55
                                        ; implicit-def: $vgpr58
                                        ; implicit-def: $vgpr59
                                        ; implicit-def: $vgpr60
                                        ; implicit-def: $vgpr61
                                        ; implicit-def: $vgpr62
                                        ; implicit-def: $vgpr63
                                        ; implicit-def: $vgpr64
                                        ; implicit-def: $vgpr65
                                        ; implicit-def: $vgpr66
                                        ; implicit-def: $vgpr74
                                        ; implicit-def: $vgpr73
                                        ; implicit-def: $vgpr72
                                        ; implicit-def: $vgpr71
                                        ; implicit-def: $vgpr70
                                        ; implicit-def: $vgpr69
                                        ; implicit-def: $vgpr68
                                        ; implicit-def: $vgpr67
	s_cbranch_execz .LBB311_131
; %bb.92:
	s_waitcnt vmcnt(0) lgkmcnt(0)
	v_add_u32_e32 v11, 17, v9
	v_cmp_gt_u32_e32 vcc, s7, v11
	s_mov_b64 s[2:3], 0
	s_mov_b64 s[0:1], 0
	s_and_saveexec_b64 s[8:9], vcc
; %bb.93:
	s_mov_b32 s0, 0xcccd
	v_mul_u32_u24_sdwa v11, v49, s0 dst_sel:DWORD dst_unused:UNUSED_PAD src0_sel:WORD_0 src1_sel:DWORD
	v_mul_u32_u24_sdwa v12, v48, s0 dst_sel:DWORD dst_unused:UNUSED_PAD src0_sel:WORD_0 src1_sel:DWORD
	v_lshrrev_b32_e32 v11, 19, v11
	v_lshrrev_b32_e32 v12, 19, v12
	v_cmp_ne_u16_e32 vcc, v11, v12
	s_and_b64 s[0:1], vcc, exec
; %bb.94:
	s_or_b64 exec, exec, s[8:9]
	v_add_u32_e32 v11, 16, v9
	v_cmp_gt_u32_e32 vcc, s7, v11
	s_and_saveexec_b64 s[8:9], vcc
; %bb.95:
	s_mov_b32 s2, 0xcccd
	v_mul_u32_u24_sdwa v11, v50, s2 dst_sel:DWORD dst_unused:UNUSED_PAD src0_sel:WORD_0 src1_sel:DWORD
	v_mul_u32_u24_sdwa v12, v49, s2 dst_sel:DWORD dst_unused:UNUSED_PAD src0_sel:WORD_0 src1_sel:DWORD
	v_lshrrev_b32_e32 v11, 19, v11
	v_lshrrev_b32_e32 v12, 19, v12
	v_cmp_ne_u16_e32 vcc, v11, v12
	s_and_b64 s[2:3], vcc, exec
; %bb.96:
	s_or_b64 exec, exec, s[8:9]
	v_add_u32_e32 v11, 15, v9
	v_cmp_gt_u32_e32 vcc, s7, v11
	s_mov_b64 s[10:11], 0
	s_mov_b64 s[8:9], 0
	s_and_saveexec_b64 s[12:13], vcc
; %bb.97:
	s_mov_b32 s8, 0xcccd
	v_mul_u32_u24_sdwa v11, v2, s8 dst_sel:DWORD dst_unused:UNUSED_PAD src0_sel:WORD_0 src1_sel:DWORD
	v_mul_u32_u24_sdwa v12, v50, s8 dst_sel:DWORD dst_unused:UNUSED_PAD src0_sel:WORD_0 src1_sel:DWORD
	v_lshrrev_b32_e32 v11, 19, v11
	v_lshrrev_b32_e32 v12, 19, v12
	v_cmp_ne_u16_e32 vcc, v11, v12
	s_and_b64 s[8:9], vcc, exec
; %bb.98:
	s_or_b64 exec, exec, s[12:13]
	v_add_u32_e32 v11, 14, v9
	v_cmp_gt_u32_e32 vcc, s7, v11
	s_and_saveexec_b64 s[12:13], vcc
; %bb.99:
	s_mov_b32 s10, 0xcccd
	v_mul_u32_u24_sdwa v11, v51, s10 dst_sel:DWORD dst_unused:UNUSED_PAD src0_sel:WORD_0 src1_sel:DWORD
	v_mul_u32_u24_sdwa v12, v2, s10 dst_sel:DWORD dst_unused:UNUSED_PAD src0_sel:WORD_0 src1_sel:DWORD
	v_lshrrev_b32_e32 v11, 19, v11
	v_lshrrev_b32_e32 v12, 19, v12
	v_cmp_ne_u16_e32 vcc, v11, v12
	s_and_b64 s[10:11], vcc, exec
; %bb.100:
	s_or_b64 exec, exec, s[12:13]
	;; [unrolled: 28-line block ×8, first 2 shown]
	v_or_b32_e32 v11, 1, v9
	v_cmp_gt_u32_e32 vcc, s7, v11
	s_mov_b64 s[38:39], 0
	s_and_saveexec_b64 s[54:55], vcc
; %bb.125:
	s_mov_b32 s33, 0xcccd
	v_mul_u32_u24_sdwa v11, v7, s33 dst_sel:DWORD dst_unused:UNUSED_PAD src0_sel:WORD_0 src1_sel:DWORD
	v_mul_u32_u24_sdwa v12, v57, s33 dst_sel:DWORD dst_unused:UNUSED_PAD src0_sel:WORD_0 src1_sel:DWORD
	v_lshrrev_b32_e32 v11, 19, v11
	v_lshrrev_b32_e32 v12, 19, v12
	v_cmp_ne_u16_e32 vcc, v11, v12
	s_and_b64 s[38:39], vcc, exec
; %bb.126:
	s_or_b64 exec, exec, s[54:55]
	v_cmp_ne_u32_e32 vcc, 0, v0
	s_barrier
                                        ; implicit-def: $sgpr54_sgpr55
	s_and_saveexec_b64 s[56:57], vcc
	s_cbranch_execz .LBB311_130
; %bb.127:
	v_cmp_gt_u32_e32 vcc, s7, v9
	s_mov_b64 s[54:55], 0
	s_and_saveexec_b64 s[58:59], vcc
	s_cbranch_execz .LBB311_129
; %bb.128:
	v_add_u32_e32 v10, -2, v10
	ds_read_u16 v10, v10
	s_mov_b32 s33, 0xcccd
	v_mul_u32_u24_sdwa v11, v7, s33 dst_sel:DWORD dst_unused:UNUSED_PAD src0_sel:WORD_0 src1_sel:DWORD
	v_lshrrev_b32_e32 v11, 19, v11
	s_waitcnt lgkmcnt(0)
	v_mul_u32_u24_e32 v10, 0xcccd, v10
	v_lshrrev_b32_e32 v10, 19, v10
	v_cmp_ne_u16_e32 vcc, v10, v11
	s_and_b64 s[54:55], vcc, exec
.LBB311_129:
	s_or_b64 exec, exec, s[58:59]
	s_or_b64 s[52:53], s[52:53], exec
.LBB311_130:
	s_or_b64 exec, exec, s[56:57]
	v_cndmask_b32_e64 v73, 0, 1, s[36:37]
	v_cndmask_b32_e64 v72, 0, 1, s[34:35]
	;; [unrolled: 1-line block ×17, first 2 shown]
.LBB311_131:
	v_mov_b32_e32 v20, 1
	s_and_saveexec_b64 s[0:1], s[52:53]
; %bb.132:
	v_cndmask_b32_e64 v20, 0, 1, s[54:55]
; %bb.133:
	s_or_b64 exec, exec, s[0:1]
	s_load_dwordx2 s[22:23], s[4:5], 0x60
	s_andn2_b64 vcc, exec, s[48:49]
	s_cbranch_vccnz .LBB311_135
; %bb.134:
	v_cmp_gt_u32_e32 vcc, s7, v9
	v_or_b32_e32 v10, 1, v9
	v_cndmask_b32_e32 v20, 0, v20, vcc
	v_cmp_gt_u32_e32 vcc, s7, v10
	v_add_u32_e32 v10, 2, v9
	v_cndmask_b32_e32 v74, 0, v74, vcc
	v_cmp_gt_u32_e32 vcc, s7, v10
	v_add_u32_e32 v10, 3, v9
	;; [unrolled: 3-line block ×16, first 2 shown]
	v_cndmask_b32_e32 v59, 0, v59, vcc
	v_cmp_gt_u32_e32 vcc, s7, v9
	v_cndmask_b32_e32 v58, 0, v58, vcc
.LBB311_135:
	v_and_b32_e32 v33, 0xff, v70
	v_and_b32_e32 v34, 0xff, v69
	v_add_u32_sdwa v10, v68, v67 dst_sel:DWORD dst_unused:UNUSED_PAD src0_sel:BYTE_0 src1_sel:BYTE_0
	v_and_b32_e32 v29, 0xff, v72
	v_and_b32_e32 v31, 0xff, v71
	v_add3_u32 v10, v10, v34, v33
	v_and_b32_e32 v25, 0xff, v74
	v_and_b32_e32 v27, 0xff, v73
	v_add3_u32 v10, v10, v31, v29
	v_and_b32_e32 v23, 0xffff, v20
	v_and_b32_e32 v19, 0xff, v66
	v_add3_u32 v10, v10, v27, v25
	v_and_b32_e32 v21, 0xff, v65
	v_and_b32_e32 v22, 0xff, v64
	v_add3_u32 v10, v10, v23, v19
	v_and_b32_e32 v24, 0xff, v63
	v_and_b32_e32 v26, 0xff, v62
	v_add3_u32 v10, v10, v21, v22
	v_and_b32_e32 v28, 0xff, v61
	v_and_b32_e32 v30, 0xff, v60
	v_add3_u32 v10, v10, v24, v26
	v_and_b32_e32 v32, 0xff, v59
	v_and_b32_e32 v9, 0xff, v58
	v_add3_u32 v10, v10, v28, v30
	v_add3_u32 v37, v10, v32, v9
	v_mbcnt_lo_u32_b32 v9, -1, 0
	v_mbcnt_hi_u32_b32 v35, -1, v9
	v_and_b32_e32 v9, 15, v35
	v_cmp_eq_u32_e64 s[14:15], 0, v9
	v_cmp_lt_u32_e64 s[12:13], 1, v9
	v_cmp_lt_u32_e64 s[10:11], 3, v9
	;; [unrolled: 1-line block ×3, first 2 shown]
	v_and_b32_e32 v9, 16, v35
	v_cmp_eq_u32_e64 s[2:3], 0, v9
	v_and_b32_e32 v9, 0xc0, v0
	v_min_u32_e32 v9, 0x80, v9
	v_or_b32_e32 v9, 63, v9
	v_cmp_lt_u32_e64 s[0:1], 31, v35
	v_lshrrev_b32_e32 v36, 6, v0
	v_cmp_eq_u32_e64 s[18:19], v0, v9
	s_and_b64 vcc, exec, s[50:51]
	s_waitcnt vmcnt(0) lgkmcnt(0)
	s_barrier
	s_cbranch_vccz .LBB311_157
; %bb.136:
	v_mov_b32_dpp v9, v37 row_shr:1 row_mask:0xf bank_mask:0xf
	v_cndmask_b32_e64 v9, v9, 0, s[14:15]
	v_add_u32_e32 v9, v9, v37
	s_nop 1
	v_mov_b32_dpp v10, v9 row_shr:2 row_mask:0xf bank_mask:0xf
	v_cndmask_b32_e64 v10, 0, v10, s[12:13]
	v_add_u32_e32 v9, v9, v10
	s_nop 1
	;; [unrolled: 4-line block ×4, first 2 shown]
	v_mov_b32_dpp v10, v9 row_bcast:15 row_mask:0xf bank_mask:0xf
	v_cndmask_b32_e64 v10, v10, 0, s[2:3]
	v_add_u32_e32 v9, v9, v10
	s_nop 1
	v_mov_b32_dpp v10, v9 row_bcast:31 row_mask:0xf bank_mask:0xf
	v_cndmask_b32_e64 v10, 0, v10, s[0:1]
	v_add_u32_e32 v9, v9, v10
	s_and_saveexec_b64 s[16:17], s[18:19]
; %bb.137:
	v_lshlrev_b32_e32 v10, 2, v36
	ds_write_b32 v10, v9
; %bb.138:
	s_or_b64 exec, exec, s[16:17]
	v_cmp_gt_u32_e32 vcc, 3, v0
	s_waitcnt lgkmcnt(0)
	s_barrier
	s_and_saveexec_b64 s[16:17], vcc
	s_cbranch_execz .LBB311_140
; %bb.139:
	v_lshlrev_b32_e32 v10, 2, v0
	ds_read_b32 v11, v10
	v_and_b32_e32 v12, 3, v35
	v_cmp_ne_u32_e32 vcc, 0, v12
	s_waitcnt lgkmcnt(0)
	v_mov_b32_dpp v13, v11 row_shr:1 row_mask:0xf bank_mask:0xf
	v_cndmask_b32_e32 v13, 0, v13, vcc
	v_add_u32_e32 v11, v13, v11
	v_cmp_lt_u32_e32 vcc, 1, v12
	s_nop 0
	v_mov_b32_dpp v13, v11 row_shr:2 row_mask:0xf bank_mask:0xf
	v_cndmask_b32_e32 v12, 0, v13, vcc
	v_add_u32_e32 v11, v11, v12
	ds_write_b32 v10, v11
.LBB311_140:
	s_or_b64 exec, exec, s[16:17]
	v_cmp_gt_u32_e32 vcc, 64, v0
	v_cmp_lt_u32_e64 s[16:17], 63, v0
	s_waitcnt lgkmcnt(0)
	s_barrier
                                        ; implicit-def: $vgpr38
	s_and_saveexec_b64 s[20:21], s[16:17]
	s_cbranch_execz .LBB311_142
; %bb.141:
	v_lshl_add_u32 v10, v36, 2, -4
	ds_read_b32 v38, v10
	s_waitcnt lgkmcnt(0)
	v_add_u32_e32 v9, v38, v9
.LBB311_142:
	s_or_b64 exec, exec, s[20:21]
	v_subrev_co_u32_e64 v10, s[16:17], 1, v35
	v_and_b32_e32 v11, 64, v35
	v_cmp_lt_i32_e64 s[20:21], v10, v11
	v_cndmask_b32_e64 v10, v10, v35, s[20:21]
	v_lshlrev_b32_e32 v10, 2, v10
	ds_bpermute_b32 v39, v10, v9
	s_and_saveexec_b64 s[20:21], vcc
	s_cbranch_execz .LBB311_162
; %bb.143:
	v_mov_b32_e32 v15, 0
	ds_read_b32 v9, v15 offset:8
	s_and_saveexec_b64 s[24:25], s[16:17]
	s_cbranch_execz .LBB311_145
; %bb.144:
	s_add_i32 s26, s6, 64
	s_mov_b32 s27, 0
	s_lshl_b64 s[26:27], s[26:27], 3
	s_add_u32 s26, s22, s26
	v_mov_b32_e32 v10, 1
	s_addc_u32 s27, s23, s27
	s_waitcnt lgkmcnt(0)
	global_store_dwordx2 v15, v[9:10], s[26:27]
.LBB311_145:
	s_or_b64 exec, exec, s[24:25]
	v_xad_u32 v11, v35, -1, s6
	v_add_u32_e32 v14, 64, v11
	v_lshlrev_b64 v[12:13], 3, v[14:15]
	v_mov_b32_e32 v10, s23
	v_add_co_u32_e32 v16, vcc, s22, v12
	v_addc_co_u32_e32 v17, vcc, v10, v13, vcc
	global_load_dwordx2 v[13:14], v[16:17], off glc
	s_waitcnt vmcnt(0)
	v_cmp_eq_u16_sdwa s[26:27], v14, v15 src0_sel:BYTE_0 src1_sel:DWORD
	s_and_saveexec_b64 s[24:25], s[26:27]
	s_cbranch_execz .LBB311_149
; %bb.146:
	s_mov_b64 s[26:27], 0
	v_mov_b32_e32 v10, 0
.LBB311_147:                            ; =>This Inner Loop Header: Depth=1
	global_load_dwordx2 v[13:14], v[16:17], off glc
	s_waitcnt vmcnt(0)
	v_cmp_ne_u16_sdwa s[28:29], v14, v10 src0_sel:BYTE_0 src1_sel:DWORD
	s_or_b64 s[26:27], s[28:29], s[26:27]
	s_andn2_b64 exec, exec, s[26:27]
	s_cbranch_execnz .LBB311_147
; %bb.148:
	s_or_b64 exec, exec, s[26:27]
.LBB311_149:
	s_or_b64 exec, exec, s[24:25]
	v_and_b32_e32 v41, 63, v35
	v_mov_b32_e32 v40, 2
	v_lshlrev_b64 v[15:16], v35, -1
	v_cmp_ne_u32_e32 vcc, 63, v41
	v_cmp_eq_u16_sdwa s[24:25], v14, v40 src0_sel:BYTE_0 src1_sel:DWORD
	v_addc_co_u32_e32 v17, vcc, 0, v35, vcc
	v_and_b32_e32 v10, s25, v16
	v_lshlrev_b32_e32 v42, 2, v17
	v_or_b32_e32 v10, 0x80000000, v10
	ds_bpermute_b32 v17, v42, v13
	v_and_b32_e32 v12, s24, v15
	v_ffbl_b32_e32 v10, v10
	v_add_u32_e32 v10, 32, v10
	v_ffbl_b32_e32 v12, v12
	v_min_u32_e32 v10, v12, v10
	v_cmp_lt_u32_e32 vcc, v41, v10
	s_waitcnt lgkmcnt(0)
	v_cndmask_b32_e32 v12, 0, v17, vcc
	v_cmp_gt_u32_e32 vcc, 62, v41
	v_add_u32_e32 v12, v12, v13
	v_cndmask_b32_e64 v13, 0, 2, vcc
	v_add_lshl_u32 v43, v13, v35, 2
	ds_bpermute_b32 v13, v43, v12
	v_add_u32_e32 v44, 2, v41
	v_cmp_le_u32_e32 vcc, v44, v10
	v_add_u32_e32 v46, 4, v41
	v_add_u32_e32 v76, 8, v41
	s_waitcnt lgkmcnt(0)
	v_cndmask_b32_e32 v13, 0, v13, vcc
	v_cmp_gt_u32_e32 vcc, 60, v41
	v_add_u32_e32 v12, v12, v13
	v_cndmask_b32_e64 v13, 0, 4, vcc
	v_add_lshl_u32 v45, v13, v35, 2
	ds_bpermute_b32 v13, v45, v12
	v_cmp_le_u32_e32 vcc, v46, v10
	v_add_u32_e32 v78, 16, v41
	v_add_u32_e32 v80, 32, v41
	s_waitcnt lgkmcnt(0)
	v_cndmask_b32_e32 v13, 0, v13, vcc
	v_cmp_gt_u32_e32 vcc, 56, v41
	v_add_u32_e32 v12, v12, v13
	v_cndmask_b32_e64 v13, 0, 8, vcc
	v_add_lshl_u32 v75, v13, v35, 2
	ds_bpermute_b32 v13, v75, v12
	v_cmp_le_u32_e32 vcc, v76, v10
	s_waitcnt lgkmcnt(0)
	v_cndmask_b32_e32 v13, 0, v13, vcc
	v_cmp_gt_u32_e32 vcc, 48, v41
	v_add_u32_e32 v12, v12, v13
	v_cndmask_b32_e64 v13, 0, 16, vcc
	v_add_lshl_u32 v77, v13, v35, 2
	ds_bpermute_b32 v13, v77, v12
	v_cmp_le_u32_e32 vcc, v78, v10
	s_waitcnt lgkmcnt(0)
	v_cndmask_b32_e32 v13, 0, v13, vcc
	v_add_u32_e32 v12, v12, v13
	v_mov_b32_e32 v13, 0x80
	v_lshl_or_b32 v79, v35, 2, v13
	ds_bpermute_b32 v13, v79, v12
	v_cmp_le_u32_e32 vcc, v80, v10
	s_waitcnt lgkmcnt(0)
	v_cndmask_b32_e32 v10, 0, v13, vcc
	v_add_u32_e32 v13, v12, v10
	v_mov_b32_e32 v12, 0
	s_branch .LBB311_152
.LBB311_150:                            ;   in Loop: Header=BB311_152 Depth=1
	s_or_b64 exec, exec, s[24:25]
	v_cmp_eq_u16_sdwa s[24:25], v14, v40 src0_sel:BYTE_0 src1_sel:DWORD
	v_and_b32_e32 v17, s25, v16
	v_or_b32_e32 v17, 0x80000000, v17
	ds_bpermute_b32 v81, v42, v13
	v_and_b32_e32 v18, s24, v15
	v_ffbl_b32_e32 v17, v17
	v_add_u32_e32 v17, 32, v17
	v_ffbl_b32_e32 v18, v18
	v_min_u32_e32 v17, v18, v17
	v_cmp_lt_u32_e32 vcc, v41, v17
	s_waitcnt lgkmcnt(0)
	v_cndmask_b32_e32 v18, 0, v81, vcc
	v_add_u32_e32 v13, v18, v13
	ds_bpermute_b32 v18, v43, v13
	v_cmp_le_u32_e32 vcc, v44, v17
	v_subrev_u32_e32 v11, 64, v11
	s_mov_b64 s[24:25], 0
	s_waitcnt lgkmcnt(0)
	v_cndmask_b32_e32 v18, 0, v18, vcc
	v_add_u32_e32 v13, v13, v18
	ds_bpermute_b32 v18, v45, v13
	v_cmp_le_u32_e32 vcc, v46, v17
	s_waitcnt lgkmcnt(0)
	v_cndmask_b32_e32 v18, 0, v18, vcc
	v_add_u32_e32 v13, v13, v18
	ds_bpermute_b32 v18, v75, v13
	v_cmp_le_u32_e32 vcc, v76, v17
	;; [unrolled: 5-line block ×4, first 2 shown]
	s_waitcnt lgkmcnt(0)
	v_cndmask_b32_e32 v17, 0, v18, vcc
	v_add3_u32 v13, v17, v10, v13
.LBB311_151:                            ;   in Loop: Header=BB311_152 Depth=1
	s_and_b64 vcc, exec, s[24:25]
	s_cbranch_vccnz .LBB311_158
.LBB311_152:                            ; =>This Loop Header: Depth=1
                                        ;     Child Loop BB311_155 Depth 2
	v_cmp_ne_u16_sdwa s[24:25], v14, v40 src0_sel:BYTE_0 src1_sel:DWORD
	v_mov_b32_e32 v10, v13
	s_cmp_lg_u64 s[24:25], exec
	s_mov_b64 s[24:25], -1
                                        ; implicit-def: $vgpr13
                                        ; implicit-def: $vgpr14
	s_cbranch_scc1 .LBB311_151
; %bb.153:                              ;   in Loop: Header=BB311_152 Depth=1
	v_lshlrev_b64 v[13:14], 3, v[11:12]
	v_mov_b32_e32 v18, s23
	v_add_co_u32_e32 v17, vcc, s22, v13
	v_addc_co_u32_e32 v18, vcc, v18, v14, vcc
	global_load_dwordx2 v[13:14], v[17:18], off glc
	s_waitcnt vmcnt(0)
	v_cmp_eq_u16_sdwa s[26:27], v14, v12 src0_sel:BYTE_0 src1_sel:DWORD
	s_and_saveexec_b64 s[24:25], s[26:27]
	s_cbranch_execz .LBB311_150
; %bb.154:                              ;   in Loop: Header=BB311_152 Depth=1
	s_mov_b64 s[26:27], 0
.LBB311_155:                            ;   Parent Loop BB311_152 Depth=1
                                        ; =>  This Inner Loop Header: Depth=2
	global_load_dwordx2 v[13:14], v[17:18], off glc
	s_waitcnt vmcnt(0)
	v_cmp_ne_u16_sdwa s[28:29], v14, v12 src0_sel:BYTE_0 src1_sel:DWORD
	s_or_b64 s[26:27], s[28:29], s[26:27]
	s_andn2_b64 exec, exec, s[26:27]
	s_cbranch_execnz .LBB311_155
; %bb.156:                              ;   in Loop: Header=BB311_152 Depth=1
	s_or_b64 exec, exec, s[26:27]
	s_branch .LBB311_150
.LBB311_157:
                                        ; implicit-def: $vgpr10
                                        ; implicit-def: $vgpr9
                                        ; implicit-def: $vgpr39
	s_load_dwordx2 s[4:5], s[4:5], 0x28
	s_cbranch_execnz .LBB311_163
	s_branch .LBB311_172
.LBB311_158:
	s_and_saveexec_b64 s[24:25], s[16:17]
	s_cbranch_execz .LBB311_160
; %bb.159:
	s_add_i32 s6, s6, 64
	s_mov_b32 s7, 0
	s_lshl_b64 s[6:7], s[6:7], 3
	s_add_u32 s6, s22, s6
	v_add_u32_e32 v11, v10, v9
	v_mov_b32_e32 v12, 2
	s_addc_u32 s7, s23, s7
	v_mov_b32_e32 v13, 0
	global_store_dwordx2 v13, v[11:12], s[6:7]
	ds_write_b64 v13, v[9:10] offset:6912
.LBB311_160:
	s_or_b64 exec, exec, s[24:25]
	v_cmp_eq_u32_e32 vcc, 0, v0
	s_and_b64 exec, exec, vcc
; %bb.161:
	v_mov_b32_e32 v9, 0
	ds_write_b32 v9, v10 offset:8
.LBB311_162:
	s_or_b64 exec, exec, s[20:21]
	v_mov_b32_e32 v9, 0
	s_waitcnt vmcnt(0) lgkmcnt(0)
	s_barrier
	ds_read_b32 v12, v9 offset:8
	s_waitcnt lgkmcnt(0)
	s_barrier
	ds_read_b64 v[9:10], v9 offset:6912
	v_cndmask_b32_e64 v11, v39, v38, s[16:17]
	v_cmp_ne_u32_e32 vcc, 0, v0
	v_cndmask_b32_e32 v11, 0, v11, vcc
	v_add_u32_e32 v39, v12, v11
	s_load_dwordx2 s[4:5], s[4:5], 0x28
	s_branch .LBB311_172
.LBB311_163:
	s_waitcnt lgkmcnt(0)
	v_mov_b32_dpp v9, v37 row_shr:1 row_mask:0xf bank_mask:0xf
	v_cndmask_b32_e64 v9, v9, 0, s[14:15]
	v_add_u32_e32 v9, v9, v37
	s_nop 1
	v_mov_b32_dpp v10, v9 row_shr:2 row_mask:0xf bank_mask:0xf
	v_cndmask_b32_e64 v10, 0, v10, s[12:13]
	v_add_u32_e32 v9, v9, v10
	s_nop 1
	;; [unrolled: 4-line block ×4, first 2 shown]
	v_mov_b32_dpp v10, v9 row_bcast:15 row_mask:0xf bank_mask:0xf
	v_cndmask_b32_e64 v10, v10, 0, s[2:3]
	v_add_u32_e32 v9, v9, v10
	s_nop 1
	v_mov_b32_dpp v10, v9 row_bcast:31 row_mask:0xf bank_mask:0xf
	v_cndmask_b32_e64 v10, 0, v10, s[0:1]
	v_add_u32_e32 v9, v9, v10
	s_and_saveexec_b64 s[0:1], s[18:19]
; %bb.164:
	v_lshlrev_b32_e32 v10, 2, v36
	ds_write_b32 v10, v9
; %bb.165:
	s_or_b64 exec, exec, s[0:1]
	v_cmp_gt_u32_e32 vcc, 3, v0
	s_waitcnt lgkmcnt(0)
	s_barrier
	s_and_saveexec_b64 s[0:1], vcc
	s_cbranch_execz .LBB311_167
; %bb.166:
	v_lshlrev_b32_e32 v10, 2, v0
	ds_read_b32 v11, v10
	v_and_b32_e32 v12, 3, v35
	v_cmp_ne_u32_e32 vcc, 0, v12
	s_waitcnt lgkmcnt(0)
	v_mov_b32_dpp v13, v11 row_shr:1 row_mask:0xf bank_mask:0xf
	v_cndmask_b32_e32 v13, 0, v13, vcc
	v_add_u32_e32 v11, v13, v11
	v_cmp_lt_u32_e32 vcc, 1, v12
	s_nop 0
	v_mov_b32_dpp v13, v11 row_shr:2 row_mask:0xf bank_mask:0xf
	v_cndmask_b32_e32 v12, 0, v13, vcc
	v_add_u32_e32 v11, v11, v12
	ds_write_b32 v10, v11
.LBB311_167:
	s_or_b64 exec, exec, s[0:1]
	v_cmp_lt_u32_e32 vcc, 63, v0
	v_mov_b32_e32 v10, 0
	v_mov_b32_e32 v11, 0
	s_waitcnt lgkmcnt(0)
	s_barrier
	s_and_saveexec_b64 s[0:1], vcc
; %bb.168:
	v_lshl_add_u32 v11, v36, 2, -4
	ds_read_b32 v11, v11
; %bb.169:
	s_or_b64 exec, exec, s[0:1]
	v_subrev_co_u32_e32 v12, vcc, 1, v35
	v_and_b32_e32 v13, 64, v35
	v_cmp_lt_i32_e64 s[0:1], v12, v13
	v_cndmask_b32_e64 v12, v12, v35, s[0:1]
	s_waitcnt lgkmcnt(0)
	v_add_u32_e32 v9, v11, v9
	v_lshlrev_b32_e32 v12, 2, v12
	ds_bpermute_b32 v12, v12, v9
	ds_read_b32 v9, v10 offset:8
	v_cmp_eq_u32_e64 s[0:1], 0, v0
	s_and_saveexec_b64 s[2:3], s[0:1]
	s_cbranch_execz .LBB311_171
; %bb.170:
	v_mov_b32_e32 v13, 0
	v_mov_b32_e32 v10, 2
	s_waitcnt lgkmcnt(0)
	global_store_dwordx2 v13, v[9:10], s[22:23] offset:512
.LBB311_171:
	s_or_b64 exec, exec, s[2:3]
	s_waitcnt lgkmcnt(1)
	v_cndmask_b32_e32 v10, v12, v11, vcc
	v_cndmask_b32_e64 v39, v10, 0, s[0:1]
	s_waitcnt vmcnt(0) lgkmcnt(0)
	s_barrier
	v_mov_b32_e32 v10, 0
.LBB311_172:
	v_add_u32_e32 v45, v39, v23
	v_add_u32_e32 v43, v45, v25
	;; [unrolled: 1-line block ×7, first 2 shown]
	v_add_u32_sdwa v29, v31, v68 dst_sel:DWORD dst_unused:UNUSED_PAD src0_sel:DWORD src1_sel:BYTE_0
	v_add_u32_sdwa v27, v29, v67 dst_sel:DWORD dst_unused:UNUSED_PAD src0_sel:DWORD src1_sel:BYTE_0
	v_add_u32_e32 v25, v27, v19
	v_add_u32_e32 v23, v25, v21
	;; [unrolled: 1-line block ×6, first 2 shown]
	s_movk_i32 s2, 0xc1
	v_add_u32_e32 v13, v15, v30
	s_waitcnt lgkmcnt(0)
	v_cmp_gt_u32_e32 vcc, s2, v9
	v_add_u32_e32 v11, v13, v32
	s_mov_b64 s[0:1], -1
	v_and_b32_e32 v75, 1, v20
	s_cbranch_vccnz .LBB311_176
; %bb.173:
	s_and_b64 vcc, exec, s[0:1]
	s_cbranch_vccnz .LBB311_213
.LBB311_174:
	v_cmp_eq_u32_e32 vcc, 0, v0
	s_and_b64 s[0:1], vcc, s[44:45]
	s_and_saveexec_b64 s[2:3], s[0:1]
	s_cbranch_execnz .LBB311_252
.LBB311_175:
	s_endpgm
.LBB311_176:
	v_add_u32_e32 v12, v10, v9
	s_lshl_b64 s[0:1], s[42:43], 1
	s_add_u32 s2, s4, s0
	v_cmp_lt_u32_e32 vcc, v39, v12
	s_addc_u32 s3, s5, s1
	s_or_b64 s[0:1], s[46:47], vcc
	v_cmp_eq_u32_e32 vcc, 1, v75
	s_and_b64 s[6:7], s[0:1], vcc
	s_and_saveexec_b64 s[0:1], s[6:7]
	s_cbranch_execz .LBB311_178
; %bb.177:
	v_mov_b32_e32 v40, 0
	v_lshlrev_b64 v[76:77], 1, v[39:40]
	v_mov_b32_e32 v14, s3
	v_add_co_u32_e32 v76, vcc, s2, v76
	v_addc_co_u32_e32 v77, vcc, v14, v77, vcc
	global_store_short v[76:77], v7, off
.LBB311_178:
	s_or_b64 exec, exec, s[0:1]
	v_cmp_lt_u32_e32 vcc, v45, v12
	v_and_b32_e32 v14, 1, v74
	s_or_b64 s[0:1], s[46:47], vcc
	v_cmp_eq_u32_e32 vcc, 1, v14
	s_and_b64 s[6:7], s[0:1], vcc
	s_and_saveexec_b64 s[0:1], s[6:7]
	s_cbranch_execz .LBB311_180
; %bb.179:
	v_mov_b32_e32 v46, 0
	v_lshlrev_b64 v[76:77], 1, v[45:46]
	v_mov_b32_e32 v14, s3
	v_add_co_u32_e32 v76, vcc, s2, v76
	v_addc_co_u32_e32 v77, vcc, v14, v77, vcc
	global_store_short v[76:77], v57, off
.LBB311_180:
	s_or_b64 exec, exec, s[0:1]
	v_cmp_lt_u32_e32 vcc, v43, v12
	v_and_b32_e32 v14, 1, v73
	;; [unrolled: 16-line block ×17, first 2 shown]
	s_or_b64 s[0:1], s[46:47], vcc
	v_cmp_eq_u32_e32 vcc, 1, v12
	s_and_b64 s[6:7], s[0:1], vcc
	s_and_saveexec_b64 s[0:1], s[6:7]
	s_cbranch_execz .LBB311_212
; %bb.211:
	v_mov_b32_e32 v12, 0
	v_lshlrev_b64 v[76:77], 1, v[11:12]
	v_mov_b32_e32 v12, s3
	v_add_co_u32_e32 v76, vcc, s2, v76
	v_addc_co_u32_e32 v77, vcc, v12, v77, vcc
	global_store_short v[76:77], v48, off
.LBB311_212:
	s_or_b64 exec, exec, s[0:1]
	s_branch .LBB311_174
.LBB311_213:
	v_cmp_eq_u32_e32 vcc, 1, v75
	s_and_saveexec_b64 s[0:1], vcc
; %bb.214:
	v_sub_u32_e32 v12, v39, v10
	v_lshlrev_b32_e32 v12, 1, v12
	ds_write_b16 v12, v7
; %bb.215:
	s_or_b64 exec, exec, s[0:1]
	v_and_b32_e32 v7, 1, v74
	v_cmp_eq_u32_e32 vcc, 1, v7
	s_and_saveexec_b64 s[0:1], vcc
; %bb.216:
	v_sub_u32_e32 v7, v45, v10
	v_lshlrev_b32_e32 v7, 1, v7
	ds_write_b16 v7, v57
; %bb.217:
	s_or_b64 exec, exec, s[0:1]
	v_and_b32_e32 v7, 1, v73
	v_cmp_eq_u32_e32 vcc, 1, v7
	s_and_saveexec_b64 s[0:1], vcc
; %bb.218:
	v_sub_u32_e32 v7, v43, v10
	v_lshlrev_b32_e32 v7, 1, v7
	ds_write_b16 v7, v8
; %bb.219:
	s_or_b64 exec, exec, s[0:1]
	v_and_b32_e32 v7, 1, v72
	v_cmp_eq_u32_e32 vcc, 1, v7
	s_and_saveexec_b64 s[0:1], vcc
; %bb.220:
	v_sub_u32_e32 v7, v41, v10
	v_lshlrev_b32_e32 v7, 1, v7
	ds_write_b16 v7, v56
; %bb.221:
	s_or_b64 exec, exec, s[0:1]
	v_and_b32_e32 v7, 1, v71
	v_cmp_eq_u32_e32 vcc, 1, v7
	s_and_saveexec_b64 s[0:1], vcc
; %bb.222:
	v_sub_u32_e32 v7, v37, v10
	v_lshlrev_b32_e32 v7, 1, v7
	ds_write_b16 v7, v5
; %bb.223:
	s_or_b64 exec, exec, s[0:1]
	v_and_b32_e32 v5, 1, v70
	v_cmp_eq_u32_e32 vcc, 1, v5
	s_and_saveexec_b64 s[0:1], vcc
; %bb.224:
	v_sub_u32_e32 v5, v35, v10
	v_lshlrev_b32_e32 v5, 1, v5
	ds_write_b16 v5, v55
; %bb.225:
	s_or_b64 exec, exec, s[0:1]
	v_and_b32_e32 v5, 1, v69
	v_cmp_eq_u32_e32 vcc, 1, v5
	s_and_saveexec_b64 s[0:1], vcc
; %bb.226:
	v_sub_u32_e32 v5, v33, v10
	v_lshlrev_b32_e32 v5, 1, v5
	ds_write_b16 v5, v6
; %bb.227:
	s_or_b64 exec, exec, s[0:1]
	v_and_b32_e32 v5, 1, v68
	v_cmp_eq_u32_e32 vcc, 1, v5
	s_and_saveexec_b64 s[0:1], vcc
; %bb.228:
	v_sub_u32_e32 v5, v31, v10
	v_lshlrev_b32_e32 v5, 1, v5
	ds_write_b16 v5, v54
; %bb.229:
	s_or_b64 exec, exec, s[0:1]
	v_and_b32_e32 v5, 1, v67
	v_cmp_eq_u32_e32 vcc, 1, v5
	s_and_saveexec_b64 s[0:1], vcc
; %bb.230:
	v_sub_u32_e32 v5, v29, v10
	v_lshlrev_b32_e32 v5, 1, v5
	ds_write_b16 v5, v3
; %bb.231:
	s_or_b64 exec, exec, s[0:1]
	v_and_b32_e32 v3, 1, v66
	v_cmp_eq_u32_e32 vcc, 1, v3
	s_and_saveexec_b64 s[0:1], vcc
; %bb.232:
	v_sub_u32_e32 v3, v27, v10
	v_lshlrev_b32_e32 v3, 1, v3
	ds_write_b16 v3, v53
; %bb.233:
	s_or_b64 exec, exec, s[0:1]
	v_and_b32_e32 v3, 1, v65
	v_cmp_eq_u32_e32 vcc, 1, v3
	s_and_saveexec_b64 s[0:1], vcc
; %bb.234:
	v_sub_u32_e32 v3, v25, v10
	v_lshlrev_b32_e32 v3, 1, v3
	ds_write_b16 v3, v4
; %bb.235:
	s_or_b64 exec, exec, s[0:1]
	v_and_b32_e32 v3, 1, v64
	v_cmp_eq_u32_e32 vcc, 1, v3
	s_and_saveexec_b64 s[0:1], vcc
; %bb.236:
	v_sub_u32_e32 v3, v23, v10
	v_lshlrev_b32_e32 v3, 1, v3
	ds_write_b16 v3, v52
; %bb.237:
	s_or_b64 exec, exec, s[0:1]
	v_and_b32_e32 v3, 1, v63
	v_cmp_eq_u32_e32 vcc, 1, v3
	s_and_saveexec_b64 s[0:1], vcc
; %bb.238:
	v_sub_u32_e32 v3, v21, v10
	v_lshlrev_b32_e32 v3, 1, v3
	ds_write_b16 v3, v1
; %bb.239:
	s_or_b64 exec, exec, s[0:1]
	v_and_b32_e32 v1, 1, v62
	v_cmp_eq_u32_e32 vcc, 1, v1
	s_and_saveexec_b64 s[0:1], vcc
; %bb.240:
	v_sub_u32_e32 v1, v19, v10
	v_lshlrev_b32_e32 v1, 1, v1
	ds_write_b16 v1, v51
; %bb.241:
	s_or_b64 exec, exec, s[0:1]
	v_and_b32_e32 v1, 1, v61
	v_cmp_eq_u32_e32 vcc, 1, v1
	s_and_saveexec_b64 s[0:1], vcc
; %bb.242:
	v_sub_u32_e32 v1, v17, v10
	v_lshlrev_b32_e32 v1, 1, v1
	ds_write_b16 v1, v2
; %bb.243:
	s_or_b64 exec, exec, s[0:1]
	v_and_b32_e32 v1, 1, v60
	v_cmp_eq_u32_e32 vcc, 1, v1
	s_and_saveexec_b64 s[0:1], vcc
; %bb.244:
	v_sub_u32_e32 v1, v15, v10
	v_lshlrev_b32_e32 v1, 1, v1
	ds_write_b16 v1, v50
; %bb.245:
	s_or_b64 exec, exec, s[0:1]
	v_and_b32_e32 v1, 1, v59
	v_cmp_eq_u32_e32 vcc, 1, v1
	s_and_saveexec_b64 s[0:1], vcc
; %bb.246:
	v_sub_u32_e32 v1, v13, v10
	v_lshlrev_b32_e32 v1, 1, v1
	ds_write_b16 v1, v49
; %bb.247:
	s_or_b64 exec, exec, s[0:1]
	v_and_b32_e32 v1, 1, v58
	v_cmp_eq_u32_e32 vcc, 1, v1
	s_and_saveexec_b64 s[0:1], vcc
; %bb.248:
	v_sub_u32_e32 v1, v11, v10
	v_lshlrev_b32_e32 v1, 1, v1
	ds_write_b16 v1, v48
; %bb.249:
	s_or_b64 exec, exec, s[0:1]
	v_mov_b32_e32 v2, 0
	v_mov_b32_e32 v11, v2
	s_lshl_b64 s[0:1], s[42:43], 1
	s_add_u32 s0, s4, s0
	v_lshlrev_b64 v[3:4], 1, v[10:11]
	s_addc_u32 s1, s5, s1
	v_mov_b32_e32 v1, s1
	v_add_co_u32_e32 v3, vcc, s0, v3
	v_addc_co_u32_e32 v4, vcc, v1, v4, vcc
	s_mov_b64 s[2:3], 0
	v_mov_b32_e32 v1, v0
	s_waitcnt vmcnt(0) lgkmcnt(0)
	s_barrier
.LBB311_250:                            ; =>This Inner Loop Header: Depth=1
	ds_read_u16 v7, v47
	v_lshlrev_b64 v[5:6], 1, v[1:2]
	v_add_u32_e32 v1, 0xc0, v1
	v_cmp_ge_u32_e32 vcc, v1, v9
	v_add_co_u32_e64 v5, s[0:1], v3, v5
	v_add_u32_e32 v47, 0x180, v47
	v_addc_co_u32_e64 v6, s[0:1], v4, v6, s[0:1]
	s_or_b64 s[2:3], vcc, s[2:3]
	s_waitcnt lgkmcnt(0)
	global_store_short v[5:6], v7, off
	s_andn2_b64 exec, exec, s[2:3]
	s_cbranch_execnz .LBB311_250
; %bb.251:
	s_or_b64 exec, exec, s[2:3]
	v_cmp_eq_u32_e32 vcc, 0, v0
	s_and_b64 s[0:1], vcc, s[44:45]
	s_and_saveexec_b64 s[2:3], s[0:1]
	s_cbranch_execz .LBB311_175
.LBB311_252:
	v_mov_b32_e32 v0, s43
	v_add_co_u32_e32 v1, vcc, s42, v9
	v_addc_co_u32_e32 v3, vcc, 0, v0, vcc
	v_add_co_u32_e32 v0, vcc, v1, v10
	v_mov_b32_e32 v2, 0
	v_addc_co_u32_e32 v1, vcc, 0, v3, vcc
	global_store_dwordx2 v2, v[0:1], s[40:41]
	s_endpgm
	.section	.rodata,"a",@progbits
	.p2align	6, 0x0
	.amdhsa_kernel _ZN7rocprim17ROCPRIM_400000_NS6detail17trampoline_kernelINS0_14default_configENS1_25partition_config_selectorILNS1_17partition_subalgoE8EtNS0_10empty_typeEbEEZZNS1_14partition_implILS5_8ELb0ES3_jN6thrust23THRUST_200600_302600_NS6detail15normal_iteratorINSA_10device_ptrItEEEEPS6_PKS6_NS0_5tupleIJSF_S6_EEENSJ_IJSG_SG_EEENS0_18inequality_wrapperI22is_equal_div_10_uniqueItEEEPmJS6_EEE10hipError_tPvRmT3_T4_T5_T6_T7_T9_mT8_P12ihipStream_tbDpT10_ENKUlT_T0_E_clISt17integral_constantIbLb0EES1A_EEDaS15_S16_EUlS15_E_NS1_11comp_targetILNS1_3genE2ELNS1_11target_archE906ELNS1_3gpuE6ELNS1_3repE0EEENS1_30default_config_static_selectorELNS0_4arch9wavefront6targetE1EEEvT1_
		.amdhsa_group_segment_fixed_size 6920
		.amdhsa_private_segment_fixed_size 0
		.amdhsa_kernarg_size 112
		.amdhsa_user_sgpr_count 6
		.amdhsa_user_sgpr_private_segment_buffer 1
		.amdhsa_user_sgpr_dispatch_ptr 0
		.amdhsa_user_sgpr_queue_ptr 0
		.amdhsa_user_sgpr_kernarg_segment_ptr 1
		.amdhsa_user_sgpr_dispatch_id 0
		.amdhsa_user_sgpr_flat_scratch_init 0
		.amdhsa_user_sgpr_private_segment_size 0
		.amdhsa_uses_dynamic_stack 0
		.amdhsa_system_sgpr_private_segment_wavefront_offset 0
		.amdhsa_system_sgpr_workgroup_id_x 1
		.amdhsa_system_sgpr_workgroup_id_y 0
		.amdhsa_system_sgpr_workgroup_id_z 0
		.amdhsa_system_sgpr_workgroup_info 0
		.amdhsa_system_vgpr_workitem_id 0
		.amdhsa_next_free_vgpr 82
		.amdhsa_next_free_sgpr 77
		.amdhsa_reserve_vcc 1
		.amdhsa_reserve_flat_scratch 0
		.amdhsa_float_round_mode_32 0
		.amdhsa_float_round_mode_16_64 0
		.amdhsa_float_denorm_mode_32 3
		.amdhsa_float_denorm_mode_16_64 3
		.amdhsa_dx10_clamp 1
		.amdhsa_ieee_mode 1
		.amdhsa_fp16_overflow 0
		.amdhsa_exception_fp_ieee_invalid_op 0
		.amdhsa_exception_fp_denorm_src 0
		.amdhsa_exception_fp_ieee_div_zero 0
		.amdhsa_exception_fp_ieee_overflow 0
		.amdhsa_exception_fp_ieee_underflow 0
		.amdhsa_exception_fp_ieee_inexact 0
		.amdhsa_exception_int_div_zero 0
	.end_amdhsa_kernel
	.section	.text._ZN7rocprim17ROCPRIM_400000_NS6detail17trampoline_kernelINS0_14default_configENS1_25partition_config_selectorILNS1_17partition_subalgoE8EtNS0_10empty_typeEbEEZZNS1_14partition_implILS5_8ELb0ES3_jN6thrust23THRUST_200600_302600_NS6detail15normal_iteratorINSA_10device_ptrItEEEEPS6_PKS6_NS0_5tupleIJSF_S6_EEENSJ_IJSG_SG_EEENS0_18inequality_wrapperI22is_equal_div_10_uniqueItEEEPmJS6_EEE10hipError_tPvRmT3_T4_T5_T6_T7_T9_mT8_P12ihipStream_tbDpT10_ENKUlT_T0_E_clISt17integral_constantIbLb0EES1A_EEDaS15_S16_EUlS15_E_NS1_11comp_targetILNS1_3genE2ELNS1_11target_archE906ELNS1_3gpuE6ELNS1_3repE0EEENS1_30default_config_static_selectorELNS0_4arch9wavefront6targetE1EEEvT1_,"axG",@progbits,_ZN7rocprim17ROCPRIM_400000_NS6detail17trampoline_kernelINS0_14default_configENS1_25partition_config_selectorILNS1_17partition_subalgoE8EtNS0_10empty_typeEbEEZZNS1_14partition_implILS5_8ELb0ES3_jN6thrust23THRUST_200600_302600_NS6detail15normal_iteratorINSA_10device_ptrItEEEEPS6_PKS6_NS0_5tupleIJSF_S6_EEENSJ_IJSG_SG_EEENS0_18inequality_wrapperI22is_equal_div_10_uniqueItEEEPmJS6_EEE10hipError_tPvRmT3_T4_T5_T6_T7_T9_mT8_P12ihipStream_tbDpT10_ENKUlT_T0_E_clISt17integral_constantIbLb0EES1A_EEDaS15_S16_EUlS15_E_NS1_11comp_targetILNS1_3genE2ELNS1_11target_archE906ELNS1_3gpuE6ELNS1_3repE0EEENS1_30default_config_static_selectorELNS0_4arch9wavefront6targetE1EEEvT1_,comdat
.Lfunc_end311:
	.size	_ZN7rocprim17ROCPRIM_400000_NS6detail17trampoline_kernelINS0_14default_configENS1_25partition_config_selectorILNS1_17partition_subalgoE8EtNS0_10empty_typeEbEEZZNS1_14partition_implILS5_8ELb0ES3_jN6thrust23THRUST_200600_302600_NS6detail15normal_iteratorINSA_10device_ptrItEEEEPS6_PKS6_NS0_5tupleIJSF_S6_EEENSJ_IJSG_SG_EEENS0_18inequality_wrapperI22is_equal_div_10_uniqueItEEEPmJS6_EEE10hipError_tPvRmT3_T4_T5_T6_T7_T9_mT8_P12ihipStream_tbDpT10_ENKUlT_T0_E_clISt17integral_constantIbLb0EES1A_EEDaS15_S16_EUlS15_E_NS1_11comp_targetILNS1_3genE2ELNS1_11target_archE906ELNS1_3gpuE6ELNS1_3repE0EEENS1_30default_config_static_selectorELNS0_4arch9wavefront6targetE1EEEvT1_, .Lfunc_end311-_ZN7rocprim17ROCPRIM_400000_NS6detail17trampoline_kernelINS0_14default_configENS1_25partition_config_selectorILNS1_17partition_subalgoE8EtNS0_10empty_typeEbEEZZNS1_14partition_implILS5_8ELb0ES3_jN6thrust23THRUST_200600_302600_NS6detail15normal_iteratorINSA_10device_ptrItEEEEPS6_PKS6_NS0_5tupleIJSF_S6_EEENSJ_IJSG_SG_EEENS0_18inequality_wrapperI22is_equal_div_10_uniqueItEEEPmJS6_EEE10hipError_tPvRmT3_T4_T5_T6_T7_T9_mT8_P12ihipStream_tbDpT10_ENKUlT_T0_E_clISt17integral_constantIbLb0EES1A_EEDaS15_S16_EUlS15_E_NS1_11comp_targetILNS1_3genE2ELNS1_11target_archE906ELNS1_3gpuE6ELNS1_3repE0EEENS1_30default_config_static_selectorELNS0_4arch9wavefront6targetE1EEEvT1_
                                        ; -- End function
	.set _ZN7rocprim17ROCPRIM_400000_NS6detail17trampoline_kernelINS0_14default_configENS1_25partition_config_selectorILNS1_17partition_subalgoE8EtNS0_10empty_typeEbEEZZNS1_14partition_implILS5_8ELb0ES3_jN6thrust23THRUST_200600_302600_NS6detail15normal_iteratorINSA_10device_ptrItEEEEPS6_PKS6_NS0_5tupleIJSF_S6_EEENSJ_IJSG_SG_EEENS0_18inequality_wrapperI22is_equal_div_10_uniqueItEEEPmJS6_EEE10hipError_tPvRmT3_T4_T5_T6_T7_T9_mT8_P12ihipStream_tbDpT10_ENKUlT_T0_E_clISt17integral_constantIbLb0EES1A_EEDaS15_S16_EUlS15_E_NS1_11comp_targetILNS1_3genE2ELNS1_11target_archE906ELNS1_3gpuE6ELNS1_3repE0EEENS1_30default_config_static_selectorELNS0_4arch9wavefront6targetE1EEEvT1_.num_vgpr, 82
	.set _ZN7rocprim17ROCPRIM_400000_NS6detail17trampoline_kernelINS0_14default_configENS1_25partition_config_selectorILNS1_17partition_subalgoE8EtNS0_10empty_typeEbEEZZNS1_14partition_implILS5_8ELb0ES3_jN6thrust23THRUST_200600_302600_NS6detail15normal_iteratorINSA_10device_ptrItEEEEPS6_PKS6_NS0_5tupleIJSF_S6_EEENSJ_IJSG_SG_EEENS0_18inequality_wrapperI22is_equal_div_10_uniqueItEEEPmJS6_EEE10hipError_tPvRmT3_T4_T5_T6_T7_T9_mT8_P12ihipStream_tbDpT10_ENKUlT_T0_E_clISt17integral_constantIbLb0EES1A_EEDaS15_S16_EUlS15_E_NS1_11comp_targetILNS1_3genE2ELNS1_11target_archE906ELNS1_3gpuE6ELNS1_3repE0EEENS1_30default_config_static_selectorELNS0_4arch9wavefront6targetE1EEEvT1_.num_agpr, 0
	.set _ZN7rocprim17ROCPRIM_400000_NS6detail17trampoline_kernelINS0_14default_configENS1_25partition_config_selectorILNS1_17partition_subalgoE8EtNS0_10empty_typeEbEEZZNS1_14partition_implILS5_8ELb0ES3_jN6thrust23THRUST_200600_302600_NS6detail15normal_iteratorINSA_10device_ptrItEEEEPS6_PKS6_NS0_5tupleIJSF_S6_EEENSJ_IJSG_SG_EEENS0_18inequality_wrapperI22is_equal_div_10_uniqueItEEEPmJS6_EEE10hipError_tPvRmT3_T4_T5_T6_T7_T9_mT8_P12ihipStream_tbDpT10_ENKUlT_T0_E_clISt17integral_constantIbLb0EES1A_EEDaS15_S16_EUlS15_E_NS1_11comp_targetILNS1_3genE2ELNS1_11target_archE906ELNS1_3gpuE6ELNS1_3repE0EEENS1_30default_config_static_selectorELNS0_4arch9wavefront6targetE1EEEvT1_.numbered_sgpr, 60
	.set _ZN7rocprim17ROCPRIM_400000_NS6detail17trampoline_kernelINS0_14default_configENS1_25partition_config_selectorILNS1_17partition_subalgoE8EtNS0_10empty_typeEbEEZZNS1_14partition_implILS5_8ELb0ES3_jN6thrust23THRUST_200600_302600_NS6detail15normal_iteratorINSA_10device_ptrItEEEEPS6_PKS6_NS0_5tupleIJSF_S6_EEENSJ_IJSG_SG_EEENS0_18inequality_wrapperI22is_equal_div_10_uniqueItEEEPmJS6_EEE10hipError_tPvRmT3_T4_T5_T6_T7_T9_mT8_P12ihipStream_tbDpT10_ENKUlT_T0_E_clISt17integral_constantIbLb0EES1A_EEDaS15_S16_EUlS15_E_NS1_11comp_targetILNS1_3genE2ELNS1_11target_archE906ELNS1_3gpuE6ELNS1_3repE0EEENS1_30default_config_static_selectorELNS0_4arch9wavefront6targetE1EEEvT1_.num_named_barrier, 0
	.set _ZN7rocprim17ROCPRIM_400000_NS6detail17trampoline_kernelINS0_14default_configENS1_25partition_config_selectorILNS1_17partition_subalgoE8EtNS0_10empty_typeEbEEZZNS1_14partition_implILS5_8ELb0ES3_jN6thrust23THRUST_200600_302600_NS6detail15normal_iteratorINSA_10device_ptrItEEEEPS6_PKS6_NS0_5tupleIJSF_S6_EEENSJ_IJSG_SG_EEENS0_18inequality_wrapperI22is_equal_div_10_uniqueItEEEPmJS6_EEE10hipError_tPvRmT3_T4_T5_T6_T7_T9_mT8_P12ihipStream_tbDpT10_ENKUlT_T0_E_clISt17integral_constantIbLb0EES1A_EEDaS15_S16_EUlS15_E_NS1_11comp_targetILNS1_3genE2ELNS1_11target_archE906ELNS1_3gpuE6ELNS1_3repE0EEENS1_30default_config_static_selectorELNS0_4arch9wavefront6targetE1EEEvT1_.private_seg_size, 0
	.set _ZN7rocprim17ROCPRIM_400000_NS6detail17trampoline_kernelINS0_14default_configENS1_25partition_config_selectorILNS1_17partition_subalgoE8EtNS0_10empty_typeEbEEZZNS1_14partition_implILS5_8ELb0ES3_jN6thrust23THRUST_200600_302600_NS6detail15normal_iteratorINSA_10device_ptrItEEEEPS6_PKS6_NS0_5tupleIJSF_S6_EEENSJ_IJSG_SG_EEENS0_18inequality_wrapperI22is_equal_div_10_uniqueItEEEPmJS6_EEE10hipError_tPvRmT3_T4_T5_T6_T7_T9_mT8_P12ihipStream_tbDpT10_ENKUlT_T0_E_clISt17integral_constantIbLb0EES1A_EEDaS15_S16_EUlS15_E_NS1_11comp_targetILNS1_3genE2ELNS1_11target_archE906ELNS1_3gpuE6ELNS1_3repE0EEENS1_30default_config_static_selectorELNS0_4arch9wavefront6targetE1EEEvT1_.uses_vcc, 1
	.set _ZN7rocprim17ROCPRIM_400000_NS6detail17trampoline_kernelINS0_14default_configENS1_25partition_config_selectorILNS1_17partition_subalgoE8EtNS0_10empty_typeEbEEZZNS1_14partition_implILS5_8ELb0ES3_jN6thrust23THRUST_200600_302600_NS6detail15normal_iteratorINSA_10device_ptrItEEEEPS6_PKS6_NS0_5tupleIJSF_S6_EEENSJ_IJSG_SG_EEENS0_18inequality_wrapperI22is_equal_div_10_uniqueItEEEPmJS6_EEE10hipError_tPvRmT3_T4_T5_T6_T7_T9_mT8_P12ihipStream_tbDpT10_ENKUlT_T0_E_clISt17integral_constantIbLb0EES1A_EEDaS15_S16_EUlS15_E_NS1_11comp_targetILNS1_3genE2ELNS1_11target_archE906ELNS1_3gpuE6ELNS1_3repE0EEENS1_30default_config_static_selectorELNS0_4arch9wavefront6targetE1EEEvT1_.uses_flat_scratch, 0
	.set _ZN7rocprim17ROCPRIM_400000_NS6detail17trampoline_kernelINS0_14default_configENS1_25partition_config_selectorILNS1_17partition_subalgoE8EtNS0_10empty_typeEbEEZZNS1_14partition_implILS5_8ELb0ES3_jN6thrust23THRUST_200600_302600_NS6detail15normal_iteratorINSA_10device_ptrItEEEEPS6_PKS6_NS0_5tupleIJSF_S6_EEENSJ_IJSG_SG_EEENS0_18inequality_wrapperI22is_equal_div_10_uniqueItEEEPmJS6_EEE10hipError_tPvRmT3_T4_T5_T6_T7_T9_mT8_P12ihipStream_tbDpT10_ENKUlT_T0_E_clISt17integral_constantIbLb0EES1A_EEDaS15_S16_EUlS15_E_NS1_11comp_targetILNS1_3genE2ELNS1_11target_archE906ELNS1_3gpuE6ELNS1_3repE0EEENS1_30default_config_static_selectorELNS0_4arch9wavefront6targetE1EEEvT1_.has_dyn_sized_stack, 0
	.set _ZN7rocprim17ROCPRIM_400000_NS6detail17trampoline_kernelINS0_14default_configENS1_25partition_config_selectorILNS1_17partition_subalgoE8EtNS0_10empty_typeEbEEZZNS1_14partition_implILS5_8ELb0ES3_jN6thrust23THRUST_200600_302600_NS6detail15normal_iteratorINSA_10device_ptrItEEEEPS6_PKS6_NS0_5tupleIJSF_S6_EEENSJ_IJSG_SG_EEENS0_18inequality_wrapperI22is_equal_div_10_uniqueItEEEPmJS6_EEE10hipError_tPvRmT3_T4_T5_T6_T7_T9_mT8_P12ihipStream_tbDpT10_ENKUlT_T0_E_clISt17integral_constantIbLb0EES1A_EEDaS15_S16_EUlS15_E_NS1_11comp_targetILNS1_3genE2ELNS1_11target_archE906ELNS1_3gpuE6ELNS1_3repE0EEENS1_30default_config_static_selectorELNS0_4arch9wavefront6targetE1EEEvT1_.has_recursion, 0
	.set _ZN7rocprim17ROCPRIM_400000_NS6detail17trampoline_kernelINS0_14default_configENS1_25partition_config_selectorILNS1_17partition_subalgoE8EtNS0_10empty_typeEbEEZZNS1_14partition_implILS5_8ELb0ES3_jN6thrust23THRUST_200600_302600_NS6detail15normal_iteratorINSA_10device_ptrItEEEEPS6_PKS6_NS0_5tupleIJSF_S6_EEENSJ_IJSG_SG_EEENS0_18inequality_wrapperI22is_equal_div_10_uniqueItEEEPmJS6_EEE10hipError_tPvRmT3_T4_T5_T6_T7_T9_mT8_P12ihipStream_tbDpT10_ENKUlT_T0_E_clISt17integral_constantIbLb0EES1A_EEDaS15_S16_EUlS15_E_NS1_11comp_targetILNS1_3genE2ELNS1_11target_archE906ELNS1_3gpuE6ELNS1_3repE0EEENS1_30default_config_static_selectorELNS0_4arch9wavefront6targetE1EEEvT1_.has_indirect_call, 0
	.section	.AMDGPU.csdata,"",@progbits
; Kernel info:
; codeLenInByte = 10140
; TotalNumSgprs: 64
; NumVgprs: 82
; ScratchSize: 0
; MemoryBound: 0
; FloatMode: 240
; IeeeMode: 1
; LDSByteSize: 6920 bytes/workgroup (compile time only)
; SGPRBlocks: 10
; VGPRBlocks: 20
; NumSGPRsForWavesPerEU: 81
; NumVGPRsForWavesPerEU: 82
; Occupancy: 3
; WaveLimiterHint : 1
; COMPUTE_PGM_RSRC2:SCRATCH_EN: 0
; COMPUTE_PGM_RSRC2:USER_SGPR: 6
; COMPUTE_PGM_RSRC2:TRAP_HANDLER: 0
; COMPUTE_PGM_RSRC2:TGID_X_EN: 1
; COMPUTE_PGM_RSRC2:TGID_Y_EN: 0
; COMPUTE_PGM_RSRC2:TGID_Z_EN: 0
; COMPUTE_PGM_RSRC2:TIDIG_COMP_CNT: 0
	.section	.text._ZN7rocprim17ROCPRIM_400000_NS6detail17trampoline_kernelINS0_14default_configENS1_25partition_config_selectorILNS1_17partition_subalgoE8EtNS0_10empty_typeEbEEZZNS1_14partition_implILS5_8ELb0ES3_jN6thrust23THRUST_200600_302600_NS6detail15normal_iteratorINSA_10device_ptrItEEEEPS6_PKS6_NS0_5tupleIJSF_S6_EEENSJ_IJSG_SG_EEENS0_18inequality_wrapperI22is_equal_div_10_uniqueItEEEPmJS6_EEE10hipError_tPvRmT3_T4_T5_T6_T7_T9_mT8_P12ihipStream_tbDpT10_ENKUlT_T0_E_clISt17integral_constantIbLb0EES1A_EEDaS15_S16_EUlS15_E_NS1_11comp_targetILNS1_3genE10ELNS1_11target_archE1200ELNS1_3gpuE4ELNS1_3repE0EEENS1_30default_config_static_selectorELNS0_4arch9wavefront6targetE1EEEvT1_,"axG",@progbits,_ZN7rocprim17ROCPRIM_400000_NS6detail17trampoline_kernelINS0_14default_configENS1_25partition_config_selectorILNS1_17partition_subalgoE8EtNS0_10empty_typeEbEEZZNS1_14partition_implILS5_8ELb0ES3_jN6thrust23THRUST_200600_302600_NS6detail15normal_iteratorINSA_10device_ptrItEEEEPS6_PKS6_NS0_5tupleIJSF_S6_EEENSJ_IJSG_SG_EEENS0_18inequality_wrapperI22is_equal_div_10_uniqueItEEEPmJS6_EEE10hipError_tPvRmT3_T4_T5_T6_T7_T9_mT8_P12ihipStream_tbDpT10_ENKUlT_T0_E_clISt17integral_constantIbLb0EES1A_EEDaS15_S16_EUlS15_E_NS1_11comp_targetILNS1_3genE10ELNS1_11target_archE1200ELNS1_3gpuE4ELNS1_3repE0EEENS1_30default_config_static_selectorELNS0_4arch9wavefront6targetE1EEEvT1_,comdat
	.protected	_ZN7rocprim17ROCPRIM_400000_NS6detail17trampoline_kernelINS0_14default_configENS1_25partition_config_selectorILNS1_17partition_subalgoE8EtNS0_10empty_typeEbEEZZNS1_14partition_implILS5_8ELb0ES3_jN6thrust23THRUST_200600_302600_NS6detail15normal_iteratorINSA_10device_ptrItEEEEPS6_PKS6_NS0_5tupleIJSF_S6_EEENSJ_IJSG_SG_EEENS0_18inequality_wrapperI22is_equal_div_10_uniqueItEEEPmJS6_EEE10hipError_tPvRmT3_T4_T5_T6_T7_T9_mT8_P12ihipStream_tbDpT10_ENKUlT_T0_E_clISt17integral_constantIbLb0EES1A_EEDaS15_S16_EUlS15_E_NS1_11comp_targetILNS1_3genE10ELNS1_11target_archE1200ELNS1_3gpuE4ELNS1_3repE0EEENS1_30default_config_static_selectorELNS0_4arch9wavefront6targetE1EEEvT1_ ; -- Begin function _ZN7rocprim17ROCPRIM_400000_NS6detail17trampoline_kernelINS0_14default_configENS1_25partition_config_selectorILNS1_17partition_subalgoE8EtNS0_10empty_typeEbEEZZNS1_14partition_implILS5_8ELb0ES3_jN6thrust23THRUST_200600_302600_NS6detail15normal_iteratorINSA_10device_ptrItEEEEPS6_PKS6_NS0_5tupleIJSF_S6_EEENSJ_IJSG_SG_EEENS0_18inequality_wrapperI22is_equal_div_10_uniqueItEEEPmJS6_EEE10hipError_tPvRmT3_T4_T5_T6_T7_T9_mT8_P12ihipStream_tbDpT10_ENKUlT_T0_E_clISt17integral_constantIbLb0EES1A_EEDaS15_S16_EUlS15_E_NS1_11comp_targetILNS1_3genE10ELNS1_11target_archE1200ELNS1_3gpuE4ELNS1_3repE0EEENS1_30default_config_static_selectorELNS0_4arch9wavefront6targetE1EEEvT1_
	.globl	_ZN7rocprim17ROCPRIM_400000_NS6detail17trampoline_kernelINS0_14default_configENS1_25partition_config_selectorILNS1_17partition_subalgoE8EtNS0_10empty_typeEbEEZZNS1_14partition_implILS5_8ELb0ES3_jN6thrust23THRUST_200600_302600_NS6detail15normal_iteratorINSA_10device_ptrItEEEEPS6_PKS6_NS0_5tupleIJSF_S6_EEENSJ_IJSG_SG_EEENS0_18inequality_wrapperI22is_equal_div_10_uniqueItEEEPmJS6_EEE10hipError_tPvRmT3_T4_T5_T6_T7_T9_mT8_P12ihipStream_tbDpT10_ENKUlT_T0_E_clISt17integral_constantIbLb0EES1A_EEDaS15_S16_EUlS15_E_NS1_11comp_targetILNS1_3genE10ELNS1_11target_archE1200ELNS1_3gpuE4ELNS1_3repE0EEENS1_30default_config_static_selectorELNS0_4arch9wavefront6targetE1EEEvT1_
	.p2align	8
	.type	_ZN7rocprim17ROCPRIM_400000_NS6detail17trampoline_kernelINS0_14default_configENS1_25partition_config_selectorILNS1_17partition_subalgoE8EtNS0_10empty_typeEbEEZZNS1_14partition_implILS5_8ELb0ES3_jN6thrust23THRUST_200600_302600_NS6detail15normal_iteratorINSA_10device_ptrItEEEEPS6_PKS6_NS0_5tupleIJSF_S6_EEENSJ_IJSG_SG_EEENS0_18inequality_wrapperI22is_equal_div_10_uniqueItEEEPmJS6_EEE10hipError_tPvRmT3_T4_T5_T6_T7_T9_mT8_P12ihipStream_tbDpT10_ENKUlT_T0_E_clISt17integral_constantIbLb0EES1A_EEDaS15_S16_EUlS15_E_NS1_11comp_targetILNS1_3genE10ELNS1_11target_archE1200ELNS1_3gpuE4ELNS1_3repE0EEENS1_30default_config_static_selectorELNS0_4arch9wavefront6targetE1EEEvT1_,@function
_ZN7rocprim17ROCPRIM_400000_NS6detail17trampoline_kernelINS0_14default_configENS1_25partition_config_selectorILNS1_17partition_subalgoE8EtNS0_10empty_typeEbEEZZNS1_14partition_implILS5_8ELb0ES3_jN6thrust23THRUST_200600_302600_NS6detail15normal_iteratorINSA_10device_ptrItEEEEPS6_PKS6_NS0_5tupleIJSF_S6_EEENSJ_IJSG_SG_EEENS0_18inequality_wrapperI22is_equal_div_10_uniqueItEEEPmJS6_EEE10hipError_tPvRmT3_T4_T5_T6_T7_T9_mT8_P12ihipStream_tbDpT10_ENKUlT_T0_E_clISt17integral_constantIbLb0EES1A_EEDaS15_S16_EUlS15_E_NS1_11comp_targetILNS1_3genE10ELNS1_11target_archE1200ELNS1_3gpuE4ELNS1_3repE0EEENS1_30default_config_static_selectorELNS0_4arch9wavefront6targetE1EEEvT1_: ; @_ZN7rocprim17ROCPRIM_400000_NS6detail17trampoline_kernelINS0_14default_configENS1_25partition_config_selectorILNS1_17partition_subalgoE8EtNS0_10empty_typeEbEEZZNS1_14partition_implILS5_8ELb0ES3_jN6thrust23THRUST_200600_302600_NS6detail15normal_iteratorINSA_10device_ptrItEEEEPS6_PKS6_NS0_5tupleIJSF_S6_EEENSJ_IJSG_SG_EEENS0_18inequality_wrapperI22is_equal_div_10_uniqueItEEEPmJS6_EEE10hipError_tPvRmT3_T4_T5_T6_T7_T9_mT8_P12ihipStream_tbDpT10_ENKUlT_T0_E_clISt17integral_constantIbLb0EES1A_EEDaS15_S16_EUlS15_E_NS1_11comp_targetILNS1_3genE10ELNS1_11target_archE1200ELNS1_3gpuE4ELNS1_3repE0EEENS1_30default_config_static_selectorELNS0_4arch9wavefront6targetE1EEEvT1_
; %bb.0:
	.section	.rodata,"a",@progbits
	.p2align	6, 0x0
	.amdhsa_kernel _ZN7rocprim17ROCPRIM_400000_NS6detail17trampoline_kernelINS0_14default_configENS1_25partition_config_selectorILNS1_17partition_subalgoE8EtNS0_10empty_typeEbEEZZNS1_14partition_implILS5_8ELb0ES3_jN6thrust23THRUST_200600_302600_NS6detail15normal_iteratorINSA_10device_ptrItEEEEPS6_PKS6_NS0_5tupleIJSF_S6_EEENSJ_IJSG_SG_EEENS0_18inequality_wrapperI22is_equal_div_10_uniqueItEEEPmJS6_EEE10hipError_tPvRmT3_T4_T5_T6_T7_T9_mT8_P12ihipStream_tbDpT10_ENKUlT_T0_E_clISt17integral_constantIbLb0EES1A_EEDaS15_S16_EUlS15_E_NS1_11comp_targetILNS1_3genE10ELNS1_11target_archE1200ELNS1_3gpuE4ELNS1_3repE0EEENS1_30default_config_static_selectorELNS0_4arch9wavefront6targetE1EEEvT1_
		.amdhsa_group_segment_fixed_size 0
		.amdhsa_private_segment_fixed_size 0
		.amdhsa_kernarg_size 112
		.amdhsa_user_sgpr_count 6
		.amdhsa_user_sgpr_private_segment_buffer 1
		.amdhsa_user_sgpr_dispatch_ptr 0
		.amdhsa_user_sgpr_queue_ptr 0
		.amdhsa_user_sgpr_kernarg_segment_ptr 1
		.amdhsa_user_sgpr_dispatch_id 0
		.amdhsa_user_sgpr_flat_scratch_init 0
		.amdhsa_user_sgpr_private_segment_size 0
		.amdhsa_uses_dynamic_stack 0
		.amdhsa_system_sgpr_private_segment_wavefront_offset 0
		.amdhsa_system_sgpr_workgroup_id_x 1
		.amdhsa_system_sgpr_workgroup_id_y 0
		.amdhsa_system_sgpr_workgroup_id_z 0
		.amdhsa_system_sgpr_workgroup_info 0
		.amdhsa_system_vgpr_workitem_id 0
		.amdhsa_next_free_vgpr 1
		.amdhsa_next_free_sgpr 0
		.amdhsa_reserve_vcc 0
		.amdhsa_reserve_flat_scratch 0
		.amdhsa_float_round_mode_32 0
		.amdhsa_float_round_mode_16_64 0
		.amdhsa_float_denorm_mode_32 3
		.amdhsa_float_denorm_mode_16_64 3
		.amdhsa_dx10_clamp 1
		.amdhsa_ieee_mode 1
		.amdhsa_fp16_overflow 0
		.amdhsa_exception_fp_ieee_invalid_op 0
		.amdhsa_exception_fp_denorm_src 0
		.amdhsa_exception_fp_ieee_div_zero 0
		.amdhsa_exception_fp_ieee_overflow 0
		.amdhsa_exception_fp_ieee_underflow 0
		.amdhsa_exception_fp_ieee_inexact 0
		.amdhsa_exception_int_div_zero 0
	.end_amdhsa_kernel
	.section	.text._ZN7rocprim17ROCPRIM_400000_NS6detail17trampoline_kernelINS0_14default_configENS1_25partition_config_selectorILNS1_17partition_subalgoE8EtNS0_10empty_typeEbEEZZNS1_14partition_implILS5_8ELb0ES3_jN6thrust23THRUST_200600_302600_NS6detail15normal_iteratorINSA_10device_ptrItEEEEPS6_PKS6_NS0_5tupleIJSF_S6_EEENSJ_IJSG_SG_EEENS0_18inequality_wrapperI22is_equal_div_10_uniqueItEEEPmJS6_EEE10hipError_tPvRmT3_T4_T5_T6_T7_T9_mT8_P12ihipStream_tbDpT10_ENKUlT_T0_E_clISt17integral_constantIbLb0EES1A_EEDaS15_S16_EUlS15_E_NS1_11comp_targetILNS1_3genE10ELNS1_11target_archE1200ELNS1_3gpuE4ELNS1_3repE0EEENS1_30default_config_static_selectorELNS0_4arch9wavefront6targetE1EEEvT1_,"axG",@progbits,_ZN7rocprim17ROCPRIM_400000_NS6detail17trampoline_kernelINS0_14default_configENS1_25partition_config_selectorILNS1_17partition_subalgoE8EtNS0_10empty_typeEbEEZZNS1_14partition_implILS5_8ELb0ES3_jN6thrust23THRUST_200600_302600_NS6detail15normal_iteratorINSA_10device_ptrItEEEEPS6_PKS6_NS0_5tupleIJSF_S6_EEENSJ_IJSG_SG_EEENS0_18inequality_wrapperI22is_equal_div_10_uniqueItEEEPmJS6_EEE10hipError_tPvRmT3_T4_T5_T6_T7_T9_mT8_P12ihipStream_tbDpT10_ENKUlT_T0_E_clISt17integral_constantIbLb0EES1A_EEDaS15_S16_EUlS15_E_NS1_11comp_targetILNS1_3genE10ELNS1_11target_archE1200ELNS1_3gpuE4ELNS1_3repE0EEENS1_30default_config_static_selectorELNS0_4arch9wavefront6targetE1EEEvT1_,comdat
.Lfunc_end312:
	.size	_ZN7rocprim17ROCPRIM_400000_NS6detail17trampoline_kernelINS0_14default_configENS1_25partition_config_selectorILNS1_17partition_subalgoE8EtNS0_10empty_typeEbEEZZNS1_14partition_implILS5_8ELb0ES3_jN6thrust23THRUST_200600_302600_NS6detail15normal_iteratorINSA_10device_ptrItEEEEPS6_PKS6_NS0_5tupleIJSF_S6_EEENSJ_IJSG_SG_EEENS0_18inequality_wrapperI22is_equal_div_10_uniqueItEEEPmJS6_EEE10hipError_tPvRmT3_T4_T5_T6_T7_T9_mT8_P12ihipStream_tbDpT10_ENKUlT_T0_E_clISt17integral_constantIbLb0EES1A_EEDaS15_S16_EUlS15_E_NS1_11comp_targetILNS1_3genE10ELNS1_11target_archE1200ELNS1_3gpuE4ELNS1_3repE0EEENS1_30default_config_static_selectorELNS0_4arch9wavefront6targetE1EEEvT1_, .Lfunc_end312-_ZN7rocprim17ROCPRIM_400000_NS6detail17trampoline_kernelINS0_14default_configENS1_25partition_config_selectorILNS1_17partition_subalgoE8EtNS0_10empty_typeEbEEZZNS1_14partition_implILS5_8ELb0ES3_jN6thrust23THRUST_200600_302600_NS6detail15normal_iteratorINSA_10device_ptrItEEEEPS6_PKS6_NS0_5tupleIJSF_S6_EEENSJ_IJSG_SG_EEENS0_18inequality_wrapperI22is_equal_div_10_uniqueItEEEPmJS6_EEE10hipError_tPvRmT3_T4_T5_T6_T7_T9_mT8_P12ihipStream_tbDpT10_ENKUlT_T0_E_clISt17integral_constantIbLb0EES1A_EEDaS15_S16_EUlS15_E_NS1_11comp_targetILNS1_3genE10ELNS1_11target_archE1200ELNS1_3gpuE4ELNS1_3repE0EEENS1_30default_config_static_selectorELNS0_4arch9wavefront6targetE1EEEvT1_
                                        ; -- End function
	.set _ZN7rocprim17ROCPRIM_400000_NS6detail17trampoline_kernelINS0_14default_configENS1_25partition_config_selectorILNS1_17partition_subalgoE8EtNS0_10empty_typeEbEEZZNS1_14partition_implILS5_8ELb0ES3_jN6thrust23THRUST_200600_302600_NS6detail15normal_iteratorINSA_10device_ptrItEEEEPS6_PKS6_NS0_5tupleIJSF_S6_EEENSJ_IJSG_SG_EEENS0_18inequality_wrapperI22is_equal_div_10_uniqueItEEEPmJS6_EEE10hipError_tPvRmT3_T4_T5_T6_T7_T9_mT8_P12ihipStream_tbDpT10_ENKUlT_T0_E_clISt17integral_constantIbLb0EES1A_EEDaS15_S16_EUlS15_E_NS1_11comp_targetILNS1_3genE10ELNS1_11target_archE1200ELNS1_3gpuE4ELNS1_3repE0EEENS1_30default_config_static_selectorELNS0_4arch9wavefront6targetE1EEEvT1_.num_vgpr, 0
	.set _ZN7rocprim17ROCPRIM_400000_NS6detail17trampoline_kernelINS0_14default_configENS1_25partition_config_selectorILNS1_17partition_subalgoE8EtNS0_10empty_typeEbEEZZNS1_14partition_implILS5_8ELb0ES3_jN6thrust23THRUST_200600_302600_NS6detail15normal_iteratorINSA_10device_ptrItEEEEPS6_PKS6_NS0_5tupleIJSF_S6_EEENSJ_IJSG_SG_EEENS0_18inequality_wrapperI22is_equal_div_10_uniqueItEEEPmJS6_EEE10hipError_tPvRmT3_T4_T5_T6_T7_T9_mT8_P12ihipStream_tbDpT10_ENKUlT_T0_E_clISt17integral_constantIbLb0EES1A_EEDaS15_S16_EUlS15_E_NS1_11comp_targetILNS1_3genE10ELNS1_11target_archE1200ELNS1_3gpuE4ELNS1_3repE0EEENS1_30default_config_static_selectorELNS0_4arch9wavefront6targetE1EEEvT1_.num_agpr, 0
	.set _ZN7rocprim17ROCPRIM_400000_NS6detail17trampoline_kernelINS0_14default_configENS1_25partition_config_selectorILNS1_17partition_subalgoE8EtNS0_10empty_typeEbEEZZNS1_14partition_implILS5_8ELb0ES3_jN6thrust23THRUST_200600_302600_NS6detail15normal_iteratorINSA_10device_ptrItEEEEPS6_PKS6_NS0_5tupleIJSF_S6_EEENSJ_IJSG_SG_EEENS0_18inequality_wrapperI22is_equal_div_10_uniqueItEEEPmJS6_EEE10hipError_tPvRmT3_T4_T5_T6_T7_T9_mT8_P12ihipStream_tbDpT10_ENKUlT_T0_E_clISt17integral_constantIbLb0EES1A_EEDaS15_S16_EUlS15_E_NS1_11comp_targetILNS1_3genE10ELNS1_11target_archE1200ELNS1_3gpuE4ELNS1_3repE0EEENS1_30default_config_static_selectorELNS0_4arch9wavefront6targetE1EEEvT1_.numbered_sgpr, 0
	.set _ZN7rocprim17ROCPRIM_400000_NS6detail17trampoline_kernelINS0_14default_configENS1_25partition_config_selectorILNS1_17partition_subalgoE8EtNS0_10empty_typeEbEEZZNS1_14partition_implILS5_8ELb0ES3_jN6thrust23THRUST_200600_302600_NS6detail15normal_iteratorINSA_10device_ptrItEEEEPS6_PKS6_NS0_5tupleIJSF_S6_EEENSJ_IJSG_SG_EEENS0_18inequality_wrapperI22is_equal_div_10_uniqueItEEEPmJS6_EEE10hipError_tPvRmT3_T4_T5_T6_T7_T9_mT8_P12ihipStream_tbDpT10_ENKUlT_T0_E_clISt17integral_constantIbLb0EES1A_EEDaS15_S16_EUlS15_E_NS1_11comp_targetILNS1_3genE10ELNS1_11target_archE1200ELNS1_3gpuE4ELNS1_3repE0EEENS1_30default_config_static_selectorELNS0_4arch9wavefront6targetE1EEEvT1_.num_named_barrier, 0
	.set _ZN7rocprim17ROCPRIM_400000_NS6detail17trampoline_kernelINS0_14default_configENS1_25partition_config_selectorILNS1_17partition_subalgoE8EtNS0_10empty_typeEbEEZZNS1_14partition_implILS5_8ELb0ES3_jN6thrust23THRUST_200600_302600_NS6detail15normal_iteratorINSA_10device_ptrItEEEEPS6_PKS6_NS0_5tupleIJSF_S6_EEENSJ_IJSG_SG_EEENS0_18inequality_wrapperI22is_equal_div_10_uniqueItEEEPmJS6_EEE10hipError_tPvRmT3_T4_T5_T6_T7_T9_mT8_P12ihipStream_tbDpT10_ENKUlT_T0_E_clISt17integral_constantIbLb0EES1A_EEDaS15_S16_EUlS15_E_NS1_11comp_targetILNS1_3genE10ELNS1_11target_archE1200ELNS1_3gpuE4ELNS1_3repE0EEENS1_30default_config_static_selectorELNS0_4arch9wavefront6targetE1EEEvT1_.private_seg_size, 0
	.set _ZN7rocprim17ROCPRIM_400000_NS6detail17trampoline_kernelINS0_14default_configENS1_25partition_config_selectorILNS1_17partition_subalgoE8EtNS0_10empty_typeEbEEZZNS1_14partition_implILS5_8ELb0ES3_jN6thrust23THRUST_200600_302600_NS6detail15normal_iteratorINSA_10device_ptrItEEEEPS6_PKS6_NS0_5tupleIJSF_S6_EEENSJ_IJSG_SG_EEENS0_18inequality_wrapperI22is_equal_div_10_uniqueItEEEPmJS6_EEE10hipError_tPvRmT3_T4_T5_T6_T7_T9_mT8_P12ihipStream_tbDpT10_ENKUlT_T0_E_clISt17integral_constantIbLb0EES1A_EEDaS15_S16_EUlS15_E_NS1_11comp_targetILNS1_3genE10ELNS1_11target_archE1200ELNS1_3gpuE4ELNS1_3repE0EEENS1_30default_config_static_selectorELNS0_4arch9wavefront6targetE1EEEvT1_.uses_vcc, 0
	.set _ZN7rocprim17ROCPRIM_400000_NS6detail17trampoline_kernelINS0_14default_configENS1_25partition_config_selectorILNS1_17partition_subalgoE8EtNS0_10empty_typeEbEEZZNS1_14partition_implILS5_8ELb0ES3_jN6thrust23THRUST_200600_302600_NS6detail15normal_iteratorINSA_10device_ptrItEEEEPS6_PKS6_NS0_5tupleIJSF_S6_EEENSJ_IJSG_SG_EEENS0_18inequality_wrapperI22is_equal_div_10_uniqueItEEEPmJS6_EEE10hipError_tPvRmT3_T4_T5_T6_T7_T9_mT8_P12ihipStream_tbDpT10_ENKUlT_T0_E_clISt17integral_constantIbLb0EES1A_EEDaS15_S16_EUlS15_E_NS1_11comp_targetILNS1_3genE10ELNS1_11target_archE1200ELNS1_3gpuE4ELNS1_3repE0EEENS1_30default_config_static_selectorELNS0_4arch9wavefront6targetE1EEEvT1_.uses_flat_scratch, 0
	.set _ZN7rocprim17ROCPRIM_400000_NS6detail17trampoline_kernelINS0_14default_configENS1_25partition_config_selectorILNS1_17partition_subalgoE8EtNS0_10empty_typeEbEEZZNS1_14partition_implILS5_8ELb0ES3_jN6thrust23THRUST_200600_302600_NS6detail15normal_iteratorINSA_10device_ptrItEEEEPS6_PKS6_NS0_5tupleIJSF_S6_EEENSJ_IJSG_SG_EEENS0_18inequality_wrapperI22is_equal_div_10_uniqueItEEEPmJS6_EEE10hipError_tPvRmT3_T4_T5_T6_T7_T9_mT8_P12ihipStream_tbDpT10_ENKUlT_T0_E_clISt17integral_constantIbLb0EES1A_EEDaS15_S16_EUlS15_E_NS1_11comp_targetILNS1_3genE10ELNS1_11target_archE1200ELNS1_3gpuE4ELNS1_3repE0EEENS1_30default_config_static_selectorELNS0_4arch9wavefront6targetE1EEEvT1_.has_dyn_sized_stack, 0
	.set _ZN7rocprim17ROCPRIM_400000_NS6detail17trampoline_kernelINS0_14default_configENS1_25partition_config_selectorILNS1_17partition_subalgoE8EtNS0_10empty_typeEbEEZZNS1_14partition_implILS5_8ELb0ES3_jN6thrust23THRUST_200600_302600_NS6detail15normal_iteratorINSA_10device_ptrItEEEEPS6_PKS6_NS0_5tupleIJSF_S6_EEENSJ_IJSG_SG_EEENS0_18inequality_wrapperI22is_equal_div_10_uniqueItEEEPmJS6_EEE10hipError_tPvRmT3_T4_T5_T6_T7_T9_mT8_P12ihipStream_tbDpT10_ENKUlT_T0_E_clISt17integral_constantIbLb0EES1A_EEDaS15_S16_EUlS15_E_NS1_11comp_targetILNS1_3genE10ELNS1_11target_archE1200ELNS1_3gpuE4ELNS1_3repE0EEENS1_30default_config_static_selectorELNS0_4arch9wavefront6targetE1EEEvT1_.has_recursion, 0
	.set _ZN7rocprim17ROCPRIM_400000_NS6detail17trampoline_kernelINS0_14default_configENS1_25partition_config_selectorILNS1_17partition_subalgoE8EtNS0_10empty_typeEbEEZZNS1_14partition_implILS5_8ELb0ES3_jN6thrust23THRUST_200600_302600_NS6detail15normal_iteratorINSA_10device_ptrItEEEEPS6_PKS6_NS0_5tupleIJSF_S6_EEENSJ_IJSG_SG_EEENS0_18inequality_wrapperI22is_equal_div_10_uniqueItEEEPmJS6_EEE10hipError_tPvRmT3_T4_T5_T6_T7_T9_mT8_P12ihipStream_tbDpT10_ENKUlT_T0_E_clISt17integral_constantIbLb0EES1A_EEDaS15_S16_EUlS15_E_NS1_11comp_targetILNS1_3genE10ELNS1_11target_archE1200ELNS1_3gpuE4ELNS1_3repE0EEENS1_30default_config_static_selectorELNS0_4arch9wavefront6targetE1EEEvT1_.has_indirect_call, 0
	.section	.AMDGPU.csdata,"",@progbits
; Kernel info:
; codeLenInByte = 0
; TotalNumSgprs: 4
; NumVgprs: 0
; ScratchSize: 0
; MemoryBound: 0
; FloatMode: 240
; IeeeMode: 1
; LDSByteSize: 0 bytes/workgroup (compile time only)
; SGPRBlocks: 0
; VGPRBlocks: 0
; NumSGPRsForWavesPerEU: 4
; NumVGPRsForWavesPerEU: 1
; Occupancy: 10
; WaveLimiterHint : 0
; COMPUTE_PGM_RSRC2:SCRATCH_EN: 0
; COMPUTE_PGM_RSRC2:USER_SGPR: 6
; COMPUTE_PGM_RSRC2:TRAP_HANDLER: 0
; COMPUTE_PGM_RSRC2:TGID_X_EN: 1
; COMPUTE_PGM_RSRC2:TGID_Y_EN: 0
; COMPUTE_PGM_RSRC2:TGID_Z_EN: 0
; COMPUTE_PGM_RSRC2:TIDIG_COMP_CNT: 0
	.section	.text._ZN7rocprim17ROCPRIM_400000_NS6detail17trampoline_kernelINS0_14default_configENS1_25partition_config_selectorILNS1_17partition_subalgoE8EtNS0_10empty_typeEbEEZZNS1_14partition_implILS5_8ELb0ES3_jN6thrust23THRUST_200600_302600_NS6detail15normal_iteratorINSA_10device_ptrItEEEEPS6_PKS6_NS0_5tupleIJSF_S6_EEENSJ_IJSG_SG_EEENS0_18inequality_wrapperI22is_equal_div_10_uniqueItEEEPmJS6_EEE10hipError_tPvRmT3_T4_T5_T6_T7_T9_mT8_P12ihipStream_tbDpT10_ENKUlT_T0_E_clISt17integral_constantIbLb0EES1A_EEDaS15_S16_EUlS15_E_NS1_11comp_targetILNS1_3genE9ELNS1_11target_archE1100ELNS1_3gpuE3ELNS1_3repE0EEENS1_30default_config_static_selectorELNS0_4arch9wavefront6targetE1EEEvT1_,"axG",@progbits,_ZN7rocprim17ROCPRIM_400000_NS6detail17trampoline_kernelINS0_14default_configENS1_25partition_config_selectorILNS1_17partition_subalgoE8EtNS0_10empty_typeEbEEZZNS1_14partition_implILS5_8ELb0ES3_jN6thrust23THRUST_200600_302600_NS6detail15normal_iteratorINSA_10device_ptrItEEEEPS6_PKS6_NS0_5tupleIJSF_S6_EEENSJ_IJSG_SG_EEENS0_18inequality_wrapperI22is_equal_div_10_uniqueItEEEPmJS6_EEE10hipError_tPvRmT3_T4_T5_T6_T7_T9_mT8_P12ihipStream_tbDpT10_ENKUlT_T0_E_clISt17integral_constantIbLb0EES1A_EEDaS15_S16_EUlS15_E_NS1_11comp_targetILNS1_3genE9ELNS1_11target_archE1100ELNS1_3gpuE3ELNS1_3repE0EEENS1_30default_config_static_selectorELNS0_4arch9wavefront6targetE1EEEvT1_,comdat
	.protected	_ZN7rocprim17ROCPRIM_400000_NS6detail17trampoline_kernelINS0_14default_configENS1_25partition_config_selectorILNS1_17partition_subalgoE8EtNS0_10empty_typeEbEEZZNS1_14partition_implILS5_8ELb0ES3_jN6thrust23THRUST_200600_302600_NS6detail15normal_iteratorINSA_10device_ptrItEEEEPS6_PKS6_NS0_5tupleIJSF_S6_EEENSJ_IJSG_SG_EEENS0_18inequality_wrapperI22is_equal_div_10_uniqueItEEEPmJS6_EEE10hipError_tPvRmT3_T4_T5_T6_T7_T9_mT8_P12ihipStream_tbDpT10_ENKUlT_T0_E_clISt17integral_constantIbLb0EES1A_EEDaS15_S16_EUlS15_E_NS1_11comp_targetILNS1_3genE9ELNS1_11target_archE1100ELNS1_3gpuE3ELNS1_3repE0EEENS1_30default_config_static_selectorELNS0_4arch9wavefront6targetE1EEEvT1_ ; -- Begin function _ZN7rocprim17ROCPRIM_400000_NS6detail17trampoline_kernelINS0_14default_configENS1_25partition_config_selectorILNS1_17partition_subalgoE8EtNS0_10empty_typeEbEEZZNS1_14partition_implILS5_8ELb0ES3_jN6thrust23THRUST_200600_302600_NS6detail15normal_iteratorINSA_10device_ptrItEEEEPS6_PKS6_NS0_5tupleIJSF_S6_EEENSJ_IJSG_SG_EEENS0_18inequality_wrapperI22is_equal_div_10_uniqueItEEEPmJS6_EEE10hipError_tPvRmT3_T4_T5_T6_T7_T9_mT8_P12ihipStream_tbDpT10_ENKUlT_T0_E_clISt17integral_constantIbLb0EES1A_EEDaS15_S16_EUlS15_E_NS1_11comp_targetILNS1_3genE9ELNS1_11target_archE1100ELNS1_3gpuE3ELNS1_3repE0EEENS1_30default_config_static_selectorELNS0_4arch9wavefront6targetE1EEEvT1_
	.globl	_ZN7rocprim17ROCPRIM_400000_NS6detail17trampoline_kernelINS0_14default_configENS1_25partition_config_selectorILNS1_17partition_subalgoE8EtNS0_10empty_typeEbEEZZNS1_14partition_implILS5_8ELb0ES3_jN6thrust23THRUST_200600_302600_NS6detail15normal_iteratorINSA_10device_ptrItEEEEPS6_PKS6_NS0_5tupleIJSF_S6_EEENSJ_IJSG_SG_EEENS0_18inequality_wrapperI22is_equal_div_10_uniqueItEEEPmJS6_EEE10hipError_tPvRmT3_T4_T5_T6_T7_T9_mT8_P12ihipStream_tbDpT10_ENKUlT_T0_E_clISt17integral_constantIbLb0EES1A_EEDaS15_S16_EUlS15_E_NS1_11comp_targetILNS1_3genE9ELNS1_11target_archE1100ELNS1_3gpuE3ELNS1_3repE0EEENS1_30default_config_static_selectorELNS0_4arch9wavefront6targetE1EEEvT1_
	.p2align	8
	.type	_ZN7rocprim17ROCPRIM_400000_NS6detail17trampoline_kernelINS0_14default_configENS1_25partition_config_selectorILNS1_17partition_subalgoE8EtNS0_10empty_typeEbEEZZNS1_14partition_implILS5_8ELb0ES3_jN6thrust23THRUST_200600_302600_NS6detail15normal_iteratorINSA_10device_ptrItEEEEPS6_PKS6_NS0_5tupleIJSF_S6_EEENSJ_IJSG_SG_EEENS0_18inequality_wrapperI22is_equal_div_10_uniqueItEEEPmJS6_EEE10hipError_tPvRmT3_T4_T5_T6_T7_T9_mT8_P12ihipStream_tbDpT10_ENKUlT_T0_E_clISt17integral_constantIbLb0EES1A_EEDaS15_S16_EUlS15_E_NS1_11comp_targetILNS1_3genE9ELNS1_11target_archE1100ELNS1_3gpuE3ELNS1_3repE0EEENS1_30default_config_static_selectorELNS0_4arch9wavefront6targetE1EEEvT1_,@function
_ZN7rocprim17ROCPRIM_400000_NS6detail17trampoline_kernelINS0_14default_configENS1_25partition_config_selectorILNS1_17partition_subalgoE8EtNS0_10empty_typeEbEEZZNS1_14partition_implILS5_8ELb0ES3_jN6thrust23THRUST_200600_302600_NS6detail15normal_iteratorINSA_10device_ptrItEEEEPS6_PKS6_NS0_5tupleIJSF_S6_EEENSJ_IJSG_SG_EEENS0_18inequality_wrapperI22is_equal_div_10_uniqueItEEEPmJS6_EEE10hipError_tPvRmT3_T4_T5_T6_T7_T9_mT8_P12ihipStream_tbDpT10_ENKUlT_T0_E_clISt17integral_constantIbLb0EES1A_EEDaS15_S16_EUlS15_E_NS1_11comp_targetILNS1_3genE9ELNS1_11target_archE1100ELNS1_3gpuE3ELNS1_3repE0EEENS1_30default_config_static_selectorELNS0_4arch9wavefront6targetE1EEEvT1_: ; @_ZN7rocprim17ROCPRIM_400000_NS6detail17trampoline_kernelINS0_14default_configENS1_25partition_config_selectorILNS1_17partition_subalgoE8EtNS0_10empty_typeEbEEZZNS1_14partition_implILS5_8ELb0ES3_jN6thrust23THRUST_200600_302600_NS6detail15normal_iteratorINSA_10device_ptrItEEEEPS6_PKS6_NS0_5tupleIJSF_S6_EEENSJ_IJSG_SG_EEENS0_18inequality_wrapperI22is_equal_div_10_uniqueItEEEPmJS6_EEE10hipError_tPvRmT3_T4_T5_T6_T7_T9_mT8_P12ihipStream_tbDpT10_ENKUlT_T0_E_clISt17integral_constantIbLb0EES1A_EEDaS15_S16_EUlS15_E_NS1_11comp_targetILNS1_3genE9ELNS1_11target_archE1100ELNS1_3gpuE3ELNS1_3repE0EEENS1_30default_config_static_selectorELNS0_4arch9wavefront6targetE1EEEvT1_
; %bb.0:
	.section	.rodata,"a",@progbits
	.p2align	6, 0x0
	.amdhsa_kernel _ZN7rocprim17ROCPRIM_400000_NS6detail17trampoline_kernelINS0_14default_configENS1_25partition_config_selectorILNS1_17partition_subalgoE8EtNS0_10empty_typeEbEEZZNS1_14partition_implILS5_8ELb0ES3_jN6thrust23THRUST_200600_302600_NS6detail15normal_iteratorINSA_10device_ptrItEEEEPS6_PKS6_NS0_5tupleIJSF_S6_EEENSJ_IJSG_SG_EEENS0_18inequality_wrapperI22is_equal_div_10_uniqueItEEEPmJS6_EEE10hipError_tPvRmT3_T4_T5_T6_T7_T9_mT8_P12ihipStream_tbDpT10_ENKUlT_T0_E_clISt17integral_constantIbLb0EES1A_EEDaS15_S16_EUlS15_E_NS1_11comp_targetILNS1_3genE9ELNS1_11target_archE1100ELNS1_3gpuE3ELNS1_3repE0EEENS1_30default_config_static_selectorELNS0_4arch9wavefront6targetE1EEEvT1_
		.amdhsa_group_segment_fixed_size 0
		.amdhsa_private_segment_fixed_size 0
		.amdhsa_kernarg_size 112
		.amdhsa_user_sgpr_count 6
		.amdhsa_user_sgpr_private_segment_buffer 1
		.amdhsa_user_sgpr_dispatch_ptr 0
		.amdhsa_user_sgpr_queue_ptr 0
		.amdhsa_user_sgpr_kernarg_segment_ptr 1
		.amdhsa_user_sgpr_dispatch_id 0
		.amdhsa_user_sgpr_flat_scratch_init 0
		.amdhsa_user_sgpr_private_segment_size 0
		.amdhsa_uses_dynamic_stack 0
		.amdhsa_system_sgpr_private_segment_wavefront_offset 0
		.amdhsa_system_sgpr_workgroup_id_x 1
		.amdhsa_system_sgpr_workgroup_id_y 0
		.amdhsa_system_sgpr_workgroup_id_z 0
		.amdhsa_system_sgpr_workgroup_info 0
		.amdhsa_system_vgpr_workitem_id 0
		.amdhsa_next_free_vgpr 1
		.amdhsa_next_free_sgpr 0
		.amdhsa_reserve_vcc 0
		.amdhsa_reserve_flat_scratch 0
		.amdhsa_float_round_mode_32 0
		.amdhsa_float_round_mode_16_64 0
		.amdhsa_float_denorm_mode_32 3
		.amdhsa_float_denorm_mode_16_64 3
		.amdhsa_dx10_clamp 1
		.amdhsa_ieee_mode 1
		.amdhsa_fp16_overflow 0
		.amdhsa_exception_fp_ieee_invalid_op 0
		.amdhsa_exception_fp_denorm_src 0
		.amdhsa_exception_fp_ieee_div_zero 0
		.amdhsa_exception_fp_ieee_overflow 0
		.amdhsa_exception_fp_ieee_underflow 0
		.amdhsa_exception_fp_ieee_inexact 0
		.amdhsa_exception_int_div_zero 0
	.end_amdhsa_kernel
	.section	.text._ZN7rocprim17ROCPRIM_400000_NS6detail17trampoline_kernelINS0_14default_configENS1_25partition_config_selectorILNS1_17partition_subalgoE8EtNS0_10empty_typeEbEEZZNS1_14partition_implILS5_8ELb0ES3_jN6thrust23THRUST_200600_302600_NS6detail15normal_iteratorINSA_10device_ptrItEEEEPS6_PKS6_NS0_5tupleIJSF_S6_EEENSJ_IJSG_SG_EEENS0_18inequality_wrapperI22is_equal_div_10_uniqueItEEEPmJS6_EEE10hipError_tPvRmT3_T4_T5_T6_T7_T9_mT8_P12ihipStream_tbDpT10_ENKUlT_T0_E_clISt17integral_constantIbLb0EES1A_EEDaS15_S16_EUlS15_E_NS1_11comp_targetILNS1_3genE9ELNS1_11target_archE1100ELNS1_3gpuE3ELNS1_3repE0EEENS1_30default_config_static_selectorELNS0_4arch9wavefront6targetE1EEEvT1_,"axG",@progbits,_ZN7rocprim17ROCPRIM_400000_NS6detail17trampoline_kernelINS0_14default_configENS1_25partition_config_selectorILNS1_17partition_subalgoE8EtNS0_10empty_typeEbEEZZNS1_14partition_implILS5_8ELb0ES3_jN6thrust23THRUST_200600_302600_NS6detail15normal_iteratorINSA_10device_ptrItEEEEPS6_PKS6_NS0_5tupleIJSF_S6_EEENSJ_IJSG_SG_EEENS0_18inequality_wrapperI22is_equal_div_10_uniqueItEEEPmJS6_EEE10hipError_tPvRmT3_T4_T5_T6_T7_T9_mT8_P12ihipStream_tbDpT10_ENKUlT_T0_E_clISt17integral_constantIbLb0EES1A_EEDaS15_S16_EUlS15_E_NS1_11comp_targetILNS1_3genE9ELNS1_11target_archE1100ELNS1_3gpuE3ELNS1_3repE0EEENS1_30default_config_static_selectorELNS0_4arch9wavefront6targetE1EEEvT1_,comdat
.Lfunc_end313:
	.size	_ZN7rocprim17ROCPRIM_400000_NS6detail17trampoline_kernelINS0_14default_configENS1_25partition_config_selectorILNS1_17partition_subalgoE8EtNS0_10empty_typeEbEEZZNS1_14partition_implILS5_8ELb0ES3_jN6thrust23THRUST_200600_302600_NS6detail15normal_iteratorINSA_10device_ptrItEEEEPS6_PKS6_NS0_5tupleIJSF_S6_EEENSJ_IJSG_SG_EEENS0_18inequality_wrapperI22is_equal_div_10_uniqueItEEEPmJS6_EEE10hipError_tPvRmT3_T4_T5_T6_T7_T9_mT8_P12ihipStream_tbDpT10_ENKUlT_T0_E_clISt17integral_constantIbLb0EES1A_EEDaS15_S16_EUlS15_E_NS1_11comp_targetILNS1_3genE9ELNS1_11target_archE1100ELNS1_3gpuE3ELNS1_3repE0EEENS1_30default_config_static_selectorELNS0_4arch9wavefront6targetE1EEEvT1_, .Lfunc_end313-_ZN7rocprim17ROCPRIM_400000_NS6detail17trampoline_kernelINS0_14default_configENS1_25partition_config_selectorILNS1_17partition_subalgoE8EtNS0_10empty_typeEbEEZZNS1_14partition_implILS5_8ELb0ES3_jN6thrust23THRUST_200600_302600_NS6detail15normal_iteratorINSA_10device_ptrItEEEEPS6_PKS6_NS0_5tupleIJSF_S6_EEENSJ_IJSG_SG_EEENS0_18inequality_wrapperI22is_equal_div_10_uniqueItEEEPmJS6_EEE10hipError_tPvRmT3_T4_T5_T6_T7_T9_mT8_P12ihipStream_tbDpT10_ENKUlT_T0_E_clISt17integral_constantIbLb0EES1A_EEDaS15_S16_EUlS15_E_NS1_11comp_targetILNS1_3genE9ELNS1_11target_archE1100ELNS1_3gpuE3ELNS1_3repE0EEENS1_30default_config_static_selectorELNS0_4arch9wavefront6targetE1EEEvT1_
                                        ; -- End function
	.set _ZN7rocprim17ROCPRIM_400000_NS6detail17trampoline_kernelINS0_14default_configENS1_25partition_config_selectorILNS1_17partition_subalgoE8EtNS0_10empty_typeEbEEZZNS1_14partition_implILS5_8ELb0ES3_jN6thrust23THRUST_200600_302600_NS6detail15normal_iteratorINSA_10device_ptrItEEEEPS6_PKS6_NS0_5tupleIJSF_S6_EEENSJ_IJSG_SG_EEENS0_18inequality_wrapperI22is_equal_div_10_uniqueItEEEPmJS6_EEE10hipError_tPvRmT3_T4_T5_T6_T7_T9_mT8_P12ihipStream_tbDpT10_ENKUlT_T0_E_clISt17integral_constantIbLb0EES1A_EEDaS15_S16_EUlS15_E_NS1_11comp_targetILNS1_3genE9ELNS1_11target_archE1100ELNS1_3gpuE3ELNS1_3repE0EEENS1_30default_config_static_selectorELNS0_4arch9wavefront6targetE1EEEvT1_.num_vgpr, 0
	.set _ZN7rocprim17ROCPRIM_400000_NS6detail17trampoline_kernelINS0_14default_configENS1_25partition_config_selectorILNS1_17partition_subalgoE8EtNS0_10empty_typeEbEEZZNS1_14partition_implILS5_8ELb0ES3_jN6thrust23THRUST_200600_302600_NS6detail15normal_iteratorINSA_10device_ptrItEEEEPS6_PKS6_NS0_5tupleIJSF_S6_EEENSJ_IJSG_SG_EEENS0_18inequality_wrapperI22is_equal_div_10_uniqueItEEEPmJS6_EEE10hipError_tPvRmT3_T4_T5_T6_T7_T9_mT8_P12ihipStream_tbDpT10_ENKUlT_T0_E_clISt17integral_constantIbLb0EES1A_EEDaS15_S16_EUlS15_E_NS1_11comp_targetILNS1_3genE9ELNS1_11target_archE1100ELNS1_3gpuE3ELNS1_3repE0EEENS1_30default_config_static_selectorELNS0_4arch9wavefront6targetE1EEEvT1_.num_agpr, 0
	.set _ZN7rocprim17ROCPRIM_400000_NS6detail17trampoline_kernelINS0_14default_configENS1_25partition_config_selectorILNS1_17partition_subalgoE8EtNS0_10empty_typeEbEEZZNS1_14partition_implILS5_8ELb0ES3_jN6thrust23THRUST_200600_302600_NS6detail15normal_iteratorINSA_10device_ptrItEEEEPS6_PKS6_NS0_5tupleIJSF_S6_EEENSJ_IJSG_SG_EEENS0_18inequality_wrapperI22is_equal_div_10_uniqueItEEEPmJS6_EEE10hipError_tPvRmT3_T4_T5_T6_T7_T9_mT8_P12ihipStream_tbDpT10_ENKUlT_T0_E_clISt17integral_constantIbLb0EES1A_EEDaS15_S16_EUlS15_E_NS1_11comp_targetILNS1_3genE9ELNS1_11target_archE1100ELNS1_3gpuE3ELNS1_3repE0EEENS1_30default_config_static_selectorELNS0_4arch9wavefront6targetE1EEEvT1_.numbered_sgpr, 0
	.set _ZN7rocprim17ROCPRIM_400000_NS6detail17trampoline_kernelINS0_14default_configENS1_25partition_config_selectorILNS1_17partition_subalgoE8EtNS0_10empty_typeEbEEZZNS1_14partition_implILS5_8ELb0ES3_jN6thrust23THRUST_200600_302600_NS6detail15normal_iteratorINSA_10device_ptrItEEEEPS6_PKS6_NS0_5tupleIJSF_S6_EEENSJ_IJSG_SG_EEENS0_18inequality_wrapperI22is_equal_div_10_uniqueItEEEPmJS6_EEE10hipError_tPvRmT3_T4_T5_T6_T7_T9_mT8_P12ihipStream_tbDpT10_ENKUlT_T0_E_clISt17integral_constantIbLb0EES1A_EEDaS15_S16_EUlS15_E_NS1_11comp_targetILNS1_3genE9ELNS1_11target_archE1100ELNS1_3gpuE3ELNS1_3repE0EEENS1_30default_config_static_selectorELNS0_4arch9wavefront6targetE1EEEvT1_.num_named_barrier, 0
	.set _ZN7rocprim17ROCPRIM_400000_NS6detail17trampoline_kernelINS0_14default_configENS1_25partition_config_selectorILNS1_17partition_subalgoE8EtNS0_10empty_typeEbEEZZNS1_14partition_implILS5_8ELb0ES3_jN6thrust23THRUST_200600_302600_NS6detail15normal_iteratorINSA_10device_ptrItEEEEPS6_PKS6_NS0_5tupleIJSF_S6_EEENSJ_IJSG_SG_EEENS0_18inequality_wrapperI22is_equal_div_10_uniqueItEEEPmJS6_EEE10hipError_tPvRmT3_T4_T5_T6_T7_T9_mT8_P12ihipStream_tbDpT10_ENKUlT_T0_E_clISt17integral_constantIbLb0EES1A_EEDaS15_S16_EUlS15_E_NS1_11comp_targetILNS1_3genE9ELNS1_11target_archE1100ELNS1_3gpuE3ELNS1_3repE0EEENS1_30default_config_static_selectorELNS0_4arch9wavefront6targetE1EEEvT1_.private_seg_size, 0
	.set _ZN7rocprim17ROCPRIM_400000_NS6detail17trampoline_kernelINS0_14default_configENS1_25partition_config_selectorILNS1_17partition_subalgoE8EtNS0_10empty_typeEbEEZZNS1_14partition_implILS5_8ELb0ES3_jN6thrust23THRUST_200600_302600_NS6detail15normal_iteratorINSA_10device_ptrItEEEEPS6_PKS6_NS0_5tupleIJSF_S6_EEENSJ_IJSG_SG_EEENS0_18inequality_wrapperI22is_equal_div_10_uniqueItEEEPmJS6_EEE10hipError_tPvRmT3_T4_T5_T6_T7_T9_mT8_P12ihipStream_tbDpT10_ENKUlT_T0_E_clISt17integral_constantIbLb0EES1A_EEDaS15_S16_EUlS15_E_NS1_11comp_targetILNS1_3genE9ELNS1_11target_archE1100ELNS1_3gpuE3ELNS1_3repE0EEENS1_30default_config_static_selectorELNS0_4arch9wavefront6targetE1EEEvT1_.uses_vcc, 0
	.set _ZN7rocprim17ROCPRIM_400000_NS6detail17trampoline_kernelINS0_14default_configENS1_25partition_config_selectorILNS1_17partition_subalgoE8EtNS0_10empty_typeEbEEZZNS1_14partition_implILS5_8ELb0ES3_jN6thrust23THRUST_200600_302600_NS6detail15normal_iteratorINSA_10device_ptrItEEEEPS6_PKS6_NS0_5tupleIJSF_S6_EEENSJ_IJSG_SG_EEENS0_18inequality_wrapperI22is_equal_div_10_uniqueItEEEPmJS6_EEE10hipError_tPvRmT3_T4_T5_T6_T7_T9_mT8_P12ihipStream_tbDpT10_ENKUlT_T0_E_clISt17integral_constantIbLb0EES1A_EEDaS15_S16_EUlS15_E_NS1_11comp_targetILNS1_3genE9ELNS1_11target_archE1100ELNS1_3gpuE3ELNS1_3repE0EEENS1_30default_config_static_selectorELNS0_4arch9wavefront6targetE1EEEvT1_.uses_flat_scratch, 0
	.set _ZN7rocprim17ROCPRIM_400000_NS6detail17trampoline_kernelINS0_14default_configENS1_25partition_config_selectorILNS1_17partition_subalgoE8EtNS0_10empty_typeEbEEZZNS1_14partition_implILS5_8ELb0ES3_jN6thrust23THRUST_200600_302600_NS6detail15normal_iteratorINSA_10device_ptrItEEEEPS6_PKS6_NS0_5tupleIJSF_S6_EEENSJ_IJSG_SG_EEENS0_18inequality_wrapperI22is_equal_div_10_uniqueItEEEPmJS6_EEE10hipError_tPvRmT3_T4_T5_T6_T7_T9_mT8_P12ihipStream_tbDpT10_ENKUlT_T0_E_clISt17integral_constantIbLb0EES1A_EEDaS15_S16_EUlS15_E_NS1_11comp_targetILNS1_3genE9ELNS1_11target_archE1100ELNS1_3gpuE3ELNS1_3repE0EEENS1_30default_config_static_selectorELNS0_4arch9wavefront6targetE1EEEvT1_.has_dyn_sized_stack, 0
	.set _ZN7rocprim17ROCPRIM_400000_NS6detail17trampoline_kernelINS0_14default_configENS1_25partition_config_selectorILNS1_17partition_subalgoE8EtNS0_10empty_typeEbEEZZNS1_14partition_implILS5_8ELb0ES3_jN6thrust23THRUST_200600_302600_NS6detail15normal_iteratorINSA_10device_ptrItEEEEPS6_PKS6_NS0_5tupleIJSF_S6_EEENSJ_IJSG_SG_EEENS0_18inequality_wrapperI22is_equal_div_10_uniqueItEEEPmJS6_EEE10hipError_tPvRmT3_T4_T5_T6_T7_T9_mT8_P12ihipStream_tbDpT10_ENKUlT_T0_E_clISt17integral_constantIbLb0EES1A_EEDaS15_S16_EUlS15_E_NS1_11comp_targetILNS1_3genE9ELNS1_11target_archE1100ELNS1_3gpuE3ELNS1_3repE0EEENS1_30default_config_static_selectorELNS0_4arch9wavefront6targetE1EEEvT1_.has_recursion, 0
	.set _ZN7rocprim17ROCPRIM_400000_NS6detail17trampoline_kernelINS0_14default_configENS1_25partition_config_selectorILNS1_17partition_subalgoE8EtNS0_10empty_typeEbEEZZNS1_14partition_implILS5_8ELb0ES3_jN6thrust23THRUST_200600_302600_NS6detail15normal_iteratorINSA_10device_ptrItEEEEPS6_PKS6_NS0_5tupleIJSF_S6_EEENSJ_IJSG_SG_EEENS0_18inequality_wrapperI22is_equal_div_10_uniqueItEEEPmJS6_EEE10hipError_tPvRmT3_T4_T5_T6_T7_T9_mT8_P12ihipStream_tbDpT10_ENKUlT_T0_E_clISt17integral_constantIbLb0EES1A_EEDaS15_S16_EUlS15_E_NS1_11comp_targetILNS1_3genE9ELNS1_11target_archE1100ELNS1_3gpuE3ELNS1_3repE0EEENS1_30default_config_static_selectorELNS0_4arch9wavefront6targetE1EEEvT1_.has_indirect_call, 0
	.section	.AMDGPU.csdata,"",@progbits
; Kernel info:
; codeLenInByte = 0
; TotalNumSgprs: 4
; NumVgprs: 0
; ScratchSize: 0
; MemoryBound: 0
; FloatMode: 240
; IeeeMode: 1
; LDSByteSize: 0 bytes/workgroup (compile time only)
; SGPRBlocks: 0
; VGPRBlocks: 0
; NumSGPRsForWavesPerEU: 4
; NumVGPRsForWavesPerEU: 1
; Occupancy: 10
; WaveLimiterHint : 0
; COMPUTE_PGM_RSRC2:SCRATCH_EN: 0
; COMPUTE_PGM_RSRC2:USER_SGPR: 6
; COMPUTE_PGM_RSRC2:TRAP_HANDLER: 0
; COMPUTE_PGM_RSRC2:TGID_X_EN: 1
; COMPUTE_PGM_RSRC2:TGID_Y_EN: 0
; COMPUTE_PGM_RSRC2:TGID_Z_EN: 0
; COMPUTE_PGM_RSRC2:TIDIG_COMP_CNT: 0
	.section	.text._ZN7rocprim17ROCPRIM_400000_NS6detail17trampoline_kernelINS0_14default_configENS1_25partition_config_selectorILNS1_17partition_subalgoE8EtNS0_10empty_typeEbEEZZNS1_14partition_implILS5_8ELb0ES3_jN6thrust23THRUST_200600_302600_NS6detail15normal_iteratorINSA_10device_ptrItEEEEPS6_PKS6_NS0_5tupleIJSF_S6_EEENSJ_IJSG_SG_EEENS0_18inequality_wrapperI22is_equal_div_10_uniqueItEEEPmJS6_EEE10hipError_tPvRmT3_T4_T5_T6_T7_T9_mT8_P12ihipStream_tbDpT10_ENKUlT_T0_E_clISt17integral_constantIbLb0EES1A_EEDaS15_S16_EUlS15_E_NS1_11comp_targetILNS1_3genE8ELNS1_11target_archE1030ELNS1_3gpuE2ELNS1_3repE0EEENS1_30default_config_static_selectorELNS0_4arch9wavefront6targetE1EEEvT1_,"axG",@progbits,_ZN7rocprim17ROCPRIM_400000_NS6detail17trampoline_kernelINS0_14default_configENS1_25partition_config_selectorILNS1_17partition_subalgoE8EtNS0_10empty_typeEbEEZZNS1_14partition_implILS5_8ELb0ES3_jN6thrust23THRUST_200600_302600_NS6detail15normal_iteratorINSA_10device_ptrItEEEEPS6_PKS6_NS0_5tupleIJSF_S6_EEENSJ_IJSG_SG_EEENS0_18inequality_wrapperI22is_equal_div_10_uniqueItEEEPmJS6_EEE10hipError_tPvRmT3_T4_T5_T6_T7_T9_mT8_P12ihipStream_tbDpT10_ENKUlT_T0_E_clISt17integral_constantIbLb0EES1A_EEDaS15_S16_EUlS15_E_NS1_11comp_targetILNS1_3genE8ELNS1_11target_archE1030ELNS1_3gpuE2ELNS1_3repE0EEENS1_30default_config_static_selectorELNS0_4arch9wavefront6targetE1EEEvT1_,comdat
	.protected	_ZN7rocprim17ROCPRIM_400000_NS6detail17trampoline_kernelINS0_14default_configENS1_25partition_config_selectorILNS1_17partition_subalgoE8EtNS0_10empty_typeEbEEZZNS1_14partition_implILS5_8ELb0ES3_jN6thrust23THRUST_200600_302600_NS6detail15normal_iteratorINSA_10device_ptrItEEEEPS6_PKS6_NS0_5tupleIJSF_S6_EEENSJ_IJSG_SG_EEENS0_18inequality_wrapperI22is_equal_div_10_uniqueItEEEPmJS6_EEE10hipError_tPvRmT3_T4_T5_T6_T7_T9_mT8_P12ihipStream_tbDpT10_ENKUlT_T0_E_clISt17integral_constantIbLb0EES1A_EEDaS15_S16_EUlS15_E_NS1_11comp_targetILNS1_3genE8ELNS1_11target_archE1030ELNS1_3gpuE2ELNS1_3repE0EEENS1_30default_config_static_selectorELNS0_4arch9wavefront6targetE1EEEvT1_ ; -- Begin function _ZN7rocprim17ROCPRIM_400000_NS6detail17trampoline_kernelINS0_14default_configENS1_25partition_config_selectorILNS1_17partition_subalgoE8EtNS0_10empty_typeEbEEZZNS1_14partition_implILS5_8ELb0ES3_jN6thrust23THRUST_200600_302600_NS6detail15normal_iteratorINSA_10device_ptrItEEEEPS6_PKS6_NS0_5tupleIJSF_S6_EEENSJ_IJSG_SG_EEENS0_18inequality_wrapperI22is_equal_div_10_uniqueItEEEPmJS6_EEE10hipError_tPvRmT3_T4_T5_T6_T7_T9_mT8_P12ihipStream_tbDpT10_ENKUlT_T0_E_clISt17integral_constantIbLb0EES1A_EEDaS15_S16_EUlS15_E_NS1_11comp_targetILNS1_3genE8ELNS1_11target_archE1030ELNS1_3gpuE2ELNS1_3repE0EEENS1_30default_config_static_selectorELNS0_4arch9wavefront6targetE1EEEvT1_
	.globl	_ZN7rocprim17ROCPRIM_400000_NS6detail17trampoline_kernelINS0_14default_configENS1_25partition_config_selectorILNS1_17partition_subalgoE8EtNS0_10empty_typeEbEEZZNS1_14partition_implILS5_8ELb0ES3_jN6thrust23THRUST_200600_302600_NS6detail15normal_iteratorINSA_10device_ptrItEEEEPS6_PKS6_NS0_5tupleIJSF_S6_EEENSJ_IJSG_SG_EEENS0_18inequality_wrapperI22is_equal_div_10_uniqueItEEEPmJS6_EEE10hipError_tPvRmT3_T4_T5_T6_T7_T9_mT8_P12ihipStream_tbDpT10_ENKUlT_T0_E_clISt17integral_constantIbLb0EES1A_EEDaS15_S16_EUlS15_E_NS1_11comp_targetILNS1_3genE8ELNS1_11target_archE1030ELNS1_3gpuE2ELNS1_3repE0EEENS1_30default_config_static_selectorELNS0_4arch9wavefront6targetE1EEEvT1_
	.p2align	8
	.type	_ZN7rocprim17ROCPRIM_400000_NS6detail17trampoline_kernelINS0_14default_configENS1_25partition_config_selectorILNS1_17partition_subalgoE8EtNS0_10empty_typeEbEEZZNS1_14partition_implILS5_8ELb0ES3_jN6thrust23THRUST_200600_302600_NS6detail15normal_iteratorINSA_10device_ptrItEEEEPS6_PKS6_NS0_5tupleIJSF_S6_EEENSJ_IJSG_SG_EEENS0_18inequality_wrapperI22is_equal_div_10_uniqueItEEEPmJS6_EEE10hipError_tPvRmT3_T4_T5_T6_T7_T9_mT8_P12ihipStream_tbDpT10_ENKUlT_T0_E_clISt17integral_constantIbLb0EES1A_EEDaS15_S16_EUlS15_E_NS1_11comp_targetILNS1_3genE8ELNS1_11target_archE1030ELNS1_3gpuE2ELNS1_3repE0EEENS1_30default_config_static_selectorELNS0_4arch9wavefront6targetE1EEEvT1_,@function
_ZN7rocprim17ROCPRIM_400000_NS6detail17trampoline_kernelINS0_14default_configENS1_25partition_config_selectorILNS1_17partition_subalgoE8EtNS0_10empty_typeEbEEZZNS1_14partition_implILS5_8ELb0ES3_jN6thrust23THRUST_200600_302600_NS6detail15normal_iteratorINSA_10device_ptrItEEEEPS6_PKS6_NS0_5tupleIJSF_S6_EEENSJ_IJSG_SG_EEENS0_18inequality_wrapperI22is_equal_div_10_uniqueItEEEPmJS6_EEE10hipError_tPvRmT3_T4_T5_T6_T7_T9_mT8_P12ihipStream_tbDpT10_ENKUlT_T0_E_clISt17integral_constantIbLb0EES1A_EEDaS15_S16_EUlS15_E_NS1_11comp_targetILNS1_3genE8ELNS1_11target_archE1030ELNS1_3gpuE2ELNS1_3repE0EEENS1_30default_config_static_selectorELNS0_4arch9wavefront6targetE1EEEvT1_: ; @_ZN7rocprim17ROCPRIM_400000_NS6detail17trampoline_kernelINS0_14default_configENS1_25partition_config_selectorILNS1_17partition_subalgoE8EtNS0_10empty_typeEbEEZZNS1_14partition_implILS5_8ELb0ES3_jN6thrust23THRUST_200600_302600_NS6detail15normal_iteratorINSA_10device_ptrItEEEEPS6_PKS6_NS0_5tupleIJSF_S6_EEENSJ_IJSG_SG_EEENS0_18inequality_wrapperI22is_equal_div_10_uniqueItEEEPmJS6_EEE10hipError_tPvRmT3_T4_T5_T6_T7_T9_mT8_P12ihipStream_tbDpT10_ENKUlT_T0_E_clISt17integral_constantIbLb0EES1A_EEDaS15_S16_EUlS15_E_NS1_11comp_targetILNS1_3genE8ELNS1_11target_archE1030ELNS1_3gpuE2ELNS1_3repE0EEENS1_30default_config_static_selectorELNS0_4arch9wavefront6targetE1EEEvT1_
; %bb.0:
	.section	.rodata,"a",@progbits
	.p2align	6, 0x0
	.amdhsa_kernel _ZN7rocprim17ROCPRIM_400000_NS6detail17trampoline_kernelINS0_14default_configENS1_25partition_config_selectorILNS1_17partition_subalgoE8EtNS0_10empty_typeEbEEZZNS1_14partition_implILS5_8ELb0ES3_jN6thrust23THRUST_200600_302600_NS6detail15normal_iteratorINSA_10device_ptrItEEEEPS6_PKS6_NS0_5tupleIJSF_S6_EEENSJ_IJSG_SG_EEENS0_18inequality_wrapperI22is_equal_div_10_uniqueItEEEPmJS6_EEE10hipError_tPvRmT3_T4_T5_T6_T7_T9_mT8_P12ihipStream_tbDpT10_ENKUlT_T0_E_clISt17integral_constantIbLb0EES1A_EEDaS15_S16_EUlS15_E_NS1_11comp_targetILNS1_3genE8ELNS1_11target_archE1030ELNS1_3gpuE2ELNS1_3repE0EEENS1_30default_config_static_selectorELNS0_4arch9wavefront6targetE1EEEvT1_
		.amdhsa_group_segment_fixed_size 0
		.amdhsa_private_segment_fixed_size 0
		.amdhsa_kernarg_size 112
		.amdhsa_user_sgpr_count 6
		.amdhsa_user_sgpr_private_segment_buffer 1
		.amdhsa_user_sgpr_dispatch_ptr 0
		.amdhsa_user_sgpr_queue_ptr 0
		.amdhsa_user_sgpr_kernarg_segment_ptr 1
		.amdhsa_user_sgpr_dispatch_id 0
		.amdhsa_user_sgpr_flat_scratch_init 0
		.amdhsa_user_sgpr_private_segment_size 0
		.amdhsa_uses_dynamic_stack 0
		.amdhsa_system_sgpr_private_segment_wavefront_offset 0
		.amdhsa_system_sgpr_workgroup_id_x 1
		.amdhsa_system_sgpr_workgroup_id_y 0
		.amdhsa_system_sgpr_workgroup_id_z 0
		.amdhsa_system_sgpr_workgroup_info 0
		.amdhsa_system_vgpr_workitem_id 0
		.amdhsa_next_free_vgpr 1
		.amdhsa_next_free_sgpr 0
		.amdhsa_reserve_vcc 0
		.amdhsa_reserve_flat_scratch 0
		.amdhsa_float_round_mode_32 0
		.amdhsa_float_round_mode_16_64 0
		.amdhsa_float_denorm_mode_32 3
		.amdhsa_float_denorm_mode_16_64 3
		.amdhsa_dx10_clamp 1
		.amdhsa_ieee_mode 1
		.amdhsa_fp16_overflow 0
		.amdhsa_exception_fp_ieee_invalid_op 0
		.amdhsa_exception_fp_denorm_src 0
		.amdhsa_exception_fp_ieee_div_zero 0
		.amdhsa_exception_fp_ieee_overflow 0
		.amdhsa_exception_fp_ieee_underflow 0
		.amdhsa_exception_fp_ieee_inexact 0
		.amdhsa_exception_int_div_zero 0
	.end_amdhsa_kernel
	.section	.text._ZN7rocprim17ROCPRIM_400000_NS6detail17trampoline_kernelINS0_14default_configENS1_25partition_config_selectorILNS1_17partition_subalgoE8EtNS0_10empty_typeEbEEZZNS1_14partition_implILS5_8ELb0ES3_jN6thrust23THRUST_200600_302600_NS6detail15normal_iteratorINSA_10device_ptrItEEEEPS6_PKS6_NS0_5tupleIJSF_S6_EEENSJ_IJSG_SG_EEENS0_18inequality_wrapperI22is_equal_div_10_uniqueItEEEPmJS6_EEE10hipError_tPvRmT3_T4_T5_T6_T7_T9_mT8_P12ihipStream_tbDpT10_ENKUlT_T0_E_clISt17integral_constantIbLb0EES1A_EEDaS15_S16_EUlS15_E_NS1_11comp_targetILNS1_3genE8ELNS1_11target_archE1030ELNS1_3gpuE2ELNS1_3repE0EEENS1_30default_config_static_selectorELNS0_4arch9wavefront6targetE1EEEvT1_,"axG",@progbits,_ZN7rocprim17ROCPRIM_400000_NS6detail17trampoline_kernelINS0_14default_configENS1_25partition_config_selectorILNS1_17partition_subalgoE8EtNS0_10empty_typeEbEEZZNS1_14partition_implILS5_8ELb0ES3_jN6thrust23THRUST_200600_302600_NS6detail15normal_iteratorINSA_10device_ptrItEEEEPS6_PKS6_NS0_5tupleIJSF_S6_EEENSJ_IJSG_SG_EEENS0_18inequality_wrapperI22is_equal_div_10_uniqueItEEEPmJS6_EEE10hipError_tPvRmT3_T4_T5_T6_T7_T9_mT8_P12ihipStream_tbDpT10_ENKUlT_T0_E_clISt17integral_constantIbLb0EES1A_EEDaS15_S16_EUlS15_E_NS1_11comp_targetILNS1_3genE8ELNS1_11target_archE1030ELNS1_3gpuE2ELNS1_3repE0EEENS1_30default_config_static_selectorELNS0_4arch9wavefront6targetE1EEEvT1_,comdat
.Lfunc_end314:
	.size	_ZN7rocprim17ROCPRIM_400000_NS6detail17trampoline_kernelINS0_14default_configENS1_25partition_config_selectorILNS1_17partition_subalgoE8EtNS0_10empty_typeEbEEZZNS1_14partition_implILS5_8ELb0ES3_jN6thrust23THRUST_200600_302600_NS6detail15normal_iteratorINSA_10device_ptrItEEEEPS6_PKS6_NS0_5tupleIJSF_S6_EEENSJ_IJSG_SG_EEENS0_18inequality_wrapperI22is_equal_div_10_uniqueItEEEPmJS6_EEE10hipError_tPvRmT3_T4_T5_T6_T7_T9_mT8_P12ihipStream_tbDpT10_ENKUlT_T0_E_clISt17integral_constantIbLb0EES1A_EEDaS15_S16_EUlS15_E_NS1_11comp_targetILNS1_3genE8ELNS1_11target_archE1030ELNS1_3gpuE2ELNS1_3repE0EEENS1_30default_config_static_selectorELNS0_4arch9wavefront6targetE1EEEvT1_, .Lfunc_end314-_ZN7rocprim17ROCPRIM_400000_NS6detail17trampoline_kernelINS0_14default_configENS1_25partition_config_selectorILNS1_17partition_subalgoE8EtNS0_10empty_typeEbEEZZNS1_14partition_implILS5_8ELb0ES3_jN6thrust23THRUST_200600_302600_NS6detail15normal_iteratorINSA_10device_ptrItEEEEPS6_PKS6_NS0_5tupleIJSF_S6_EEENSJ_IJSG_SG_EEENS0_18inequality_wrapperI22is_equal_div_10_uniqueItEEEPmJS6_EEE10hipError_tPvRmT3_T4_T5_T6_T7_T9_mT8_P12ihipStream_tbDpT10_ENKUlT_T0_E_clISt17integral_constantIbLb0EES1A_EEDaS15_S16_EUlS15_E_NS1_11comp_targetILNS1_3genE8ELNS1_11target_archE1030ELNS1_3gpuE2ELNS1_3repE0EEENS1_30default_config_static_selectorELNS0_4arch9wavefront6targetE1EEEvT1_
                                        ; -- End function
	.set _ZN7rocprim17ROCPRIM_400000_NS6detail17trampoline_kernelINS0_14default_configENS1_25partition_config_selectorILNS1_17partition_subalgoE8EtNS0_10empty_typeEbEEZZNS1_14partition_implILS5_8ELb0ES3_jN6thrust23THRUST_200600_302600_NS6detail15normal_iteratorINSA_10device_ptrItEEEEPS6_PKS6_NS0_5tupleIJSF_S6_EEENSJ_IJSG_SG_EEENS0_18inequality_wrapperI22is_equal_div_10_uniqueItEEEPmJS6_EEE10hipError_tPvRmT3_T4_T5_T6_T7_T9_mT8_P12ihipStream_tbDpT10_ENKUlT_T0_E_clISt17integral_constantIbLb0EES1A_EEDaS15_S16_EUlS15_E_NS1_11comp_targetILNS1_3genE8ELNS1_11target_archE1030ELNS1_3gpuE2ELNS1_3repE0EEENS1_30default_config_static_selectorELNS0_4arch9wavefront6targetE1EEEvT1_.num_vgpr, 0
	.set _ZN7rocprim17ROCPRIM_400000_NS6detail17trampoline_kernelINS0_14default_configENS1_25partition_config_selectorILNS1_17partition_subalgoE8EtNS0_10empty_typeEbEEZZNS1_14partition_implILS5_8ELb0ES3_jN6thrust23THRUST_200600_302600_NS6detail15normal_iteratorINSA_10device_ptrItEEEEPS6_PKS6_NS0_5tupleIJSF_S6_EEENSJ_IJSG_SG_EEENS0_18inequality_wrapperI22is_equal_div_10_uniqueItEEEPmJS6_EEE10hipError_tPvRmT3_T4_T5_T6_T7_T9_mT8_P12ihipStream_tbDpT10_ENKUlT_T0_E_clISt17integral_constantIbLb0EES1A_EEDaS15_S16_EUlS15_E_NS1_11comp_targetILNS1_3genE8ELNS1_11target_archE1030ELNS1_3gpuE2ELNS1_3repE0EEENS1_30default_config_static_selectorELNS0_4arch9wavefront6targetE1EEEvT1_.num_agpr, 0
	.set _ZN7rocprim17ROCPRIM_400000_NS6detail17trampoline_kernelINS0_14default_configENS1_25partition_config_selectorILNS1_17partition_subalgoE8EtNS0_10empty_typeEbEEZZNS1_14partition_implILS5_8ELb0ES3_jN6thrust23THRUST_200600_302600_NS6detail15normal_iteratorINSA_10device_ptrItEEEEPS6_PKS6_NS0_5tupleIJSF_S6_EEENSJ_IJSG_SG_EEENS0_18inequality_wrapperI22is_equal_div_10_uniqueItEEEPmJS6_EEE10hipError_tPvRmT3_T4_T5_T6_T7_T9_mT8_P12ihipStream_tbDpT10_ENKUlT_T0_E_clISt17integral_constantIbLb0EES1A_EEDaS15_S16_EUlS15_E_NS1_11comp_targetILNS1_3genE8ELNS1_11target_archE1030ELNS1_3gpuE2ELNS1_3repE0EEENS1_30default_config_static_selectorELNS0_4arch9wavefront6targetE1EEEvT1_.numbered_sgpr, 0
	.set _ZN7rocprim17ROCPRIM_400000_NS6detail17trampoline_kernelINS0_14default_configENS1_25partition_config_selectorILNS1_17partition_subalgoE8EtNS0_10empty_typeEbEEZZNS1_14partition_implILS5_8ELb0ES3_jN6thrust23THRUST_200600_302600_NS6detail15normal_iteratorINSA_10device_ptrItEEEEPS6_PKS6_NS0_5tupleIJSF_S6_EEENSJ_IJSG_SG_EEENS0_18inequality_wrapperI22is_equal_div_10_uniqueItEEEPmJS6_EEE10hipError_tPvRmT3_T4_T5_T6_T7_T9_mT8_P12ihipStream_tbDpT10_ENKUlT_T0_E_clISt17integral_constantIbLb0EES1A_EEDaS15_S16_EUlS15_E_NS1_11comp_targetILNS1_3genE8ELNS1_11target_archE1030ELNS1_3gpuE2ELNS1_3repE0EEENS1_30default_config_static_selectorELNS0_4arch9wavefront6targetE1EEEvT1_.num_named_barrier, 0
	.set _ZN7rocprim17ROCPRIM_400000_NS6detail17trampoline_kernelINS0_14default_configENS1_25partition_config_selectorILNS1_17partition_subalgoE8EtNS0_10empty_typeEbEEZZNS1_14partition_implILS5_8ELb0ES3_jN6thrust23THRUST_200600_302600_NS6detail15normal_iteratorINSA_10device_ptrItEEEEPS6_PKS6_NS0_5tupleIJSF_S6_EEENSJ_IJSG_SG_EEENS0_18inequality_wrapperI22is_equal_div_10_uniqueItEEEPmJS6_EEE10hipError_tPvRmT3_T4_T5_T6_T7_T9_mT8_P12ihipStream_tbDpT10_ENKUlT_T0_E_clISt17integral_constantIbLb0EES1A_EEDaS15_S16_EUlS15_E_NS1_11comp_targetILNS1_3genE8ELNS1_11target_archE1030ELNS1_3gpuE2ELNS1_3repE0EEENS1_30default_config_static_selectorELNS0_4arch9wavefront6targetE1EEEvT1_.private_seg_size, 0
	.set _ZN7rocprim17ROCPRIM_400000_NS6detail17trampoline_kernelINS0_14default_configENS1_25partition_config_selectorILNS1_17partition_subalgoE8EtNS0_10empty_typeEbEEZZNS1_14partition_implILS5_8ELb0ES3_jN6thrust23THRUST_200600_302600_NS6detail15normal_iteratorINSA_10device_ptrItEEEEPS6_PKS6_NS0_5tupleIJSF_S6_EEENSJ_IJSG_SG_EEENS0_18inequality_wrapperI22is_equal_div_10_uniqueItEEEPmJS6_EEE10hipError_tPvRmT3_T4_T5_T6_T7_T9_mT8_P12ihipStream_tbDpT10_ENKUlT_T0_E_clISt17integral_constantIbLb0EES1A_EEDaS15_S16_EUlS15_E_NS1_11comp_targetILNS1_3genE8ELNS1_11target_archE1030ELNS1_3gpuE2ELNS1_3repE0EEENS1_30default_config_static_selectorELNS0_4arch9wavefront6targetE1EEEvT1_.uses_vcc, 0
	.set _ZN7rocprim17ROCPRIM_400000_NS6detail17trampoline_kernelINS0_14default_configENS1_25partition_config_selectorILNS1_17partition_subalgoE8EtNS0_10empty_typeEbEEZZNS1_14partition_implILS5_8ELb0ES3_jN6thrust23THRUST_200600_302600_NS6detail15normal_iteratorINSA_10device_ptrItEEEEPS6_PKS6_NS0_5tupleIJSF_S6_EEENSJ_IJSG_SG_EEENS0_18inequality_wrapperI22is_equal_div_10_uniqueItEEEPmJS6_EEE10hipError_tPvRmT3_T4_T5_T6_T7_T9_mT8_P12ihipStream_tbDpT10_ENKUlT_T0_E_clISt17integral_constantIbLb0EES1A_EEDaS15_S16_EUlS15_E_NS1_11comp_targetILNS1_3genE8ELNS1_11target_archE1030ELNS1_3gpuE2ELNS1_3repE0EEENS1_30default_config_static_selectorELNS0_4arch9wavefront6targetE1EEEvT1_.uses_flat_scratch, 0
	.set _ZN7rocprim17ROCPRIM_400000_NS6detail17trampoline_kernelINS0_14default_configENS1_25partition_config_selectorILNS1_17partition_subalgoE8EtNS0_10empty_typeEbEEZZNS1_14partition_implILS5_8ELb0ES3_jN6thrust23THRUST_200600_302600_NS6detail15normal_iteratorINSA_10device_ptrItEEEEPS6_PKS6_NS0_5tupleIJSF_S6_EEENSJ_IJSG_SG_EEENS0_18inequality_wrapperI22is_equal_div_10_uniqueItEEEPmJS6_EEE10hipError_tPvRmT3_T4_T5_T6_T7_T9_mT8_P12ihipStream_tbDpT10_ENKUlT_T0_E_clISt17integral_constantIbLb0EES1A_EEDaS15_S16_EUlS15_E_NS1_11comp_targetILNS1_3genE8ELNS1_11target_archE1030ELNS1_3gpuE2ELNS1_3repE0EEENS1_30default_config_static_selectorELNS0_4arch9wavefront6targetE1EEEvT1_.has_dyn_sized_stack, 0
	.set _ZN7rocprim17ROCPRIM_400000_NS6detail17trampoline_kernelINS0_14default_configENS1_25partition_config_selectorILNS1_17partition_subalgoE8EtNS0_10empty_typeEbEEZZNS1_14partition_implILS5_8ELb0ES3_jN6thrust23THRUST_200600_302600_NS6detail15normal_iteratorINSA_10device_ptrItEEEEPS6_PKS6_NS0_5tupleIJSF_S6_EEENSJ_IJSG_SG_EEENS0_18inequality_wrapperI22is_equal_div_10_uniqueItEEEPmJS6_EEE10hipError_tPvRmT3_T4_T5_T6_T7_T9_mT8_P12ihipStream_tbDpT10_ENKUlT_T0_E_clISt17integral_constantIbLb0EES1A_EEDaS15_S16_EUlS15_E_NS1_11comp_targetILNS1_3genE8ELNS1_11target_archE1030ELNS1_3gpuE2ELNS1_3repE0EEENS1_30default_config_static_selectorELNS0_4arch9wavefront6targetE1EEEvT1_.has_recursion, 0
	.set _ZN7rocprim17ROCPRIM_400000_NS6detail17trampoline_kernelINS0_14default_configENS1_25partition_config_selectorILNS1_17partition_subalgoE8EtNS0_10empty_typeEbEEZZNS1_14partition_implILS5_8ELb0ES3_jN6thrust23THRUST_200600_302600_NS6detail15normal_iteratorINSA_10device_ptrItEEEEPS6_PKS6_NS0_5tupleIJSF_S6_EEENSJ_IJSG_SG_EEENS0_18inequality_wrapperI22is_equal_div_10_uniqueItEEEPmJS6_EEE10hipError_tPvRmT3_T4_T5_T6_T7_T9_mT8_P12ihipStream_tbDpT10_ENKUlT_T0_E_clISt17integral_constantIbLb0EES1A_EEDaS15_S16_EUlS15_E_NS1_11comp_targetILNS1_3genE8ELNS1_11target_archE1030ELNS1_3gpuE2ELNS1_3repE0EEENS1_30default_config_static_selectorELNS0_4arch9wavefront6targetE1EEEvT1_.has_indirect_call, 0
	.section	.AMDGPU.csdata,"",@progbits
; Kernel info:
; codeLenInByte = 0
; TotalNumSgprs: 4
; NumVgprs: 0
; ScratchSize: 0
; MemoryBound: 0
; FloatMode: 240
; IeeeMode: 1
; LDSByteSize: 0 bytes/workgroup (compile time only)
; SGPRBlocks: 0
; VGPRBlocks: 0
; NumSGPRsForWavesPerEU: 4
; NumVGPRsForWavesPerEU: 1
; Occupancy: 10
; WaveLimiterHint : 0
; COMPUTE_PGM_RSRC2:SCRATCH_EN: 0
; COMPUTE_PGM_RSRC2:USER_SGPR: 6
; COMPUTE_PGM_RSRC2:TRAP_HANDLER: 0
; COMPUTE_PGM_RSRC2:TGID_X_EN: 1
; COMPUTE_PGM_RSRC2:TGID_Y_EN: 0
; COMPUTE_PGM_RSRC2:TGID_Z_EN: 0
; COMPUTE_PGM_RSRC2:TIDIG_COMP_CNT: 0
	.section	.text._ZN7rocprim17ROCPRIM_400000_NS6detail17trampoline_kernelINS0_14default_configENS1_25partition_config_selectorILNS1_17partition_subalgoE8EtNS0_10empty_typeEbEEZZNS1_14partition_implILS5_8ELb0ES3_jN6thrust23THRUST_200600_302600_NS6detail15normal_iteratorINSA_10device_ptrItEEEEPS6_PKS6_NS0_5tupleIJSF_S6_EEENSJ_IJSG_SG_EEENS0_18inequality_wrapperI22is_equal_div_10_uniqueItEEEPmJS6_EEE10hipError_tPvRmT3_T4_T5_T6_T7_T9_mT8_P12ihipStream_tbDpT10_ENKUlT_T0_E_clISt17integral_constantIbLb1EES1A_EEDaS15_S16_EUlS15_E_NS1_11comp_targetILNS1_3genE0ELNS1_11target_archE4294967295ELNS1_3gpuE0ELNS1_3repE0EEENS1_30default_config_static_selectorELNS0_4arch9wavefront6targetE1EEEvT1_,"axG",@progbits,_ZN7rocprim17ROCPRIM_400000_NS6detail17trampoline_kernelINS0_14default_configENS1_25partition_config_selectorILNS1_17partition_subalgoE8EtNS0_10empty_typeEbEEZZNS1_14partition_implILS5_8ELb0ES3_jN6thrust23THRUST_200600_302600_NS6detail15normal_iteratorINSA_10device_ptrItEEEEPS6_PKS6_NS0_5tupleIJSF_S6_EEENSJ_IJSG_SG_EEENS0_18inequality_wrapperI22is_equal_div_10_uniqueItEEEPmJS6_EEE10hipError_tPvRmT3_T4_T5_T6_T7_T9_mT8_P12ihipStream_tbDpT10_ENKUlT_T0_E_clISt17integral_constantIbLb1EES1A_EEDaS15_S16_EUlS15_E_NS1_11comp_targetILNS1_3genE0ELNS1_11target_archE4294967295ELNS1_3gpuE0ELNS1_3repE0EEENS1_30default_config_static_selectorELNS0_4arch9wavefront6targetE1EEEvT1_,comdat
	.protected	_ZN7rocprim17ROCPRIM_400000_NS6detail17trampoline_kernelINS0_14default_configENS1_25partition_config_selectorILNS1_17partition_subalgoE8EtNS0_10empty_typeEbEEZZNS1_14partition_implILS5_8ELb0ES3_jN6thrust23THRUST_200600_302600_NS6detail15normal_iteratorINSA_10device_ptrItEEEEPS6_PKS6_NS0_5tupleIJSF_S6_EEENSJ_IJSG_SG_EEENS0_18inequality_wrapperI22is_equal_div_10_uniqueItEEEPmJS6_EEE10hipError_tPvRmT3_T4_T5_T6_T7_T9_mT8_P12ihipStream_tbDpT10_ENKUlT_T0_E_clISt17integral_constantIbLb1EES1A_EEDaS15_S16_EUlS15_E_NS1_11comp_targetILNS1_3genE0ELNS1_11target_archE4294967295ELNS1_3gpuE0ELNS1_3repE0EEENS1_30default_config_static_selectorELNS0_4arch9wavefront6targetE1EEEvT1_ ; -- Begin function _ZN7rocprim17ROCPRIM_400000_NS6detail17trampoline_kernelINS0_14default_configENS1_25partition_config_selectorILNS1_17partition_subalgoE8EtNS0_10empty_typeEbEEZZNS1_14partition_implILS5_8ELb0ES3_jN6thrust23THRUST_200600_302600_NS6detail15normal_iteratorINSA_10device_ptrItEEEEPS6_PKS6_NS0_5tupleIJSF_S6_EEENSJ_IJSG_SG_EEENS0_18inequality_wrapperI22is_equal_div_10_uniqueItEEEPmJS6_EEE10hipError_tPvRmT3_T4_T5_T6_T7_T9_mT8_P12ihipStream_tbDpT10_ENKUlT_T0_E_clISt17integral_constantIbLb1EES1A_EEDaS15_S16_EUlS15_E_NS1_11comp_targetILNS1_3genE0ELNS1_11target_archE4294967295ELNS1_3gpuE0ELNS1_3repE0EEENS1_30default_config_static_selectorELNS0_4arch9wavefront6targetE1EEEvT1_
	.globl	_ZN7rocprim17ROCPRIM_400000_NS6detail17trampoline_kernelINS0_14default_configENS1_25partition_config_selectorILNS1_17partition_subalgoE8EtNS0_10empty_typeEbEEZZNS1_14partition_implILS5_8ELb0ES3_jN6thrust23THRUST_200600_302600_NS6detail15normal_iteratorINSA_10device_ptrItEEEEPS6_PKS6_NS0_5tupleIJSF_S6_EEENSJ_IJSG_SG_EEENS0_18inequality_wrapperI22is_equal_div_10_uniqueItEEEPmJS6_EEE10hipError_tPvRmT3_T4_T5_T6_T7_T9_mT8_P12ihipStream_tbDpT10_ENKUlT_T0_E_clISt17integral_constantIbLb1EES1A_EEDaS15_S16_EUlS15_E_NS1_11comp_targetILNS1_3genE0ELNS1_11target_archE4294967295ELNS1_3gpuE0ELNS1_3repE0EEENS1_30default_config_static_selectorELNS0_4arch9wavefront6targetE1EEEvT1_
	.p2align	8
	.type	_ZN7rocprim17ROCPRIM_400000_NS6detail17trampoline_kernelINS0_14default_configENS1_25partition_config_selectorILNS1_17partition_subalgoE8EtNS0_10empty_typeEbEEZZNS1_14partition_implILS5_8ELb0ES3_jN6thrust23THRUST_200600_302600_NS6detail15normal_iteratorINSA_10device_ptrItEEEEPS6_PKS6_NS0_5tupleIJSF_S6_EEENSJ_IJSG_SG_EEENS0_18inequality_wrapperI22is_equal_div_10_uniqueItEEEPmJS6_EEE10hipError_tPvRmT3_T4_T5_T6_T7_T9_mT8_P12ihipStream_tbDpT10_ENKUlT_T0_E_clISt17integral_constantIbLb1EES1A_EEDaS15_S16_EUlS15_E_NS1_11comp_targetILNS1_3genE0ELNS1_11target_archE4294967295ELNS1_3gpuE0ELNS1_3repE0EEENS1_30default_config_static_selectorELNS0_4arch9wavefront6targetE1EEEvT1_,@function
_ZN7rocprim17ROCPRIM_400000_NS6detail17trampoline_kernelINS0_14default_configENS1_25partition_config_selectorILNS1_17partition_subalgoE8EtNS0_10empty_typeEbEEZZNS1_14partition_implILS5_8ELb0ES3_jN6thrust23THRUST_200600_302600_NS6detail15normal_iteratorINSA_10device_ptrItEEEEPS6_PKS6_NS0_5tupleIJSF_S6_EEENSJ_IJSG_SG_EEENS0_18inequality_wrapperI22is_equal_div_10_uniqueItEEEPmJS6_EEE10hipError_tPvRmT3_T4_T5_T6_T7_T9_mT8_P12ihipStream_tbDpT10_ENKUlT_T0_E_clISt17integral_constantIbLb1EES1A_EEDaS15_S16_EUlS15_E_NS1_11comp_targetILNS1_3genE0ELNS1_11target_archE4294967295ELNS1_3gpuE0ELNS1_3repE0EEENS1_30default_config_static_selectorELNS0_4arch9wavefront6targetE1EEEvT1_: ; @_ZN7rocprim17ROCPRIM_400000_NS6detail17trampoline_kernelINS0_14default_configENS1_25partition_config_selectorILNS1_17partition_subalgoE8EtNS0_10empty_typeEbEEZZNS1_14partition_implILS5_8ELb0ES3_jN6thrust23THRUST_200600_302600_NS6detail15normal_iteratorINSA_10device_ptrItEEEEPS6_PKS6_NS0_5tupleIJSF_S6_EEENSJ_IJSG_SG_EEENS0_18inequality_wrapperI22is_equal_div_10_uniqueItEEEPmJS6_EEE10hipError_tPvRmT3_T4_T5_T6_T7_T9_mT8_P12ihipStream_tbDpT10_ENKUlT_T0_E_clISt17integral_constantIbLb1EES1A_EEDaS15_S16_EUlS15_E_NS1_11comp_targetILNS1_3genE0ELNS1_11target_archE4294967295ELNS1_3gpuE0ELNS1_3repE0EEENS1_30default_config_static_selectorELNS0_4arch9wavefront6targetE1EEEvT1_
; %bb.0:
	.section	.rodata,"a",@progbits
	.p2align	6, 0x0
	.amdhsa_kernel _ZN7rocprim17ROCPRIM_400000_NS6detail17trampoline_kernelINS0_14default_configENS1_25partition_config_selectorILNS1_17partition_subalgoE8EtNS0_10empty_typeEbEEZZNS1_14partition_implILS5_8ELb0ES3_jN6thrust23THRUST_200600_302600_NS6detail15normal_iteratorINSA_10device_ptrItEEEEPS6_PKS6_NS0_5tupleIJSF_S6_EEENSJ_IJSG_SG_EEENS0_18inequality_wrapperI22is_equal_div_10_uniqueItEEEPmJS6_EEE10hipError_tPvRmT3_T4_T5_T6_T7_T9_mT8_P12ihipStream_tbDpT10_ENKUlT_T0_E_clISt17integral_constantIbLb1EES1A_EEDaS15_S16_EUlS15_E_NS1_11comp_targetILNS1_3genE0ELNS1_11target_archE4294967295ELNS1_3gpuE0ELNS1_3repE0EEENS1_30default_config_static_selectorELNS0_4arch9wavefront6targetE1EEEvT1_
		.amdhsa_group_segment_fixed_size 0
		.amdhsa_private_segment_fixed_size 0
		.amdhsa_kernarg_size 128
		.amdhsa_user_sgpr_count 6
		.amdhsa_user_sgpr_private_segment_buffer 1
		.amdhsa_user_sgpr_dispatch_ptr 0
		.amdhsa_user_sgpr_queue_ptr 0
		.amdhsa_user_sgpr_kernarg_segment_ptr 1
		.amdhsa_user_sgpr_dispatch_id 0
		.amdhsa_user_sgpr_flat_scratch_init 0
		.amdhsa_user_sgpr_private_segment_size 0
		.amdhsa_uses_dynamic_stack 0
		.amdhsa_system_sgpr_private_segment_wavefront_offset 0
		.amdhsa_system_sgpr_workgroup_id_x 1
		.amdhsa_system_sgpr_workgroup_id_y 0
		.amdhsa_system_sgpr_workgroup_id_z 0
		.amdhsa_system_sgpr_workgroup_info 0
		.amdhsa_system_vgpr_workitem_id 0
		.amdhsa_next_free_vgpr 1
		.amdhsa_next_free_sgpr 0
		.amdhsa_reserve_vcc 0
		.amdhsa_reserve_flat_scratch 0
		.amdhsa_float_round_mode_32 0
		.amdhsa_float_round_mode_16_64 0
		.amdhsa_float_denorm_mode_32 3
		.amdhsa_float_denorm_mode_16_64 3
		.amdhsa_dx10_clamp 1
		.amdhsa_ieee_mode 1
		.amdhsa_fp16_overflow 0
		.amdhsa_exception_fp_ieee_invalid_op 0
		.amdhsa_exception_fp_denorm_src 0
		.amdhsa_exception_fp_ieee_div_zero 0
		.amdhsa_exception_fp_ieee_overflow 0
		.amdhsa_exception_fp_ieee_underflow 0
		.amdhsa_exception_fp_ieee_inexact 0
		.amdhsa_exception_int_div_zero 0
	.end_amdhsa_kernel
	.section	.text._ZN7rocprim17ROCPRIM_400000_NS6detail17trampoline_kernelINS0_14default_configENS1_25partition_config_selectorILNS1_17partition_subalgoE8EtNS0_10empty_typeEbEEZZNS1_14partition_implILS5_8ELb0ES3_jN6thrust23THRUST_200600_302600_NS6detail15normal_iteratorINSA_10device_ptrItEEEEPS6_PKS6_NS0_5tupleIJSF_S6_EEENSJ_IJSG_SG_EEENS0_18inequality_wrapperI22is_equal_div_10_uniqueItEEEPmJS6_EEE10hipError_tPvRmT3_T4_T5_T6_T7_T9_mT8_P12ihipStream_tbDpT10_ENKUlT_T0_E_clISt17integral_constantIbLb1EES1A_EEDaS15_S16_EUlS15_E_NS1_11comp_targetILNS1_3genE0ELNS1_11target_archE4294967295ELNS1_3gpuE0ELNS1_3repE0EEENS1_30default_config_static_selectorELNS0_4arch9wavefront6targetE1EEEvT1_,"axG",@progbits,_ZN7rocprim17ROCPRIM_400000_NS6detail17trampoline_kernelINS0_14default_configENS1_25partition_config_selectorILNS1_17partition_subalgoE8EtNS0_10empty_typeEbEEZZNS1_14partition_implILS5_8ELb0ES3_jN6thrust23THRUST_200600_302600_NS6detail15normal_iteratorINSA_10device_ptrItEEEEPS6_PKS6_NS0_5tupleIJSF_S6_EEENSJ_IJSG_SG_EEENS0_18inequality_wrapperI22is_equal_div_10_uniqueItEEEPmJS6_EEE10hipError_tPvRmT3_T4_T5_T6_T7_T9_mT8_P12ihipStream_tbDpT10_ENKUlT_T0_E_clISt17integral_constantIbLb1EES1A_EEDaS15_S16_EUlS15_E_NS1_11comp_targetILNS1_3genE0ELNS1_11target_archE4294967295ELNS1_3gpuE0ELNS1_3repE0EEENS1_30default_config_static_selectorELNS0_4arch9wavefront6targetE1EEEvT1_,comdat
.Lfunc_end315:
	.size	_ZN7rocprim17ROCPRIM_400000_NS6detail17trampoline_kernelINS0_14default_configENS1_25partition_config_selectorILNS1_17partition_subalgoE8EtNS0_10empty_typeEbEEZZNS1_14partition_implILS5_8ELb0ES3_jN6thrust23THRUST_200600_302600_NS6detail15normal_iteratorINSA_10device_ptrItEEEEPS6_PKS6_NS0_5tupleIJSF_S6_EEENSJ_IJSG_SG_EEENS0_18inequality_wrapperI22is_equal_div_10_uniqueItEEEPmJS6_EEE10hipError_tPvRmT3_T4_T5_T6_T7_T9_mT8_P12ihipStream_tbDpT10_ENKUlT_T0_E_clISt17integral_constantIbLb1EES1A_EEDaS15_S16_EUlS15_E_NS1_11comp_targetILNS1_3genE0ELNS1_11target_archE4294967295ELNS1_3gpuE0ELNS1_3repE0EEENS1_30default_config_static_selectorELNS0_4arch9wavefront6targetE1EEEvT1_, .Lfunc_end315-_ZN7rocprim17ROCPRIM_400000_NS6detail17trampoline_kernelINS0_14default_configENS1_25partition_config_selectorILNS1_17partition_subalgoE8EtNS0_10empty_typeEbEEZZNS1_14partition_implILS5_8ELb0ES3_jN6thrust23THRUST_200600_302600_NS6detail15normal_iteratorINSA_10device_ptrItEEEEPS6_PKS6_NS0_5tupleIJSF_S6_EEENSJ_IJSG_SG_EEENS0_18inequality_wrapperI22is_equal_div_10_uniqueItEEEPmJS6_EEE10hipError_tPvRmT3_T4_T5_T6_T7_T9_mT8_P12ihipStream_tbDpT10_ENKUlT_T0_E_clISt17integral_constantIbLb1EES1A_EEDaS15_S16_EUlS15_E_NS1_11comp_targetILNS1_3genE0ELNS1_11target_archE4294967295ELNS1_3gpuE0ELNS1_3repE0EEENS1_30default_config_static_selectorELNS0_4arch9wavefront6targetE1EEEvT1_
                                        ; -- End function
	.set _ZN7rocprim17ROCPRIM_400000_NS6detail17trampoline_kernelINS0_14default_configENS1_25partition_config_selectorILNS1_17partition_subalgoE8EtNS0_10empty_typeEbEEZZNS1_14partition_implILS5_8ELb0ES3_jN6thrust23THRUST_200600_302600_NS6detail15normal_iteratorINSA_10device_ptrItEEEEPS6_PKS6_NS0_5tupleIJSF_S6_EEENSJ_IJSG_SG_EEENS0_18inequality_wrapperI22is_equal_div_10_uniqueItEEEPmJS6_EEE10hipError_tPvRmT3_T4_T5_T6_T7_T9_mT8_P12ihipStream_tbDpT10_ENKUlT_T0_E_clISt17integral_constantIbLb1EES1A_EEDaS15_S16_EUlS15_E_NS1_11comp_targetILNS1_3genE0ELNS1_11target_archE4294967295ELNS1_3gpuE0ELNS1_3repE0EEENS1_30default_config_static_selectorELNS0_4arch9wavefront6targetE1EEEvT1_.num_vgpr, 0
	.set _ZN7rocprim17ROCPRIM_400000_NS6detail17trampoline_kernelINS0_14default_configENS1_25partition_config_selectorILNS1_17partition_subalgoE8EtNS0_10empty_typeEbEEZZNS1_14partition_implILS5_8ELb0ES3_jN6thrust23THRUST_200600_302600_NS6detail15normal_iteratorINSA_10device_ptrItEEEEPS6_PKS6_NS0_5tupleIJSF_S6_EEENSJ_IJSG_SG_EEENS0_18inequality_wrapperI22is_equal_div_10_uniqueItEEEPmJS6_EEE10hipError_tPvRmT3_T4_T5_T6_T7_T9_mT8_P12ihipStream_tbDpT10_ENKUlT_T0_E_clISt17integral_constantIbLb1EES1A_EEDaS15_S16_EUlS15_E_NS1_11comp_targetILNS1_3genE0ELNS1_11target_archE4294967295ELNS1_3gpuE0ELNS1_3repE0EEENS1_30default_config_static_selectorELNS0_4arch9wavefront6targetE1EEEvT1_.num_agpr, 0
	.set _ZN7rocprim17ROCPRIM_400000_NS6detail17trampoline_kernelINS0_14default_configENS1_25partition_config_selectorILNS1_17partition_subalgoE8EtNS0_10empty_typeEbEEZZNS1_14partition_implILS5_8ELb0ES3_jN6thrust23THRUST_200600_302600_NS6detail15normal_iteratorINSA_10device_ptrItEEEEPS6_PKS6_NS0_5tupleIJSF_S6_EEENSJ_IJSG_SG_EEENS0_18inequality_wrapperI22is_equal_div_10_uniqueItEEEPmJS6_EEE10hipError_tPvRmT3_T4_T5_T6_T7_T9_mT8_P12ihipStream_tbDpT10_ENKUlT_T0_E_clISt17integral_constantIbLb1EES1A_EEDaS15_S16_EUlS15_E_NS1_11comp_targetILNS1_3genE0ELNS1_11target_archE4294967295ELNS1_3gpuE0ELNS1_3repE0EEENS1_30default_config_static_selectorELNS0_4arch9wavefront6targetE1EEEvT1_.numbered_sgpr, 0
	.set _ZN7rocprim17ROCPRIM_400000_NS6detail17trampoline_kernelINS0_14default_configENS1_25partition_config_selectorILNS1_17partition_subalgoE8EtNS0_10empty_typeEbEEZZNS1_14partition_implILS5_8ELb0ES3_jN6thrust23THRUST_200600_302600_NS6detail15normal_iteratorINSA_10device_ptrItEEEEPS6_PKS6_NS0_5tupleIJSF_S6_EEENSJ_IJSG_SG_EEENS0_18inequality_wrapperI22is_equal_div_10_uniqueItEEEPmJS6_EEE10hipError_tPvRmT3_T4_T5_T6_T7_T9_mT8_P12ihipStream_tbDpT10_ENKUlT_T0_E_clISt17integral_constantIbLb1EES1A_EEDaS15_S16_EUlS15_E_NS1_11comp_targetILNS1_3genE0ELNS1_11target_archE4294967295ELNS1_3gpuE0ELNS1_3repE0EEENS1_30default_config_static_selectorELNS0_4arch9wavefront6targetE1EEEvT1_.num_named_barrier, 0
	.set _ZN7rocprim17ROCPRIM_400000_NS6detail17trampoline_kernelINS0_14default_configENS1_25partition_config_selectorILNS1_17partition_subalgoE8EtNS0_10empty_typeEbEEZZNS1_14partition_implILS5_8ELb0ES3_jN6thrust23THRUST_200600_302600_NS6detail15normal_iteratorINSA_10device_ptrItEEEEPS6_PKS6_NS0_5tupleIJSF_S6_EEENSJ_IJSG_SG_EEENS0_18inequality_wrapperI22is_equal_div_10_uniqueItEEEPmJS6_EEE10hipError_tPvRmT3_T4_T5_T6_T7_T9_mT8_P12ihipStream_tbDpT10_ENKUlT_T0_E_clISt17integral_constantIbLb1EES1A_EEDaS15_S16_EUlS15_E_NS1_11comp_targetILNS1_3genE0ELNS1_11target_archE4294967295ELNS1_3gpuE0ELNS1_3repE0EEENS1_30default_config_static_selectorELNS0_4arch9wavefront6targetE1EEEvT1_.private_seg_size, 0
	.set _ZN7rocprim17ROCPRIM_400000_NS6detail17trampoline_kernelINS0_14default_configENS1_25partition_config_selectorILNS1_17partition_subalgoE8EtNS0_10empty_typeEbEEZZNS1_14partition_implILS5_8ELb0ES3_jN6thrust23THRUST_200600_302600_NS6detail15normal_iteratorINSA_10device_ptrItEEEEPS6_PKS6_NS0_5tupleIJSF_S6_EEENSJ_IJSG_SG_EEENS0_18inequality_wrapperI22is_equal_div_10_uniqueItEEEPmJS6_EEE10hipError_tPvRmT3_T4_T5_T6_T7_T9_mT8_P12ihipStream_tbDpT10_ENKUlT_T0_E_clISt17integral_constantIbLb1EES1A_EEDaS15_S16_EUlS15_E_NS1_11comp_targetILNS1_3genE0ELNS1_11target_archE4294967295ELNS1_3gpuE0ELNS1_3repE0EEENS1_30default_config_static_selectorELNS0_4arch9wavefront6targetE1EEEvT1_.uses_vcc, 0
	.set _ZN7rocprim17ROCPRIM_400000_NS6detail17trampoline_kernelINS0_14default_configENS1_25partition_config_selectorILNS1_17partition_subalgoE8EtNS0_10empty_typeEbEEZZNS1_14partition_implILS5_8ELb0ES3_jN6thrust23THRUST_200600_302600_NS6detail15normal_iteratorINSA_10device_ptrItEEEEPS6_PKS6_NS0_5tupleIJSF_S6_EEENSJ_IJSG_SG_EEENS0_18inequality_wrapperI22is_equal_div_10_uniqueItEEEPmJS6_EEE10hipError_tPvRmT3_T4_T5_T6_T7_T9_mT8_P12ihipStream_tbDpT10_ENKUlT_T0_E_clISt17integral_constantIbLb1EES1A_EEDaS15_S16_EUlS15_E_NS1_11comp_targetILNS1_3genE0ELNS1_11target_archE4294967295ELNS1_3gpuE0ELNS1_3repE0EEENS1_30default_config_static_selectorELNS0_4arch9wavefront6targetE1EEEvT1_.uses_flat_scratch, 0
	.set _ZN7rocprim17ROCPRIM_400000_NS6detail17trampoline_kernelINS0_14default_configENS1_25partition_config_selectorILNS1_17partition_subalgoE8EtNS0_10empty_typeEbEEZZNS1_14partition_implILS5_8ELb0ES3_jN6thrust23THRUST_200600_302600_NS6detail15normal_iteratorINSA_10device_ptrItEEEEPS6_PKS6_NS0_5tupleIJSF_S6_EEENSJ_IJSG_SG_EEENS0_18inequality_wrapperI22is_equal_div_10_uniqueItEEEPmJS6_EEE10hipError_tPvRmT3_T4_T5_T6_T7_T9_mT8_P12ihipStream_tbDpT10_ENKUlT_T0_E_clISt17integral_constantIbLb1EES1A_EEDaS15_S16_EUlS15_E_NS1_11comp_targetILNS1_3genE0ELNS1_11target_archE4294967295ELNS1_3gpuE0ELNS1_3repE0EEENS1_30default_config_static_selectorELNS0_4arch9wavefront6targetE1EEEvT1_.has_dyn_sized_stack, 0
	.set _ZN7rocprim17ROCPRIM_400000_NS6detail17trampoline_kernelINS0_14default_configENS1_25partition_config_selectorILNS1_17partition_subalgoE8EtNS0_10empty_typeEbEEZZNS1_14partition_implILS5_8ELb0ES3_jN6thrust23THRUST_200600_302600_NS6detail15normal_iteratorINSA_10device_ptrItEEEEPS6_PKS6_NS0_5tupleIJSF_S6_EEENSJ_IJSG_SG_EEENS0_18inequality_wrapperI22is_equal_div_10_uniqueItEEEPmJS6_EEE10hipError_tPvRmT3_T4_T5_T6_T7_T9_mT8_P12ihipStream_tbDpT10_ENKUlT_T0_E_clISt17integral_constantIbLb1EES1A_EEDaS15_S16_EUlS15_E_NS1_11comp_targetILNS1_3genE0ELNS1_11target_archE4294967295ELNS1_3gpuE0ELNS1_3repE0EEENS1_30default_config_static_selectorELNS0_4arch9wavefront6targetE1EEEvT1_.has_recursion, 0
	.set _ZN7rocprim17ROCPRIM_400000_NS6detail17trampoline_kernelINS0_14default_configENS1_25partition_config_selectorILNS1_17partition_subalgoE8EtNS0_10empty_typeEbEEZZNS1_14partition_implILS5_8ELb0ES3_jN6thrust23THRUST_200600_302600_NS6detail15normal_iteratorINSA_10device_ptrItEEEEPS6_PKS6_NS0_5tupleIJSF_S6_EEENSJ_IJSG_SG_EEENS0_18inequality_wrapperI22is_equal_div_10_uniqueItEEEPmJS6_EEE10hipError_tPvRmT3_T4_T5_T6_T7_T9_mT8_P12ihipStream_tbDpT10_ENKUlT_T0_E_clISt17integral_constantIbLb1EES1A_EEDaS15_S16_EUlS15_E_NS1_11comp_targetILNS1_3genE0ELNS1_11target_archE4294967295ELNS1_3gpuE0ELNS1_3repE0EEENS1_30default_config_static_selectorELNS0_4arch9wavefront6targetE1EEEvT1_.has_indirect_call, 0
	.section	.AMDGPU.csdata,"",@progbits
; Kernel info:
; codeLenInByte = 0
; TotalNumSgprs: 4
; NumVgprs: 0
; ScratchSize: 0
; MemoryBound: 0
; FloatMode: 240
; IeeeMode: 1
; LDSByteSize: 0 bytes/workgroup (compile time only)
; SGPRBlocks: 0
; VGPRBlocks: 0
; NumSGPRsForWavesPerEU: 4
; NumVGPRsForWavesPerEU: 1
; Occupancy: 10
; WaveLimiterHint : 0
; COMPUTE_PGM_RSRC2:SCRATCH_EN: 0
; COMPUTE_PGM_RSRC2:USER_SGPR: 6
; COMPUTE_PGM_RSRC2:TRAP_HANDLER: 0
; COMPUTE_PGM_RSRC2:TGID_X_EN: 1
; COMPUTE_PGM_RSRC2:TGID_Y_EN: 0
; COMPUTE_PGM_RSRC2:TGID_Z_EN: 0
; COMPUTE_PGM_RSRC2:TIDIG_COMP_CNT: 0
	.section	.text._ZN7rocprim17ROCPRIM_400000_NS6detail17trampoline_kernelINS0_14default_configENS1_25partition_config_selectorILNS1_17partition_subalgoE8EtNS0_10empty_typeEbEEZZNS1_14partition_implILS5_8ELb0ES3_jN6thrust23THRUST_200600_302600_NS6detail15normal_iteratorINSA_10device_ptrItEEEEPS6_PKS6_NS0_5tupleIJSF_S6_EEENSJ_IJSG_SG_EEENS0_18inequality_wrapperI22is_equal_div_10_uniqueItEEEPmJS6_EEE10hipError_tPvRmT3_T4_T5_T6_T7_T9_mT8_P12ihipStream_tbDpT10_ENKUlT_T0_E_clISt17integral_constantIbLb1EES1A_EEDaS15_S16_EUlS15_E_NS1_11comp_targetILNS1_3genE5ELNS1_11target_archE942ELNS1_3gpuE9ELNS1_3repE0EEENS1_30default_config_static_selectorELNS0_4arch9wavefront6targetE1EEEvT1_,"axG",@progbits,_ZN7rocprim17ROCPRIM_400000_NS6detail17trampoline_kernelINS0_14default_configENS1_25partition_config_selectorILNS1_17partition_subalgoE8EtNS0_10empty_typeEbEEZZNS1_14partition_implILS5_8ELb0ES3_jN6thrust23THRUST_200600_302600_NS6detail15normal_iteratorINSA_10device_ptrItEEEEPS6_PKS6_NS0_5tupleIJSF_S6_EEENSJ_IJSG_SG_EEENS0_18inequality_wrapperI22is_equal_div_10_uniqueItEEEPmJS6_EEE10hipError_tPvRmT3_T4_T5_T6_T7_T9_mT8_P12ihipStream_tbDpT10_ENKUlT_T0_E_clISt17integral_constantIbLb1EES1A_EEDaS15_S16_EUlS15_E_NS1_11comp_targetILNS1_3genE5ELNS1_11target_archE942ELNS1_3gpuE9ELNS1_3repE0EEENS1_30default_config_static_selectorELNS0_4arch9wavefront6targetE1EEEvT1_,comdat
	.protected	_ZN7rocprim17ROCPRIM_400000_NS6detail17trampoline_kernelINS0_14default_configENS1_25partition_config_selectorILNS1_17partition_subalgoE8EtNS0_10empty_typeEbEEZZNS1_14partition_implILS5_8ELb0ES3_jN6thrust23THRUST_200600_302600_NS6detail15normal_iteratorINSA_10device_ptrItEEEEPS6_PKS6_NS0_5tupleIJSF_S6_EEENSJ_IJSG_SG_EEENS0_18inequality_wrapperI22is_equal_div_10_uniqueItEEEPmJS6_EEE10hipError_tPvRmT3_T4_T5_T6_T7_T9_mT8_P12ihipStream_tbDpT10_ENKUlT_T0_E_clISt17integral_constantIbLb1EES1A_EEDaS15_S16_EUlS15_E_NS1_11comp_targetILNS1_3genE5ELNS1_11target_archE942ELNS1_3gpuE9ELNS1_3repE0EEENS1_30default_config_static_selectorELNS0_4arch9wavefront6targetE1EEEvT1_ ; -- Begin function _ZN7rocprim17ROCPRIM_400000_NS6detail17trampoline_kernelINS0_14default_configENS1_25partition_config_selectorILNS1_17partition_subalgoE8EtNS0_10empty_typeEbEEZZNS1_14partition_implILS5_8ELb0ES3_jN6thrust23THRUST_200600_302600_NS6detail15normal_iteratorINSA_10device_ptrItEEEEPS6_PKS6_NS0_5tupleIJSF_S6_EEENSJ_IJSG_SG_EEENS0_18inequality_wrapperI22is_equal_div_10_uniqueItEEEPmJS6_EEE10hipError_tPvRmT3_T4_T5_T6_T7_T9_mT8_P12ihipStream_tbDpT10_ENKUlT_T0_E_clISt17integral_constantIbLb1EES1A_EEDaS15_S16_EUlS15_E_NS1_11comp_targetILNS1_3genE5ELNS1_11target_archE942ELNS1_3gpuE9ELNS1_3repE0EEENS1_30default_config_static_selectorELNS0_4arch9wavefront6targetE1EEEvT1_
	.globl	_ZN7rocprim17ROCPRIM_400000_NS6detail17trampoline_kernelINS0_14default_configENS1_25partition_config_selectorILNS1_17partition_subalgoE8EtNS0_10empty_typeEbEEZZNS1_14partition_implILS5_8ELb0ES3_jN6thrust23THRUST_200600_302600_NS6detail15normal_iteratorINSA_10device_ptrItEEEEPS6_PKS6_NS0_5tupleIJSF_S6_EEENSJ_IJSG_SG_EEENS0_18inequality_wrapperI22is_equal_div_10_uniqueItEEEPmJS6_EEE10hipError_tPvRmT3_T4_T5_T6_T7_T9_mT8_P12ihipStream_tbDpT10_ENKUlT_T0_E_clISt17integral_constantIbLb1EES1A_EEDaS15_S16_EUlS15_E_NS1_11comp_targetILNS1_3genE5ELNS1_11target_archE942ELNS1_3gpuE9ELNS1_3repE0EEENS1_30default_config_static_selectorELNS0_4arch9wavefront6targetE1EEEvT1_
	.p2align	8
	.type	_ZN7rocprim17ROCPRIM_400000_NS6detail17trampoline_kernelINS0_14default_configENS1_25partition_config_selectorILNS1_17partition_subalgoE8EtNS0_10empty_typeEbEEZZNS1_14partition_implILS5_8ELb0ES3_jN6thrust23THRUST_200600_302600_NS6detail15normal_iteratorINSA_10device_ptrItEEEEPS6_PKS6_NS0_5tupleIJSF_S6_EEENSJ_IJSG_SG_EEENS0_18inequality_wrapperI22is_equal_div_10_uniqueItEEEPmJS6_EEE10hipError_tPvRmT3_T4_T5_T6_T7_T9_mT8_P12ihipStream_tbDpT10_ENKUlT_T0_E_clISt17integral_constantIbLb1EES1A_EEDaS15_S16_EUlS15_E_NS1_11comp_targetILNS1_3genE5ELNS1_11target_archE942ELNS1_3gpuE9ELNS1_3repE0EEENS1_30default_config_static_selectorELNS0_4arch9wavefront6targetE1EEEvT1_,@function
_ZN7rocprim17ROCPRIM_400000_NS6detail17trampoline_kernelINS0_14default_configENS1_25partition_config_selectorILNS1_17partition_subalgoE8EtNS0_10empty_typeEbEEZZNS1_14partition_implILS5_8ELb0ES3_jN6thrust23THRUST_200600_302600_NS6detail15normal_iteratorINSA_10device_ptrItEEEEPS6_PKS6_NS0_5tupleIJSF_S6_EEENSJ_IJSG_SG_EEENS0_18inequality_wrapperI22is_equal_div_10_uniqueItEEEPmJS6_EEE10hipError_tPvRmT3_T4_T5_T6_T7_T9_mT8_P12ihipStream_tbDpT10_ENKUlT_T0_E_clISt17integral_constantIbLb1EES1A_EEDaS15_S16_EUlS15_E_NS1_11comp_targetILNS1_3genE5ELNS1_11target_archE942ELNS1_3gpuE9ELNS1_3repE0EEENS1_30default_config_static_selectorELNS0_4arch9wavefront6targetE1EEEvT1_: ; @_ZN7rocprim17ROCPRIM_400000_NS6detail17trampoline_kernelINS0_14default_configENS1_25partition_config_selectorILNS1_17partition_subalgoE8EtNS0_10empty_typeEbEEZZNS1_14partition_implILS5_8ELb0ES3_jN6thrust23THRUST_200600_302600_NS6detail15normal_iteratorINSA_10device_ptrItEEEEPS6_PKS6_NS0_5tupleIJSF_S6_EEENSJ_IJSG_SG_EEENS0_18inequality_wrapperI22is_equal_div_10_uniqueItEEEPmJS6_EEE10hipError_tPvRmT3_T4_T5_T6_T7_T9_mT8_P12ihipStream_tbDpT10_ENKUlT_T0_E_clISt17integral_constantIbLb1EES1A_EEDaS15_S16_EUlS15_E_NS1_11comp_targetILNS1_3genE5ELNS1_11target_archE942ELNS1_3gpuE9ELNS1_3repE0EEENS1_30default_config_static_selectorELNS0_4arch9wavefront6targetE1EEEvT1_
; %bb.0:
	.section	.rodata,"a",@progbits
	.p2align	6, 0x0
	.amdhsa_kernel _ZN7rocprim17ROCPRIM_400000_NS6detail17trampoline_kernelINS0_14default_configENS1_25partition_config_selectorILNS1_17partition_subalgoE8EtNS0_10empty_typeEbEEZZNS1_14partition_implILS5_8ELb0ES3_jN6thrust23THRUST_200600_302600_NS6detail15normal_iteratorINSA_10device_ptrItEEEEPS6_PKS6_NS0_5tupleIJSF_S6_EEENSJ_IJSG_SG_EEENS0_18inequality_wrapperI22is_equal_div_10_uniqueItEEEPmJS6_EEE10hipError_tPvRmT3_T4_T5_T6_T7_T9_mT8_P12ihipStream_tbDpT10_ENKUlT_T0_E_clISt17integral_constantIbLb1EES1A_EEDaS15_S16_EUlS15_E_NS1_11comp_targetILNS1_3genE5ELNS1_11target_archE942ELNS1_3gpuE9ELNS1_3repE0EEENS1_30default_config_static_selectorELNS0_4arch9wavefront6targetE1EEEvT1_
		.amdhsa_group_segment_fixed_size 0
		.amdhsa_private_segment_fixed_size 0
		.amdhsa_kernarg_size 128
		.amdhsa_user_sgpr_count 6
		.amdhsa_user_sgpr_private_segment_buffer 1
		.amdhsa_user_sgpr_dispatch_ptr 0
		.amdhsa_user_sgpr_queue_ptr 0
		.amdhsa_user_sgpr_kernarg_segment_ptr 1
		.amdhsa_user_sgpr_dispatch_id 0
		.amdhsa_user_sgpr_flat_scratch_init 0
		.amdhsa_user_sgpr_private_segment_size 0
		.amdhsa_uses_dynamic_stack 0
		.amdhsa_system_sgpr_private_segment_wavefront_offset 0
		.amdhsa_system_sgpr_workgroup_id_x 1
		.amdhsa_system_sgpr_workgroup_id_y 0
		.amdhsa_system_sgpr_workgroup_id_z 0
		.amdhsa_system_sgpr_workgroup_info 0
		.amdhsa_system_vgpr_workitem_id 0
		.amdhsa_next_free_vgpr 1
		.amdhsa_next_free_sgpr 0
		.amdhsa_reserve_vcc 0
		.amdhsa_reserve_flat_scratch 0
		.amdhsa_float_round_mode_32 0
		.amdhsa_float_round_mode_16_64 0
		.amdhsa_float_denorm_mode_32 3
		.amdhsa_float_denorm_mode_16_64 3
		.amdhsa_dx10_clamp 1
		.amdhsa_ieee_mode 1
		.amdhsa_fp16_overflow 0
		.amdhsa_exception_fp_ieee_invalid_op 0
		.amdhsa_exception_fp_denorm_src 0
		.amdhsa_exception_fp_ieee_div_zero 0
		.amdhsa_exception_fp_ieee_overflow 0
		.amdhsa_exception_fp_ieee_underflow 0
		.amdhsa_exception_fp_ieee_inexact 0
		.amdhsa_exception_int_div_zero 0
	.end_amdhsa_kernel
	.section	.text._ZN7rocprim17ROCPRIM_400000_NS6detail17trampoline_kernelINS0_14default_configENS1_25partition_config_selectorILNS1_17partition_subalgoE8EtNS0_10empty_typeEbEEZZNS1_14partition_implILS5_8ELb0ES3_jN6thrust23THRUST_200600_302600_NS6detail15normal_iteratorINSA_10device_ptrItEEEEPS6_PKS6_NS0_5tupleIJSF_S6_EEENSJ_IJSG_SG_EEENS0_18inequality_wrapperI22is_equal_div_10_uniqueItEEEPmJS6_EEE10hipError_tPvRmT3_T4_T5_T6_T7_T9_mT8_P12ihipStream_tbDpT10_ENKUlT_T0_E_clISt17integral_constantIbLb1EES1A_EEDaS15_S16_EUlS15_E_NS1_11comp_targetILNS1_3genE5ELNS1_11target_archE942ELNS1_3gpuE9ELNS1_3repE0EEENS1_30default_config_static_selectorELNS0_4arch9wavefront6targetE1EEEvT1_,"axG",@progbits,_ZN7rocprim17ROCPRIM_400000_NS6detail17trampoline_kernelINS0_14default_configENS1_25partition_config_selectorILNS1_17partition_subalgoE8EtNS0_10empty_typeEbEEZZNS1_14partition_implILS5_8ELb0ES3_jN6thrust23THRUST_200600_302600_NS6detail15normal_iteratorINSA_10device_ptrItEEEEPS6_PKS6_NS0_5tupleIJSF_S6_EEENSJ_IJSG_SG_EEENS0_18inequality_wrapperI22is_equal_div_10_uniqueItEEEPmJS6_EEE10hipError_tPvRmT3_T4_T5_T6_T7_T9_mT8_P12ihipStream_tbDpT10_ENKUlT_T0_E_clISt17integral_constantIbLb1EES1A_EEDaS15_S16_EUlS15_E_NS1_11comp_targetILNS1_3genE5ELNS1_11target_archE942ELNS1_3gpuE9ELNS1_3repE0EEENS1_30default_config_static_selectorELNS0_4arch9wavefront6targetE1EEEvT1_,comdat
.Lfunc_end316:
	.size	_ZN7rocprim17ROCPRIM_400000_NS6detail17trampoline_kernelINS0_14default_configENS1_25partition_config_selectorILNS1_17partition_subalgoE8EtNS0_10empty_typeEbEEZZNS1_14partition_implILS5_8ELb0ES3_jN6thrust23THRUST_200600_302600_NS6detail15normal_iteratorINSA_10device_ptrItEEEEPS6_PKS6_NS0_5tupleIJSF_S6_EEENSJ_IJSG_SG_EEENS0_18inequality_wrapperI22is_equal_div_10_uniqueItEEEPmJS6_EEE10hipError_tPvRmT3_T4_T5_T6_T7_T9_mT8_P12ihipStream_tbDpT10_ENKUlT_T0_E_clISt17integral_constantIbLb1EES1A_EEDaS15_S16_EUlS15_E_NS1_11comp_targetILNS1_3genE5ELNS1_11target_archE942ELNS1_3gpuE9ELNS1_3repE0EEENS1_30default_config_static_selectorELNS0_4arch9wavefront6targetE1EEEvT1_, .Lfunc_end316-_ZN7rocprim17ROCPRIM_400000_NS6detail17trampoline_kernelINS0_14default_configENS1_25partition_config_selectorILNS1_17partition_subalgoE8EtNS0_10empty_typeEbEEZZNS1_14partition_implILS5_8ELb0ES3_jN6thrust23THRUST_200600_302600_NS6detail15normal_iteratorINSA_10device_ptrItEEEEPS6_PKS6_NS0_5tupleIJSF_S6_EEENSJ_IJSG_SG_EEENS0_18inequality_wrapperI22is_equal_div_10_uniqueItEEEPmJS6_EEE10hipError_tPvRmT3_T4_T5_T6_T7_T9_mT8_P12ihipStream_tbDpT10_ENKUlT_T0_E_clISt17integral_constantIbLb1EES1A_EEDaS15_S16_EUlS15_E_NS1_11comp_targetILNS1_3genE5ELNS1_11target_archE942ELNS1_3gpuE9ELNS1_3repE0EEENS1_30default_config_static_selectorELNS0_4arch9wavefront6targetE1EEEvT1_
                                        ; -- End function
	.set _ZN7rocprim17ROCPRIM_400000_NS6detail17trampoline_kernelINS0_14default_configENS1_25partition_config_selectorILNS1_17partition_subalgoE8EtNS0_10empty_typeEbEEZZNS1_14partition_implILS5_8ELb0ES3_jN6thrust23THRUST_200600_302600_NS6detail15normal_iteratorINSA_10device_ptrItEEEEPS6_PKS6_NS0_5tupleIJSF_S6_EEENSJ_IJSG_SG_EEENS0_18inequality_wrapperI22is_equal_div_10_uniqueItEEEPmJS6_EEE10hipError_tPvRmT3_T4_T5_T6_T7_T9_mT8_P12ihipStream_tbDpT10_ENKUlT_T0_E_clISt17integral_constantIbLb1EES1A_EEDaS15_S16_EUlS15_E_NS1_11comp_targetILNS1_3genE5ELNS1_11target_archE942ELNS1_3gpuE9ELNS1_3repE0EEENS1_30default_config_static_selectorELNS0_4arch9wavefront6targetE1EEEvT1_.num_vgpr, 0
	.set _ZN7rocprim17ROCPRIM_400000_NS6detail17trampoline_kernelINS0_14default_configENS1_25partition_config_selectorILNS1_17partition_subalgoE8EtNS0_10empty_typeEbEEZZNS1_14partition_implILS5_8ELb0ES3_jN6thrust23THRUST_200600_302600_NS6detail15normal_iteratorINSA_10device_ptrItEEEEPS6_PKS6_NS0_5tupleIJSF_S6_EEENSJ_IJSG_SG_EEENS0_18inequality_wrapperI22is_equal_div_10_uniqueItEEEPmJS6_EEE10hipError_tPvRmT3_T4_T5_T6_T7_T9_mT8_P12ihipStream_tbDpT10_ENKUlT_T0_E_clISt17integral_constantIbLb1EES1A_EEDaS15_S16_EUlS15_E_NS1_11comp_targetILNS1_3genE5ELNS1_11target_archE942ELNS1_3gpuE9ELNS1_3repE0EEENS1_30default_config_static_selectorELNS0_4arch9wavefront6targetE1EEEvT1_.num_agpr, 0
	.set _ZN7rocprim17ROCPRIM_400000_NS6detail17trampoline_kernelINS0_14default_configENS1_25partition_config_selectorILNS1_17partition_subalgoE8EtNS0_10empty_typeEbEEZZNS1_14partition_implILS5_8ELb0ES3_jN6thrust23THRUST_200600_302600_NS6detail15normal_iteratorINSA_10device_ptrItEEEEPS6_PKS6_NS0_5tupleIJSF_S6_EEENSJ_IJSG_SG_EEENS0_18inequality_wrapperI22is_equal_div_10_uniqueItEEEPmJS6_EEE10hipError_tPvRmT3_T4_T5_T6_T7_T9_mT8_P12ihipStream_tbDpT10_ENKUlT_T0_E_clISt17integral_constantIbLb1EES1A_EEDaS15_S16_EUlS15_E_NS1_11comp_targetILNS1_3genE5ELNS1_11target_archE942ELNS1_3gpuE9ELNS1_3repE0EEENS1_30default_config_static_selectorELNS0_4arch9wavefront6targetE1EEEvT1_.numbered_sgpr, 0
	.set _ZN7rocprim17ROCPRIM_400000_NS6detail17trampoline_kernelINS0_14default_configENS1_25partition_config_selectorILNS1_17partition_subalgoE8EtNS0_10empty_typeEbEEZZNS1_14partition_implILS5_8ELb0ES3_jN6thrust23THRUST_200600_302600_NS6detail15normal_iteratorINSA_10device_ptrItEEEEPS6_PKS6_NS0_5tupleIJSF_S6_EEENSJ_IJSG_SG_EEENS0_18inequality_wrapperI22is_equal_div_10_uniqueItEEEPmJS6_EEE10hipError_tPvRmT3_T4_T5_T6_T7_T9_mT8_P12ihipStream_tbDpT10_ENKUlT_T0_E_clISt17integral_constantIbLb1EES1A_EEDaS15_S16_EUlS15_E_NS1_11comp_targetILNS1_3genE5ELNS1_11target_archE942ELNS1_3gpuE9ELNS1_3repE0EEENS1_30default_config_static_selectorELNS0_4arch9wavefront6targetE1EEEvT1_.num_named_barrier, 0
	.set _ZN7rocprim17ROCPRIM_400000_NS6detail17trampoline_kernelINS0_14default_configENS1_25partition_config_selectorILNS1_17partition_subalgoE8EtNS0_10empty_typeEbEEZZNS1_14partition_implILS5_8ELb0ES3_jN6thrust23THRUST_200600_302600_NS6detail15normal_iteratorINSA_10device_ptrItEEEEPS6_PKS6_NS0_5tupleIJSF_S6_EEENSJ_IJSG_SG_EEENS0_18inequality_wrapperI22is_equal_div_10_uniqueItEEEPmJS6_EEE10hipError_tPvRmT3_T4_T5_T6_T7_T9_mT8_P12ihipStream_tbDpT10_ENKUlT_T0_E_clISt17integral_constantIbLb1EES1A_EEDaS15_S16_EUlS15_E_NS1_11comp_targetILNS1_3genE5ELNS1_11target_archE942ELNS1_3gpuE9ELNS1_3repE0EEENS1_30default_config_static_selectorELNS0_4arch9wavefront6targetE1EEEvT1_.private_seg_size, 0
	.set _ZN7rocprim17ROCPRIM_400000_NS6detail17trampoline_kernelINS0_14default_configENS1_25partition_config_selectorILNS1_17partition_subalgoE8EtNS0_10empty_typeEbEEZZNS1_14partition_implILS5_8ELb0ES3_jN6thrust23THRUST_200600_302600_NS6detail15normal_iteratorINSA_10device_ptrItEEEEPS6_PKS6_NS0_5tupleIJSF_S6_EEENSJ_IJSG_SG_EEENS0_18inequality_wrapperI22is_equal_div_10_uniqueItEEEPmJS6_EEE10hipError_tPvRmT3_T4_T5_T6_T7_T9_mT8_P12ihipStream_tbDpT10_ENKUlT_T0_E_clISt17integral_constantIbLb1EES1A_EEDaS15_S16_EUlS15_E_NS1_11comp_targetILNS1_3genE5ELNS1_11target_archE942ELNS1_3gpuE9ELNS1_3repE0EEENS1_30default_config_static_selectorELNS0_4arch9wavefront6targetE1EEEvT1_.uses_vcc, 0
	.set _ZN7rocprim17ROCPRIM_400000_NS6detail17trampoline_kernelINS0_14default_configENS1_25partition_config_selectorILNS1_17partition_subalgoE8EtNS0_10empty_typeEbEEZZNS1_14partition_implILS5_8ELb0ES3_jN6thrust23THRUST_200600_302600_NS6detail15normal_iteratorINSA_10device_ptrItEEEEPS6_PKS6_NS0_5tupleIJSF_S6_EEENSJ_IJSG_SG_EEENS0_18inequality_wrapperI22is_equal_div_10_uniqueItEEEPmJS6_EEE10hipError_tPvRmT3_T4_T5_T6_T7_T9_mT8_P12ihipStream_tbDpT10_ENKUlT_T0_E_clISt17integral_constantIbLb1EES1A_EEDaS15_S16_EUlS15_E_NS1_11comp_targetILNS1_3genE5ELNS1_11target_archE942ELNS1_3gpuE9ELNS1_3repE0EEENS1_30default_config_static_selectorELNS0_4arch9wavefront6targetE1EEEvT1_.uses_flat_scratch, 0
	.set _ZN7rocprim17ROCPRIM_400000_NS6detail17trampoline_kernelINS0_14default_configENS1_25partition_config_selectorILNS1_17partition_subalgoE8EtNS0_10empty_typeEbEEZZNS1_14partition_implILS5_8ELb0ES3_jN6thrust23THRUST_200600_302600_NS6detail15normal_iteratorINSA_10device_ptrItEEEEPS6_PKS6_NS0_5tupleIJSF_S6_EEENSJ_IJSG_SG_EEENS0_18inequality_wrapperI22is_equal_div_10_uniqueItEEEPmJS6_EEE10hipError_tPvRmT3_T4_T5_T6_T7_T9_mT8_P12ihipStream_tbDpT10_ENKUlT_T0_E_clISt17integral_constantIbLb1EES1A_EEDaS15_S16_EUlS15_E_NS1_11comp_targetILNS1_3genE5ELNS1_11target_archE942ELNS1_3gpuE9ELNS1_3repE0EEENS1_30default_config_static_selectorELNS0_4arch9wavefront6targetE1EEEvT1_.has_dyn_sized_stack, 0
	.set _ZN7rocprim17ROCPRIM_400000_NS6detail17trampoline_kernelINS0_14default_configENS1_25partition_config_selectorILNS1_17partition_subalgoE8EtNS0_10empty_typeEbEEZZNS1_14partition_implILS5_8ELb0ES3_jN6thrust23THRUST_200600_302600_NS6detail15normal_iteratorINSA_10device_ptrItEEEEPS6_PKS6_NS0_5tupleIJSF_S6_EEENSJ_IJSG_SG_EEENS0_18inequality_wrapperI22is_equal_div_10_uniqueItEEEPmJS6_EEE10hipError_tPvRmT3_T4_T5_T6_T7_T9_mT8_P12ihipStream_tbDpT10_ENKUlT_T0_E_clISt17integral_constantIbLb1EES1A_EEDaS15_S16_EUlS15_E_NS1_11comp_targetILNS1_3genE5ELNS1_11target_archE942ELNS1_3gpuE9ELNS1_3repE0EEENS1_30default_config_static_selectorELNS0_4arch9wavefront6targetE1EEEvT1_.has_recursion, 0
	.set _ZN7rocprim17ROCPRIM_400000_NS6detail17trampoline_kernelINS0_14default_configENS1_25partition_config_selectorILNS1_17partition_subalgoE8EtNS0_10empty_typeEbEEZZNS1_14partition_implILS5_8ELb0ES3_jN6thrust23THRUST_200600_302600_NS6detail15normal_iteratorINSA_10device_ptrItEEEEPS6_PKS6_NS0_5tupleIJSF_S6_EEENSJ_IJSG_SG_EEENS0_18inequality_wrapperI22is_equal_div_10_uniqueItEEEPmJS6_EEE10hipError_tPvRmT3_T4_T5_T6_T7_T9_mT8_P12ihipStream_tbDpT10_ENKUlT_T0_E_clISt17integral_constantIbLb1EES1A_EEDaS15_S16_EUlS15_E_NS1_11comp_targetILNS1_3genE5ELNS1_11target_archE942ELNS1_3gpuE9ELNS1_3repE0EEENS1_30default_config_static_selectorELNS0_4arch9wavefront6targetE1EEEvT1_.has_indirect_call, 0
	.section	.AMDGPU.csdata,"",@progbits
; Kernel info:
; codeLenInByte = 0
; TotalNumSgprs: 4
; NumVgprs: 0
; ScratchSize: 0
; MemoryBound: 0
; FloatMode: 240
; IeeeMode: 1
; LDSByteSize: 0 bytes/workgroup (compile time only)
; SGPRBlocks: 0
; VGPRBlocks: 0
; NumSGPRsForWavesPerEU: 4
; NumVGPRsForWavesPerEU: 1
; Occupancy: 10
; WaveLimiterHint : 0
; COMPUTE_PGM_RSRC2:SCRATCH_EN: 0
; COMPUTE_PGM_RSRC2:USER_SGPR: 6
; COMPUTE_PGM_RSRC2:TRAP_HANDLER: 0
; COMPUTE_PGM_RSRC2:TGID_X_EN: 1
; COMPUTE_PGM_RSRC2:TGID_Y_EN: 0
; COMPUTE_PGM_RSRC2:TGID_Z_EN: 0
; COMPUTE_PGM_RSRC2:TIDIG_COMP_CNT: 0
	.section	.text._ZN7rocprim17ROCPRIM_400000_NS6detail17trampoline_kernelINS0_14default_configENS1_25partition_config_selectorILNS1_17partition_subalgoE8EtNS0_10empty_typeEbEEZZNS1_14partition_implILS5_8ELb0ES3_jN6thrust23THRUST_200600_302600_NS6detail15normal_iteratorINSA_10device_ptrItEEEEPS6_PKS6_NS0_5tupleIJSF_S6_EEENSJ_IJSG_SG_EEENS0_18inequality_wrapperI22is_equal_div_10_uniqueItEEEPmJS6_EEE10hipError_tPvRmT3_T4_T5_T6_T7_T9_mT8_P12ihipStream_tbDpT10_ENKUlT_T0_E_clISt17integral_constantIbLb1EES1A_EEDaS15_S16_EUlS15_E_NS1_11comp_targetILNS1_3genE4ELNS1_11target_archE910ELNS1_3gpuE8ELNS1_3repE0EEENS1_30default_config_static_selectorELNS0_4arch9wavefront6targetE1EEEvT1_,"axG",@progbits,_ZN7rocprim17ROCPRIM_400000_NS6detail17trampoline_kernelINS0_14default_configENS1_25partition_config_selectorILNS1_17partition_subalgoE8EtNS0_10empty_typeEbEEZZNS1_14partition_implILS5_8ELb0ES3_jN6thrust23THRUST_200600_302600_NS6detail15normal_iteratorINSA_10device_ptrItEEEEPS6_PKS6_NS0_5tupleIJSF_S6_EEENSJ_IJSG_SG_EEENS0_18inequality_wrapperI22is_equal_div_10_uniqueItEEEPmJS6_EEE10hipError_tPvRmT3_T4_T5_T6_T7_T9_mT8_P12ihipStream_tbDpT10_ENKUlT_T0_E_clISt17integral_constantIbLb1EES1A_EEDaS15_S16_EUlS15_E_NS1_11comp_targetILNS1_3genE4ELNS1_11target_archE910ELNS1_3gpuE8ELNS1_3repE0EEENS1_30default_config_static_selectorELNS0_4arch9wavefront6targetE1EEEvT1_,comdat
	.protected	_ZN7rocprim17ROCPRIM_400000_NS6detail17trampoline_kernelINS0_14default_configENS1_25partition_config_selectorILNS1_17partition_subalgoE8EtNS0_10empty_typeEbEEZZNS1_14partition_implILS5_8ELb0ES3_jN6thrust23THRUST_200600_302600_NS6detail15normal_iteratorINSA_10device_ptrItEEEEPS6_PKS6_NS0_5tupleIJSF_S6_EEENSJ_IJSG_SG_EEENS0_18inequality_wrapperI22is_equal_div_10_uniqueItEEEPmJS6_EEE10hipError_tPvRmT3_T4_T5_T6_T7_T9_mT8_P12ihipStream_tbDpT10_ENKUlT_T0_E_clISt17integral_constantIbLb1EES1A_EEDaS15_S16_EUlS15_E_NS1_11comp_targetILNS1_3genE4ELNS1_11target_archE910ELNS1_3gpuE8ELNS1_3repE0EEENS1_30default_config_static_selectorELNS0_4arch9wavefront6targetE1EEEvT1_ ; -- Begin function _ZN7rocprim17ROCPRIM_400000_NS6detail17trampoline_kernelINS0_14default_configENS1_25partition_config_selectorILNS1_17partition_subalgoE8EtNS0_10empty_typeEbEEZZNS1_14partition_implILS5_8ELb0ES3_jN6thrust23THRUST_200600_302600_NS6detail15normal_iteratorINSA_10device_ptrItEEEEPS6_PKS6_NS0_5tupleIJSF_S6_EEENSJ_IJSG_SG_EEENS0_18inequality_wrapperI22is_equal_div_10_uniqueItEEEPmJS6_EEE10hipError_tPvRmT3_T4_T5_T6_T7_T9_mT8_P12ihipStream_tbDpT10_ENKUlT_T0_E_clISt17integral_constantIbLb1EES1A_EEDaS15_S16_EUlS15_E_NS1_11comp_targetILNS1_3genE4ELNS1_11target_archE910ELNS1_3gpuE8ELNS1_3repE0EEENS1_30default_config_static_selectorELNS0_4arch9wavefront6targetE1EEEvT1_
	.globl	_ZN7rocprim17ROCPRIM_400000_NS6detail17trampoline_kernelINS0_14default_configENS1_25partition_config_selectorILNS1_17partition_subalgoE8EtNS0_10empty_typeEbEEZZNS1_14partition_implILS5_8ELb0ES3_jN6thrust23THRUST_200600_302600_NS6detail15normal_iteratorINSA_10device_ptrItEEEEPS6_PKS6_NS0_5tupleIJSF_S6_EEENSJ_IJSG_SG_EEENS0_18inequality_wrapperI22is_equal_div_10_uniqueItEEEPmJS6_EEE10hipError_tPvRmT3_T4_T5_T6_T7_T9_mT8_P12ihipStream_tbDpT10_ENKUlT_T0_E_clISt17integral_constantIbLb1EES1A_EEDaS15_S16_EUlS15_E_NS1_11comp_targetILNS1_3genE4ELNS1_11target_archE910ELNS1_3gpuE8ELNS1_3repE0EEENS1_30default_config_static_selectorELNS0_4arch9wavefront6targetE1EEEvT1_
	.p2align	8
	.type	_ZN7rocprim17ROCPRIM_400000_NS6detail17trampoline_kernelINS0_14default_configENS1_25partition_config_selectorILNS1_17partition_subalgoE8EtNS0_10empty_typeEbEEZZNS1_14partition_implILS5_8ELb0ES3_jN6thrust23THRUST_200600_302600_NS6detail15normal_iteratorINSA_10device_ptrItEEEEPS6_PKS6_NS0_5tupleIJSF_S6_EEENSJ_IJSG_SG_EEENS0_18inequality_wrapperI22is_equal_div_10_uniqueItEEEPmJS6_EEE10hipError_tPvRmT3_T4_T5_T6_T7_T9_mT8_P12ihipStream_tbDpT10_ENKUlT_T0_E_clISt17integral_constantIbLb1EES1A_EEDaS15_S16_EUlS15_E_NS1_11comp_targetILNS1_3genE4ELNS1_11target_archE910ELNS1_3gpuE8ELNS1_3repE0EEENS1_30default_config_static_selectorELNS0_4arch9wavefront6targetE1EEEvT1_,@function
_ZN7rocprim17ROCPRIM_400000_NS6detail17trampoline_kernelINS0_14default_configENS1_25partition_config_selectorILNS1_17partition_subalgoE8EtNS0_10empty_typeEbEEZZNS1_14partition_implILS5_8ELb0ES3_jN6thrust23THRUST_200600_302600_NS6detail15normal_iteratorINSA_10device_ptrItEEEEPS6_PKS6_NS0_5tupleIJSF_S6_EEENSJ_IJSG_SG_EEENS0_18inequality_wrapperI22is_equal_div_10_uniqueItEEEPmJS6_EEE10hipError_tPvRmT3_T4_T5_T6_T7_T9_mT8_P12ihipStream_tbDpT10_ENKUlT_T0_E_clISt17integral_constantIbLb1EES1A_EEDaS15_S16_EUlS15_E_NS1_11comp_targetILNS1_3genE4ELNS1_11target_archE910ELNS1_3gpuE8ELNS1_3repE0EEENS1_30default_config_static_selectorELNS0_4arch9wavefront6targetE1EEEvT1_: ; @_ZN7rocprim17ROCPRIM_400000_NS6detail17trampoline_kernelINS0_14default_configENS1_25partition_config_selectorILNS1_17partition_subalgoE8EtNS0_10empty_typeEbEEZZNS1_14partition_implILS5_8ELb0ES3_jN6thrust23THRUST_200600_302600_NS6detail15normal_iteratorINSA_10device_ptrItEEEEPS6_PKS6_NS0_5tupleIJSF_S6_EEENSJ_IJSG_SG_EEENS0_18inequality_wrapperI22is_equal_div_10_uniqueItEEEPmJS6_EEE10hipError_tPvRmT3_T4_T5_T6_T7_T9_mT8_P12ihipStream_tbDpT10_ENKUlT_T0_E_clISt17integral_constantIbLb1EES1A_EEDaS15_S16_EUlS15_E_NS1_11comp_targetILNS1_3genE4ELNS1_11target_archE910ELNS1_3gpuE8ELNS1_3repE0EEENS1_30default_config_static_selectorELNS0_4arch9wavefront6targetE1EEEvT1_
; %bb.0:
	.section	.rodata,"a",@progbits
	.p2align	6, 0x0
	.amdhsa_kernel _ZN7rocprim17ROCPRIM_400000_NS6detail17trampoline_kernelINS0_14default_configENS1_25partition_config_selectorILNS1_17partition_subalgoE8EtNS0_10empty_typeEbEEZZNS1_14partition_implILS5_8ELb0ES3_jN6thrust23THRUST_200600_302600_NS6detail15normal_iteratorINSA_10device_ptrItEEEEPS6_PKS6_NS0_5tupleIJSF_S6_EEENSJ_IJSG_SG_EEENS0_18inequality_wrapperI22is_equal_div_10_uniqueItEEEPmJS6_EEE10hipError_tPvRmT3_T4_T5_T6_T7_T9_mT8_P12ihipStream_tbDpT10_ENKUlT_T0_E_clISt17integral_constantIbLb1EES1A_EEDaS15_S16_EUlS15_E_NS1_11comp_targetILNS1_3genE4ELNS1_11target_archE910ELNS1_3gpuE8ELNS1_3repE0EEENS1_30default_config_static_selectorELNS0_4arch9wavefront6targetE1EEEvT1_
		.amdhsa_group_segment_fixed_size 0
		.amdhsa_private_segment_fixed_size 0
		.amdhsa_kernarg_size 128
		.amdhsa_user_sgpr_count 6
		.amdhsa_user_sgpr_private_segment_buffer 1
		.amdhsa_user_sgpr_dispatch_ptr 0
		.amdhsa_user_sgpr_queue_ptr 0
		.amdhsa_user_sgpr_kernarg_segment_ptr 1
		.amdhsa_user_sgpr_dispatch_id 0
		.amdhsa_user_sgpr_flat_scratch_init 0
		.amdhsa_user_sgpr_private_segment_size 0
		.amdhsa_uses_dynamic_stack 0
		.amdhsa_system_sgpr_private_segment_wavefront_offset 0
		.amdhsa_system_sgpr_workgroup_id_x 1
		.amdhsa_system_sgpr_workgroup_id_y 0
		.amdhsa_system_sgpr_workgroup_id_z 0
		.amdhsa_system_sgpr_workgroup_info 0
		.amdhsa_system_vgpr_workitem_id 0
		.amdhsa_next_free_vgpr 1
		.amdhsa_next_free_sgpr 0
		.amdhsa_reserve_vcc 0
		.amdhsa_reserve_flat_scratch 0
		.amdhsa_float_round_mode_32 0
		.amdhsa_float_round_mode_16_64 0
		.amdhsa_float_denorm_mode_32 3
		.amdhsa_float_denorm_mode_16_64 3
		.amdhsa_dx10_clamp 1
		.amdhsa_ieee_mode 1
		.amdhsa_fp16_overflow 0
		.amdhsa_exception_fp_ieee_invalid_op 0
		.amdhsa_exception_fp_denorm_src 0
		.amdhsa_exception_fp_ieee_div_zero 0
		.amdhsa_exception_fp_ieee_overflow 0
		.amdhsa_exception_fp_ieee_underflow 0
		.amdhsa_exception_fp_ieee_inexact 0
		.amdhsa_exception_int_div_zero 0
	.end_amdhsa_kernel
	.section	.text._ZN7rocprim17ROCPRIM_400000_NS6detail17trampoline_kernelINS0_14default_configENS1_25partition_config_selectorILNS1_17partition_subalgoE8EtNS0_10empty_typeEbEEZZNS1_14partition_implILS5_8ELb0ES3_jN6thrust23THRUST_200600_302600_NS6detail15normal_iteratorINSA_10device_ptrItEEEEPS6_PKS6_NS0_5tupleIJSF_S6_EEENSJ_IJSG_SG_EEENS0_18inequality_wrapperI22is_equal_div_10_uniqueItEEEPmJS6_EEE10hipError_tPvRmT3_T4_T5_T6_T7_T9_mT8_P12ihipStream_tbDpT10_ENKUlT_T0_E_clISt17integral_constantIbLb1EES1A_EEDaS15_S16_EUlS15_E_NS1_11comp_targetILNS1_3genE4ELNS1_11target_archE910ELNS1_3gpuE8ELNS1_3repE0EEENS1_30default_config_static_selectorELNS0_4arch9wavefront6targetE1EEEvT1_,"axG",@progbits,_ZN7rocprim17ROCPRIM_400000_NS6detail17trampoline_kernelINS0_14default_configENS1_25partition_config_selectorILNS1_17partition_subalgoE8EtNS0_10empty_typeEbEEZZNS1_14partition_implILS5_8ELb0ES3_jN6thrust23THRUST_200600_302600_NS6detail15normal_iteratorINSA_10device_ptrItEEEEPS6_PKS6_NS0_5tupleIJSF_S6_EEENSJ_IJSG_SG_EEENS0_18inequality_wrapperI22is_equal_div_10_uniqueItEEEPmJS6_EEE10hipError_tPvRmT3_T4_T5_T6_T7_T9_mT8_P12ihipStream_tbDpT10_ENKUlT_T0_E_clISt17integral_constantIbLb1EES1A_EEDaS15_S16_EUlS15_E_NS1_11comp_targetILNS1_3genE4ELNS1_11target_archE910ELNS1_3gpuE8ELNS1_3repE0EEENS1_30default_config_static_selectorELNS0_4arch9wavefront6targetE1EEEvT1_,comdat
.Lfunc_end317:
	.size	_ZN7rocprim17ROCPRIM_400000_NS6detail17trampoline_kernelINS0_14default_configENS1_25partition_config_selectorILNS1_17partition_subalgoE8EtNS0_10empty_typeEbEEZZNS1_14partition_implILS5_8ELb0ES3_jN6thrust23THRUST_200600_302600_NS6detail15normal_iteratorINSA_10device_ptrItEEEEPS6_PKS6_NS0_5tupleIJSF_S6_EEENSJ_IJSG_SG_EEENS0_18inequality_wrapperI22is_equal_div_10_uniqueItEEEPmJS6_EEE10hipError_tPvRmT3_T4_T5_T6_T7_T9_mT8_P12ihipStream_tbDpT10_ENKUlT_T0_E_clISt17integral_constantIbLb1EES1A_EEDaS15_S16_EUlS15_E_NS1_11comp_targetILNS1_3genE4ELNS1_11target_archE910ELNS1_3gpuE8ELNS1_3repE0EEENS1_30default_config_static_selectorELNS0_4arch9wavefront6targetE1EEEvT1_, .Lfunc_end317-_ZN7rocprim17ROCPRIM_400000_NS6detail17trampoline_kernelINS0_14default_configENS1_25partition_config_selectorILNS1_17partition_subalgoE8EtNS0_10empty_typeEbEEZZNS1_14partition_implILS5_8ELb0ES3_jN6thrust23THRUST_200600_302600_NS6detail15normal_iteratorINSA_10device_ptrItEEEEPS6_PKS6_NS0_5tupleIJSF_S6_EEENSJ_IJSG_SG_EEENS0_18inequality_wrapperI22is_equal_div_10_uniqueItEEEPmJS6_EEE10hipError_tPvRmT3_T4_T5_T6_T7_T9_mT8_P12ihipStream_tbDpT10_ENKUlT_T0_E_clISt17integral_constantIbLb1EES1A_EEDaS15_S16_EUlS15_E_NS1_11comp_targetILNS1_3genE4ELNS1_11target_archE910ELNS1_3gpuE8ELNS1_3repE0EEENS1_30default_config_static_selectorELNS0_4arch9wavefront6targetE1EEEvT1_
                                        ; -- End function
	.set _ZN7rocprim17ROCPRIM_400000_NS6detail17trampoline_kernelINS0_14default_configENS1_25partition_config_selectorILNS1_17partition_subalgoE8EtNS0_10empty_typeEbEEZZNS1_14partition_implILS5_8ELb0ES3_jN6thrust23THRUST_200600_302600_NS6detail15normal_iteratorINSA_10device_ptrItEEEEPS6_PKS6_NS0_5tupleIJSF_S6_EEENSJ_IJSG_SG_EEENS0_18inequality_wrapperI22is_equal_div_10_uniqueItEEEPmJS6_EEE10hipError_tPvRmT3_T4_T5_T6_T7_T9_mT8_P12ihipStream_tbDpT10_ENKUlT_T0_E_clISt17integral_constantIbLb1EES1A_EEDaS15_S16_EUlS15_E_NS1_11comp_targetILNS1_3genE4ELNS1_11target_archE910ELNS1_3gpuE8ELNS1_3repE0EEENS1_30default_config_static_selectorELNS0_4arch9wavefront6targetE1EEEvT1_.num_vgpr, 0
	.set _ZN7rocprim17ROCPRIM_400000_NS6detail17trampoline_kernelINS0_14default_configENS1_25partition_config_selectorILNS1_17partition_subalgoE8EtNS0_10empty_typeEbEEZZNS1_14partition_implILS5_8ELb0ES3_jN6thrust23THRUST_200600_302600_NS6detail15normal_iteratorINSA_10device_ptrItEEEEPS6_PKS6_NS0_5tupleIJSF_S6_EEENSJ_IJSG_SG_EEENS0_18inequality_wrapperI22is_equal_div_10_uniqueItEEEPmJS6_EEE10hipError_tPvRmT3_T4_T5_T6_T7_T9_mT8_P12ihipStream_tbDpT10_ENKUlT_T0_E_clISt17integral_constantIbLb1EES1A_EEDaS15_S16_EUlS15_E_NS1_11comp_targetILNS1_3genE4ELNS1_11target_archE910ELNS1_3gpuE8ELNS1_3repE0EEENS1_30default_config_static_selectorELNS0_4arch9wavefront6targetE1EEEvT1_.num_agpr, 0
	.set _ZN7rocprim17ROCPRIM_400000_NS6detail17trampoline_kernelINS0_14default_configENS1_25partition_config_selectorILNS1_17partition_subalgoE8EtNS0_10empty_typeEbEEZZNS1_14partition_implILS5_8ELb0ES3_jN6thrust23THRUST_200600_302600_NS6detail15normal_iteratorINSA_10device_ptrItEEEEPS6_PKS6_NS0_5tupleIJSF_S6_EEENSJ_IJSG_SG_EEENS0_18inequality_wrapperI22is_equal_div_10_uniqueItEEEPmJS6_EEE10hipError_tPvRmT3_T4_T5_T6_T7_T9_mT8_P12ihipStream_tbDpT10_ENKUlT_T0_E_clISt17integral_constantIbLb1EES1A_EEDaS15_S16_EUlS15_E_NS1_11comp_targetILNS1_3genE4ELNS1_11target_archE910ELNS1_3gpuE8ELNS1_3repE0EEENS1_30default_config_static_selectorELNS0_4arch9wavefront6targetE1EEEvT1_.numbered_sgpr, 0
	.set _ZN7rocprim17ROCPRIM_400000_NS6detail17trampoline_kernelINS0_14default_configENS1_25partition_config_selectorILNS1_17partition_subalgoE8EtNS0_10empty_typeEbEEZZNS1_14partition_implILS5_8ELb0ES3_jN6thrust23THRUST_200600_302600_NS6detail15normal_iteratorINSA_10device_ptrItEEEEPS6_PKS6_NS0_5tupleIJSF_S6_EEENSJ_IJSG_SG_EEENS0_18inequality_wrapperI22is_equal_div_10_uniqueItEEEPmJS6_EEE10hipError_tPvRmT3_T4_T5_T6_T7_T9_mT8_P12ihipStream_tbDpT10_ENKUlT_T0_E_clISt17integral_constantIbLb1EES1A_EEDaS15_S16_EUlS15_E_NS1_11comp_targetILNS1_3genE4ELNS1_11target_archE910ELNS1_3gpuE8ELNS1_3repE0EEENS1_30default_config_static_selectorELNS0_4arch9wavefront6targetE1EEEvT1_.num_named_barrier, 0
	.set _ZN7rocprim17ROCPRIM_400000_NS6detail17trampoline_kernelINS0_14default_configENS1_25partition_config_selectorILNS1_17partition_subalgoE8EtNS0_10empty_typeEbEEZZNS1_14partition_implILS5_8ELb0ES3_jN6thrust23THRUST_200600_302600_NS6detail15normal_iteratorINSA_10device_ptrItEEEEPS6_PKS6_NS0_5tupleIJSF_S6_EEENSJ_IJSG_SG_EEENS0_18inequality_wrapperI22is_equal_div_10_uniqueItEEEPmJS6_EEE10hipError_tPvRmT3_T4_T5_T6_T7_T9_mT8_P12ihipStream_tbDpT10_ENKUlT_T0_E_clISt17integral_constantIbLb1EES1A_EEDaS15_S16_EUlS15_E_NS1_11comp_targetILNS1_3genE4ELNS1_11target_archE910ELNS1_3gpuE8ELNS1_3repE0EEENS1_30default_config_static_selectorELNS0_4arch9wavefront6targetE1EEEvT1_.private_seg_size, 0
	.set _ZN7rocprim17ROCPRIM_400000_NS6detail17trampoline_kernelINS0_14default_configENS1_25partition_config_selectorILNS1_17partition_subalgoE8EtNS0_10empty_typeEbEEZZNS1_14partition_implILS5_8ELb0ES3_jN6thrust23THRUST_200600_302600_NS6detail15normal_iteratorINSA_10device_ptrItEEEEPS6_PKS6_NS0_5tupleIJSF_S6_EEENSJ_IJSG_SG_EEENS0_18inequality_wrapperI22is_equal_div_10_uniqueItEEEPmJS6_EEE10hipError_tPvRmT3_T4_T5_T6_T7_T9_mT8_P12ihipStream_tbDpT10_ENKUlT_T0_E_clISt17integral_constantIbLb1EES1A_EEDaS15_S16_EUlS15_E_NS1_11comp_targetILNS1_3genE4ELNS1_11target_archE910ELNS1_3gpuE8ELNS1_3repE0EEENS1_30default_config_static_selectorELNS0_4arch9wavefront6targetE1EEEvT1_.uses_vcc, 0
	.set _ZN7rocprim17ROCPRIM_400000_NS6detail17trampoline_kernelINS0_14default_configENS1_25partition_config_selectorILNS1_17partition_subalgoE8EtNS0_10empty_typeEbEEZZNS1_14partition_implILS5_8ELb0ES3_jN6thrust23THRUST_200600_302600_NS6detail15normal_iteratorINSA_10device_ptrItEEEEPS6_PKS6_NS0_5tupleIJSF_S6_EEENSJ_IJSG_SG_EEENS0_18inequality_wrapperI22is_equal_div_10_uniqueItEEEPmJS6_EEE10hipError_tPvRmT3_T4_T5_T6_T7_T9_mT8_P12ihipStream_tbDpT10_ENKUlT_T0_E_clISt17integral_constantIbLb1EES1A_EEDaS15_S16_EUlS15_E_NS1_11comp_targetILNS1_3genE4ELNS1_11target_archE910ELNS1_3gpuE8ELNS1_3repE0EEENS1_30default_config_static_selectorELNS0_4arch9wavefront6targetE1EEEvT1_.uses_flat_scratch, 0
	.set _ZN7rocprim17ROCPRIM_400000_NS6detail17trampoline_kernelINS0_14default_configENS1_25partition_config_selectorILNS1_17partition_subalgoE8EtNS0_10empty_typeEbEEZZNS1_14partition_implILS5_8ELb0ES3_jN6thrust23THRUST_200600_302600_NS6detail15normal_iteratorINSA_10device_ptrItEEEEPS6_PKS6_NS0_5tupleIJSF_S6_EEENSJ_IJSG_SG_EEENS0_18inequality_wrapperI22is_equal_div_10_uniqueItEEEPmJS6_EEE10hipError_tPvRmT3_T4_T5_T6_T7_T9_mT8_P12ihipStream_tbDpT10_ENKUlT_T0_E_clISt17integral_constantIbLb1EES1A_EEDaS15_S16_EUlS15_E_NS1_11comp_targetILNS1_3genE4ELNS1_11target_archE910ELNS1_3gpuE8ELNS1_3repE0EEENS1_30default_config_static_selectorELNS0_4arch9wavefront6targetE1EEEvT1_.has_dyn_sized_stack, 0
	.set _ZN7rocprim17ROCPRIM_400000_NS6detail17trampoline_kernelINS0_14default_configENS1_25partition_config_selectorILNS1_17partition_subalgoE8EtNS0_10empty_typeEbEEZZNS1_14partition_implILS5_8ELb0ES3_jN6thrust23THRUST_200600_302600_NS6detail15normal_iteratorINSA_10device_ptrItEEEEPS6_PKS6_NS0_5tupleIJSF_S6_EEENSJ_IJSG_SG_EEENS0_18inequality_wrapperI22is_equal_div_10_uniqueItEEEPmJS6_EEE10hipError_tPvRmT3_T4_T5_T6_T7_T9_mT8_P12ihipStream_tbDpT10_ENKUlT_T0_E_clISt17integral_constantIbLb1EES1A_EEDaS15_S16_EUlS15_E_NS1_11comp_targetILNS1_3genE4ELNS1_11target_archE910ELNS1_3gpuE8ELNS1_3repE0EEENS1_30default_config_static_selectorELNS0_4arch9wavefront6targetE1EEEvT1_.has_recursion, 0
	.set _ZN7rocprim17ROCPRIM_400000_NS6detail17trampoline_kernelINS0_14default_configENS1_25partition_config_selectorILNS1_17partition_subalgoE8EtNS0_10empty_typeEbEEZZNS1_14partition_implILS5_8ELb0ES3_jN6thrust23THRUST_200600_302600_NS6detail15normal_iteratorINSA_10device_ptrItEEEEPS6_PKS6_NS0_5tupleIJSF_S6_EEENSJ_IJSG_SG_EEENS0_18inequality_wrapperI22is_equal_div_10_uniqueItEEEPmJS6_EEE10hipError_tPvRmT3_T4_T5_T6_T7_T9_mT8_P12ihipStream_tbDpT10_ENKUlT_T0_E_clISt17integral_constantIbLb1EES1A_EEDaS15_S16_EUlS15_E_NS1_11comp_targetILNS1_3genE4ELNS1_11target_archE910ELNS1_3gpuE8ELNS1_3repE0EEENS1_30default_config_static_selectorELNS0_4arch9wavefront6targetE1EEEvT1_.has_indirect_call, 0
	.section	.AMDGPU.csdata,"",@progbits
; Kernel info:
; codeLenInByte = 0
; TotalNumSgprs: 4
; NumVgprs: 0
; ScratchSize: 0
; MemoryBound: 0
; FloatMode: 240
; IeeeMode: 1
; LDSByteSize: 0 bytes/workgroup (compile time only)
; SGPRBlocks: 0
; VGPRBlocks: 0
; NumSGPRsForWavesPerEU: 4
; NumVGPRsForWavesPerEU: 1
; Occupancy: 10
; WaveLimiterHint : 0
; COMPUTE_PGM_RSRC2:SCRATCH_EN: 0
; COMPUTE_PGM_RSRC2:USER_SGPR: 6
; COMPUTE_PGM_RSRC2:TRAP_HANDLER: 0
; COMPUTE_PGM_RSRC2:TGID_X_EN: 1
; COMPUTE_PGM_RSRC2:TGID_Y_EN: 0
; COMPUTE_PGM_RSRC2:TGID_Z_EN: 0
; COMPUTE_PGM_RSRC2:TIDIG_COMP_CNT: 0
	.section	.text._ZN7rocprim17ROCPRIM_400000_NS6detail17trampoline_kernelINS0_14default_configENS1_25partition_config_selectorILNS1_17partition_subalgoE8EtNS0_10empty_typeEbEEZZNS1_14partition_implILS5_8ELb0ES3_jN6thrust23THRUST_200600_302600_NS6detail15normal_iteratorINSA_10device_ptrItEEEEPS6_PKS6_NS0_5tupleIJSF_S6_EEENSJ_IJSG_SG_EEENS0_18inequality_wrapperI22is_equal_div_10_uniqueItEEEPmJS6_EEE10hipError_tPvRmT3_T4_T5_T6_T7_T9_mT8_P12ihipStream_tbDpT10_ENKUlT_T0_E_clISt17integral_constantIbLb1EES1A_EEDaS15_S16_EUlS15_E_NS1_11comp_targetILNS1_3genE3ELNS1_11target_archE908ELNS1_3gpuE7ELNS1_3repE0EEENS1_30default_config_static_selectorELNS0_4arch9wavefront6targetE1EEEvT1_,"axG",@progbits,_ZN7rocprim17ROCPRIM_400000_NS6detail17trampoline_kernelINS0_14default_configENS1_25partition_config_selectorILNS1_17partition_subalgoE8EtNS0_10empty_typeEbEEZZNS1_14partition_implILS5_8ELb0ES3_jN6thrust23THRUST_200600_302600_NS6detail15normal_iteratorINSA_10device_ptrItEEEEPS6_PKS6_NS0_5tupleIJSF_S6_EEENSJ_IJSG_SG_EEENS0_18inequality_wrapperI22is_equal_div_10_uniqueItEEEPmJS6_EEE10hipError_tPvRmT3_T4_T5_T6_T7_T9_mT8_P12ihipStream_tbDpT10_ENKUlT_T0_E_clISt17integral_constantIbLb1EES1A_EEDaS15_S16_EUlS15_E_NS1_11comp_targetILNS1_3genE3ELNS1_11target_archE908ELNS1_3gpuE7ELNS1_3repE0EEENS1_30default_config_static_selectorELNS0_4arch9wavefront6targetE1EEEvT1_,comdat
	.protected	_ZN7rocprim17ROCPRIM_400000_NS6detail17trampoline_kernelINS0_14default_configENS1_25partition_config_selectorILNS1_17partition_subalgoE8EtNS0_10empty_typeEbEEZZNS1_14partition_implILS5_8ELb0ES3_jN6thrust23THRUST_200600_302600_NS6detail15normal_iteratorINSA_10device_ptrItEEEEPS6_PKS6_NS0_5tupleIJSF_S6_EEENSJ_IJSG_SG_EEENS0_18inequality_wrapperI22is_equal_div_10_uniqueItEEEPmJS6_EEE10hipError_tPvRmT3_T4_T5_T6_T7_T9_mT8_P12ihipStream_tbDpT10_ENKUlT_T0_E_clISt17integral_constantIbLb1EES1A_EEDaS15_S16_EUlS15_E_NS1_11comp_targetILNS1_3genE3ELNS1_11target_archE908ELNS1_3gpuE7ELNS1_3repE0EEENS1_30default_config_static_selectorELNS0_4arch9wavefront6targetE1EEEvT1_ ; -- Begin function _ZN7rocprim17ROCPRIM_400000_NS6detail17trampoline_kernelINS0_14default_configENS1_25partition_config_selectorILNS1_17partition_subalgoE8EtNS0_10empty_typeEbEEZZNS1_14partition_implILS5_8ELb0ES3_jN6thrust23THRUST_200600_302600_NS6detail15normal_iteratorINSA_10device_ptrItEEEEPS6_PKS6_NS0_5tupleIJSF_S6_EEENSJ_IJSG_SG_EEENS0_18inequality_wrapperI22is_equal_div_10_uniqueItEEEPmJS6_EEE10hipError_tPvRmT3_T4_T5_T6_T7_T9_mT8_P12ihipStream_tbDpT10_ENKUlT_T0_E_clISt17integral_constantIbLb1EES1A_EEDaS15_S16_EUlS15_E_NS1_11comp_targetILNS1_3genE3ELNS1_11target_archE908ELNS1_3gpuE7ELNS1_3repE0EEENS1_30default_config_static_selectorELNS0_4arch9wavefront6targetE1EEEvT1_
	.globl	_ZN7rocprim17ROCPRIM_400000_NS6detail17trampoline_kernelINS0_14default_configENS1_25partition_config_selectorILNS1_17partition_subalgoE8EtNS0_10empty_typeEbEEZZNS1_14partition_implILS5_8ELb0ES3_jN6thrust23THRUST_200600_302600_NS6detail15normal_iteratorINSA_10device_ptrItEEEEPS6_PKS6_NS0_5tupleIJSF_S6_EEENSJ_IJSG_SG_EEENS0_18inequality_wrapperI22is_equal_div_10_uniqueItEEEPmJS6_EEE10hipError_tPvRmT3_T4_T5_T6_T7_T9_mT8_P12ihipStream_tbDpT10_ENKUlT_T0_E_clISt17integral_constantIbLb1EES1A_EEDaS15_S16_EUlS15_E_NS1_11comp_targetILNS1_3genE3ELNS1_11target_archE908ELNS1_3gpuE7ELNS1_3repE0EEENS1_30default_config_static_selectorELNS0_4arch9wavefront6targetE1EEEvT1_
	.p2align	8
	.type	_ZN7rocprim17ROCPRIM_400000_NS6detail17trampoline_kernelINS0_14default_configENS1_25partition_config_selectorILNS1_17partition_subalgoE8EtNS0_10empty_typeEbEEZZNS1_14partition_implILS5_8ELb0ES3_jN6thrust23THRUST_200600_302600_NS6detail15normal_iteratorINSA_10device_ptrItEEEEPS6_PKS6_NS0_5tupleIJSF_S6_EEENSJ_IJSG_SG_EEENS0_18inequality_wrapperI22is_equal_div_10_uniqueItEEEPmJS6_EEE10hipError_tPvRmT3_T4_T5_T6_T7_T9_mT8_P12ihipStream_tbDpT10_ENKUlT_T0_E_clISt17integral_constantIbLb1EES1A_EEDaS15_S16_EUlS15_E_NS1_11comp_targetILNS1_3genE3ELNS1_11target_archE908ELNS1_3gpuE7ELNS1_3repE0EEENS1_30default_config_static_selectorELNS0_4arch9wavefront6targetE1EEEvT1_,@function
_ZN7rocprim17ROCPRIM_400000_NS6detail17trampoline_kernelINS0_14default_configENS1_25partition_config_selectorILNS1_17partition_subalgoE8EtNS0_10empty_typeEbEEZZNS1_14partition_implILS5_8ELb0ES3_jN6thrust23THRUST_200600_302600_NS6detail15normal_iteratorINSA_10device_ptrItEEEEPS6_PKS6_NS0_5tupleIJSF_S6_EEENSJ_IJSG_SG_EEENS0_18inequality_wrapperI22is_equal_div_10_uniqueItEEEPmJS6_EEE10hipError_tPvRmT3_T4_T5_T6_T7_T9_mT8_P12ihipStream_tbDpT10_ENKUlT_T0_E_clISt17integral_constantIbLb1EES1A_EEDaS15_S16_EUlS15_E_NS1_11comp_targetILNS1_3genE3ELNS1_11target_archE908ELNS1_3gpuE7ELNS1_3repE0EEENS1_30default_config_static_selectorELNS0_4arch9wavefront6targetE1EEEvT1_: ; @_ZN7rocprim17ROCPRIM_400000_NS6detail17trampoline_kernelINS0_14default_configENS1_25partition_config_selectorILNS1_17partition_subalgoE8EtNS0_10empty_typeEbEEZZNS1_14partition_implILS5_8ELb0ES3_jN6thrust23THRUST_200600_302600_NS6detail15normal_iteratorINSA_10device_ptrItEEEEPS6_PKS6_NS0_5tupleIJSF_S6_EEENSJ_IJSG_SG_EEENS0_18inequality_wrapperI22is_equal_div_10_uniqueItEEEPmJS6_EEE10hipError_tPvRmT3_T4_T5_T6_T7_T9_mT8_P12ihipStream_tbDpT10_ENKUlT_T0_E_clISt17integral_constantIbLb1EES1A_EEDaS15_S16_EUlS15_E_NS1_11comp_targetILNS1_3genE3ELNS1_11target_archE908ELNS1_3gpuE7ELNS1_3repE0EEENS1_30default_config_static_selectorELNS0_4arch9wavefront6targetE1EEEvT1_
; %bb.0:
	.section	.rodata,"a",@progbits
	.p2align	6, 0x0
	.amdhsa_kernel _ZN7rocprim17ROCPRIM_400000_NS6detail17trampoline_kernelINS0_14default_configENS1_25partition_config_selectorILNS1_17partition_subalgoE8EtNS0_10empty_typeEbEEZZNS1_14partition_implILS5_8ELb0ES3_jN6thrust23THRUST_200600_302600_NS6detail15normal_iteratorINSA_10device_ptrItEEEEPS6_PKS6_NS0_5tupleIJSF_S6_EEENSJ_IJSG_SG_EEENS0_18inequality_wrapperI22is_equal_div_10_uniqueItEEEPmJS6_EEE10hipError_tPvRmT3_T4_T5_T6_T7_T9_mT8_P12ihipStream_tbDpT10_ENKUlT_T0_E_clISt17integral_constantIbLb1EES1A_EEDaS15_S16_EUlS15_E_NS1_11comp_targetILNS1_3genE3ELNS1_11target_archE908ELNS1_3gpuE7ELNS1_3repE0EEENS1_30default_config_static_selectorELNS0_4arch9wavefront6targetE1EEEvT1_
		.amdhsa_group_segment_fixed_size 0
		.amdhsa_private_segment_fixed_size 0
		.amdhsa_kernarg_size 128
		.amdhsa_user_sgpr_count 6
		.amdhsa_user_sgpr_private_segment_buffer 1
		.amdhsa_user_sgpr_dispatch_ptr 0
		.amdhsa_user_sgpr_queue_ptr 0
		.amdhsa_user_sgpr_kernarg_segment_ptr 1
		.amdhsa_user_sgpr_dispatch_id 0
		.amdhsa_user_sgpr_flat_scratch_init 0
		.amdhsa_user_sgpr_private_segment_size 0
		.amdhsa_uses_dynamic_stack 0
		.amdhsa_system_sgpr_private_segment_wavefront_offset 0
		.amdhsa_system_sgpr_workgroup_id_x 1
		.amdhsa_system_sgpr_workgroup_id_y 0
		.amdhsa_system_sgpr_workgroup_id_z 0
		.amdhsa_system_sgpr_workgroup_info 0
		.amdhsa_system_vgpr_workitem_id 0
		.amdhsa_next_free_vgpr 1
		.amdhsa_next_free_sgpr 0
		.amdhsa_reserve_vcc 0
		.amdhsa_reserve_flat_scratch 0
		.amdhsa_float_round_mode_32 0
		.amdhsa_float_round_mode_16_64 0
		.amdhsa_float_denorm_mode_32 3
		.amdhsa_float_denorm_mode_16_64 3
		.amdhsa_dx10_clamp 1
		.amdhsa_ieee_mode 1
		.amdhsa_fp16_overflow 0
		.amdhsa_exception_fp_ieee_invalid_op 0
		.amdhsa_exception_fp_denorm_src 0
		.amdhsa_exception_fp_ieee_div_zero 0
		.amdhsa_exception_fp_ieee_overflow 0
		.amdhsa_exception_fp_ieee_underflow 0
		.amdhsa_exception_fp_ieee_inexact 0
		.amdhsa_exception_int_div_zero 0
	.end_amdhsa_kernel
	.section	.text._ZN7rocprim17ROCPRIM_400000_NS6detail17trampoline_kernelINS0_14default_configENS1_25partition_config_selectorILNS1_17partition_subalgoE8EtNS0_10empty_typeEbEEZZNS1_14partition_implILS5_8ELb0ES3_jN6thrust23THRUST_200600_302600_NS6detail15normal_iteratorINSA_10device_ptrItEEEEPS6_PKS6_NS0_5tupleIJSF_S6_EEENSJ_IJSG_SG_EEENS0_18inequality_wrapperI22is_equal_div_10_uniqueItEEEPmJS6_EEE10hipError_tPvRmT3_T4_T5_T6_T7_T9_mT8_P12ihipStream_tbDpT10_ENKUlT_T0_E_clISt17integral_constantIbLb1EES1A_EEDaS15_S16_EUlS15_E_NS1_11comp_targetILNS1_3genE3ELNS1_11target_archE908ELNS1_3gpuE7ELNS1_3repE0EEENS1_30default_config_static_selectorELNS0_4arch9wavefront6targetE1EEEvT1_,"axG",@progbits,_ZN7rocprim17ROCPRIM_400000_NS6detail17trampoline_kernelINS0_14default_configENS1_25partition_config_selectorILNS1_17partition_subalgoE8EtNS0_10empty_typeEbEEZZNS1_14partition_implILS5_8ELb0ES3_jN6thrust23THRUST_200600_302600_NS6detail15normal_iteratorINSA_10device_ptrItEEEEPS6_PKS6_NS0_5tupleIJSF_S6_EEENSJ_IJSG_SG_EEENS0_18inequality_wrapperI22is_equal_div_10_uniqueItEEEPmJS6_EEE10hipError_tPvRmT3_T4_T5_T6_T7_T9_mT8_P12ihipStream_tbDpT10_ENKUlT_T0_E_clISt17integral_constantIbLb1EES1A_EEDaS15_S16_EUlS15_E_NS1_11comp_targetILNS1_3genE3ELNS1_11target_archE908ELNS1_3gpuE7ELNS1_3repE0EEENS1_30default_config_static_selectorELNS0_4arch9wavefront6targetE1EEEvT1_,comdat
.Lfunc_end318:
	.size	_ZN7rocprim17ROCPRIM_400000_NS6detail17trampoline_kernelINS0_14default_configENS1_25partition_config_selectorILNS1_17partition_subalgoE8EtNS0_10empty_typeEbEEZZNS1_14partition_implILS5_8ELb0ES3_jN6thrust23THRUST_200600_302600_NS6detail15normal_iteratorINSA_10device_ptrItEEEEPS6_PKS6_NS0_5tupleIJSF_S6_EEENSJ_IJSG_SG_EEENS0_18inequality_wrapperI22is_equal_div_10_uniqueItEEEPmJS6_EEE10hipError_tPvRmT3_T4_T5_T6_T7_T9_mT8_P12ihipStream_tbDpT10_ENKUlT_T0_E_clISt17integral_constantIbLb1EES1A_EEDaS15_S16_EUlS15_E_NS1_11comp_targetILNS1_3genE3ELNS1_11target_archE908ELNS1_3gpuE7ELNS1_3repE0EEENS1_30default_config_static_selectorELNS0_4arch9wavefront6targetE1EEEvT1_, .Lfunc_end318-_ZN7rocprim17ROCPRIM_400000_NS6detail17trampoline_kernelINS0_14default_configENS1_25partition_config_selectorILNS1_17partition_subalgoE8EtNS0_10empty_typeEbEEZZNS1_14partition_implILS5_8ELb0ES3_jN6thrust23THRUST_200600_302600_NS6detail15normal_iteratorINSA_10device_ptrItEEEEPS6_PKS6_NS0_5tupleIJSF_S6_EEENSJ_IJSG_SG_EEENS0_18inequality_wrapperI22is_equal_div_10_uniqueItEEEPmJS6_EEE10hipError_tPvRmT3_T4_T5_T6_T7_T9_mT8_P12ihipStream_tbDpT10_ENKUlT_T0_E_clISt17integral_constantIbLb1EES1A_EEDaS15_S16_EUlS15_E_NS1_11comp_targetILNS1_3genE3ELNS1_11target_archE908ELNS1_3gpuE7ELNS1_3repE0EEENS1_30default_config_static_selectorELNS0_4arch9wavefront6targetE1EEEvT1_
                                        ; -- End function
	.set _ZN7rocprim17ROCPRIM_400000_NS6detail17trampoline_kernelINS0_14default_configENS1_25partition_config_selectorILNS1_17partition_subalgoE8EtNS0_10empty_typeEbEEZZNS1_14partition_implILS5_8ELb0ES3_jN6thrust23THRUST_200600_302600_NS6detail15normal_iteratorINSA_10device_ptrItEEEEPS6_PKS6_NS0_5tupleIJSF_S6_EEENSJ_IJSG_SG_EEENS0_18inequality_wrapperI22is_equal_div_10_uniqueItEEEPmJS6_EEE10hipError_tPvRmT3_T4_T5_T6_T7_T9_mT8_P12ihipStream_tbDpT10_ENKUlT_T0_E_clISt17integral_constantIbLb1EES1A_EEDaS15_S16_EUlS15_E_NS1_11comp_targetILNS1_3genE3ELNS1_11target_archE908ELNS1_3gpuE7ELNS1_3repE0EEENS1_30default_config_static_selectorELNS0_4arch9wavefront6targetE1EEEvT1_.num_vgpr, 0
	.set _ZN7rocprim17ROCPRIM_400000_NS6detail17trampoline_kernelINS0_14default_configENS1_25partition_config_selectorILNS1_17partition_subalgoE8EtNS0_10empty_typeEbEEZZNS1_14partition_implILS5_8ELb0ES3_jN6thrust23THRUST_200600_302600_NS6detail15normal_iteratorINSA_10device_ptrItEEEEPS6_PKS6_NS0_5tupleIJSF_S6_EEENSJ_IJSG_SG_EEENS0_18inequality_wrapperI22is_equal_div_10_uniqueItEEEPmJS6_EEE10hipError_tPvRmT3_T4_T5_T6_T7_T9_mT8_P12ihipStream_tbDpT10_ENKUlT_T0_E_clISt17integral_constantIbLb1EES1A_EEDaS15_S16_EUlS15_E_NS1_11comp_targetILNS1_3genE3ELNS1_11target_archE908ELNS1_3gpuE7ELNS1_3repE0EEENS1_30default_config_static_selectorELNS0_4arch9wavefront6targetE1EEEvT1_.num_agpr, 0
	.set _ZN7rocprim17ROCPRIM_400000_NS6detail17trampoline_kernelINS0_14default_configENS1_25partition_config_selectorILNS1_17partition_subalgoE8EtNS0_10empty_typeEbEEZZNS1_14partition_implILS5_8ELb0ES3_jN6thrust23THRUST_200600_302600_NS6detail15normal_iteratorINSA_10device_ptrItEEEEPS6_PKS6_NS0_5tupleIJSF_S6_EEENSJ_IJSG_SG_EEENS0_18inequality_wrapperI22is_equal_div_10_uniqueItEEEPmJS6_EEE10hipError_tPvRmT3_T4_T5_T6_T7_T9_mT8_P12ihipStream_tbDpT10_ENKUlT_T0_E_clISt17integral_constantIbLb1EES1A_EEDaS15_S16_EUlS15_E_NS1_11comp_targetILNS1_3genE3ELNS1_11target_archE908ELNS1_3gpuE7ELNS1_3repE0EEENS1_30default_config_static_selectorELNS0_4arch9wavefront6targetE1EEEvT1_.numbered_sgpr, 0
	.set _ZN7rocprim17ROCPRIM_400000_NS6detail17trampoline_kernelINS0_14default_configENS1_25partition_config_selectorILNS1_17partition_subalgoE8EtNS0_10empty_typeEbEEZZNS1_14partition_implILS5_8ELb0ES3_jN6thrust23THRUST_200600_302600_NS6detail15normal_iteratorINSA_10device_ptrItEEEEPS6_PKS6_NS0_5tupleIJSF_S6_EEENSJ_IJSG_SG_EEENS0_18inequality_wrapperI22is_equal_div_10_uniqueItEEEPmJS6_EEE10hipError_tPvRmT3_T4_T5_T6_T7_T9_mT8_P12ihipStream_tbDpT10_ENKUlT_T0_E_clISt17integral_constantIbLb1EES1A_EEDaS15_S16_EUlS15_E_NS1_11comp_targetILNS1_3genE3ELNS1_11target_archE908ELNS1_3gpuE7ELNS1_3repE0EEENS1_30default_config_static_selectorELNS0_4arch9wavefront6targetE1EEEvT1_.num_named_barrier, 0
	.set _ZN7rocprim17ROCPRIM_400000_NS6detail17trampoline_kernelINS0_14default_configENS1_25partition_config_selectorILNS1_17partition_subalgoE8EtNS0_10empty_typeEbEEZZNS1_14partition_implILS5_8ELb0ES3_jN6thrust23THRUST_200600_302600_NS6detail15normal_iteratorINSA_10device_ptrItEEEEPS6_PKS6_NS0_5tupleIJSF_S6_EEENSJ_IJSG_SG_EEENS0_18inequality_wrapperI22is_equal_div_10_uniqueItEEEPmJS6_EEE10hipError_tPvRmT3_T4_T5_T6_T7_T9_mT8_P12ihipStream_tbDpT10_ENKUlT_T0_E_clISt17integral_constantIbLb1EES1A_EEDaS15_S16_EUlS15_E_NS1_11comp_targetILNS1_3genE3ELNS1_11target_archE908ELNS1_3gpuE7ELNS1_3repE0EEENS1_30default_config_static_selectorELNS0_4arch9wavefront6targetE1EEEvT1_.private_seg_size, 0
	.set _ZN7rocprim17ROCPRIM_400000_NS6detail17trampoline_kernelINS0_14default_configENS1_25partition_config_selectorILNS1_17partition_subalgoE8EtNS0_10empty_typeEbEEZZNS1_14partition_implILS5_8ELb0ES3_jN6thrust23THRUST_200600_302600_NS6detail15normal_iteratorINSA_10device_ptrItEEEEPS6_PKS6_NS0_5tupleIJSF_S6_EEENSJ_IJSG_SG_EEENS0_18inequality_wrapperI22is_equal_div_10_uniqueItEEEPmJS6_EEE10hipError_tPvRmT3_T4_T5_T6_T7_T9_mT8_P12ihipStream_tbDpT10_ENKUlT_T0_E_clISt17integral_constantIbLb1EES1A_EEDaS15_S16_EUlS15_E_NS1_11comp_targetILNS1_3genE3ELNS1_11target_archE908ELNS1_3gpuE7ELNS1_3repE0EEENS1_30default_config_static_selectorELNS0_4arch9wavefront6targetE1EEEvT1_.uses_vcc, 0
	.set _ZN7rocprim17ROCPRIM_400000_NS6detail17trampoline_kernelINS0_14default_configENS1_25partition_config_selectorILNS1_17partition_subalgoE8EtNS0_10empty_typeEbEEZZNS1_14partition_implILS5_8ELb0ES3_jN6thrust23THRUST_200600_302600_NS6detail15normal_iteratorINSA_10device_ptrItEEEEPS6_PKS6_NS0_5tupleIJSF_S6_EEENSJ_IJSG_SG_EEENS0_18inequality_wrapperI22is_equal_div_10_uniqueItEEEPmJS6_EEE10hipError_tPvRmT3_T4_T5_T6_T7_T9_mT8_P12ihipStream_tbDpT10_ENKUlT_T0_E_clISt17integral_constantIbLb1EES1A_EEDaS15_S16_EUlS15_E_NS1_11comp_targetILNS1_3genE3ELNS1_11target_archE908ELNS1_3gpuE7ELNS1_3repE0EEENS1_30default_config_static_selectorELNS0_4arch9wavefront6targetE1EEEvT1_.uses_flat_scratch, 0
	.set _ZN7rocprim17ROCPRIM_400000_NS6detail17trampoline_kernelINS0_14default_configENS1_25partition_config_selectorILNS1_17partition_subalgoE8EtNS0_10empty_typeEbEEZZNS1_14partition_implILS5_8ELb0ES3_jN6thrust23THRUST_200600_302600_NS6detail15normal_iteratorINSA_10device_ptrItEEEEPS6_PKS6_NS0_5tupleIJSF_S6_EEENSJ_IJSG_SG_EEENS0_18inequality_wrapperI22is_equal_div_10_uniqueItEEEPmJS6_EEE10hipError_tPvRmT3_T4_T5_T6_T7_T9_mT8_P12ihipStream_tbDpT10_ENKUlT_T0_E_clISt17integral_constantIbLb1EES1A_EEDaS15_S16_EUlS15_E_NS1_11comp_targetILNS1_3genE3ELNS1_11target_archE908ELNS1_3gpuE7ELNS1_3repE0EEENS1_30default_config_static_selectorELNS0_4arch9wavefront6targetE1EEEvT1_.has_dyn_sized_stack, 0
	.set _ZN7rocprim17ROCPRIM_400000_NS6detail17trampoline_kernelINS0_14default_configENS1_25partition_config_selectorILNS1_17partition_subalgoE8EtNS0_10empty_typeEbEEZZNS1_14partition_implILS5_8ELb0ES3_jN6thrust23THRUST_200600_302600_NS6detail15normal_iteratorINSA_10device_ptrItEEEEPS6_PKS6_NS0_5tupleIJSF_S6_EEENSJ_IJSG_SG_EEENS0_18inequality_wrapperI22is_equal_div_10_uniqueItEEEPmJS6_EEE10hipError_tPvRmT3_T4_T5_T6_T7_T9_mT8_P12ihipStream_tbDpT10_ENKUlT_T0_E_clISt17integral_constantIbLb1EES1A_EEDaS15_S16_EUlS15_E_NS1_11comp_targetILNS1_3genE3ELNS1_11target_archE908ELNS1_3gpuE7ELNS1_3repE0EEENS1_30default_config_static_selectorELNS0_4arch9wavefront6targetE1EEEvT1_.has_recursion, 0
	.set _ZN7rocprim17ROCPRIM_400000_NS6detail17trampoline_kernelINS0_14default_configENS1_25partition_config_selectorILNS1_17partition_subalgoE8EtNS0_10empty_typeEbEEZZNS1_14partition_implILS5_8ELb0ES3_jN6thrust23THRUST_200600_302600_NS6detail15normal_iteratorINSA_10device_ptrItEEEEPS6_PKS6_NS0_5tupleIJSF_S6_EEENSJ_IJSG_SG_EEENS0_18inequality_wrapperI22is_equal_div_10_uniqueItEEEPmJS6_EEE10hipError_tPvRmT3_T4_T5_T6_T7_T9_mT8_P12ihipStream_tbDpT10_ENKUlT_T0_E_clISt17integral_constantIbLb1EES1A_EEDaS15_S16_EUlS15_E_NS1_11comp_targetILNS1_3genE3ELNS1_11target_archE908ELNS1_3gpuE7ELNS1_3repE0EEENS1_30default_config_static_selectorELNS0_4arch9wavefront6targetE1EEEvT1_.has_indirect_call, 0
	.section	.AMDGPU.csdata,"",@progbits
; Kernel info:
; codeLenInByte = 0
; TotalNumSgprs: 4
; NumVgprs: 0
; ScratchSize: 0
; MemoryBound: 0
; FloatMode: 240
; IeeeMode: 1
; LDSByteSize: 0 bytes/workgroup (compile time only)
; SGPRBlocks: 0
; VGPRBlocks: 0
; NumSGPRsForWavesPerEU: 4
; NumVGPRsForWavesPerEU: 1
; Occupancy: 10
; WaveLimiterHint : 0
; COMPUTE_PGM_RSRC2:SCRATCH_EN: 0
; COMPUTE_PGM_RSRC2:USER_SGPR: 6
; COMPUTE_PGM_RSRC2:TRAP_HANDLER: 0
; COMPUTE_PGM_RSRC2:TGID_X_EN: 1
; COMPUTE_PGM_RSRC2:TGID_Y_EN: 0
; COMPUTE_PGM_RSRC2:TGID_Z_EN: 0
; COMPUTE_PGM_RSRC2:TIDIG_COMP_CNT: 0
	.section	.text._ZN7rocprim17ROCPRIM_400000_NS6detail17trampoline_kernelINS0_14default_configENS1_25partition_config_selectorILNS1_17partition_subalgoE8EtNS0_10empty_typeEbEEZZNS1_14partition_implILS5_8ELb0ES3_jN6thrust23THRUST_200600_302600_NS6detail15normal_iteratorINSA_10device_ptrItEEEEPS6_PKS6_NS0_5tupleIJSF_S6_EEENSJ_IJSG_SG_EEENS0_18inequality_wrapperI22is_equal_div_10_uniqueItEEEPmJS6_EEE10hipError_tPvRmT3_T4_T5_T6_T7_T9_mT8_P12ihipStream_tbDpT10_ENKUlT_T0_E_clISt17integral_constantIbLb1EES1A_EEDaS15_S16_EUlS15_E_NS1_11comp_targetILNS1_3genE2ELNS1_11target_archE906ELNS1_3gpuE6ELNS1_3repE0EEENS1_30default_config_static_selectorELNS0_4arch9wavefront6targetE1EEEvT1_,"axG",@progbits,_ZN7rocprim17ROCPRIM_400000_NS6detail17trampoline_kernelINS0_14default_configENS1_25partition_config_selectorILNS1_17partition_subalgoE8EtNS0_10empty_typeEbEEZZNS1_14partition_implILS5_8ELb0ES3_jN6thrust23THRUST_200600_302600_NS6detail15normal_iteratorINSA_10device_ptrItEEEEPS6_PKS6_NS0_5tupleIJSF_S6_EEENSJ_IJSG_SG_EEENS0_18inequality_wrapperI22is_equal_div_10_uniqueItEEEPmJS6_EEE10hipError_tPvRmT3_T4_T5_T6_T7_T9_mT8_P12ihipStream_tbDpT10_ENKUlT_T0_E_clISt17integral_constantIbLb1EES1A_EEDaS15_S16_EUlS15_E_NS1_11comp_targetILNS1_3genE2ELNS1_11target_archE906ELNS1_3gpuE6ELNS1_3repE0EEENS1_30default_config_static_selectorELNS0_4arch9wavefront6targetE1EEEvT1_,comdat
	.protected	_ZN7rocprim17ROCPRIM_400000_NS6detail17trampoline_kernelINS0_14default_configENS1_25partition_config_selectorILNS1_17partition_subalgoE8EtNS0_10empty_typeEbEEZZNS1_14partition_implILS5_8ELb0ES3_jN6thrust23THRUST_200600_302600_NS6detail15normal_iteratorINSA_10device_ptrItEEEEPS6_PKS6_NS0_5tupleIJSF_S6_EEENSJ_IJSG_SG_EEENS0_18inequality_wrapperI22is_equal_div_10_uniqueItEEEPmJS6_EEE10hipError_tPvRmT3_T4_T5_T6_T7_T9_mT8_P12ihipStream_tbDpT10_ENKUlT_T0_E_clISt17integral_constantIbLb1EES1A_EEDaS15_S16_EUlS15_E_NS1_11comp_targetILNS1_3genE2ELNS1_11target_archE906ELNS1_3gpuE6ELNS1_3repE0EEENS1_30default_config_static_selectorELNS0_4arch9wavefront6targetE1EEEvT1_ ; -- Begin function _ZN7rocprim17ROCPRIM_400000_NS6detail17trampoline_kernelINS0_14default_configENS1_25partition_config_selectorILNS1_17partition_subalgoE8EtNS0_10empty_typeEbEEZZNS1_14partition_implILS5_8ELb0ES3_jN6thrust23THRUST_200600_302600_NS6detail15normal_iteratorINSA_10device_ptrItEEEEPS6_PKS6_NS0_5tupleIJSF_S6_EEENSJ_IJSG_SG_EEENS0_18inequality_wrapperI22is_equal_div_10_uniqueItEEEPmJS6_EEE10hipError_tPvRmT3_T4_T5_T6_T7_T9_mT8_P12ihipStream_tbDpT10_ENKUlT_T0_E_clISt17integral_constantIbLb1EES1A_EEDaS15_S16_EUlS15_E_NS1_11comp_targetILNS1_3genE2ELNS1_11target_archE906ELNS1_3gpuE6ELNS1_3repE0EEENS1_30default_config_static_selectorELNS0_4arch9wavefront6targetE1EEEvT1_
	.globl	_ZN7rocprim17ROCPRIM_400000_NS6detail17trampoline_kernelINS0_14default_configENS1_25partition_config_selectorILNS1_17partition_subalgoE8EtNS0_10empty_typeEbEEZZNS1_14partition_implILS5_8ELb0ES3_jN6thrust23THRUST_200600_302600_NS6detail15normal_iteratorINSA_10device_ptrItEEEEPS6_PKS6_NS0_5tupleIJSF_S6_EEENSJ_IJSG_SG_EEENS0_18inequality_wrapperI22is_equal_div_10_uniqueItEEEPmJS6_EEE10hipError_tPvRmT3_T4_T5_T6_T7_T9_mT8_P12ihipStream_tbDpT10_ENKUlT_T0_E_clISt17integral_constantIbLb1EES1A_EEDaS15_S16_EUlS15_E_NS1_11comp_targetILNS1_3genE2ELNS1_11target_archE906ELNS1_3gpuE6ELNS1_3repE0EEENS1_30default_config_static_selectorELNS0_4arch9wavefront6targetE1EEEvT1_
	.p2align	8
	.type	_ZN7rocprim17ROCPRIM_400000_NS6detail17trampoline_kernelINS0_14default_configENS1_25partition_config_selectorILNS1_17partition_subalgoE8EtNS0_10empty_typeEbEEZZNS1_14partition_implILS5_8ELb0ES3_jN6thrust23THRUST_200600_302600_NS6detail15normal_iteratorINSA_10device_ptrItEEEEPS6_PKS6_NS0_5tupleIJSF_S6_EEENSJ_IJSG_SG_EEENS0_18inequality_wrapperI22is_equal_div_10_uniqueItEEEPmJS6_EEE10hipError_tPvRmT3_T4_T5_T6_T7_T9_mT8_P12ihipStream_tbDpT10_ENKUlT_T0_E_clISt17integral_constantIbLb1EES1A_EEDaS15_S16_EUlS15_E_NS1_11comp_targetILNS1_3genE2ELNS1_11target_archE906ELNS1_3gpuE6ELNS1_3repE0EEENS1_30default_config_static_selectorELNS0_4arch9wavefront6targetE1EEEvT1_,@function
_ZN7rocprim17ROCPRIM_400000_NS6detail17trampoline_kernelINS0_14default_configENS1_25partition_config_selectorILNS1_17partition_subalgoE8EtNS0_10empty_typeEbEEZZNS1_14partition_implILS5_8ELb0ES3_jN6thrust23THRUST_200600_302600_NS6detail15normal_iteratorINSA_10device_ptrItEEEEPS6_PKS6_NS0_5tupleIJSF_S6_EEENSJ_IJSG_SG_EEENS0_18inequality_wrapperI22is_equal_div_10_uniqueItEEEPmJS6_EEE10hipError_tPvRmT3_T4_T5_T6_T7_T9_mT8_P12ihipStream_tbDpT10_ENKUlT_T0_E_clISt17integral_constantIbLb1EES1A_EEDaS15_S16_EUlS15_E_NS1_11comp_targetILNS1_3genE2ELNS1_11target_archE906ELNS1_3gpuE6ELNS1_3repE0EEENS1_30default_config_static_selectorELNS0_4arch9wavefront6targetE1EEEvT1_: ; @_ZN7rocprim17ROCPRIM_400000_NS6detail17trampoline_kernelINS0_14default_configENS1_25partition_config_selectorILNS1_17partition_subalgoE8EtNS0_10empty_typeEbEEZZNS1_14partition_implILS5_8ELb0ES3_jN6thrust23THRUST_200600_302600_NS6detail15normal_iteratorINSA_10device_ptrItEEEEPS6_PKS6_NS0_5tupleIJSF_S6_EEENSJ_IJSG_SG_EEENS0_18inequality_wrapperI22is_equal_div_10_uniqueItEEEPmJS6_EEE10hipError_tPvRmT3_T4_T5_T6_T7_T9_mT8_P12ihipStream_tbDpT10_ENKUlT_T0_E_clISt17integral_constantIbLb1EES1A_EEDaS15_S16_EUlS15_E_NS1_11comp_targetILNS1_3genE2ELNS1_11target_archE906ELNS1_3gpuE6ELNS1_3repE0EEENS1_30default_config_static_selectorELNS0_4arch9wavefront6targetE1EEEvT1_
; %bb.0:
	s_endpgm
	.section	.rodata,"a",@progbits
	.p2align	6, 0x0
	.amdhsa_kernel _ZN7rocprim17ROCPRIM_400000_NS6detail17trampoline_kernelINS0_14default_configENS1_25partition_config_selectorILNS1_17partition_subalgoE8EtNS0_10empty_typeEbEEZZNS1_14partition_implILS5_8ELb0ES3_jN6thrust23THRUST_200600_302600_NS6detail15normal_iteratorINSA_10device_ptrItEEEEPS6_PKS6_NS0_5tupleIJSF_S6_EEENSJ_IJSG_SG_EEENS0_18inequality_wrapperI22is_equal_div_10_uniqueItEEEPmJS6_EEE10hipError_tPvRmT3_T4_T5_T6_T7_T9_mT8_P12ihipStream_tbDpT10_ENKUlT_T0_E_clISt17integral_constantIbLb1EES1A_EEDaS15_S16_EUlS15_E_NS1_11comp_targetILNS1_3genE2ELNS1_11target_archE906ELNS1_3gpuE6ELNS1_3repE0EEENS1_30default_config_static_selectorELNS0_4arch9wavefront6targetE1EEEvT1_
		.amdhsa_group_segment_fixed_size 0
		.amdhsa_private_segment_fixed_size 0
		.amdhsa_kernarg_size 128
		.amdhsa_user_sgpr_count 6
		.amdhsa_user_sgpr_private_segment_buffer 1
		.amdhsa_user_sgpr_dispatch_ptr 0
		.amdhsa_user_sgpr_queue_ptr 0
		.amdhsa_user_sgpr_kernarg_segment_ptr 1
		.amdhsa_user_sgpr_dispatch_id 0
		.amdhsa_user_sgpr_flat_scratch_init 0
		.amdhsa_user_sgpr_private_segment_size 0
		.amdhsa_uses_dynamic_stack 0
		.amdhsa_system_sgpr_private_segment_wavefront_offset 0
		.amdhsa_system_sgpr_workgroup_id_x 1
		.amdhsa_system_sgpr_workgroup_id_y 0
		.amdhsa_system_sgpr_workgroup_id_z 0
		.amdhsa_system_sgpr_workgroup_info 0
		.amdhsa_system_vgpr_workitem_id 0
		.amdhsa_next_free_vgpr 1
		.amdhsa_next_free_sgpr 0
		.amdhsa_reserve_vcc 0
		.amdhsa_reserve_flat_scratch 0
		.amdhsa_float_round_mode_32 0
		.amdhsa_float_round_mode_16_64 0
		.amdhsa_float_denorm_mode_32 3
		.amdhsa_float_denorm_mode_16_64 3
		.amdhsa_dx10_clamp 1
		.amdhsa_ieee_mode 1
		.amdhsa_fp16_overflow 0
		.amdhsa_exception_fp_ieee_invalid_op 0
		.amdhsa_exception_fp_denorm_src 0
		.amdhsa_exception_fp_ieee_div_zero 0
		.amdhsa_exception_fp_ieee_overflow 0
		.amdhsa_exception_fp_ieee_underflow 0
		.amdhsa_exception_fp_ieee_inexact 0
		.amdhsa_exception_int_div_zero 0
	.end_amdhsa_kernel
	.section	.text._ZN7rocprim17ROCPRIM_400000_NS6detail17trampoline_kernelINS0_14default_configENS1_25partition_config_selectorILNS1_17partition_subalgoE8EtNS0_10empty_typeEbEEZZNS1_14partition_implILS5_8ELb0ES3_jN6thrust23THRUST_200600_302600_NS6detail15normal_iteratorINSA_10device_ptrItEEEEPS6_PKS6_NS0_5tupleIJSF_S6_EEENSJ_IJSG_SG_EEENS0_18inequality_wrapperI22is_equal_div_10_uniqueItEEEPmJS6_EEE10hipError_tPvRmT3_T4_T5_T6_T7_T9_mT8_P12ihipStream_tbDpT10_ENKUlT_T0_E_clISt17integral_constantIbLb1EES1A_EEDaS15_S16_EUlS15_E_NS1_11comp_targetILNS1_3genE2ELNS1_11target_archE906ELNS1_3gpuE6ELNS1_3repE0EEENS1_30default_config_static_selectorELNS0_4arch9wavefront6targetE1EEEvT1_,"axG",@progbits,_ZN7rocprim17ROCPRIM_400000_NS6detail17trampoline_kernelINS0_14default_configENS1_25partition_config_selectorILNS1_17partition_subalgoE8EtNS0_10empty_typeEbEEZZNS1_14partition_implILS5_8ELb0ES3_jN6thrust23THRUST_200600_302600_NS6detail15normal_iteratorINSA_10device_ptrItEEEEPS6_PKS6_NS0_5tupleIJSF_S6_EEENSJ_IJSG_SG_EEENS0_18inequality_wrapperI22is_equal_div_10_uniqueItEEEPmJS6_EEE10hipError_tPvRmT3_T4_T5_T6_T7_T9_mT8_P12ihipStream_tbDpT10_ENKUlT_T0_E_clISt17integral_constantIbLb1EES1A_EEDaS15_S16_EUlS15_E_NS1_11comp_targetILNS1_3genE2ELNS1_11target_archE906ELNS1_3gpuE6ELNS1_3repE0EEENS1_30default_config_static_selectorELNS0_4arch9wavefront6targetE1EEEvT1_,comdat
.Lfunc_end319:
	.size	_ZN7rocprim17ROCPRIM_400000_NS6detail17trampoline_kernelINS0_14default_configENS1_25partition_config_selectorILNS1_17partition_subalgoE8EtNS0_10empty_typeEbEEZZNS1_14partition_implILS5_8ELb0ES3_jN6thrust23THRUST_200600_302600_NS6detail15normal_iteratorINSA_10device_ptrItEEEEPS6_PKS6_NS0_5tupleIJSF_S6_EEENSJ_IJSG_SG_EEENS0_18inequality_wrapperI22is_equal_div_10_uniqueItEEEPmJS6_EEE10hipError_tPvRmT3_T4_T5_T6_T7_T9_mT8_P12ihipStream_tbDpT10_ENKUlT_T0_E_clISt17integral_constantIbLb1EES1A_EEDaS15_S16_EUlS15_E_NS1_11comp_targetILNS1_3genE2ELNS1_11target_archE906ELNS1_3gpuE6ELNS1_3repE0EEENS1_30default_config_static_selectorELNS0_4arch9wavefront6targetE1EEEvT1_, .Lfunc_end319-_ZN7rocprim17ROCPRIM_400000_NS6detail17trampoline_kernelINS0_14default_configENS1_25partition_config_selectorILNS1_17partition_subalgoE8EtNS0_10empty_typeEbEEZZNS1_14partition_implILS5_8ELb0ES3_jN6thrust23THRUST_200600_302600_NS6detail15normal_iteratorINSA_10device_ptrItEEEEPS6_PKS6_NS0_5tupleIJSF_S6_EEENSJ_IJSG_SG_EEENS0_18inequality_wrapperI22is_equal_div_10_uniqueItEEEPmJS6_EEE10hipError_tPvRmT3_T4_T5_T6_T7_T9_mT8_P12ihipStream_tbDpT10_ENKUlT_T0_E_clISt17integral_constantIbLb1EES1A_EEDaS15_S16_EUlS15_E_NS1_11comp_targetILNS1_3genE2ELNS1_11target_archE906ELNS1_3gpuE6ELNS1_3repE0EEENS1_30default_config_static_selectorELNS0_4arch9wavefront6targetE1EEEvT1_
                                        ; -- End function
	.set _ZN7rocprim17ROCPRIM_400000_NS6detail17trampoline_kernelINS0_14default_configENS1_25partition_config_selectorILNS1_17partition_subalgoE8EtNS0_10empty_typeEbEEZZNS1_14partition_implILS5_8ELb0ES3_jN6thrust23THRUST_200600_302600_NS6detail15normal_iteratorINSA_10device_ptrItEEEEPS6_PKS6_NS0_5tupleIJSF_S6_EEENSJ_IJSG_SG_EEENS0_18inequality_wrapperI22is_equal_div_10_uniqueItEEEPmJS6_EEE10hipError_tPvRmT3_T4_T5_T6_T7_T9_mT8_P12ihipStream_tbDpT10_ENKUlT_T0_E_clISt17integral_constantIbLb1EES1A_EEDaS15_S16_EUlS15_E_NS1_11comp_targetILNS1_3genE2ELNS1_11target_archE906ELNS1_3gpuE6ELNS1_3repE0EEENS1_30default_config_static_selectorELNS0_4arch9wavefront6targetE1EEEvT1_.num_vgpr, 0
	.set _ZN7rocprim17ROCPRIM_400000_NS6detail17trampoline_kernelINS0_14default_configENS1_25partition_config_selectorILNS1_17partition_subalgoE8EtNS0_10empty_typeEbEEZZNS1_14partition_implILS5_8ELb0ES3_jN6thrust23THRUST_200600_302600_NS6detail15normal_iteratorINSA_10device_ptrItEEEEPS6_PKS6_NS0_5tupleIJSF_S6_EEENSJ_IJSG_SG_EEENS0_18inequality_wrapperI22is_equal_div_10_uniqueItEEEPmJS6_EEE10hipError_tPvRmT3_T4_T5_T6_T7_T9_mT8_P12ihipStream_tbDpT10_ENKUlT_T0_E_clISt17integral_constantIbLb1EES1A_EEDaS15_S16_EUlS15_E_NS1_11comp_targetILNS1_3genE2ELNS1_11target_archE906ELNS1_3gpuE6ELNS1_3repE0EEENS1_30default_config_static_selectorELNS0_4arch9wavefront6targetE1EEEvT1_.num_agpr, 0
	.set _ZN7rocprim17ROCPRIM_400000_NS6detail17trampoline_kernelINS0_14default_configENS1_25partition_config_selectorILNS1_17partition_subalgoE8EtNS0_10empty_typeEbEEZZNS1_14partition_implILS5_8ELb0ES3_jN6thrust23THRUST_200600_302600_NS6detail15normal_iteratorINSA_10device_ptrItEEEEPS6_PKS6_NS0_5tupleIJSF_S6_EEENSJ_IJSG_SG_EEENS0_18inequality_wrapperI22is_equal_div_10_uniqueItEEEPmJS6_EEE10hipError_tPvRmT3_T4_T5_T6_T7_T9_mT8_P12ihipStream_tbDpT10_ENKUlT_T0_E_clISt17integral_constantIbLb1EES1A_EEDaS15_S16_EUlS15_E_NS1_11comp_targetILNS1_3genE2ELNS1_11target_archE906ELNS1_3gpuE6ELNS1_3repE0EEENS1_30default_config_static_selectorELNS0_4arch9wavefront6targetE1EEEvT1_.numbered_sgpr, 0
	.set _ZN7rocprim17ROCPRIM_400000_NS6detail17trampoline_kernelINS0_14default_configENS1_25partition_config_selectorILNS1_17partition_subalgoE8EtNS0_10empty_typeEbEEZZNS1_14partition_implILS5_8ELb0ES3_jN6thrust23THRUST_200600_302600_NS6detail15normal_iteratorINSA_10device_ptrItEEEEPS6_PKS6_NS0_5tupleIJSF_S6_EEENSJ_IJSG_SG_EEENS0_18inequality_wrapperI22is_equal_div_10_uniqueItEEEPmJS6_EEE10hipError_tPvRmT3_T4_T5_T6_T7_T9_mT8_P12ihipStream_tbDpT10_ENKUlT_T0_E_clISt17integral_constantIbLb1EES1A_EEDaS15_S16_EUlS15_E_NS1_11comp_targetILNS1_3genE2ELNS1_11target_archE906ELNS1_3gpuE6ELNS1_3repE0EEENS1_30default_config_static_selectorELNS0_4arch9wavefront6targetE1EEEvT1_.num_named_barrier, 0
	.set _ZN7rocprim17ROCPRIM_400000_NS6detail17trampoline_kernelINS0_14default_configENS1_25partition_config_selectorILNS1_17partition_subalgoE8EtNS0_10empty_typeEbEEZZNS1_14partition_implILS5_8ELb0ES3_jN6thrust23THRUST_200600_302600_NS6detail15normal_iteratorINSA_10device_ptrItEEEEPS6_PKS6_NS0_5tupleIJSF_S6_EEENSJ_IJSG_SG_EEENS0_18inequality_wrapperI22is_equal_div_10_uniqueItEEEPmJS6_EEE10hipError_tPvRmT3_T4_T5_T6_T7_T9_mT8_P12ihipStream_tbDpT10_ENKUlT_T0_E_clISt17integral_constantIbLb1EES1A_EEDaS15_S16_EUlS15_E_NS1_11comp_targetILNS1_3genE2ELNS1_11target_archE906ELNS1_3gpuE6ELNS1_3repE0EEENS1_30default_config_static_selectorELNS0_4arch9wavefront6targetE1EEEvT1_.private_seg_size, 0
	.set _ZN7rocprim17ROCPRIM_400000_NS6detail17trampoline_kernelINS0_14default_configENS1_25partition_config_selectorILNS1_17partition_subalgoE8EtNS0_10empty_typeEbEEZZNS1_14partition_implILS5_8ELb0ES3_jN6thrust23THRUST_200600_302600_NS6detail15normal_iteratorINSA_10device_ptrItEEEEPS6_PKS6_NS0_5tupleIJSF_S6_EEENSJ_IJSG_SG_EEENS0_18inequality_wrapperI22is_equal_div_10_uniqueItEEEPmJS6_EEE10hipError_tPvRmT3_T4_T5_T6_T7_T9_mT8_P12ihipStream_tbDpT10_ENKUlT_T0_E_clISt17integral_constantIbLb1EES1A_EEDaS15_S16_EUlS15_E_NS1_11comp_targetILNS1_3genE2ELNS1_11target_archE906ELNS1_3gpuE6ELNS1_3repE0EEENS1_30default_config_static_selectorELNS0_4arch9wavefront6targetE1EEEvT1_.uses_vcc, 0
	.set _ZN7rocprim17ROCPRIM_400000_NS6detail17trampoline_kernelINS0_14default_configENS1_25partition_config_selectorILNS1_17partition_subalgoE8EtNS0_10empty_typeEbEEZZNS1_14partition_implILS5_8ELb0ES3_jN6thrust23THRUST_200600_302600_NS6detail15normal_iteratorINSA_10device_ptrItEEEEPS6_PKS6_NS0_5tupleIJSF_S6_EEENSJ_IJSG_SG_EEENS0_18inequality_wrapperI22is_equal_div_10_uniqueItEEEPmJS6_EEE10hipError_tPvRmT3_T4_T5_T6_T7_T9_mT8_P12ihipStream_tbDpT10_ENKUlT_T0_E_clISt17integral_constantIbLb1EES1A_EEDaS15_S16_EUlS15_E_NS1_11comp_targetILNS1_3genE2ELNS1_11target_archE906ELNS1_3gpuE6ELNS1_3repE0EEENS1_30default_config_static_selectorELNS0_4arch9wavefront6targetE1EEEvT1_.uses_flat_scratch, 0
	.set _ZN7rocprim17ROCPRIM_400000_NS6detail17trampoline_kernelINS0_14default_configENS1_25partition_config_selectorILNS1_17partition_subalgoE8EtNS0_10empty_typeEbEEZZNS1_14partition_implILS5_8ELb0ES3_jN6thrust23THRUST_200600_302600_NS6detail15normal_iteratorINSA_10device_ptrItEEEEPS6_PKS6_NS0_5tupleIJSF_S6_EEENSJ_IJSG_SG_EEENS0_18inequality_wrapperI22is_equal_div_10_uniqueItEEEPmJS6_EEE10hipError_tPvRmT3_T4_T5_T6_T7_T9_mT8_P12ihipStream_tbDpT10_ENKUlT_T0_E_clISt17integral_constantIbLb1EES1A_EEDaS15_S16_EUlS15_E_NS1_11comp_targetILNS1_3genE2ELNS1_11target_archE906ELNS1_3gpuE6ELNS1_3repE0EEENS1_30default_config_static_selectorELNS0_4arch9wavefront6targetE1EEEvT1_.has_dyn_sized_stack, 0
	.set _ZN7rocprim17ROCPRIM_400000_NS6detail17trampoline_kernelINS0_14default_configENS1_25partition_config_selectorILNS1_17partition_subalgoE8EtNS0_10empty_typeEbEEZZNS1_14partition_implILS5_8ELb0ES3_jN6thrust23THRUST_200600_302600_NS6detail15normal_iteratorINSA_10device_ptrItEEEEPS6_PKS6_NS0_5tupleIJSF_S6_EEENSJ_IJSG_SG_EEENS0_18inequality_wrapperI22is_equal_div_10_uniqueItEEEPmJS6_EEE10hipError_tPvRmT3_T4_T5_T6_T7_T9_mT8_P12ihipStream_tbDpT10_ENKUlT_T0_E_clISt17integral_constantIbLb1EES1A_EEDaS15_S16_EUlS15_E_NS1_11comp_targetILNS1_3genE2ELNS1_11target_archE906ELNS1_3gpuE6ELNS1_3repE0EEENS1_30default_config_static_selectorELNS0_4arch9wavefront6targetE1EEEvT1_.has_recursion, 0
	.set _ZN7rocprim17ROCPRIM_400000_NS6detail17trampoline_kernelINS0_14default_configENS1_25partition_config_selectorILNS1_17partition_subalgoE8EtNS0_10empty_typeEbEEZZNS1_14partition_implILS5_8ELb0ES3_jN6thrust23THRUST_200600_302600_NS6detail15normal_iteratorINSA_10device_ptrItEEEEPS6_PKS6_NS0_5tupleIJSF_S6_EEENSJ_IJSG_SG_EEENS0_18inequality_wrapperI22is_equal_div_10_uniqueItEEEPmJS6_EEE10hipError_tPvRmT3_T4_T5_T6_T7_T9_mT8_P12ihipStream_tbDpT10_ENKUlT_T0_E_clISt17integral_constantIbLb1EES1A_EEDaS15_S16_EUlS15_E_NS1_11comp_targetILNS1_3genE2ELNS1_11target_archE906ELNS1_3gpuE6ELNS1_3repE0EEENS1_30default_config_static_selectorELNS0_4arch9wavefront6targetE1EEEvT1_.has_indirect_call, 0
	.section	.AMDGPU.csdata,"",@progbits
; Kernel info:
; codeLenInByte = 4
; TotalNumSgprs: 4
; NumVgprs: 0
; ScratchSize: 0
; MemoryBound: 0
; FloatMode: 240
; IeeeMode: 1
; LDSByteSize: 0 bytes/workgroup (compile time only)
; SGPRBlocks: 0
; VGPRBlocks: 0
; NumSGPRsForWavesPerEU: 4
; NumVGPRsForWavesPerEU: 1
; Occupancy: 10
; WaveLimiterHint : 0
; COMPUTE_PGM_RSRC2:SCRATCH_EN: 0
; COMPUTE_PGM_RSRC2:USER_SGPR: 6
; COMPUTE_PGM_RSRC2:TRAP_HANDLER: 0
; COMPUTE_PGM_RSRC2:TGID_X_EN: 1
; COMPUTE_PGM_RSRC2:TGID_Y_EN: 0
; COMPUTE_PGM_RSRC2:TGID_Z_EN: 0
; COMPUTE_PGM_RSRC2:TIDIG_COMP_CNT: 0
	.section	.text._ZN7rocprim17ROCPRIM_400000_NS6detail17trampoline_kernelINS0_14default_configENS1_25partition_config_selectorILNS1_17partition_subalgoE8EtNS0_10empty_typeEbEEZZNS1_14partition_implILS5_8ELb0ES3_jN6thrust23THRUST_200600_302600_NS6detail15normal_iteratorINSA_10device_ptrItEEEEPS6_PKS6_NS0_5tupleIJSF_S6_EEENSJ_IJSG_SG_EEENS0_18inequality_wrapperI22is_equal_div_10_uniqueItEEEPmJS6_EEE10hipError_tPvRmT3_T4_T5_T6_T7_T9_mT8_P12ihipStream_tbDpT10_ENKUlT_T0_E_clISt17integral_constantIbLb1EES1A_EEDaS15_S16_EUlS15_E_NS1_11comp_targetILNS1_3genE10ELNS1_11target_archE1200ELNS1_3gpuE4ELNS1_3repE0EEENS1_30default_config_static_selectorELNS0_4arch9wavefront6targetE1EEEvT1_,"axG",@progbits,_ZN7rocprim17ROCPRIM_400000_NS6detail17trampoline_kernelINS0_14default_configENS1_25partition_config_selectorILNS1_17partition_subalgoE8EtNS0_10empty_typeEbEEZZNS1_14partition_implILS5_8ELb0ES3_jN6thrust23THRUST_200600_302600_NS6detail15normal_iteratorINSA_10device_ptrItEEEEPS6_PKS6_NS0_5tupleIJSF_S6_EEENSJ_IJSG_SG_EEENS0_18inequality_wrapperI22is_equal_div_10_uniqueItEEEPmJS6_EEE10hipError_tPvRmT3_T4_T5_T6_T7_T9_mT8_P12ihipStream_tbDpT10_ENKUlT_T0_E_clISt17integral_constantIbLb1EES1A_EEDaS15_S16_EUlS15_E_NS1_11comp_targetILNS1_3genE10ELNS1_11target_archE1200ELNS1_3gpuE4ELNS1_3repE0EEENS1_30default_config_static_selectorELNS0_4arch9wavefront6targetE1EEEvT1_,comdat
	.protected	_ZN7rocprim17ROCPRIM_400000_NS6detail17trampoline_kernelINS0_14default_configENS1_25partition_config_selectorILNS1_17partition_subalgoE8EtNS0_10empty_typeEbEEZZNS1_14partition_implILS5_8ELb0ES3_jN6thrust23THRUST_200600_302600_NS6detail15normal_iteratorINSA_10device_ptrItEEEEPS6_PKS6_NS0_5tupleIJSF_S6_EEENSJ_IJSG_SG_EEENS0_18inequality_wrapperI22is_equal_div_10_uniqueItEEEPmJS6_EEE10hipError_tPvRmT3_T4_T5_T6_T7_T9_mT8_P12ihipStream_tbDpT10_ENKUlT_T0_E_clISt17integral_constantIbLb1EES1A_EEDaS15_S16_EUlS15_E_NS1_11comp_targetILNS1_3genE10ELNS1_11target_archE1200ELNS1_3gpuE4ELNS1_3repE0EEENS1_30default_config_static_selectorELNS0_4arch9wavefront6targetE1EEEvT1_ ; -- Begin function _ZN7rocprim17ROCPRIM_400000_NS6detail17trampoline_kernelINS0_14default_configENS1_25partition_config_selectorILNS1_17partition_subalgoE8EtNS0_10empty_typeEbEEZZNS1_14partition_implILS5_8ELb0ES3_jN6thrust23THRUST_200600_302600_NS6detail15normal_iteratorINSA_10device_ptrItEEEEPS6_PKS6_NS0_5tupleIJSF_S6_EEENSJ_IJSG_SG_EEENS0_18inequality_wrapperI22is_equal_div_10_uniqueItEEEPmJS6_EEE10hipError_tPvRmT3_T4_T5_T6_T7_T9_mT8_P12ihipStream_tbDpT10_ENKUlT_T0_E_clISt17integral_constantIbLb1EES1A_EEDaS15_S16_EUlS15_E_NS1_11comp_targetILNS1_3genE10ELNS1_11target_archE1200ELNS1_3gpuE4ELNS1_3repE0EEENS1_30default_config_static_selectorELNS0_4arch9wavefront6targetE1EEEvT1_
	.globl	_ZN7rocprim17ROCPRIM_400000_NS6detail17trampoline_kernelINS0_14default_configENS1_25partition_config_selectorILNS1_17partition_subalgoE8EtNS0_10empty_typeEbEEZZNS1_14partition_implILS5_8ELb0ES3_jN6thrust23THRUST_200600_302600_NS6detail15normal_iteratorINSA_10device_ptrItEEEEPS6_PKS6_NS0_5tupleIJSF_S6_EEENSJ_IJSG_SG_EEENS0_18inequality_wrapperI22is_equal_div_10_uniqueItEEEPmJS6_EEE10hipError_tPvRmT3_T4_T5_T6_T7_T9_mT8_P12ihipStream_tbDpT10_ENKUlT_T0_E_clISt17integral_constantIbLb1EES1A_EEDaS15_S16_EUlS15_E_NS1_11comp_targetILNS1_3genE10ELNS1_11target_archE1200ELNS1_3gpuE4ELNS1_3repE0EEENS1_30default_config_static_selectorELNS0_4arch9wavefront6targetE1EEEvT1_
	.p2align	8
	.type	_ZN7rocprim17ROCPRIM_400000_NS6detail17trampoline_kernelINS0_14default_configENS1_25partition_config_selectorILNS1_17partition_subalgoE8EtNS0_10empty_typeEbEEZZNS1_14partition_implILS5_8ELb0ES3_jN6thrust23THRUST_200600_302600_NS6detail15normal_iteratorINSA_10device_ptrItEEEEPS6_PKS6_NS0_5tupleIJSF_S6_EEENSJ_IJSG_SG_EEENS0_18inequality_wrapperI22is_equal_div_10_uniqueItEEEPmJS6_EEE10hipError_tPvRmT3_T4_T5_T6_T7_T9_mT8_P12ihipStream_tbDpT10_ENKUlT_T0_E_clISt17integral_constantIbLb1EES1A_EEDaS15_S16_EUlS15_E_NS1_11comp_targetILNS1_3genE10ELNS1_11target_archE1200ELNS1_3gpuE4ELNS1_3repE0EEENS1_30default_config_static_selectorELNS0_4arch9wavefront6targetE1EEEvT1_,@function
_ZN7rocprim17ROCPRIM_400000_NS6detail17trampoline_kernelINS0_14default_configENS1_25partition_config_selectorILNS1_17partition_subalgoE8EtNS0_10empty_typeEbEEZZNS1_14partition_implILS5_8ELb0ES3_jN6thrust23THRUST_200600_302600_NS6detail15normal_iteratorINSA_10device_ptrItEEEEPS6_PKS6_NS0_5tupleIJSF_S6_EEENSJ_IJSG_SG_EEENS0_18inequality_wrapperI22is_equal_div_10_uniqueItEEEPmJS6_EEE10hipError_tPvRmT3_T4_T5_T6_T7_T9_mT8_P12ihipStream_tbDpT10_ENKUlT_T0_E_clISt17integral_constantIbLb1EES1A_EEDaS15_S16_EUlS15_E_NS1_11comp_targetILNS1_3genE10ELNS1_11target_archE1200ELNS1_3gpuE4ELNS1_3repE0EEENS1_30default_config_static_selectorELNS0_4arch9wavefront6targetE1EEEvT1_: ; @_ZN7rocprim17ROCPRIM_400000_NS6detail17trampoline_kernelINS0_14default_configENS1_25partition_config_selectorILNS1_17partition_subalgoE8EtNS0_10empty_typeEbEEZZNS1_14partition_implILS5_8ELb0ES3_jN6thrust23THRUST_200600_302600_NS6detail15normal_iteratorINSA_10device_ptrItEEEEPS6_PKS6_NS0_5tupleIJSF_S6_EEENSJ_IJSG_SG_EEENS0_18inequality_wrapperI22is_equal_div_10_uniqueItEEEPmJS6_EEE10hipError_tPvRmT3_T4_T5_T6_T7_T9_mT8_P12ihipStream_tbDpT10_ENKUlT_T0_E_clISt17integral_constantIbLb1EES1A_EEDaS15_S16_EUlS15_E_NS1_11comp_targetILNS1_3genE10ELNS1_11target_archE1200ELNS1_3gpuE4ELNS1_3repE0EEENS1_30default_config_static_selectorELNS0_4arch9wavefront6targetE1EEEvT1_
; %bb.0:
	.section	.rodata,"a",@progbits
	.p2align	6, 0x0
	.amdhsa_kernel _ZN7rocprim17ROCPRIM_400000_NS6detail17trampoline_kernelINS0_14default_configENS1_25partition_config_selectorILNS1_17partition_subalgoE8EtNS0_10empty_typeEbEEZZNS1_14partition_implILS5_8ELb0ES3_jN6thrust23THRUST_200600_302600_NS6detail15normal_iteratorINSA_10device_ptrItEEEEPS6_PKS6_NS0_5tupleIJSF_S6_EEENSJ_IJSG_SG_EEENS0_18inequality_wrapperI22is_equal_div_10_uniqueItEEEPmJS6_EEE10hipError_tPvRmT3_T4_T5_T6_T7_T9_mT8_P12ihipStream_tbDpT10_ENKUlT_T0_E_clISt17integral_constantIbLb1EES1A_EEDaS15_S16_EUlS15_E_NS1_11comp_targetILNS1_3genE10ELNS1_11target_archE1200ELNS1_3gpuE4ELNS1_3repE0EEENS1_30default_config_static_selectorELNS0_4arch9wavefront6targetE1EEEvT1_
		.amdhsa_group_segment_fixed_size 0
		.amdhsa_private_segment_fixed_size 0
		.amdhsa_kernarg_size 128
		.amdhsa_user_sgpr_count 6
		.amdhsa_user_sgpr_private_segment_buffer 1
		.amdhsa_user_sgpr_dispatch_ptr 0
		.amdhsa_user_sgpr_queue_ptr 0
		.amdhsa_user_sgpr_kernarg_segment_ptr 1
		.amdhsa_user_sgpr_dispatch_id 0
		.amdhsa_user_sgpr_flat_scratch_init 0
		.amdhsa_user_sgpr_private_segment_size 0
		.amdhsa_uses_dynamic_stack 0
		.amdhsa_system_sgpr_private_segment_wavefront_offset 0
		.amdhsa_system_sgpr_workgroup_id_x 1
		.amdhsa_system_sgpr_workgroup_id_y 0
		.amdhsa_system_sgpr_workgroup_id_z 0
		.amdhsa_system_sgpr_workgroup_info 0
		.amdhsa_system_vgpr_workitem_id 0
		.amdhsa_next_free_vgpr 1
		.amdhsa_next_free_sgpr 0
		.amdhsa_reserve_vcc 0
		.amdhsa_reserve_flat_scratch 0
		.amdhsa_float_round_mode_32 0
		.amdhsa_float_round_mode_16_64 0
		.amdhsa_float_denorm_mode_32 3
		.amdhsa_float_denorm_mode_16_64 3
		.amdhsa_dx10_clamp 1
		.amdhsa_ieee_mode 1
		.amdhsa_fp16_overflow 0
		.amdhsa_exception_fp_ieee_invalid_op 0
		.amdhsa_exception_fp_denorm_src 0
		.amdhsa_exception_fp_ieee_div_zero 0
		.amdhsa_exception_fp_ieee_overflow 0
		.amdhsa_exception_fp_ieee_underflow 0
		.amdhsa_exception_fp_ieee_inexact 0
		.amdhsa_exception_int_div_zero 0
	.end_amdhsa_kernel
	.section	.text._ZN7rocprim17ROCPRIM_400000_NS6detail17trampoline_kernelINS0_14default_configENS1_25partition_config_selectorILNS1_17partition_subalgoE8EtNS0_10empty_typeEbEEZZNS1_14partition_implILS5_8ELb0ES3_jN6thrust23THRUST_200600_302600_NS6detail15normal_iteratorINSA_10device_ptrItEEEEPS6_PKS6_NS0_5tupleIJSF_S6_EEENSJ_IJSG_SG_EEENS0_18inequality_wrapperI22is_equal_div_10_uniqueItEEEPmJS6_EEE10hipError_tPvRmT3_T4_T5_T6_T7_T9_mT8_P12ihipStream_tbDpT10_ENKUlT_T0_E_clISt17integral_constantIbLb1EES1A_EEDaS15_S16_EUlS15_E_NS1_11comp_targetILNS1_3genE10ELNS1_11target_archE1200ELNS1_3gpuE4ELNS1_3repE0EEENS1_30default_config_static_selectorELNS0_4arch9wavefront6targetE1EEEvT1_,"axG",@progbits,_ZN7rocprim17ROCPRIM_400000_NS6detail17trampoline_kernelINS0_14default_configENS1_25partition_config_selectorILNS1_17partition_subalgoE8EtNS0_10empty_typeEbEEZZNS1_14partition_implILS5_8ELb0ES3_jN6thrust23THRUST_200600_302600_NS6detail15normal_iteratorINSA_10device_ptrItEEEEPS6_PKS6_NS0_5tupleIJSF_S6_EEENSJ_IJSG_SG_EEENS0_18inequality_wrapperI22is_equal_div_10_uniqueItEEEPmJS6_EEE10hipError_tPvRmT3_T4_T5_T6_T7_T9_mT8_P12ihipStream_tbDpT10_ENKUlT_T0_E_clISt17integral_constantIbLb1EES1A_EEDaS15_S16_EUlS15_E_NS1_11comp_targetILNS1_3genE10ELNS1_11target_archE1200ELNS1_3gpuE4ELNS1_3repE0EEENS1_30default_config_static_selectorELNS0_4arch9wavefront6targetE1EEEvT1_,comdat
.Lfunc_end320:
	.size	_ZN7rocprim17ROCPRIM_400000_NS6detail17trampoline_kernelINS0_14default_configENS1_25partition_config_selectorILNS1_17partition_subalgoE8EtNS0_10empty_typeEbEEZZNS1_14partition_implILS5_8ELb0ES3_jN6thrust23THRUST_200600_302600_NS6detail15normal_iteratorINSA_10device_ptrItEEEEPS6_PKS6_NS0_5tupleIJSF_S6_EEENSJ_IJSG_SG_EEENS0_18inequality_wrapperI22is_equal_div_10_uniqueItEEEPmJS6_EEE10hipError_tPvRmT3_T4_T5_T6_T7_T9_mT8_P12ihipStream_tbDpT10_ENKUlT_T0_E_clISt17integral_constantIbLb1EES1A_EEDaS15_S16_EUlS15_E_NS1_11comp_targetILNS1_3genE10ELNS1_11target_archE1200ELNS1_3gpuE4ELNS1_3repE0EEENS1_30default_config_static_selectorELNS0_4arch9wavefront6targetE1EEEvT1_, .Lfunc_end320-_ZN7rocprim17ROCPRIM_400000_NS6detail17trampoline_kernelINS0_14default_configENS1_25partition_config_selectorILNS1_17partition_subalgoE8EtNS0_10empty_typeEbEEZZNS1_14partition_implILS5_8ELb0ES3_jN6thrust23THRUST_200600_302600_NS6detail15normal_iteratorINSA_10device_ptrItEEEEPS6_PKS6_NS0_5tupleIJSF_S6_EEENSJ_IJSG_SG_EEENS0_18inequality_wrapperI22is_equal_div_10_uniqueItEEEPmJS6_EEE10hipError_tPvRmT3_T4_T5_T6_T7_T9_mT8_P12ihipStream_tbDpT10_ENKUlT_T0_E_clISt17integral_constantIbLb1EES1A_EEDaS15_S16_EUlS15_E_NS1_11comp_targetILNS1_3genE10ELNS1_11target_archE1200ELNS1_3gpuE4ELNS1_3repE0EEENS1_30default_config_static_selectorELNS0_4arch9wavefront6targetE1EEEvT1_
                                        ; -- End function
	.set _ZN7rocprim17ROCPRIM_400000_NS6detail17trampoline_kernelINS0_14default_configENS1_25partition_config_selectorILNS1_17partition_subalgoE8EtNS0_10empty_typeEbEEZZNS1_14partition_implILS5_8ELb0ES3_jN6thrust23THRUST_200600_302600_NS6detail15normal_iteratorINSA_10device_ptrItEEEEPS6_PKS6_NS0_5tupleIJSF_S6_EEENSJ_IJSG_SG_EEENS0_18inequality_wrapperI22is_equal_div_10_uniqueItEEEPmJS6_EEE10hipError_tPvRmT3_T4_T5_T6_T7_T9_mT8_P12ihipStream_tbDpT10_ENKUlT_T0_E_clISt17integral_constantIbLb1EES1A_EEDaS15_S16_EUlS15_E_NS1_11comp_targetILNS1_3genE10ELNS1_11target_archE1200ELNS1_3gpuE4ELNS1_3repE0EEENS1_30default_config_static_selectorELNS0_4arch9wavefront6targetE1EEEvT1_.num_vgpr, 0
	.set _ZN7rocprim17ROCPRIM_400000_NS6detail17trampoline_kernelINS0_14default_configENS1_25partition_config_selectorILNS1_17partition_subalgoE8EtNS0_10empty_typeEbEEZZNS1_14partition_implILS5_8ELb0ES3_jN6thrust23THRUST_200600_302600_NS6detail15normal_iteratorINSA_10device_ptrItEEEEPS6_PKS6_NS0_5tupleIJSF_S6_EEENSJ_IJSG_SG_EEENS0_18inequality_wrapperI22is_equal_div_10_uniqueItEEEPmJS6_EEE10hipError_tPvRmT3_T4_T5_T6_T7_T9_mT8_P12ihipStream_tbDpT10_ENKUlT_T0_E_clISt17integral_constantIbLb1EES1A_EEDaS15_S16_EUlS15_E_NS1_11comp_targetILNS1_3genE10ELNS1_11target_archE1200ELNS1_3gpuE4ELNS1_3repE0EEENS1_30default_config_static_selectorELNS0_4arch9wavefront6targetE1EEEvT1_.num_agpr, 0
	.set _ZN7rocprim17ROCPRIM_400000_NS6detail17trampoline_kernelINS0_14default_configENS1_25partition_config_selectorILNS1_17partition_subalgoE8EtNS0_10empty_typeEbEEZZNS1_14partition_implILS5_8ELb0ES3_jN6thrust23THRUST_200600_302600_NS6detail15normal_iteratorINSA_10device_ptrItEEEEPS6_PKS6_NS0_5tupleIJSF_S6_EEENSJ_IJSG_SG_EEENS0_18inequality_wrapperI22is_equal_div_10_uniqueItEEEPmJS6_EEE10hipError_tPvRmT3_T4_T5_T6_T7_T9_mT8_P12ihipStream_tbDpT10_ENKUlT_T0_E_clISt17integral_constantIbLb1EES1A_EEDaS15_S16_EUlS15_E_NS1_11comp_targetILNS1_3genE10ELNS1_11target_archE1200ELNS1_3gpuE4ELNS1_3repE0EEENS1_30default_config_static_selectorELNS0_4arch9wavefront6targetE1EEEvT1_.numbered_sgpr, 0
	.set _ZN7rocprim17ROCPRIM_400000_NS6detail17trampoline_kernelINS0_14default_configENS1_25partition_config_selectorILNS1_17partition_subalgoE8EtNS0_10empty_typeEbEEZZNS1_14partition_implILS5_8ELb0ES3_jN6thrust23THRUST_200600_302600_NS6detail15normal_iteratorINSA_10device_ptrItEEEEPS6_PKS6_NS0_5tupleIJSF_S6_EEENSJ_IJSG_SG_EEENS0_18inequality_wrapperI22is_equal_div_10_uniqueItEEEPmJS6_EEE10hipError_tPvRmT3_T4_T5_T6_T7_T9_mT8_P12ihipStream_tbDpT10_ENKUlT_T0_E_clISt17integral_constantIbLb1EES1A_EEDaS15_S16_EUlS15_E_NS1_11comp_targetILNS1_3genE10ELNS1_11target_archE1200ELNS1_3gpuE4ELNS1_3repE0EEENS1_30default_config_static_selectorELNS0_4arch9wavefront6targetE1EEEvT1_.num_named_barrier, 0
	.set _ZN7rocprim17ROCPRIM_400000_NS6detail17trampoline_kernelINS0_14default_configENS1_25partition_config_selectorILNS1_17partition_subalgoE8EtNS0_10empty_typeEbEEZZNS1_14partition_implILS5_8ELb0ES3_jN6thrust23THRUST_200600_302600_NS6detail15normal_iteratorINSA_10device_ptrItEEEEPS6_PKS6_NS0_5tupleIJSF_S6_EEENSJ_IJSG_SG_EEENS0_18inequality_wrapperI22is_equal_div_10_uniqueItEEEPmJS6_EEE10hipError_tPvRmT3_T4_T5_T6_T7_T9_mT8_P12ihipStream_tbDpT10_ENKUlT_T0_E_clISt17integral_constantIbLb1EES1A_EEDaS15_S16_EUlS15_E_NS1_11comp_targetILNS1_3genE10ELNS1_11target_archE1200ELNS1_3gpuE4ELNS1_3repE0EEENS1_30default_config_static_selectorELNS0_4arch9wavefront6targetE1EEEvT1_.private_seg_size, 0
	.set _ZN7rocprim17ROCPRIM_400000_NS6detail17trampoline_kernelINS0_14default_configENS1_25partition_config_selectorILNS1_17partition_subalgoE8EtNS0_10empty_typeEbEEZZNS1_14partition_implILS5_8ELb0ES3_jN6thrust23THRUST_200600_302600_NS6detail15normal_iteratorINSA_10device_ptrItEEEEPS6_PKS6_NS0_5tupleIJSF_S6_EEENSJ_IJSG_SG_EEENS0_18inequality_wrapperI22is_equal_div_10_uniqueItEEEPmJS6_EEE10hipError_tPvRmT3_T4_T5_T6_T7_T9_mT8_P12ihipStream_tbDpT10_ENKUlT_T0_E_clISt17integral_constantIbLb1EES1A_EEDaS15_S16_EUlS15_E_NS1_11comp_targetILNS1_3genE10ELNS1_11target_archE1200ELNS1_3gpuE4ELNS1_3repE0EEENS1_30default_config_static_selectorELNS0_4arch9wavefront6targetE1EEEvT1_.uses_vcc, 0
	.set _ZN7rocprim17ROCPRIM_400000_NS6detail17trampoline_kernelINS0_14default_configENS1_25partition_config_selectorILNS1_17partition_subalgoE8EtNS0_10empty_typeEbEEZZNS1_14partition_implILS5_8ELb0ES3_jN6thrust23THRUST_200600_302600_NS6detail15normal_iteratorINSA_10device_ptrItEEEEPS6_PKS6_NS0_5tupleIJSF_S6_EEENSJ_IJSG_SG_EEENS0_18inequality_wrapperI22is_equal_div_10_uniqueItEEEPmJS6_EEE10hipError_tPvRmT3_T4_T5_T6_T7_T9_mT8_P12ihipStream_tbDpT10_ENKUlT_T0_E_clISt17integral_constantIbLb1EES1A_EEDaS15_S16_EUlS15_E_NS1_11comp_targetILNS1_3genE10ELNS1_11target_archE1200ELNS1_3gpuE4ELNS1_3repE0EEENS1_30default_config_static_selectorELNS0_4arch9wavefront6targetE1EEEvT1_.uses_flat_scratch, 0
	.set _ZN7rocprim17ROCPRIM_400000_NS6detail17trampoline_kernelINS0_14default_configENS1_25partition_config_selectorILNS1_17partition_subalgoE8EtNS0_10empty_typeEbEEZZNS1_14partition_implILS5_8ELb0ES3_jN6thrust23THRUST_200600_302600_NS6detail15normal_iteratorINSA_10device_ptrItEEEEPS6_PKS6_NS0_5tupleIJSF_S6_EEENSJ_IJSG_SG_EEENS0_18inequality_wrapperI22is_equal_div_10_uniqueItEEEPmJS6_EEE10hipError_tPvRmT3_T4_T5_T6_T7_T9_mT8_P12ihipStream_tbDpT10_ENKUlT_T0_E_clISt17integral_constantIbLb1EES1A_EEDaS15_S16_EUlS15_E_NS1_11comp_targetILNS1_3genE10ELNS1_11target_archE1200ELNS1_3gpuE4ELNS1_3repE0EEENS1_30default_config_static_selectorELNS0_4arch9wavefront6targetE1EEEvT1_.has_dyn_sized_stack, 0
	.set _ZN7rocprim17ROCPRIM_400000_NS6detail17trampoline_kernelINS0_14default_configENS1_25partition_config_selectorILNS1_17partition_subalgoE8EtNS0_10empty_typeEbEEZZNS1_14partition_implILS5_8ELb0ES3_jN6thrust23THRUST_200600_302600_NS6detail15normal_iteratorINSA_10device_ptrItEEEEPS6_PKS6_NS0_5tupleIJSF_S6_EEENSJ_IJSG_SG_EEENS0_18inequality_wrapperI22is_equal_div_10_uniqueItEEEPmJS6_EEE10hipError_tPvRmT3_T4_T5_T6_T7_T9_mT8_P12ihipStream_tbDpT10_ENKUlT_T0_E_clISt17integral_constantIbLb1EES1A_EEDaS15_S16_EUlS15_E_NS1_11comp_targetILNS1_3genE10ELNS1_11target_archE1200ELNS1_3gpuE4ELNS1_3repE0EEENS1_30default_config_static_selectorELNS0_4arch9wavefront6targetE1EEEvT1_.has_recursion, 0
	.set _ZN7rocprim17ROCPRIM_400000_NS6detail17trampoline_kernelINS0_14default_configENS1_25partition_config_selectorILNS1_17partition_subalgoE8EtNS0_10empty_typeEbEEZZNS1_14partition_implILS5_8ELb0ES3_jN6thrust23THRUST_200600_302600_NS6detail15normal_iteratorINSA_10device_ptrItEEEEPS6_PKS6_NS0_5tupleIJSF_S6_EEENSJ_IJSG_SG_EEENS0_18inequality_wrapperI22is_equal_div_10_uniqueItEEEPmJS6_EEE10hipError_tPvRmT3_T4_T5_T6_T7_T9_mT8_P12ihipStream_tbDpT10_ENKUlT_T0_E_clISt17integral_constantIbLb1EES1A_EEDaS15_S16_EUlS15_E_NS1_11comp_targetILNS1_3genE10ELNS1_11target_archE1200ELNS1_3gpuE4ELNS1_3repE0EEENS1_30default_config_static_selectorELNS0_4arch9wavefront6targetE1EEEvT1_.has_indirect_call, 0
	.section	.AMDGPU.csdata,"",@progbits
; Kernel info:
; codeLenInByte = 0
; TotalNumSgprs: 4
; NumVgprs: 0
; ScratchSize: 0
; MemoryBound: 0
; FloatMode: 240
; IeeeMode: 1
; LDSByteSize: 0 bytes/workgroup (compile time only)
; SGPRBlocks: 0
; VGPRBlocks: 0
; NumSGPRsForWavesPerEU: 4
; NumVGPRsForWavesPerEU: 1
; Occupancy: 10
; WaveLimiterHint : 0
; COMPUTE_PGM_RSRC2:SCRATCH_EN: 0
; COMPUTE_PGM_RSRC2:USER_SGPR: 6
; COMPUTE_PGM_RSRC2:TRAP_HANDLER: 0
; COMPUTE_PGM_RSRC2:TGID_X_EN: 1
; COMPUTE_PGM_RSRC2:TGID_Y_EN: 0
; COMPUTE_PGM_RSRC2:TGID_Z_EN: 0
; COMPUTE_PGM_RSRC2:TIDIG_COMP_CNT: 0
	.section	.text._ZN7rocprim17ROCPRIM_400000_NS6detail17trampoline_kernelINS0_14default_configENS1_25partition_config_selectorILNS1_17partition_subalgoE8EtNS0_10empty_typeEbEEZZNS1_14partition_implILS5_8ELb0ES3_jN6thrust23THRUST_200600_302600_NS6detail15normal_iteratorINSA_10device_ptrItEEEEPS6_PKS6_NS0_5tupleIJSF_S6_EEENSJ_IJSG_SG_EEENS0_18inequality_wrapperI22is_equal_div_10_uniqueItEEEPmJS6_EEE10hipError_tPvRmT3_T4_T5_T6_T7_T9_mT8_P12ihipStream_tbDpT10_ENKUlT_T0_E_clISt17integral_constantIbLb1EES1A_EEDaS15_S16_EUlS15_E_NS1_11comp_targetILNS1_3genE9ELNS1_11target_archE1100ELNS1_3gpuE3ELNS1_3repE0EEENS1_30default_config_static_selectorELNS0_4arch9wavefront6targetE1EEEvT1_,"axG",@progbits,_ZN7rocprim17ROCPRIM_400000_NS6detail17trampoline_kernelINS0_14default_configENS1_25partition_config_selectorILNS1_17partition_subalgoE8EtNS0_10empty_typeEbEEZZNS1_14partition_implILS5_8ELb0ES3_jN6thrust23THRUST_200600_302600_NS6detail15normal_iteratorINSA_10device_ptrItEEEEPS6_PKS6_NS0_5tupleIJSF_S6_EEENSJ_IJSG_SG_EEENS0_18inequality_wrapperI22is_equal_div_10_uniqueItEEEPmJS6_EEE10hipError_tPvRmT3_T4_T5_T6_T7_T9_mT8_P12ihipStream_tbDpT10_ENKUlT_T0_E_clISt17integral_constantIbLb1EES1A_EEDaS15_S16_EUlS15_E_NS1_11comp_targetILNS1_3genE9ELNS1_11target_archE1100ELNS1_3gpuE3ELNS1_3repE0EEENS1_30default_config_static_selectorELNS0_4arch9wavefront6targetE1EEEvT1_,comdat
	.protected	_ZN7rocprim17ROCPRIM_400000_NS6detail17trampoline_kernelINS0_14default_configENS1_25partition_config_selectorILNS1_17partition_subalgoE8EtNS0_10empty_typeEbEEZZNS1_14partition_implILS5_8ELb0ES3_jN6thrust23THRUST_200600_302600_NS6detail15normal_iteratorINSA_10device_ptrItEEEEPS6_PKS6_NS0_5tupleIJSF_S6_EEENSJ_IJSG_SG_EEENS0_18inequality_wrapperI22is_equal_div_10_uniqueItEEEPmJS6_EEE10hipError_tPvRmT3_T4_T5_T6_T7_T9_mT8_P12ihipStream_tbDpT10_ENKUlT_T0_E_clISt17integral_constantIbLb1EES1A_EEDaS15_S16_EUlS15_E_NS1_11comp_targetILNS1_3genE9ELNS1_11target_archE1100ELNS1_3gpuE3ELNS1_3repE0EEENS1_30default_config_static_selectorELNS0_4arch9wavefront6targetE1EEEvT1_ ; -- Begin function _ZN7rocprim17ROCPRIM_400000_NS6detail17trampoline_kernelINS0_14default_configENS1_25partition_config_selectorILNS1_17partition_subalgoE8EtNS0_10empty_typeEbEEZZNS1_14partition_implILS5_8ELb0ES3_jN6thrust23THRUST_200600_302600_NS6detail15normal_iteratorINSA_10device_ptrItEEEEPS6_PKS6_NS0_5tupleIJSF_S6_EEENSJ_IJSG_SG_EEENS0_18inequality_wrapperI22is_equal_div_10_uniqueItEEEPmJS6_EEE10hipError_tPvRmT3_T4_T5_T6_T7_T9_mT8_P12ihipStream_tbDpT10_ENKUlT_T0_E_clISt17integral_constantIbLb1EES1A_EEDaS15_S16_EUlS15_E_NS1_11comp_targetILNS1_3genE9ELNS1_11target_archE1100ELNS1_3gpuE3ELNS1_3repE0EEENS1_30default_config_static_selectorELNS0_4arch9wavefront6targetE1EEEvT1_
	.globl	_ZN7rocprim17ROCPRIM_400000_NS6detail17trampoline_kernelINS0_14default_configENS1_25partition_config_selectorILNS1_17partition_subalgoE8EtNS0_10empty_typeEbEEZZNS1_14partition_implILS5_8ELb0ES3_jN6thrust23THRUST_200600_302600_NS6detail15normal_iteratorINSA_10device_ptrItEEEEPS6_PKS6_NS0_5tupleIJSF_S6_EEENSJ_IJSG_SG_EEENS0_18inequality_wrapperI22is_equal_div_10_uniqueItEEEPmJS6_EEE10hipError_tPvRmT3_T4_T5_T6_T7_T9_mT8_P12ihipStream_tbDpT10_ENKUlT_T0_E_clISt17integral_constantIbLb1EES1A_EEDaS15_S16_EUlS15_E_NS1_11comp_targetILNS1_3genE9ELNS1_11target_archE1100ELNS1_3gpuE3ELNS1_3repE0EEENS1_30default_config_static_selectorELNS0_4arch9wavefront6targetE1EEEvT1_
	.p2align	8
	.type	_ZN7rocprim17ROCPRIM_400000_NS6detail17trampoline_kernelINS0_14default_configENS1_25partition_config_selectorILNS1_17partition_subalgoE8EtNS0_10empty_typeEbEEZZNS1_14partition_implILS5_8ELb0ES3_jN6thrust23THRUST_200600_302600_NS6detail15normal_iteratorINSA_10device_ptrItEEEEPS6_PKS6_NS0_5tupleIJSF_S6_EEENSJ_IJSG_SG_EEENS0_18inequality_wrapperI22is_equal_div_10_uniqueItEEEPmJS6_EEE10hipError_tPvRmT3_T4_T5_T6_T7_T9_mT8_P12ihipStream_tbDpT10_ENKUlT_T0_E_clISt17integral_constantIbLb1EES1A_EEDaS15_S16_EUlS15_E_NS1_11comp_targetILNS1_3genE9ELNS1_11target_archE1100ELNS1_3gpuE3ELNS1_3repE0EEENS1_30default_config_static_selectorELNS0_4arch9wavefront6targetE1EEEvT1_,@function
_ZN7rocprim17ROCPRIM_400000_NS6detail17trampoline_kernelINS0_14default_configENS1_25partition_config_selectorILNS1_17partition_subalgoE8EtNS0_10empty_typeEbEEZZNS1_14partition_implILS5_8ELb0ES3_jN6thrust23THRUST_200600_302600_NS6detail15normal_iteratorINSA_10device_ptrItEEEEPS6_PKS6_NS0_5tupleIJSF_S6_EEENSJ_IJSG_SG_EEENS0_18inequality_wrapperI22is_equal_div_10_uniqueItEEEPmJS6_EEE10hipError_tPvRmT3_T4_T5_T6_T7_T9_mT8_P12ihipStream_tbDpT10_ENKUlT_T0_E_clISt17integral_constantIbLb1EES1A_EEDaS15_S16_EUlS15_E_NS1_11comp_targetILNS1_3genE9ELNS1_11target_archE1100ELNS1_3gpuE3ELNS1_3repE0EEENS1_30default_config_static_selectorELNS0_4arch9wavefront6targetE1EEEvT1_: ; @_ZN7rocprim17ROCPRIM_400000_NS6detail17trampoline_kernelINS0_14default_configENS1_25partition_config_selectorILNS1_17partition_subalgoE8EtNS0_10empty_typeEbEEZZNS1_14partition_implILS5_8ELb0ES3_jN6thrust23THRUST_200600_302600_NS6detail15normal_iteratorINSA_10device_ptrItEEEEPS6_PKS6_NS0_5tupleIJSF_S6_EEENSJ_IJSG_SG_EEENS0_18inequality_wrapperI22is_equal_div_10_uniqueItEEEPmJS6_EEE10hipError_tPvRmT3_T4_T5_T6_T7_T9_mT8_P12ihipStream_tbDpT10_ENKUlT_T0_E_clISt17integral_constantIbLb1EES1A_EEDaS15_S16_EUlS15_E_NS1_11comp_targetILNS1_3genE9ELNS1_11target_archE1100ELNS1_3gpuE3ELNS1_3repE0EEENS1_30default_config_static_selectorELNS0_4arch9wavefront6targetE1EEEvT1_
; %bb.0:
	.section	.rodata,"a",@progbits
	.p2align	6, 0x0
	.amdhsa_kernel _ZN7rocprim17ROCPRIM_400000_NS6detail17trampoline_kernelINS0_14default_configENS1_25partition_config_selectorILNS1_17partition_subalgoE8EtNS0_10empty_typeEbEEZZNS1_14partition_implILS5_8ELb0ES3_jN6thrust23THRUST_200600_302600_NS6detail15normal_iteratorINSA_10device_ptrItEEEEPS6_PKS6_NS0_5tupleIJSF_S6_EEENSJ_IJSG_SG_EEENS0_18inequality_wrapperI22is_equal_div_10_uniqueItEEEPmJS6_EEE10hipError_tPvRmT3_T4_T5_T6_T7_T9_mT8_P12ihipStream_tbDpT10_ENKUlT_T0_E_clISt17integral_constantIbLb1EES1A_EEDaS15_S16_EUlS15_E_NS1_11comp_targetILNS1_3genE9ELNS1_11target_archE1100ELNS1_3gpuE3ELNS1_3repE0EEENS1_30default_config_static_selectorELNS0_4arch9wavefront6targetE1EEEvT1_
		.amdhsa_group_segment_fixed_size 0
		.amdhsa_private_segment_fixed_size 0
		.amdhsa_kernarg_size 128
		.amdhsa_user_sgpr_count 6
		.amdhsa_user_sgpr_private_segment_buffer 1
		.amdhsa_user_sgpr_dispatch_ptr 0
		.amdhsa_user_sgpr_queue_ptr 0
		.amdhsa_user_sgpr_kernarg_segment_ptr 1
		.amdhsa_user_sgpr_dispatch_id 0
		.amdhsa_user_sgpr_flat_scratch_init 0
		.amdhsa_user_sgpr_private_segment_size 0
		.amdhsa_uses_dynamic_stack 0
		.amdhsa_system_sgpr_private_segment_wavefront_offset 0
		.amdhsa_system_sgpr_workgroup_id_x 1
		.amdhsa_system_sgpr_workgroup_id_y 0
		.amdhsa_system_sgpr_workgroup_id_z 0
		.amdhsa_system_sgpr_workgroup_info 0
		.amdhsa_system_vgpr_workitem_id 0
		.amdhsa_next_free_vgpr 1
		.amdhsa_next_free_sgpr 0
		.amdhsa_reserve_vcc 0
		.amdhsa_reserve_flat_scratch 0
		.amdhsa_float_round_mode_32 0
		.amdhsa_float_round_mode_16_64 0
		.amdhsa_float_denorm_mode_32 3
		.amdhsa_float_denorm_mode_16_64 3
		.amdhsa_dx10_clamp 1
		.amdhsa_ieee_mode 1
		.amdhsa_fp16_overflow 0
		.amdhsa_exception_fp_ieee_invalid_op 0
		.amdhsa_exception_fp_denorm_src 0
		.amdhsa_exception_fp_ieee_div_zero 0
		.amdhsa_exception_fp_ieee_overflow 0
		.amdhsa_exception_fp_ieee_underflow 0
		.amdhsa_exception_fp_ieee_inexact 0
		.amdhsa_exception_int_div_zero 0
	.end_amdhsa_kernel
	.section	.text._ZN7rocprim17ROCPRIM_400000_NS6detail17trampoline_kernelINS0_14default_configENS1_25partition_config_selectorILNS1_17partition_subalgoE8EtNS0_10empty_typeEbEEZZNS1_14partition_implILS5_8ELb0ES3_jN6thrust23THRUST_200600_302600_NS6detail15normal_iteratorINSA_10device_ptrItEEEEPS6_PKS6_NS0_5tupleIJSF_S6_EEENSJ_IJSG_SG_EEENS0_18inequality_wrapperI22is_equal_div_10_uniqueItEEEPmJS6_EEE10hipError_tPvRmT3_T4_T5_T6_T7_T9_mT8_P12ihipStream_tbDpT10_ENKUlT_T0_E_clISt17integral_constantIbLb1EES1A_EEDaS15_S16_EUlS15_E_NS1_11comp_targetILNS1_3genE9ELNS1_11target_archE1100ELNS1_3gpuE3ELNS1_3repE0EEENS1_30default_config_static_selectorELNS0_4arch9wavefront6targetE1EEEvT1_,"axG",@progbits,_ZN7rocprim17ROCPRIM_400000_NS6detail17trampoline_kernelINS0_14default_configENS1_25partition_config_selectorILNS1_17partition_subalgoE8EtNS0_10empty_typeEbEEZZNS1_14partition_implILS5_8ELb0ES3_jN6thrust23THRUST_200600_302600_NS6detail15normal_iteratorINSA_10device_ptrItEEEEPS6_PKS6_NS0_5tupleIJSF_S6_EEENSJ_IJSG_SG_EEENS0_18inequality_wrapperI22is_equal_div_10_uniqueItEEEPmJS6_EEE10hipError_tPvRmT3_T4_T5_T6_T7_T9_mT8_P12ihipStream_tbDpT10_ENKUlT_T0_E_clISt17integral_constantIbLb1EES1A_EEDaS15_S16_EUlS15_E_NS1_11comp_targetILNS1_3genE9ELNS1_11target_archE1100ELNS1_3gpuE3ELNS1_3repE0EEENS1_30default_config_static_selectorELNS0_4arch9wavefront6targetE1EEEvT1_,comdat
.Lfunc_end321:
	.size	_ZN7rocprim17ROCPRIM_400000_NS6detail17trampoline_kernelINS0_14default_configENS1_25partition_config_selectorILNS1_17partition_subalgoE8EtNS0_10empty_typeEbEEZZNS1_14partition_implILS5_8ELb0ES3_jN6thrust23THRUST_200600_302600_NS6detail15normal_iteratorINSA_10device_ptrItEEEEPS6_PKS6_NS0_5tupleIJSF_S6_EEENSJ_IJSG_SG_EEENS0_18inequality_wrapperI22is_equal_div_10_uniqueItEEEPmJS6_EEE10hipError_tPvRmT3_T4_T5_T6_T7_T9_mT8_P12ihipStream_tbDpT10_ENKUlT_T0_E_clISt17integral_constantIbLb1EES1A_EEDaS15_S16_EUlS15_E_NS1_11comp_targetILNS1_3genE9ELNS1_11target_archE1100ELNS1_3gpuE3ELNS1_3repE0EEENS1_30default_config_static_selectorELNS0_4arch9wavefront6targetE1EEEvT1_, .Lfunc_end321-_ZN7rocprim17ROCPRIM_400000_NS6detail17trampoline_kernelINS0_14default_configENS1_25partition_config_selectorILNS1_17partition_subalgoE8EtNS0_10empty_typeEbEEZZNS1_14partition_implILS5_8ELb0ES3_jN6thrust23THRUST_200600_302600_NS6detail15normal_iteratorINSA_10device_ptrItEEEEPS6_PKS6_NS0_5tupleIJSF_S6_EEENSJ_IJSG_SG_EEENS0_18inequality_wrapperI22is_equal_div_10_uniqueItEEEPmJS6_EEE10hipError_tPvRmT3_T4_T5_T6_T7_T9_mT8_P12ihipStream_tbDpT10_ENKUlT_T0_E_clISt17integral_constantIbLb1EES1A_EEDaS15_S16_EUlS15_E_NS1_11comp_targetILNS1_3genE9ELNS1_11target_archE1100ELNS1_3gpuE3ELNS1_3repE0EEENS1_30default_config_static_selectorELNS0_4arch9wavefront6targetE1EEEvT1_
                                        ; -- End function
	.set _ZN7rocprim17ROCPRIM_400000_NS6detail17trampoline_kernelINS0_14default_configENS1_25partition_config_selectorILNS1_17partition_subalgoE8EtNS0_10empty_typeEbEEZZNS1_14partition_implILS5_8ELb0ES3_jN6thrust23THRUST_200600_302600_NS6detail15normal_iteratorINSA_10device_ptrItEEEEPS6_PKS6_NS0_5tupleIJSF_S6_EEENSJ_IJSG_SG_EEENS0_18inequality_wrapperI22is_equal_div_10_uniqueItEEEPmJS6_EEE10hipError_tPvRmT3_T4_T5_T6_T7_T9_mT8_P12ihipStream_tbDpT10_ENKUlT_T0_E_clISt17integral_constantIbLb1EES1A_EEDaS15_S16_EUlS15_E_NS1_11comp_targetILNS1_3genE9ELNS1_11target_archE1100ELNS1_3gpuE3ELNS1_3repE0EEENS1_30default_config_static_selectorELNS0_4arch9wavefront6targetE1EEEvT1_.num_vgpr, 0
	.set _ZN7rocprim17ROCPRIM_400000_NS6detail17trampoline_kernelINS0_14default_configENS1_25partition_config_selectorILNS1_17partition_subalgoE8EtNS0_10empty_typeEbEEZZNS1_14partition_implILS5_8ELb0ES3_jN6thrust23THRUST_200600_302600_NS6detail15normal_iteratorINSA_10device_ptrItEEEEPS6_PKS6_NS0_5tupleIJSF_S6_EEENSJ_IJSG_SG_EEENS0_18inequality_wrapperI22is_equal_div_10_uniqueItEEEPmJS6_EEE10hipError_tPvRmT3_T4_T5_T6_T7_T9_mT8_P12ihipStream_tbDpT10_ENKUlT_T0_E_clISt17integral_constantIbLb1EES1A_EEDaS15_S16_EUlS15_E_NS1_11comp_targetILNS1_3genE9ELNS1_11target_archE1100ELNS1_3gpuE3ELNS1_3repE0EEENS1_30default_config_static_selectorELNS0_4arch9wavefront6targetE1EEEvT1_.num_agpr, 0
	.set _ZN7rocprim17ROCPRIM_400000_NS6detail17trampoline_kernelINS0_14default_configENS1_25partition_config_selectorILNS1_17partition_subalgoE8EtNS0_10empty_typeEbEEZZNS1_14partition_implILS5_8ELb0ES3_jN6thrust23THRUST_200600_302600_NS6detail15normal_iteratorINSA_10device_ptrItEEEEPS6_PKS6_NS0_5tupleIJSF_S6_EEENSJ_IJSG_SG_EEENS0_18inequality_wrapperI22is_equal_div_10_uniqueItEEEPmJS6_EEE10hipError_tPvRmT3_T4_T5_T6_T7_T9_mT8_P12ihipStream_tbDpT10_ENKUlT_T0_E_clISt17integral_constantIbLb1EES1A_EEDaS15_S16_EUlS15_E_NS1_11comp_targetILNS1_3genE9ELNS1_11target_archE1100ELNS1_3gpuE3ELNS1_3repE0EEENS1_30default_config_static_selectorELNS0_4arch9wavefront6targetE1EEEvT1_.numbered_sgpr, 0
	.set _ZN7rocprim17ROCPRIM_400000_NS6detail17trampoline_kernelINS0_14default_configENS1_25partition_config_selectorILNS1_17partition_subalgoE8EtNS0_10empty_typeEbEEZZNS1_14partition_implILS5_8ELb0ES3_jN6thrust23THRUST_200600_302600_NS6detail15normal_iteratorINSA_10device_ptrItEEEEPS6_PKS6_NS0_5tupleIJSF_S6_EEENSJ_IJSG_SG_EEENS0_18inequality_wrapperI22is_equal_div_10_uniqueItEEEPmJS6_EEE10hipError_tPvRmT3_T4_T5_T6_T7_T9_mT8_P12ihipStream_tbDpT10_ENKUlT_T0_E_clISt17integral_constantIbLb1EES1A_EEDaS15_S16_EUlS15_E_NS1_11comp_targetILNS1_3genE9ELNS1_11target_archE1100ELNS1_3gpuE3ELNS1_3repE0EEENS1_30default_config_static_selectorELNS0_4arch9wavefront6targetE1EEEvT1_.num_named_barrier, 0
	.set _ZN7rocprim17ROCPRIM_400000_NS6detail17trampoline_kernelINS0_14default_configENS1_25partition_config_selectorILNS1_17partition_subalgoE8EtNS0_10empty_typeEbEEZZNS1_14partition_implILS5_8ELb0ES3_jN6thrust23THRUST_200600_302600_NS6detail15normal_iteratorINSA_10device_ptrItEEEEPS6_PKS6_NS0_5tupleIJSF_S6_EEENSJ_IJSG_SG_EEENS0_18inequality_wrapperI22is_equal_div_10_uniqueItEEEPmJS6_EEE10hipError_tPvRmT3_T4_T5_T6_T7_T9_mT8_P12ihipStream_tbDpT10_ENKUlT_T0_E_clISt17integral_constantIbLb1EES1A_EEDaS15_S16_EUlS15_E_NS1_11comp_targetILNS1_3genE9ELNS1_11target_archE1100ELNS1_3gpuE3ELNS1_3repE0EEENS1_30default_config_static_selectorELNS0_4arch9wavefront6targetE1EEEvT1_.private_seg_size, 0
	.set _ZN7rocprim17ROCPRIM_400000_NS6detail17trampoline_kernelINS0_14default_configENS1_25partition_config_selectorILNS1_17partition_subalgoE8EtNS0_10empty_typeEbEEZZNS1_14partition_implILS5_8ELb0ES3_jN6thrust23THRUST_200600_302600_NS6detail15normal_iteratorINSA_10device_ptrItEEEEPS6_PKS6_NS0_5tupleIJSF_S6_EEENSJ_IJSG_SG_EEENS0_18inequality_wrapperI22is_equal_div_10_uniqueItEEEPmJS6_EEE10hipError_tPvRmT3_T4_T5_T6_T7_T9_mT8_P12ihipStream_tbDpT10_ENKUlT_T0_E_clISt17integral_constantIbLb1EES1A_EEDaS15_S16_EUlS15_E_NS1_11comp_targetILNS1_3genE9ELNS1_11target_archE1100ELNS1_3gpuE3ELNS1_3repE0EEENS1_30default_config_static_selectorELNS0_4arch9wavefront6targetE1EEEvT1_.uses_vcc, 0
	.set _ZN7rocprim17ROCPRIM_400000_NS6detail17trampoline_kernelINS0_14default_configENS1_25partition_config_selectorILNS1_17partition_subalgoE8EtNS0_10empty_typeEbEEZZNS1_14partition_implILS5_8ELb0ES3_jN6thrust23THRUST_200600_302600_NS6detail15normal_iteratorINSA_10device_ptrItEEEEPS6_PKS6_NS0_5tupleIJSF_S6_EEENSJ_IJSG_SG_EEENS0_18inequality_wrapperI22is_equal_div_10_uniqueItEEEPmJS6_EEE10hipError_tPvRmT3_T4_T5_T6_T7_T9_mT8_P12ihipStream_tbDpT10_ENKUlT_T0_E_clISt17integral_constantIbLb1EES1A_EEDaS15_S16_EUlS15_E_NS1_11comp_targetILNS1_3genE9ELNS1_11target_archE1100ELNS1_3gpuE3ELNS1_3repE0EEENS1_30default_config_static_selectorELNS0_4arch9wavefront6targetE1EEEvT1_.uses_flat_scratch, 0
	.set _ZN7rocprim17ROCPRIM_400000_NS6detail17trampoline_kernelINS0_14default_configENS1_25partition_config_selectorILNS1_17partition_subalgoE8EtNS0_10empty_typeEbEEZZNS1_14partition_implILS5_8ELb0ES3_jN6thrust23THRUST_200600_302600_NS6detail15normal_iteratorINSA_10device_ptrItEEEEPS6_PKS6_NS0_5tupleIJSF_S6_EEENSJ_IJSG_SG_EEENS0_18inequality_wrapperI22is_equal_div_10_uniqueItEEEPmJS6_EEE10hipError_tPvRmT3_T4_T5_T6_T7_T9_mT8_P12ihipStream_tbDpT10_ENKUlT_T0_E_clISt17integral_constantIbLb1EES1A_EEDaS15_S16_EUlS15_E_NS1_11comp_targetILNS1_3genE9ELNS1_11target_archE1100ELNS1_3gpuE3ELNS1_3repE0EEENS1_30default_config_static_selectorELNS0_4arch9wavefront6targetE1EEEvT1_.has_dyn_sized_stack, 0
	.set _ZN7rocprim17ROCPRIM_400000_NS6detail17trampoline_kernelINS0_14default_configENS1_25partition_config_selectorILNS1_17partition_subalgoE8EtNS0_10empty_typeEbEEZZNS1_14partition_implILS5_8ELb0ES3_jN6thrust23THRUST_200600_302600_NS6detail15normal_iteratorINSA_10device_ptrItEEEEPS6_PKS6_NS0_5tupleIJSF_S6_EEENSJ_IJSG_SG_EEENS0_18inequality_wrapperI22is_equal_div_10_uniqueItEEEPmJS6_EEE10hipError_tPvRmT3_T4_T5_T6_T7_T9_mT8_P12ihipStream_tbDpT10_ENKUlT_T0_E_clISt17integral_constantIbLb1EES1A_EEDaS15_S16_EUlS15_E_NS1_11comp_targetILNS1_3genE9ELNS1_11target_archE1100ELNS1_3gpuE3ELNS1_3repE0EEENS1_30default_config_static_selectorELNS0_4arch9wavefront6targetE1EEEvT1_.has_recursion, 0
	.set _ZN7rocprim17ROCPRIM_400000_NS6detail17trampoline_kernelINS0_14default_configENS1_25partition_config_selectorILNS1_17partition_subalgoE8EtNS0_10empty_typeEbEEZZNS1_14partition_implILS5_8ELb0ES3_jN6thrust23THRUST_200600_302600_NS6detail15normal_iteratorINSA_10device_ptrItEEEEPS6_PKS6_NS0_5tupleIJSF_S6_EEENSJ_IJSG_SG_EEENS0_18inequality_wrapperI22is_equal_div_10_uniqueItEEEPmJS6_EEE10hipError_tPvRmT3_T4_T5_T6_T7_T9_mT8_P12ihipStream_tbDpT10_ENKUlT_T0_E_clISt17integral_constantIbLb1EES1A_EEDaS15_S16_EUlS15_E_NS1_11comp_targetILNS1_3genE9ELNS1_11target_archE1100ELNS1_3gpuE3ELNS1_3repE0EEENS1_30default_config_static_selectorELNS0_4arch9wavefront6targetE1EEEvT1_.has_indirect_call, 0
	.section	.AMDGPU.csdata,"",@progbits
; Kernel info:
; codeLenInByte = 0
; TotalNumSgprs: 4
; NumVgprs: 0
; ScratchSize: 0
; MemoryBound: 0
; FloatMode: 240
; IeeeMode: 1
; LDSByteSize: 0 bytes/workgroup (compile time only)
; SGPRBlocks: 0
; VGPRBlocks: 0
; NumSGPRsForWavesPerEU: 4
; NumVGPRsForWavesPerEU: 1
; Occupancy: 10
; WaveLimiterHint : 0
; COMPUTE_PGM_RSRC2:SCRATCH_EN: 0
; COMPUTE_PGM_RSRC2:USER_SGPR: 6
; COMPUTE_PGM_RSRC2:TRAP_HANDLER: 0
; COMPUTE_PGM_RSRC2:TGID_X_EN: 1
; COMPUTE_PGM_RSRC2:TGID_Y_EN: 0
; COMPUTE_PGM_RSRC2:TGID_Z_EN: 0
; COMPUTE_PGM_RSRC2:TIDIG_COMP_CNT: 0
	.section	.text._ZN7rocprim17ROCPRIM_400000_NS6detail17trampoline_kernelINS0_14default_configENS1_25partition_config_selectorILNS1_17partition_subalgoE8EtNS0_10empty_typeEbEEZZNS1_14partition_implILS5_8ELb0ES3_jN6thrust23THRUST_200600_302600_NS6detail15normal_iteratorINSA_10device_ptrItEEEEPS6_PKS6_NS0_5tupleIJSF_S6_EEENSJ_IJSG_SG_EEENS0_18inequality_wrapperI22is_equal_div_10_uniqueItEEEPmJS6_EEE10hipError_tPvRmT3_T4_T5_T6_T7_T9_mT8_P12ihipStream_tbDpT10_ENKUlT_T0_E_clISt17integral_constantIbLb1EES1A_EEDaS15_S16_EUlS15_E_NS1_11comp_targetILNS1_3genE8ELNS1_11target_archE1030ELNS1_3gpuE2ELNS1_3repE0EEENS1_30default_config_static_selectorELNS0_4arch9wavefront6targetE1EEEvT1_,"axG",@progbits,_ZN7rocprim17ROCPRIM_400000_NS6detail17trampoline_kernelINS0_14default_configENS1_25partition_config_selectorILNS1_17partition_subalgoE8EtNS0_10empty_typeEbEEZZNS1_14partition_implILS5_8ELb0ES3_jN6thrust23THRUST_200600_302600_NS6detail15normal_iteratorINSA_10device_ptrItEEEEPS6_PKS6_NS0_5tupleIJSF_S6_EEENSJ_IJSG_SG_EEENS0_18inequality_wrapperI22is_equal_div_10_uniqueItEEEPmJS6_EEE10hipError_tPvRmT3_T4_T5_T6_T7_T9_mT8_P12ihipStream_tbDpT10_ENKUlT_T0_E_clISt17integral_constantIbLb1EES1A_EEDaS15_S16_EUlS15_E_NS1_11comp_targetILNS1_3genE8ELNS1_11target_archE1030ELNS1_3gpuE2ELNS1_3repE0EEENS1_30default_config_static_selectorELNS0_4arch9wavefront6targetE1EEEvT1_,comdat
	.protected	_ZN7rocprim17ROCPRIM_400000_NS6detail17trampoline_kernelINS0_14default_configENS1_25partition_config_selectorILNS1_17partition_subalgoE8EtNS0_10empty_typeEbEEZZNS1_14partition_implILS5_8ELb0ES3_jN6thrust23THRUST_200600_302600_NS6detail15normal_iteratorINSA_10device_ptrItEEEEPS6_PKS6_NS0_5tupleIJSF_S6_EEENSJ_IJSG_SG_EEENS0_18inequality_wrapperI22is_equal_div_10_uniqueItEEEPmJS6_EEE10hipError_tPvRmT3_T4_T5_T6_T7_T9_mT8_P12ihipStream_tbDpT10_ENKUlT_T0_E_clISt17integral_constantIbLb1EES1A_EEDaS15_S16_EUlS15_E_NS1_11comp_targetILNS1_3genE8ELNS1_11target_archE1030ELNS1_3gpuE2ELNS1_3repE0EEENS1_30default_config_static_selectorELNS0_4arch9wavefront6targetE1EEEvT1_ ; -- Begin function _ZN7rocprim17ROCPRIM_400000_NS6detail17trampoline_kernelINS0_14default_configENS1_25partition_config_selectorILNS1_17partition_subalgoE8EtNS0_10empty_typeEbEEZZNS1_14partition_implILS5_8ELb0ES3_jN6thrust23THRUST_200600_302600_NS6detail15normal_iteratorINSA_10device_ptrItEEEEPS6_PKS6_NS0_5tupleIJSF_S6_EEENSJ_IJSG_SG_EEENS0_18inequality_wrapperI22is_equal_div_10_uniqueItEEEPmJS6_EEE10hipError_tPvRmT3_T4_T5_T6_T7_T9_mT8_P12ihipStream_tbDpT10_ENKUlT_T0_E_clISt17integral_constantIbLb1EES1A_EEDaS15_S16_EUlS15_E_NS1_11comp_targetILNS1_3genE8ELNS1_11target_archE1030ELNS1_3gpuE2ELNS1_3repE0EEENS1_30default_config_static_selectorELNS0_4arch9wavefront6targetE1EEEvT1_
	.globl	_ZN7rocprim17ROCPRIM_400000_NS6detail17trampoline_kernelINS0_14default_configENS1_25partition_config_selectorILNS1_17partition_subalgoE8EtNS0_10empty_typeEbEEZZNS1_14partition_implILS5_8ELb0ES3_jN6thrust23THRUST_200600_302600_NS6detail15normal_iteratorINSA_10device_ptrItEEEEPS6_PKS6_NS0_5tupleIJSF_S6_EEENSJ_IJSG_SG_EEENS0_18inequality_wrapperI22is_equal_div_10_uniqueItEEEPmJS6_EEE10hipError_tPvRmT3_T4_T5_T6_T7_T9_mT8_P12ihipStream_tbDpT10_ENKUlT_T0_E_clISt17integral_constantIbLb1EES1A_EEDaS15_S16_EUlS15_E_NS1_11comp_targetILNS1_3genE8ELNS1_11target_archE1030ELNS1_3gpuE2ELNS1_3repE0EEENS1_30default_config_static_selectorELNS0_4arch9wavefront6targetE1EEEvT1_
	.p2align	8
	.type	_ZN7rocprim17ROCPRIM_400000_NS6detail17trampoline_kernelINS0_14default_configENS1_25partition_config_selectorILNS1_17partition_subalgoE8EtNS0_10empty_typeEbEEZZNS1_14partition_implILS5_8ELb0ES3_jN6thrust23THRUST_200600_302600_NS6detail15normal_iteratorINSA_10device_ptrItEEEEPS6_PKS6_NS0_5tupleIJSF_S6_EEENSJ_IJSG_SG_EEENS0_18inequality_wrapperI22is_equal_div_10_uniqueItEEEPmJS6_EEE10hipError_tPvRmT3_T4_T5_T6_T7_T9_mT8_P12ihipStream_tbDpT10_ENKUlT_T0_E_clISt17integral_constantIbLb1EES1A_EEDaS15_S16_EUlS15_E_NS1_11comp_targetILNS1_3genE8ELNS1_11target_archE1030ELNS1_3gpuE2ELNS1_3repE0EEENS1_30default_config_static_selectorELNS0_4arch9wavefront6targetE1EEEvT1_,@function
_ZN7rocprim17ROCPRIM_400000_NS6detail17trampoline_kernelINS0_14default_configENS1_25partition_config_selectorILNS1_17partition_subalgoE8EtNS0_10empty_typeEbEEZZNS1_14partition_implILS5_8ELb0ES3_jN6thrust23THRUST_200600_302600_NS6detail15normal_iteratorINSA_10device_ptrItEEEEPS6_PKS6_NS0_5tupleIJSF_S6_EEENSJ_IJSG_SG_EEENS0_18inequality_wrapperI22is_equal_div_10_uniqueItEEEPmJS6_EEE10hipError_tPvRmT3_T4_T5_T6_T7_T9_mT8_P12ihipStream_tbDpT10_ENKUlT_T0_E_clISt17integral_constantIbLb1EES1A_EEDaS15_S16_EUlS15_E_NS1_11comp_targetILNS1_3genE8ELNS1_11target_archE1030ELNS1_3gpuE2ELNS1_3repE0EEENS1_30default_config_static_selectorELNS0_4arch9wavefront6targetE1EEEvT1_: ; @_ZN7rocprim17ROCPRIM_400000_NS6detail17trampoline_kernelINS0_14default_configENS1_25partition_config_selectorILNS1_17partition_subalgoE8EtNS0_10empty_typeEbEEZZNS1_14partition_implILS5_8ELb0ES3_jN6thrust23THRUST_200600_302600_NS6detail15normal_iteratorINSA_10device_ptrItEEEEPS6_PKS6_NS0_5tupleIJSF_S6_EEENSJ_IJSG_SG_EEENS0_18inequality_wrapperI22is_equal_div_10_uniqueItEEEPmJS6_EEE10hipError_tPvRmT3_T4_T5_T6_T7_T9_mT8_P12ihipStream_tbDpT10_ENKUlT_T0_E_clISt17integral_constantIbLb1EES1A_EEDaS15_S16_EUlS15_E_NS1_11comp_targetILNS1_3genE8ELNS1_11target_archE1030ELNS1_3gpuE2ELNS1_3repE0EEENS1_30default_config_static_selectorELNS0_4arch9wavefront6targetE1EEEvT1_
; %bb.0:
	.section	.rodata,"a",@progbits
	.p2align	6, 0x0
	.amdhsa_kernel _ZN7rocprim17ROCPRIM_400000_NS6detail17trampoline_kernelINS0_14default_configENS1_25partition_config_selectorILNS1_17partition_subalgoE8EtNS0_10empty_typeEbEEZZNS1_14partition_implILS5_8ELb0ES3_jN6thrust23THRUST_200600_302600_NS6detail15normal_iteratorINSA_10device_ptrItEEEEPS6_PKS6_NS0_5tupleIJSF_S6_EEENSJ_IJSG_SG_EEENS0_18inequality_wrapperI22is_equal_div_10_uniqueItEEEPmJS6_EEE10hipError_tPvRmT3_T4_T5_T6_T7_T9_mT8_P12ihipStream_tbDpT10_ENKUlT_T0_E_clISt17integral_constantIbLb1EES1A_EEDaS15_S16_EUlS15_E_NS1_11comp_targetILNS1_3genE8ELNS1_11target_archE1030ELNS1_3gpuE2ELNS1_3repE0EEENS1_30default_config_static_selectorELNS0_4arch9wavefront6targetE1EEEvT1_
		.amdhsa_group_segment_fixed_size 0
		.amdhsa_private_segment_fixed_size 0
		.amdhsa_kernarg_size 128
		.amdhsa_user_sgpr_count 6
		.amdhsa_user_sgpr_private_segment_buffer 1
		.amdhsa_user_sgpr_dispatch_ptr 0
		.amdhsa_user_sgpr_queue_ptr 0
		.amdhsa_user_sgpr_kernarg_segment_ptr 1
		.amdhsa_user_sgpr_dispatch_id 0
		.amdhsa_user_sgpr_flat_scratch_init 0
		.amdhsa_user_sgpr_private_segment_size 0
		.amdhsa_uses_dynamic_stack 0
		.amdhsa_system_sgpr_private_segment_wavefront_offset 0
		.amdhsa_system_sgpr_workgroup_id_x 1
		.amdhsa_system_sgpr_workgroup_id_y 0
		.amdhsa_system_sgpr_workgroup_id_z 0
		.amdhsa_system_sgpr_workgroup_info 0
		.amdhsa_system_vgpr_workitem_id 0
		.amdhsa_next_free_vgpr 1
		.amdhsa_next_free_sgpr 0
		.amdhsa_reserve_vcc 0
		.amdhsa_reserve_flat_scratch 0
		.amdhsa_float_round_mode_32 0
		.amdhsa_float_round_mode_16_64 0
		.amdhsa_float_denorm_mode_32 3
		.amdhsa_float_denorm_mode_16_64 3
		.amdhsa_dx10_clamp 1
		.amdhsa_ieee_mode 1
		.amdhsa_fp16_overflow 0
		.amdhsa_exception_fp_ieee_invalid_op 0
		.amdhsa_exception_fp_denorm_src 0
		.amdhsa_exception_fp_ieee_div_zero 0
		.amdhsa_exception_fp_ieee_overflow 0
		.amdhsa_exception_fp_ieee_underflow 0
		.amdhsa_exception_fp_ieee_inexact 0
		.amdhsa_exception_int_div_zero 0
	.end_amdhsa_kernel
	.section	.text._ZN7rocprim17ROCPRIM_400000_NS6detail17trampoline_kernelINS0_14default_configENS1_25partition_config_selectorILNS1_17partition_subalgoE8EtNS0_10empty_typeEbEEZZNS1_14partition_implILS5_8ELb0ES3_jN6thrust23THRUST_200600_302600_NS6detail15normal_iteratorINSA_10device_ptrItEEEEPS6_PKS6_NS0_5tupleIJSF_S6_EEENSJ_IJSG_SG_EEENS0_18inequality_wrapperI22is_equal_div_10_uniqueItEEEPmJS6_EEE10hipError_tPvRmT3_T4_T5_T6_T7_T9_mT8_P12ihipStream_tbDpT10_ENKUlT_T0_E_clISt17integral_constantIbLb1EES1A_EEDaS15_S16_EUlS15_E_NS1_11comp_targetILNS1_3genE8ELNS1_11target_archE1030ELNS1_3gpuE2ELNS1_3repE0EEENS1_30default_config_static_selectorELNS0_4arch9wavefront6targetE1EEEvT1_,"axG",@progbits,_ZN7rocprim17ROCPRIM_400000_NS6detail17trampoline_kernelINS0_14default_configENS1_25partition_config_selectorILNS1_17partition_subalgoE8EtNS0_10empty_typeEbEEZZNS1_14partition_implILS5_8ELb0ES3_jN6thrust23THRUST_200600_302600_NS6detail15normal_iteratorINSA_10device_ptrItEEEEPS6_PKS6_NS0_5tupleIJSF_S6_EEENSJ_IJSG_SG_EEENS0_18inequality_wrapperI22is_equal_div_10_uniqueItEEEPmJS6_EEE10hipError_tPvRmT3_T4_T5_T6_T7_T9_mT8_P12ihipStream_tbDpT10_ENKUlT_T0_E_clISt17integral_constantIbLb1EES1A_EEDaS15_S16_EUlS15_E_NS1_11comp_targetILNS1_3genE8ELNS1_11target_archE1030ELNS1_3gpuE2ELNS1_3repE0EEENS1_30default_config_static_selectorELNS0_4arch9wavefront6targetE1EEEvT1_,comdat
.Lfunc_end322:
	.size	_ZN7rocprim17ROCPRIM_400000_NS6detail17trampoline_kernelINS0_14default_configENS1_25partition_config_selectorILNS1_17partition_subalgoE8EtNS0_10empty_typeEbEEZZNS1_14partition_implILS5_8ELb0ES3_jN6thrust23THRUST_200600_302600_NS6detail15normal_iteratorINSA_10device_ptrItEEEEPS6_PKS6_NS0_5tupleIJSF_S6_EEENSJ_IJSG_SG_EEENS0_18inequality_wrapperI22is_equal_div_10_uniqueItEEEPmJS6_EEE10hipError_tPvRmT3_T4_T5_T6_T7_T9_mT8_P12ihipStream_tbDpT10_ENKUlT_T0_E_clISt17integral_constantIbLb1EES1A_EEDaS15_S16_EUlS15_E_NS1_11comp_targetILNS1_3genE8ELNS1_11target_archE1030ELNS1_3gpuE2ELNS1_3repE0EEENS1_30default_config_static_selectorELNS0_4arch9wavefront6targetE1EEEvT1_, .Lfunc_end322-_ZN7rocprim17ROCPRIM_400000_NS6detail17trampoline_kernelINS0_14default_configENS1_25partition_config_selectorILNS1_17partition_subalgoE8EtNS0_10empty_typeEbEEZZNS1_14partition_implILS5_8ELb0ES3_jN6thrust23THRUST_200600_302600_NS6detail15normal_iteratorINSA_10device_ptrItEEEEPS6_PKS6_NS0_5tupleIJSF_S6_EEENSJ_IJSG_SG_EEENS0_18inequality_wrapperI22is_equal_div_10_uniqueItEEEPmJS6_EEE10hipError_tPvRmT3_T4_T5_T6_T7_T9_mT8_P12ihipStream_tbDpT10_ENKUlT_T0_E_clISt17integral_constantIbLb1EES1A_EEDaS15_S16_EUlS15_E_NS1_11comp_targetILNS1_3genE8ELNS1_11target_archE1030ELNS1_3gpuE2ELNS1_3repE0EEENS1_30default_config_static_selectorELNS0_4arch9wavefront6targetE1EEEvT1_
                                        ; -- End function
	.set _ZN7rocprim17ROCPRIM_400000_NS6detail17trampoline_kernelINS0_14default_configENS1_25partition_config_selectorILNS1_17partition_subalgoE8EtNS0_10empty_typeEbEEZZNS1_14partition_implILS5_8ELb0ES3_jN6thrust23THRUST_200600_302600_NS6detail15normal_iteratorINSA_10device_ptrItEEEEPS6_PKS6_NS0_5tupleIJSF_S6_EEENSJ_IJSG_SG_EEENS0_18inequality_wrapperI22is_equal_div_10_uniqueItEEEPmJS6_EEE10hipError_tPvRmT3_T4_T5_T6_T7_T9_mT8_P12ihipStream_tbDpT10_ENKUlT_T0_E_clISt17integral_constantIbLb1EES1A_EEDaS15_S16_EUlS15_E_NS1_11comp_targetILNS1_3genE8ELNS1_11target_archE1030ELNS1_3gpuE2ELNS1_3repE0EEENS1_30default_config_static_selectorELNS0_4arch9wavefront6targetE1EEEvT1_.num_vgpr, 0
	.set _ZN7rocprim17ROCPRIM_400000_NS6detail17trampoline_kernelINS0_14default_configENS1_25partition_config_selectorILNS1_17partition_subalgoE8EtNS0_10empty_typeEbEEZZNS1_14partition_implILS5_8ELb0ES3_jN6thrust23THRUST_200600_302600_NS6detail15normal_iteratorINSA_10device_ptrItEEEEPS6_PKS6_NS0_5tupleIJSF_S6_EEENSJ_IJSG_SG_EEENS0_18inequality_wrapperI22is_equal_div_10_uniqueItEEEPmJS6_EEE10hipError_tPvRmT3_T4_T5_T6_T7_T9_mT8_P12ihipStream_tbDpT10_ENKUlT_T0_E_clISt17integral_constantIbLb1EES1A_EEDaS15_S16_EUlS15_E_NS1_11comp_targetILNS1_3genE8ELNS1_11target_archE1030ELNS1_3gpuE2ELNS1_3repE0EEENS1_30default_config_static_selectorELNS0_4arch9wavefront6targetE1EEEvT1_.num_agpr, 0
	.set _ZN7rocprim17ROCPRIM_400000_NS6detail17trampoline_kernelINS0_14default_configENS1_25partition_config_selectorILNS1_17partition_subalgoE8EtNS0_10empty_typeEbEEZZNS1_14partition_implILS5_8ELb0ES3_jN6thrust23THRUST_200600_302600_NS6detail15normal_iteratorINSA_10device_ptrItEEEEPS6_PKS6_NS0_5tupleIJSF_S6_EEENSJ_IJSG_SG_EEENS0_18inequality_wrapperI22is_equal_div_10_uniqueItEEEPmJS6_EEE10hipError_tPvRmT3_T4_T5_T6_T7_T9_mT8_P12ihipStream_tbDpT10_ENKUlT_T0_E_clISt17integral_constantIbLb1EES1A_EEDaS15_S16_EUlS15_E_NS1_11comp_targetILNS1_3genE8ELNS1_11target_archE1030ELNS1_3gpuE2ELNS1_3repE0EEENS1_30default_config_static_selectorELNS0_4arch9wavefront6targetE1EEEvT1_.numbered_sgpr, 0
	.set _ZN7rocprim17ROCPRIM_400000_NS6detail17trampoline_kernelINS0_14default_configENS1_25partition_config_selectorILNS1_17partition_subalgoE8EtNS0_10empty_typeEbEEZZNS1_14partition_implILS5_8ELb0ES3_jN6thrust23THRUST_200600_302600_NS6detail15normal_iteratorINSA_10device_ptrItEEEEPS6_PKS6_NS0_5tupleIJSF_S6_EEENSJ_IJSG_SG_EEENS0_18inequality_wrapperI22is_equal_div_10_uniqueItEEEPmJS6_EEE10hipError_tPvRmT3_T4_T5_T6_T7_T9_mT8_P12ihipStream_tbDpT10_ENKUlT_T0_E_clISt17integral_constantIbLb1EES1A_EEDaS15_S16_EUlS15_E_NS1_11comp_targetILNS1_3genE8ELNS1_11target_archE1030ELNS1_3gpuE2ELNS1_3repE0EEENS1_30default_config_static_selectorELNS0_4arch9wavefront6targetE1EEEvT1_.num_named_barrier, 0
	.set _ZN7rocprim17ROCPRIM_400000_NS6detail17trampoline_kernelINS0_14default_configENS1_25partition_config_selectorILNS1_17partition_subalgoE8EtNS0_10empty_typeEbEEZZNS1_14partition_implILS5_8ELb0ES3_jN6thrust23THRUST_200600_302600_NS6detail15normal_iteratorINSA_10device_ptrItEEEEPS6_PKS6_NS0_5tupleIJSF_S6_EEENSJ_IJSG_SG_EEENS0_18inequality_wrapperI22is_equal_div_10_uniqueItEEEPmJS6_EEE10hipError_tPvRmT3_T4_T5_T6_T7_T9_mT8_P12ihipStream_tbDpT10_ENKUlT_T0_E_clISt17integral_constantIbLb1EES1A_EEDaS15_S16_EUlS15_E_NS1_11comp_targetILNS1_3genE8ELNS1_11target_archE1030ELNS1_3gpuE2ELNS1_3repE0EEENS1_30default_config_static_selectorELNS0_4arch9wavefront6targetE1EEEvT1_.private_seg_size, 0
	.set _ZN7rocprim17ROCPRIM_400000_NS6detail17trampoline_kernelINS0_14default_configENS1_25partition_config_selectorILNS1_17partition_subalgoE8EtNS0_10empty_typeEbEEZZNS1_14partition_implILS5_8ELb0ES3_jN6thrust23THRUST_200600_302600_NS6detail15normal_iteratorINSA_10device_ptrItEEEEPS6_PKS6_NS0_5tupleIJSF_S6_EEENSJ_IJSG_SG_EEENS0_18inequality_wrapperI22is_equal_div_10_uniqueItEEEPmJS6_EEE10hipError_tPvRmT3_T4_T5_T6_T7_T9_mT8_P12ihipStream_tbDpT10_ENKUlT_T0_E_clISt17integral_constantIbLb1EES1A_EEDaS15_S16_EUlS15_E_NS1_11comp_targetILNS1_3genE8ELNS1_11target_archE1030ELNS1_3gpuE2ELNS1_3repE0EEENS1_30default_config_static_selectorELNS0_4arch9wavefront6targetE1EEEvT1_.uses_vcc, 0
	.set _ZN7rocprim17ROCPRIM_400000_NS6detail17trampoline_kernelINS0_14default_configENS1_25partition_config_selectorILNS1_17partition_subalgoE8EtNS0_10empty_typeEbEEZZNS1_14partition_implILS5_8ELb0ES3_jN6thrust23THRUST_200600_302600_NS6detail15normal_iteratorINSA_10device_ptrItEEEEPS6_PKS6_NS0_5tupleIJSF_S6_EEENSJ_IJSG_SG_EEENS0_18inequality_wrapperI22is_equal_div_10_uniqueItEEEPmJS6_EEE10hipError_tPvRmT3_T4_T5_T6_T7_T9_mT8_P12ihipStream_tbDpT10_ENKUlT_T0_E_clISt17integral_constantIbLb1EES1A_EEDaS15_S16_EUlS15_E_NS1_11comp_targetILNS1_3genE8ELNS1_11target_archE1030ELNS1_3gpuE2ELNS1_3repE0EEENS1_30default_config_static_selectorELNS0_4arch9wavefront6targetE1EEEvT1_.uses_flat_scratch, 0
	.set _ZN7rocprim17ROCPRIM_400000_NS6detail17trampoline_kernelINS0_14default_configENS1_25partition_config_selectorILNS1_17partition_subalgoE8EtNS0_10empty_typeEbEEZZNS1_14partition_implILS5_8ELb0ES3_jN6thrust23THRUST_200600_302600_NS6detail15normal_iteratorINSA_10device_ptrItEEEEPS6_PKS6_NS0_5tupleIJSF_S6_EEENSJ_IJSG_SG_EEENS0_18inequality_wrapperI22is_equal_div_10_uniqueItEEEPmJS6_EEE10hipError_tPvRmT3_T4_T5_T6_T7_T9_mT8_P12ihipStream_tbDpT10_ENKUlT_T0_E_clISt17integral_constantIbLb1EES1A_EEDaS15_S16_EUlS15_E_NS1_11comp_targetILNS1_3genE8ELNS1_11target_archE1030ELNS1_3gpuE2ELNS1_3repE0EEENS1_30default_config_static_selectorELNS0_4arch9wavefront6targetE1EEEvT1_.has_dyn_sized_stack, 0
	.set _ZN7rocprim17ROCPRIM_400000_NS6detail17trampoline_kernelINS0_14default_configENS1_25partition_config_selectorILNS1_17partition_subalgoE8EtNS0_10empty_typeEbEEZZNS1_14partition_implILS5_8ELb0ES3_jN6thrust23THRUST_200600_302600_NS6detail15normal_iteratorINSA_10device_ptrItEEEEPS6_PKS6_NS0_5tupleIJSF_S6_EEENSJ_IJSG_SG_EEENS0_18inequality_wrapperI22is_equal_div_10_uniqueItEEEPmJS6_EEE10hipError_tPvRmT3_T4_T5_T6_T7_T9_mT8_P12ihipStream_tbDpT10_ENKUlT_T0_E_clISt17integral_constantIbLb1EES1A_EEDaS15_S16_EUlS15_E_NS1_11comp_targetILNS1_3genE8ELNS1_11target_archE1030ELNS1_3gpuE2ELNS1_3repE0EEENS1_30default_config_static_selectorELNS0_4arch9wavefront6targetE1EEEvT1_.has_recursion, 0
	.set _ZN7rocprim17ROCPRIM_400000_NS6detail17trampoline_kernelINS0_14default_configENS1_25partition_config_selectorILNS1_17partition_subalgoE8EtNS0_10empty_typeEbEEZZNS1_14partition_implILS5_8ELb0ES3_jN6thrust23THRUST_200600_302600_NS6detail15normal_iteratorINSA_10device_ptrItEEEEPS6_PKS6_NS0_5tupleIJSF_S6_EEENSJ_IJSG_SG_EEENS0_18inequality_wrapperI22is_equal_div_10_uniqueItEEEPmJS6_EEE10hipError_tPvRmT3_T4_T5_T6_T7_T9_mT8_P12ihipStream_tbDpT10_ENKUlT_T0_E_clISt17integral_constantIbLb1EES1A_EEDaS15_S16_EUlS15_E_NS1_11comp_targetILNS1_3genE8ELNS1_11target_archE1030ELNS1_3gpuE2ELNS1_3repE0EEENS1_30default_config_static_selectorELNS0_4arch9wavefront6targetE1EEEvT1_.has_indirect_call, 0
	.section	.AMDGPU.csdata,"",@progbits
; Kernel info:
; codeLenInByte = 0
; TotalNumSgprs: 4
; NumVgprs: 0
; ScratchSize: 0
; MemoryBound: 0
; FloatMode: 240
; IeeeMode: 1
; LDSByteSize: 0 bytes/workgroup (compile time only)
; SGPRBlocks: 0
; VGPRBlocks: 0
; NumSGPRsForWavesPerEU: 4
; NumVGPRsForWavesPerEU: 1
; Occupancy: 10
; WaveLimiterHint : 0
; COMPUTE_PGM_RSRC2:SCRATCH_EN: 0
; COMPUTE_PGM_RSRC2:USER_SGPR: 6
; COMPUTE_PGM_RSRC2:TRAP_HANDLER: 0
; COMPUTE_PGM_RSRC2:TGID_X_EN: 1
; COMPUTE_PGM_RSRC2:TGID_Y_EN: 0
; COMPUTE_PGM_RSRC2:TGID_Z_EN: 0
; COMPUTE_PGM_RSRC2:TIDIG_COMP_CNT: 0
	.section	.text._ZN7rocprim17ROCPRIM_400000_NS6detail17trampoline_kernelINS0_14default_configENS1_25partition_config_selectorILNS1_17partition_subalgoE8EtNS0_10empty_typeEbEEZZNS1_14partition_implILS5_8ELb0ES3_jN6thrust23THRUST_200600_302600_NS6detail15normal_iteratorINSA_10device_ptrItEEEEPS6_PKS6_NS0_5tupleIJSF_S6_EEENSJ_IJSG_SG_EEENS0_18inequality_wrapperI22is_equal_div_10_uniqueItEEEPmJS6_EEE10hipError_tPvRmT3_T4_T5_T6_T7_T9_mT8_P12ihipStream_tbDpT10_ENKUlT_T0_E_clISt17integral_constantIbLb1EES19_IbLb0EEEEDaS15_S16_EUlS15_E_NS1_11comp_targetILNS1_3genE0ELNS1_11target_archE4294967295ELNS1_3gpuE0ELNS1_3repE0EEENS1_30default_config_static_selectorELNS0_4arch9wavefront6targetE1EEEvT1_,"axG",@progbits,_ZN7rocprim17ROCPRIM_400000_NS6detail17trampoline_kernelINS0_14default_configENS1_25partition_config_selectorILNS1_17partition_subalgoE8EtNS0_10empty_typeEbEEZZNS1_14partition_implILS5_8ELb0ES3_jN6thrust23THRUST_200600_302600_NS6detail15normal_iteratorINSA_10device_ptrItEEEEPS6_PKS6_NS0_5tupleIJSF_S6_EEENSJ_IJSG_SG_EEENS0_18inequality_wrapperI22is_equal_div_10_uniqueItEEEPmJS6_EEE10hipError_tPvRmT3_T4_T5_T6_T7_T9_mT8_P12ihipStream_tbDpT10_ENKUlT_T0_E_clISt17integral_constantIbLb1EES19_IbLb0EEEEDaS15_S16_EUlS15_E_NS1_11comp_targetILNS1_3genE0ELNS1_11target_archE4294967295ELNS1_3gpuE0ELNS1_3repE0EEENS1_30default_config_static_selectorELNS0_4arch9wavefront6targetE1EEEvT1_,comdat
	.protected	_ZN7rocprim17ROCPRIM_400000_NS6detail17trampoline_kernelINS0_14default_configENS1_25partition_config_selectorILNS1_17partition_subalgoE8EtNS0_10empty_typeEbEEZZNS1_14partition_implILS5_8ELb0ES3_jN6thrust23THRUST_200600_302600_NS6detail15normal_iteratorINSA_10device_ptrItEEEEPS6_PKS6_NS0_5tupleIJSF_S6_EEENSJ_IJSG_SG_EEENS0_18inequality_wrapperI22is_equal_div_10_uniqueItEEEPmJS6_EEE10hipError_tPvRmT3_T4_T5_T6_T7_T9_mT8_P12ihipStream_tbDpT10_ENKUlT_T0_E_clISt17integral_constantIbLb1EES19_IbLb0EEEEDaS15_S16_EUlS15_E_NS1_11comp_targetILNS1_3genE0ELNS1_11target_archE4294967295ELNS1_3gpuE0ELNS1_3repE0EEENS1_30default_config_static_selectorELNS0_4arch9wavefront6targetE1EEEvT1_ ; -- Begin function _ZN7rocprim17ROCPRIM_400000_NS6detail17trampoline_kernelINS0_14default_configENS1_25partition_config_selectorILNS1_17partition_subalgoE8EtNS0_10empty_typeEbEEZZNS1_14partition_implILS5_8ELb0ES3_jN6thrust23THRUST_200600_302600_NS6detail15normal_iteratorINSA_10device_ptrItEEEEPS6_PKS6_NS0_5tupleIJSF_S6_EEENSJ_IJSG_SG_EEENS0_18inequality_wrapperI22is_equal_div_10_uniqueItEEEPmJS6_EEE10hipError_tPvRmT3_T4_T5_T6_T7_T9_mT8_P12ihipStream_tbDpT10_ENKUlT_T0_E_clISt17integral_constantIbLb1EES19_IbLb0EEEEDaS15_S16_EUlS15_E_NS1_11comp_targetILNS1_3genE0ELNS1_11target_archE4294967295ELNS1_3gpuE0ELNS1_3repE0EEENS1_30default_config_static_selectorELNS0_4arch9wavefront6targetE1EEEvT1_
	.globl	_ZN7rocprim17ROCPRIM_400000_NS6detail17trampoline_kernelINS0_14default_configENS1_25partition_config_selectorILNS1_17partition_subalgoE8EtNS0_10empty_typeEbEEZZNS1_14partition_implILS5_8ELb0ES3_jN6thrust23THRUST_200600_302600_NS6detail15normal_iteratorINSA_10device_ptrItEEEEPS6_PKS6_NS0_5tupleIJSF_S6_EEENSJ_IJSG_SG_EEENS0_18inequality_wrapperI22is_equal_div_10_uniqueItEEEPmJS6_EEE10hipError_tPvRmT3_T4_T5_T6_T7_T9_mT8_P12ihipStream_tbDpT10_ENKUlT_T0_E_clISt17integral_constantIbLb1EES19_IbLb0EEEEDaS15_S16_EUlS15_E_NS1_11comp_targetILNS1_3genE0ELNS1_11target_archE4294967295ELNS1_3gpuE0ELNS1_3repE0EEENS1_30default_config_static_selectorELNS0_4arch9wavefront6targetE1EEEvT1_
	.p2align	8
	.type	_ZN7rocprim17ROCPRIM_400000_NS6detail17trampoline_kernelINS0_14default_configENS1_25partition_config_selectorILNS1_17partition_subalgoE8EtNS0_10empty_typeEbEEZZNS1_14partition_implILS5_8ELb0ES3_jN6thrust23THRUST_200600_302600_NS6detail15normal_iteratorINSA_10device_ptrItEEEEPS6_PKS6_NS0_5tupleIJSF_S6_EEENSJ_IJSG_SG_EEENS0_18inequality_wrapperI22is_equal_div_10_uniqueItEEEPmJS6_EEE10hipError_tPvRmT3_T4_T5_T6_T7_T9_mT8_P12ihipStream_tbDpT10_ENKUlT_T0_E_clISt17integral_constantIbLb1EES19_IbLb0EEEEDaS15_S16_EUlS15_E_NS1_11comp_targetILNS1_3genE0ELNS1_11target_archE4294967295ELNS1_3gpuE0ELNS1_3repE0EEENS1_30default_config_static_selectorELNS0_4arch9wavefront6targetE1EEEvT1_,@function
_ZN7rocprim17ROCPRIM_400000_NS6detail17trampoline_kernelINS0_14default_configENS1_25partition_config_selectorILNS1_17partition_subalgoE8EtNS0_10empty_typeEbEEZZNS1_14partition_implILS5_8ELb0ES3_jN6thrust23THRUST_200600_302600_NS6detail15normal_iteratorINSA_10device_ptrItEEEEPS6_PKS6_NS0_5tupleIJSF_S6_EEENSJ_IJSG_SG_EEENS0_18inequality_wrapperI22is_equal_div_10_uniqueItEEEPmJS6_EEE10hipError_tPvRmT3_T4_T5_T6_T7_T9_mT8_P12ihipStream_tbDpT10_ENKUlT_T0_E_clISt17integral_constantIbLb1EES19_IbLb0EEEEDaS15_S16_EUlS15_E_NS1_11comp_targetILNS1_3genE0ELNS1_11target_archE4294967295ELNS1_3gpuE0ELNS1_3repE0EEENS1_30default_config_static_selectorELNS0_4arch9wavefront6targetE1EEEvT1_: ; @_ZN7rocprim17ROCPRIM_400000_NS6detail17trampoline_kernelINS0_14default_configENS1_25partition_config_selectorILNS1_17partition_subalgoE8EtNS0_10empty_typeEbEEZZNS1_14partition_implILS5_8ELb0ES3_jN6thrust23THRUST_200600_302600_NS6detail15normal_iteratorINSA_10device_ptrItEEEEPS6_PKS6_NS0_5tupleIJSF_S6_EEENSJ_IJSG_SG_EEENS0_18inequality_wrapperI22is_equal_div_10_uniqueItEEEPmJS6_EEE10hipError_tPvRmT3_T4_T5_T6_T7_T9_mT8_P12ihipStream_tbDpT10_ENKUlT_T0_E_clISt17integral_constantIbLb1EES19_IbLb0EEEEDaS15_S16_EUlS15_E_NS1_11comp_targetILNS1_3genE0ELNS1_11target_archE4294967295ELNS1_3gpuE0ELNS1_3repE0EEENS1_30default_config_static_selectorELNS0_4arch9wavefront6targetE1EEEvT1_
; %bb.0:
	.section	.rodata,"a",@progbits
	.p2align	6, 0x0
	.amdhsa_kernel _ZN7rocprim17ROCPRIM_400000_NS6detail17trampoline_kernelINS0_14default_configENS1_25partition_config_selectorILNS1_17partition_subalgoE8EtNS0_10empty_typeEbEEZZNS1_14partition_implILS5_8ELb0ES3_jN6thrust23THRUST_200600_302600_NS6detail15normal_iteratorINSA_10device_ptrItEEEEPS6_PKS6_NS0_5tupleIJSF_S6_EEENSJ_IJSG_SG_EEENS0_18inequality_wrapperI22is_equal_div_10_uniqueItEEEPmJS6_EEE10hipError_tPvRmT3_T4_T5_T6_T7_T9_mT8_P12ihipStream_tbDpT10_ENKUlT_T0_E_clISt17integral_constantIbLb1EES19_IbLb0EEEEDaS15_S16_EUlS15_E_NS1_11comp_targetILNS1_3genE0ELNS1_11target_archE4294967295ELNS1_3gpuE0ELNS1_3repE0EEENS1_30default_config_static_selectorELNS0_4arch9wavefront6targetE1EEEvT1_
		.amdhsa_group_segment_fixed_size 0
		.amdhsa_private_segment_fixed_size 0
		.amdhsa_kernarg_size 112
		.amdhsa_user_sgpr_count 6
		.amdhsa_user_sgpr_private_segment_buffer 1
		.amdhsa_user_sgpr_dispatch_ptr 0
		.amdhsa_user_sgpr_queue_ptr 0
		.amdhsa_user_sgpr_kernarg_segment_ptr 1
		.amdhsa_user_sgpr_dispatch_id 0
		.amdhsa_user_sgpr_flat_scratch_init 0
		.amdhsa_user_sgpr_private_segment_size 0
		.amdhsa_uses_dynamic_stack 0
		.amdhsa_system_sgpr_private_segment_wavefront_offset 0
		.amdhsa_system_sgpr_workgroup_id_x 1
		.amdhsa_system_sgpr_workgroup_id_y 0
		.amdhsa_system_sgpr_workgroup_id_z 0
		.amdhsa_system_sgpr_workgroup_info 0
		.amdhsa_system_vgpr_workitem_id 0
		.amdhsa_next_free_vgpr 1
		.amdhsa_next_free_sgpr 0
		.amdhsa_reserve_vcc 0
		.amdhsa_reserve_flat_scratch 0
		.amdhsa_float_round_mode_32 0
		.amdhsa_float_round_mode_16_64 0
		.amdhsa_float_denorm_mode_32 3
		.amdhsa_float_denorm_mode_16_64 3
		.amdhsa_dx10_clamp 1
		.amdhsa_ieee_mode 1
		.amdhsa_fp16_overflow 0
		.amdhsa_exception_fp_ieee_invalid_op 0
		.amdhsa_exception_fp_denorm_src 0
		.amdhsa_exception_fp_ieee_div_zero 0
		.amdhsa_exception_fp_ieee_overflow 0
		.amdhsa_exception_fp_ieee_underflow 0
		.amdhsa_exception_fp_ieee_inexact 0
		.amdhsa_exception_int_div_zero 0
	.end_amdhsa_kernel
	.section	.text._ZN7rocprim17ROCPRIM_400000_NS6detail17trampoline_kernelINS0_14default_configENS1_25partition_config_selectorILNS1_17partition_subalgoE8EtNS0_10empty_typeEbEEZZNS1_14partition_implILS5_8ELb0ES3_jN6thrust23THRUST_200600_302600_NS6detail15normal_iteratorINSA_10device_ptrItEEEEPS6_PKS6_NS0_5tupleIJSF_S6_EEENSJ_IJSG_SG_EEENS0_18inequality_wrapperI22is_equal_div_10_uniqueItEEEPmJS6_EEE10hipError_tPvRmT3_T4_T5_T6_T7_T9_mT8_P12ihipStream_tbDpT10_ENKUlT_T0_E_clISt17integral_constantIbLb1EES19_IbLb0EEEEDaS15_S16_EUlS15_E_NS1_11comp_targetILNS1_3genE0ELNS1_11target_archE4294967295ELNS1_3gpuE0ELNS1_3repE0EEENS1_30default_config_static_selectorELNS0_4arch9wavefront6targetE1EEEvT1_,"axG",@progbits,_ZN7rocprim17ROCPRIM_400000_NS6detail17trampoline_kernelINS0_14default_configENS1_25partition_config_selectorILNS1_17partition_subalgoE8EtNS0_10empty_typeEbEEZZNS1_14partition_implILS5_8ELb0ES3_jN6thrust23THRUST_200600_302600_NS6detail15normal_iteratorINSA_10device_ptrItEEEEPS6_PKS6_NS0_5tupleIJSF_S6_EEENSJ_IJSG_SG_EEENS0_18inequality_wrapperI22is_equal_div_10_uniqueItEEEPmJS6_EEE10hipError_tPvRmT3_T4_T5_T6_T7_T9_mT8_P12ihipStream_tbDpT10_ENKUlT_T0_E_clISt17integral_constantIbLb1EES19_IbLb0EEEEDaS15_S16_EUlS15_E_NS1_11comp_targetILNS1_3genE0ELNS1_11target_archE4294967295ELNS1_3gpuE0ELNS1_3repE0EEENS1_30default_config_static_selectorELNS0_4arch9wavefront6targetE1EEEvT1_,comdat
.Lfunc_end323:
	.size	_ZN7rocprim17ROCPRIM_400000_NS6detail17trampoline_kernelINS0_14default_configENS1_25partition_config_selectorILNS1_17partition_subalgoE8EtNS0_10empty_typeEbEEZZNS1_14partition_implILS5_8ELb0ES3_jN6thrust23THRUST_200600_302600_NS6detail15normal_iteratorINSA_10device_ptrItEEEEPS6_PKS6_NS0_5tupleIJSF_S6_EEENSJ_IJSG_SG_EEENS0_18inequality_wrapperI22is_equal_div_10_uniqueItEEEPmJS6_EEE10hipError_tPvRmT3_T4_T5_T6_T7_T9_mT8_P12ihipStream_tbDpT10_ENKUlT_T0_E_clISt17integral_constantIbLb1EES19_IbLb0EEEEDaS15_S16_EUlS15_E_NS1_11comp_targetILNS1_3genE0ELNS1_11target_archE4294967295ELNS1_3gpuE0ELNS1_3repE0EEENS1_30default_config_static_selectorELNS0_4arch9wavefront6targetE1EEEvT1_, .Lfunc_end323-_ZN7rocprim17ROCPRIM_400000_NS6detail17trampoline_kernelINS0_14default_configENS1_25partition_config_selectorILNS1_17partition_subalgoE8EtNS0_10empty_typeEbEEZZNS1_14partition_implILS5_8ELb0ES3_jN6thrust23THRUST_200600_302600_NS6detail15normal_iteratorINSA_10device_ptrItEEEEPS6_PKS6_NS0_5tupleIJSF_S6_EEENSJ_IJSG_SG_EEENS0_18inequality_wrapperI22is_equal_div_10_uniqueItEEEPmJS6_EEE10hipError_tPvRmT3_T4_T5_T6_T7_T9_mT8_P12ihipStream_tbDpT10_ENKUlT_T0_E_clISt17integral_constantIbLb1EES19_IbLb0EEEEDaS15_S16_EUlS15_E_NS1_11comp_targetILNS1_3genE0ELNS1_11target_archE4294967295ELNS1_3gpuE0ELNS1_3repE0EEENS1_30default_config_static_selectorELNS0_4arch9wavefront6targetE1EEEvT1_
                                        ; -- End function
	.set _ZN7rocprim17ROCPRIM_400000_NS6detail17trampoline_kernelINS0_14default_configENS1_25partition_config_selectorILNS1_17partition_subalgoE8EtNS0_10empty_typeEbEEZZNS1_14partition_implILS5_8ELb0ES3_jN6thrust23THRUST_200600_302600_NS6detail15normal_iteratorINSA_10device_ptrItEEEEPS6_PKS6_NS0_5tupleIJSF_S6_EEENSJ_IJSG_SG_EEENS0_18inequality_wrapperI22is_equal_div_10_uniqueItEEEPmJS6_EEE10hipError_tPvRmT3_T4_T5_T6_T7_T9_mT8_P12ihipStream_tbDpT10_ENKUlT_T0_E_clISt17integral_constantIbLb1EES19_IbLb0EEEEDaS15_S16_EUlS15_E_NS1_11comp_targetILNS1_3genE0ELNS1_11target_archE4294967295ELNS1_3gpuE0ELNS1_3repE0EEENS1_30default_config_static_selectorELNS0_4arch9wavefront6targetE1EEEvT1_.num_vgpr, 0
	.set _ZN7rocprim17ROCPRIM_400000_NS6detail17trampoline_kernelINS0_14default_configENS1_25partition_config_selectorILNS1_17partition_subalgoE8EtNS0_10empty_typeEbEEZZNS1_14partition_implILS5_8ELb0ES3_jN6thrust23THRUST_200600_302600_NS6detail15normal_iteratorINSA_10device_ptrItEEEEPS6_PKS6_NS0_5tupleIJSF_S6_EEENSJ_IJSG_SG_EEENS0_18inequality_wrapperI22is_equal_div_10_uniqueItEEEPmJS6_EEE10hipError_tPvRmT3_T4_T5_T6_T7_T9_mT8_P12ihipStream_tbDpT10_ENKUlT_T0_E_clISt17integral_constantIbLb1EES19_IbLb0EEEEDaS15_S16_EUlS15_E_NS1_11comp_targetILNS1_3genE0ELNS1_11target_archE4294967295ELNS1_3gpuE0ELNS1_3repE0EEENS1_30default_config_static_selectorELNS0_4arch9wavefront6targetE1EEEvT1_.num_agpr, 0
	.set _ZN7rocprim17ROCPRIM_400000_NS6detail17trampoline_kernelINS0_14default_configENS1_25partition_config_selectorILNS1_17partition_subalgoE8EtNS0_10empty_typeEbEEZZNS1_14partition_implILS5_8ELb0ES3_jN6thrust23THRUST_200600_302600_NS6detail15normal_iteratorINSA_10device_ptrItEEEEPS6_PKS6_NS0_5tupleIJSF_S6_EEENSJ_IJSG_SG_EEENS0_18inequality_wrapperI22is_equal_div_10_uniqueItEEEPmJS6_EEE10hipError_tPvRmT3_T4_T5_T6_T7_T9_mT8_P12ihipStream_tbDpT10_ENKUlT_T0_E_clISt17integral_constantIbLb1EES19_IbLb0EEEEDaS15_S16_EUlS15_E_NS1_11comp_targetILNS1_3genE0ELNS1_11target_archE4294967295ELNS1_3gpuE0ELNS1_3repE0EEENS1_30default_config_static_selectorELNS0_4arch9wavefront6targetE1EEEvT1_.numbered_sgpr, 0
	.set _ZN7rocprim17ROCPRIM_400000_NS6detail17trampoline_kernelINS0_14default_configENS1_25partition_config_selectorILNS1_17partition_subalgoE8EtNS0_10empty_typeEbEEZZNS1_14partition_implILS5_8ELb0ES3_jN6thrust23THRUST_200600_302600_NS6detail15normal_iteratorINSA_10device_ptrItEEEEPS6_PKS6_NS0_5tupleIJSF_S6_EEENSJ_IJSG_SG_EEENS0_18inequality_wrapperI22is_equal_div_10_uniqueItEEEPmJS6_EEE10hipError_tPvRmT3_T4_T5_T6_T7_T9_mT8_P12ihipStream_tbDpT10_ENKUlT_T0_E_clISt17integral_constantIbLb1EES19_IbLb0EEEEDaS15_S16_EUlS15_E_NS1_11comp_targetILNS1_3genE0ELNS1_11target_archE4294967295ELNS1_3gpuE0ELNS1_3repE0EEENS1_30default_config_static_selectorELNS0_4arch9wavefront6targetE1EEEvT1_.num_named_barrier, 0
	.set _ZN7rocprim17ROCPRIM_400000_NS6detail17trampoline_kernelINS0_14default_configENS1_25partition_config_selectorILNS1_17partition_subalgoE8EtNS0_10empty_typeEbEEZZNS1_14partition_implILS5_8ELb0ES3_jN6thrust23THRUST_200600_302600_NS6detail15normal_iteratorINSA_10device_ptrItEEEEPS6_PKS6_NS0_5tupleIJSF_S6_EEENSJ_IJSG_SG_EEENS0_18inequality_wrapperI22is_equal_div_10_uniqueItEEEPmJS6_EEE10hipError_tPvRmT3_T4_T5_T6_T7_T9_mT8_P12ihipStream_tbDpT10_ENKUlT_T0_E_clISt17integral_constantIbLb1EES19_IbLb0EEEEDaS15_S16_EUlS15_E_NS1_11comp_targetILNS1_3genE0ELNS1_11target_archE4294967295ELNS1_3gpuE0ELNS1_3repE0EEENS1_30default_config_static_selectorELNS0_4arch9wavefront6targetE1EEEvT1_.private_seg_size, 0
	.set _ZN7rocprim17ROCPRIM_400000_NS6detail17trampoline_kernelINS0_14default_configENS1_25partition_config_selectorILNS1_17partition_subalgoE8EtNS0_10empty_typeEbEEZZNS1_14partition_implILS5_8ELb0ES3_jN6thrust23THRUST_200600_302600_NS6detail15normal_iteratorINSA_10device_ptrItEEEEPS6_PKS6_NS0_5tupleIJSF_S6_EEENSJ_IJSG_SG_EEENS0_18inequality_wrapperI22is_equal_div_10_uniqueItEEEPmJS6_EEE10hipError_tPvRmT3_T4_T5_T6_T7_T9_mT8_P12ihipStream_tbDpT10_ENKUlT_T0_E_clISt17integral_constantIbLb1EES19_IbLb0EEEEDaS15_S16_EUlS15_E_NS1_11comp_targetILNS1_3genE0ELNS1_11target_archE4294967295ELNS1_3gpuE0ELNS1_3repE0EEENS1_30default_config_static_selectorELNS0_4arch9wavefront6targetE1EEEvT1_.uses_vcc, 0
	.set _ZN7rocprim17ROCPRIM_400000_NS6detail17trampoline_kernelINS0_14default_configENS1_25partition_config_selectorILNS1_17partition_subalgoE8EtNS0_10empty_typeEbEEZZNS1_14partition_implILS5_8ELb0ES3_jN6thrust23THRUST_200600_302600_NS6detail15normal_iteratorINSA_10device_ptrItEEEEPS6_PKS6_NS0_5tupleIJSF_S6_EEENSJ_IJSG_SG_EEENS0_18inequality_wrapperI22is_equal_div_10_uniqueItEEEPmJS6_EEE10hipError_tPvRmT3_T4_T5_T6_T7_T9_mT8_P12ihipStream_tbDpT10_ENKUlT_T0_E_clISt17integral_constantIbLb1EES19_IbLb0EEEEDaS15_S16_EUlS15_E_NS1_11comp_targetILNS1_3genE0ELNS1_11target_archE4294967295ELNS1_3gpuE0ELNS1_3repE0EEENS1_30default_config_static_selectorELNS0_4arch9wavefront6targetE1EEEvT1_.uses_flat_scratch, 0
	.set _ZN7rocprim17ROCPRIM_400000_NS6detail17trampoline_kernelINS0_14default_configENS1_25partition_config_selectorILNS1_17partition_subalgoE8EtNS0_10empty_typeEbEEZZNS1_14partition_implILS5_8ELb0ES3_jN6thrust23THRUST_200600_302600_NS6detail15normal_iteratorINSA_10device_ptrItEEEEPS6_PKS6_NS0_5tupleIJSF_S6_EEENSJ_IJSG_SG_EEENS0_18inequality_wrapperI22is_equal_div_10_uniqueItEEEPmJS6_EEE10hipError_tPvRmT3_T4_T5_T6_T7_T9_mT8_P12ihipStream_tbDpT10_ENKUlT_T0_E_clISt17integral_constantIbLb1EES19_IbLb0EEEEDaS15_S16_EUlS15_E_NS1_11comp_targetILNS1_3genE0ELNS1_11target_archE4294967295ELNS1_3gpuE0ELNS1_3repE0EEENS1_30default_config_static_selectorELNS0_4arch9wavefront6targetE1EEEvT1_.has_dyn_sized_stack, 0
	.set _ZN7rocprim17ROCPRIM_400000_NS6detail17trampoline_kernelINS0_14default_configENS1_25partition_config_selectorILNS1_17partition_subalgoE8EtNS0_10empty_typeEbEEZZNS1_14partition_implILS5_8ELb0ES3_jN6thrust23THRUST_200600_302600_NS6detail15normal_iteratorINSA_10device_ptrItEEEEPS6_PKS6_NS0_5tupleIJSF_S6_EEENSJ_IJSG_SG_EEENS0_18inequality_wrapperI22is_equal_div_10_uniqueItEEEPmJS6_EEE10hipError_tPvRmT3_T4_T5_T6_T7_T9_mT8_P12ihipStream_tbDpT10_ENKUlT_T0_E_clISt17integral_constantIbLb1EES19_IbLb0EEEEDaS15_S16_EUlS15_E_NS1_11comp_targetILNS1_3genE0ELNS1_11target_archE4294967295ELNS1_3gpuE0ELNS1_3repE0EEENS1_30default_config_static_selectorELNS0_4arch9wavefront6targetE1EEEvT1_.has_recursion, 0
	.set _ZN7rocprim17ROCPRIM_400000_NS6detail17trampoline_kernelINS0_14default_configENS1_25partition_config_selectorILNS1_17partition_subalgoE8EtNS0_10empty_typeEbEEZZNS1_14partition_implILS5_8ELb0ES3_jN6thrust23THRUST_200600_302600_NS6detail15normal_iteratorINSA_10device_ptrItEEEEPS6_PKS6_NS0_5tupleIJSF_S6_EEENSJ_IJSG_SG_EEENS0_18inequality_wrapperI22is_equal_div_10_uniqueItEEEPmJS6_EEE10hipError_tPvRmT3_T4_T5_T6_T7_T9_mT8_P12ihipStream_tbDpT10_ENKUlT_T0_E_clISt17integral_constantIbLb1EES19_IbLb0EEEEDaS15_S16_EUlS15_E_NS1_11comp_targetILNS1_3genE0ELNS1_11target_archE4294967295ELNS1_3gpuE0ELNS1_3repE0EEENS1_30default_config_static_selectorELNS0_4arch9wavefront6targetE1EEEvT1_.has_indirect_call, 0
	.section	.AMDGPU.csdata,"",@progbits
; Kernel info:
; codeLenInByte = 0
; TotalNumSgprs: 4
; NumVgprs: 0
; ScratchSize: 0
; MemoryBound: 0
; FloatMode: 240
; IeeeMode: 1
; LDSByteSize: 0 bytes/workgroup (compile time only)
; SGPRBlocks: 0
; VGPRBlocks: 0
; NumSGPRsForWavesPerEU: 4
; NumVGPRsForWavesPerEU: 1
; Occupancy: 10
; WaveLimiterHint : 0
; COMPUTE_PGM_RSRC2:SCRATCH_EN: 0
; COMPUTE_PGM_RSRC2:USER_SGPR: 6
; COMPUTE_PGM_RSRC2:TRAP_HANDLER: 0
; COMPUTE_PGM_RSRC2:TGID_X_EN: 1
; COMPUTE_PGM_RSRC2:TGID_Y_EN: 0
; COMPUTE_PGM_RSRC2:TGID_Z_EN: 0
; COMPUTE_PGM_RSRC2:TIDIG_COMP_CNT: 0
	.section	.text._ZN7rocprim17ROCPRIM_400000_NS6detail17trampoline_kernelINS0_14default_configENS1_25partition_config_selectorILNS1_17partition_subalgoE8EtNS0_10empty_typeEbEEZZNS1_14partition_implILS5_8ELb0ES3_jN6thrust23THRUST_200600_302600_NS6detail15normal_iteratorINSA_10device_ptrItEEEEPS6_PKS6_NS0_5tupleIJSF_S6_EEENSJ_IJSG_SG_EEENS0_18inequality_wrapperI22is_equal_div_10_uniqueItEEEPmJS6_EEE10hipError_tPvRmT3_T4_T5_T6_T7_T9_mT8_P12ihipStream_tbDpT10_ENKUlT_T0_E_clISt17integral_constantIbLb1EES19_IbLb0EEEEDaS15_S16_EUlS15_E_NS1_11comp_targetILNS1_3genE5ELNS1_11target_archE942ELNS1_3gpuE9ELNS1_3repE0EEENS1_30default_config_static_selectorELNS0_4arch9wavefront6targetE1EEEvT1_,"axG",@progbits,_ZN7rocprim17ROCPRIM_400000_NS6detail17trampoline_kernelINS0_14default_configENS1_25partition_config_selectorILNS1_17partition_subalgoE8EtNS0_10empty_typeEbEEZZNS1_14partition_implILS5_8ELb0ES3_jN6thrust23THRUST_200600_302600_NS6detail15normal_iteratorINSA_10device_ptrItEEEEPS6_PKS6_NS0_5tupleIJSF_S6_EEENSJ_IJSG_SG_EEENS0_18inequality_wrapperI22is_equal_div_10_uniqueItEEEPmJS6_EEE10hipError_tPvRmT3_T4_T5_T6_T7_T9_mT8_P12ihipStream_tbDpT10_ENKUlT_T0_E_clISt17integral_constantIbLb1EES19_IbLb0EEEEDaS15_S16_EUlS15_E_NS1_11comp_targetILNS1_3genE5ELNS1_11target_archE942ELNS1_3gpuE9ELNS1_3repE0EEENS1_30default_config_static_selectorELNS0_4arch9wavefront6targetE1EEEvT1_,comdat
	.protected	_ZN7rocprim17ROCPRIM_400000_NS6detail17trampoline_kernelINS0_14default_configENS1_25partition_config_selectorILNS1_17partition_subalgoE8EtNS0_10empty_typeEbEEZZNS1_14partition_implILS5_8ELb0ES3_jN6thrust23THRUST_200600_302600_NS6detail15normal_iteratorINSA_10device_ptrItEEEEPS6_PKS6_NS0_5tupleIJSF_S6_EEENSJ_IJSG_SG_EEENS0_18inequality_wrapperI22is_equal_div_10_uniqueItEEEPmJS6_EEE10hipError_tPvRmT3_T4_T5_T6_T7_T9_mT8_P12ihipStream_tbDpT10_ENKUlT_T0_E_clISt17integral_constantIbLb1EES19_IbLb0EEEEDaS15_S16_EUlS15_E_NS1_11comp_targetILNS1_3genE5ELNS1_11target_archE942ELNS1_3gpuE9ELNS1_3repE0EEENS1_30default_config_static_selectorELNS0_4arch9wavefront6targetE1EEEvT1_ ; -- Begin function _ZN7rocprim17ROCPRIM_400000_NS6detail17trampoline_kernelINS0_14default_configENS1_25partition_config_selectorILNS1_17partition_subalgoE8EtNS0_10empty_typeEbEEZZNS1_14partition_implILS5_8ELb0ES3_jN6thrust23THRUST_200600_302600_NS6detail15normal_iteratorINSA_10device_ptrItEEEEPS6_PKS6_NS0_5tupleIJSF_S6_EEENSJ_IJSG_SG_EEENS0_18inequality_wrapperI22is_equal_div_10_uniqueItEEEPmJS6_EEE10hipError_tPvRmT3_T4_T5_T6_T7_T9_mT8_P12ihipStream_tbDpT10_ENKUlT_T0_E_clISt17integral_constantIbLb1EES19_IbLb0EEEEDaS15_S16_EUlS15_E_NS1_11comp_targetILNS1_3genE5ELNS1_11target_archE942ELNS1_3gpuE9ELNS1_3repE0EEENS1_30default_config_static_selectorELNS0_4arch9wavefront6targetE1EEEvT1_
	.globl	_ZN7rocprim17ROCPRIM_400000_NS6detail17trampoline_kernelINS0_14default_configENS1_25partition_config_selectorILNS1_17partition_subalgoE8EtNS0_10empty_typeEbEEZZNS1_14partition_implILS5_8ELb0ES3_jN6thrust23THRUST_200600_302600_NS6detail15normal_iteratorINSA_10device_ptrItEEEEPS6_PKS6_NS0_5tupleIJSF_S6_EEENSJ_IJSG_SG_EEENS0_18inequality_wrapperI22is_equal_div_10_uniqueItEEEPmJS6_EEE10hipError_tPvRmT3_T4_T5_T6_T7_T9_mT8_P12ihipStream_tbDpT10_ENKUlT_T0_E_clISt17integral_constantIbLb1EES19_IbLb0EEEEDaS15_S16_EUlS15_E_NS1_11comp_targetILNS1_3genE5ELNS1_11target_archE942ELNS1_3gpuE9ELNS1_3repE0EEENS1_30default_config_static_selectorELNS0_4arch9wavefront6targetE1EEEvT1_
	.p2align	8
	.type	_ZN7rocprim17ROCPRIM_400000_NS6detail17trampoline_kernelINS0_14default_configENS1_25partition_config_selectorILNS1_17partition_subalgoE8EtNS0_10empty_typeEbEEZZNS1_14partition_implILS5_8ELb0ES3_jN6thrust23THRUST_200600_302600_NS6detail15normal_iteratorINSA_10device_ptrItEEEEPS6_PKS6_NS0_5tupleIJSF_S6_EEENSJ_IJSG_SG_EEENS0_18inequality_wrapperI22is_equal_div_10_uniqueItEEEPmJS6_EEE10hipError_tPvRmT3_T4_T5_T6_T7_T9_mT8_P12ihipStream_tbDpT10_ENKUlT_T0_E_clISt17integral_constantIbLb1EES19_IbLb0EEEEDaS15_S16_EUlS15_E_NS1_11comp_targetILNS1_3genE5ELNS1_11target_archE942ELNS1_3gpuE9ELNS1_3repE0EEENS1_30default_config_static_selectorELNS0_4arch9wavefront6targetE1EEEvT1_,@function
_ZN7rocprim17ROCPRIM_400000_NS6detail17trampoline_kernelINS0_14default_configENS1_25partition_config_selectorILNS1_17partition_subalgoE8EtNS0_10empty_typeEbEEZZNS1_14partition_implILS5_8ELb0ES3_jN6thrust23THRUST_200600_302600_NS6detail15normal_iteratorINSA_10device_ptrItEEEEPS6_PKS6_NS0_5tupleIJSF_S6_EEENSJ_IJSG_SG_EEENS0_18inequality_wrapperI22is_equal_div_10_uniqueItEEEPmJS6_EEE10hipError_tPvRmT3_T4_T5_T6_T7_T9_mT8_P12ihipStream_tbDpT10_ENKUlT_T0_E_clISt17integral_constantIbLb1EES19_IbLb0EEEEDaS15_S16_EUlS15_E_NS1_11comp_targetILNS1_3genE5ELNS1_11target_archE942ELNS1_3gpuE9ELNS1_3repE0EEENS1_30default_config_static_selectorELNS0_4arch9wavefront6targetE1EEEvT1_: ; @_ZN7rocprim17ROCPRIM_400000_NS6detail17trampoline_kernelINS0_14default_configENS1_25partition_config_selectorILNS1_17partition_subalgoE8EtNS0_10empty_typeEbEEZZNS1_14partition_implILS5_8ELb0ES3_jN6thrust23THRUST_200600_302600_NS6detail15normal_iteratorINSA_10device_ptrItEEEEPS6_PKS6_NS0_5tupleIJSF_S6_EEENSJ_IJSG_SG_EEENS0_18inequality_wrapperI22is_equal_div_10_uniqueItEEEPmJS6_EEE10hipError_tPvRmT3_T4_T5_T6_T7_T9_mT8_P12ihipStream_tbDpT10_ENKUlT_T0_E_clISt17integral_constantIbLb1EES19_IbLb0EEEEDaS15_S16_EUlS15_E_NS1_11comp_targetILNS1_3genE5ELNS1_11target_archE942ELNS1_3gpuE9ELNS1_3repE0EEENS1_30default_config_static_selectorELNS0_4arch9wavefront6targetE1EEEvT1_
; %bb.0:
	.section	.rodata,"a",@progbits
	.p2align	6, 0x0
	.amdhsa_kernel _ZN7rocprim17ROCPRIM_400000_NS6detail17trampoline_kernelINS0_14default_configENS1_25partition_config_selectorILNS1_17partition_subalgoE8EtNS0_10empty_typeEbEEZZNS1_14partition_implILS5_8ELb0ES3_jN6thrust23THRUST_200600_302600_NS6detail15normal_iteratorINSA_10device_ptrItEEEEPS6_PKS6_NS0_5tupleIJSF_S6_EEENSJ_IJSG_SG_EEENS0_18inequality_wrapperI22is_equal_div_10_uniqueItEEEPmJS6_EEE10hipError_tPvRmT3_T4_T5_T6_T7_T9_mT8_P12ihipStream_tbDpT10_ENKUlT_T0_E_clISt17integral_constantIbLb1EES19_IbLb0EEEEDaS15_S16_EUlS15_E_NS1_11comp_targetILNS1_3genE5ELNS1_11target_archE942ELNS1_3gpuE9ELNS1_3repE0EEENS1_30default_config_static_selectorELNS0_4arch9wavefront6targetE1EEEvT1_
		.amdhsa_group_segment_fixed_size 0
		.amdhsa_private_segment_fixed_size 0
		.amdhsa_kernarg_size 112
		.amdhsa_user_sgpr_count 6
		.amdhsa_user_sgpr_private_segment_buffer 1
		.amdhsa_user_sgpr_dispatch_ptr 0
		.amdhsa_user_sgpr_queue_ptr 0
		.amdhsa_user_sgpr_kernarg_segment_ptr 1
		.amdhsa_user_sgpr_dispatch_id 0
		.amdhsa_user_sgpr_flat_scratch_init 0
		.amdhsa_user_sgpr_private_segment_size 0
		.amdhsa_uses_dynamic_stack 0
		.amdhsa_system_sgpr_private_segment_wavefront_offset 0
		.amdhsa_system_sgpr_workgroup_id_x 1
		.amdhsa_system_sgpr_workgroup_id_y 0
		.amdhsa_system_sgpr_workgroup_id_z 0
		.amdhsa_system_sgpr_workgroup_info 0
		.amdhsa_system_vgpr_workitem_id 0
		.amdhsa_next_free_vgpr 1
		.amdhsa_next_free_sgpr 0
		.amdhsa_reserve_vcc 0
		.amdhsa_reserve_flat_scratch 0
		.amdhsa_float_round_mode_32 0
		.amdhsa_float_round_mode_16_64 0
		.amdhsa_float_denorm_mode_32 3
		.amdhsa_float_denorm_mode_16_64 3
		.amdhsa_dx10_clamp 1
		.amdhsa_ieee_mode 1
		.amdhsa_fp16_overflow 0
		.amdhsa_exception_fp_ieee_invalid_op 0
		.amdhsa_exception_fp_denorm_src 0
		.amdhsa_exception_fp_ieee_div_zero 0
		.amdhsa_exception_fp_ieee_overflow 0
		.amdhsa_exception_fp_ieee_underflow 0
		.amdhsa_exception_fp_ieee_inexact 0
		.amdhsa_exception_int_div_zero 0
	.end_amdhsa_kernel
	.section	.text._ZN7rocprim17ROCPRIM_400000_NS6detail17trampoline_kernelINS0_14default_configENS1_25partition_config_selectorILNS1_17partition_subalgoE8EtNS0_10empty_typeEbEEZZNS1_14partition_implILS5_8ELb0ES3_jN6thrust23THRUST_200600_302600_NS6detail15normal_iteratorINSA_10device_ptrItEEEEPS6_PKS6_NS0_5tupleIJSF_S6_EEENSJ_IJSG_SG_EEENS0_18inequality_wrapperI22is_equal_div_10_uniqueItEEEPmJS6_EEE10hipError_tPvRmT3_T4_T5_T6_T7_T9_mT8_P12ihipStream_tbDpT10_ENKUlT_T0_E_clISt17integral_constantIbLb1EES19_IbLb0EEEEDaS15_S16_EUlS15_E_NS1_11comp_targetILNS1_3genE5ELNS1_11target_archE942ELNS1_3gpuE9ELNS1_3repE0EEENS1_30default_config_static_selectorELNS0_4arch9wavefront6targetE1EEEvT1_,"axG",@progbits,_ZN7rocprim17ROCPRIM_400000_NS6detail17trampoline_kernelINS0_14default_configENS1_25partition_config_selectorILNS1_17partition_subalgoE8EtNS0_10empty_typeEbEEZZNS1_14partition_implILS5_8ELb0ES3_jN6thrust23THRUST_200600_302600_NS6detail15normal_iteratorINSA_10device_ptrItEEEEPS6_PKS6_NS0_5tupleIJSF_S6_EEENSJ_IJSG_SG_EEENS0_18inequality_wrapperI22is_equal_div_10_uniqueItEEEPmJS6_EEE10hipError_tPvRmT3_T4_T5_T6_T7_T9_mT8_P12ihipStream_tbDpT10_ENKUlT_T0_E_clISt17integral_constantIbLb1EES19_IbLb0EEEEDaS15_S16_EUlS15_E_NS1_11comp_targetILNS1_3genE5ELNS1_11target_archE942ELNS1_3gpuE9ELNS1_3repE0EEENS1_30default_config_static_selectorELNS0_4arch9wavefront6targetE1EEEvT1_,comdat
.Lfunc_end324:
	.size	_ZN7rocprim17ROCPRIM_400000_NS6detail17trampoline_kernelINS0_14default_configENS1_25partition_config_selectorILNS1_17partition_subalgoE8EtNS0_10empty_typeEbEEZZNS1_14partition_implILS5_8ELb0ES3_jN6thrust23THRUST_200600_302600_NS6detail15normal_iteratorINSA_10device_ptrItEEEEPS6_PKS6_NS0_5tupleIJSF_S6_EEENSJ_IJSG_SG_EEENS0_18inequality_wrapperI22is_equal_div_10_uniqueItEEEPmJS6_EEE10hipError_tPvRmT3_T4_T5_T6_T7_T9_mT8_P12ihipStream_tbDpT10_ENKUlT_T0_E_clISt17integral_constantIbLb1EES19_IbLb0EEEEDaS15_S16_EUlS15_E_NS1_11comp_targetILNS1_3genE5ELNS1_11target_archE942ELNS1_3gpuE9ELNS1_3repE0EEENS1_30default_config_static_selectorELNS0_4arch9wavefront6targetE1EEEvT1_, .Lfunc_end324-_ZN7rocprim17ROCPRIM_400000_NS6detail17trampoline_kernelINS0_14default_configENS1_25partition_config_selectorILNS1_17partition_subalgoE8EtNS0_10empty_typeEbEEZZNS1_14partition_implILS5_8ELb0ES3_jN6thrust23THRUST_200600_302600_NS6detail15normal_iteratorINSA_10device_ptrItEEEEPS6_PKS6_NS0_5tupleIJSF_S6_EEENSJ_IJSG_SG_EEENS0_18inequality_wrapperI22is_equal_div_10_uniqueItEEEPmJS6_EEE10hipError_tPvRmT3_T4_T5_T6_T7_T9_mT8_P12ihipStream_tbDpT10_ENKUlT_T0_E_clISt17integral_constantIbLb1EES19_IbLb0EEEEDaS15_S16_EUlS15_E_NS1_11comp_targetILNS1_3genE5ELNS1_11target_archE942ELNS1_3gpuE9ELNS1_3repE0EEENS1_30default_config_static_selectorELNS0_4arch9wavefront6targetE1EEEvT1_
                                        ; -- End function
	.set _ZN7rocprim17ROCPRIM_400000_NS6detail17trampoline_kernelINS0_14default_configENS1_25partition_config_selectorILNS1_17partition_subalgoE8EtNS0_10empty_typeEbEEZZNS1_14partition_implILS5_8ELb0ES3_jN6thrust23THRUST_200600_302600_NS6detail15normal_iteratorINSA_10device_ptrItEEEEPS6_PKS6_NS0_5tupleIJSF_S6_EEENSJ_IJSG_SG_EEENS0_18inequality_wrapperI22is_equal_div_10_uniqueItEEEPmJS6_EEE10hipError_tPvRmT3_T4_T5_T6_T7_T9_mT8_P12ihipStream_tbDpT10_ENKUlT_T0_E_clISt17integral_constantIbLb1EES19_IbLb0EEEEDaS15_S16_EUlS15_E_NS1_11comp_targetILNS1_3genE5ELNS1_11target_archE942ELNS1_3gpuE9ELNS1_3repE0EEENS1_30default_config_static_selectorELNS0_4arch9wavefront6targetE1EEEvT1_.num_vgpr, 0
	.set _ZN7rocprim17ROCPRIM_400000_NS6detail17trampoline_kernelINS0_14default_configENS1_25partition_config_selectorILNS1_17partition_subalgoE8EtNS0_10empty_typeEbEEZZNS1_14partition_implILS5_8ELb0ES3_jN6thrust23THRUST_200600_302600_NS6detail15normal_iteratorINSA_10device_ptrItEEEEPS6_PKS6_NS0_5tupleIJSF_S6_EEENSJ_IJSG_SG_EEENS0_18inequality_wrapperI22is_equal_div_10_uniqueItEEEPmJS6_EEE10hipError_tPvRmT3_T4_T5_T6_T7_T9_mT8_P12ihipStream_tbDpT10_ENKUlT_T0_E_clISt17integral_constantIbLb1EES19_IbLb0EEEEDaS15_S16_EUlS15_E_NS1_11comp_targetILNS1_3genE5ELNS1_11target_archE942ELNS1_3gpuE9ELNS1_3repE0EEENS1_30default_config_static_selectorELNS0_4arch9wavefront6targetE1EEEvT1_.num_agpr, 0
	.set _ZN7rocprim17ROCPRIM_400000_NS6detail17trampoline_kernelINS0_14default_configENS1_25partition_config_selectorILNS1_17partition_subalgoE8EtNS0_10empty_typeEbEEZZNS1_14partition_implILS5_8ELb0ES3_jN6thrust23THRUST_200600_302600_NS6detail15normal_iteratorINSA_10device_ptrItEEEEPS6_PKS6_NS0_5tupleIJSF_S6_EEENSJ_IJSG_SG_EEENS0_18inequality_wrapperI22is_equal_div_10_uniqueItEEEPmJS6_EEE10hipError_tPvRmT3_T4_T5_T6_T7_T9_mT8_P12ihipStream_tbDpT10_ENKUlT_T0_E_clISt17integral_constantIbLb1EES19_IbLb0EEEEDaS15_S16_EUlS15_E_NS1_11comp_targetILNS1_3genE5ELNS1_11target_archE942ELNS1_3gpuE9ELNS1_3repE0EEENS1_30default_config_static_selectorELNS0_4arch9wavefront6targetE1EEEvT1_.numbered_sgpr, 0
	.set _ZN7rocprim17ROCPRIM_400000_NS6detail17trampoline_kernelINS0_14default_configENS1_25partition_config_selectorILNS1_17partition_subalgoE8EtNS0_10empty_typeEbEEZZNS1_14partition_implILS5_8ELb0ES3_jN6thrust23THRUST_200600_302600_NS6detail15normal_iteratorINSA_10device_ptrItEEEEPS6_PKS6_NS0_5tupleIJSF_S6_EEENSJ_IJSG_SG_EEENS0_18inequality_wrapperI22is_equal_div_10_uniqueItEEEPmJS6_EEE10hipError_tPvRmT3_T4_T5_T6_T7_T9_mT8_P12ihipStream_tbDpT10_ENKUlT_T0_E_clISt17integral_constantIbLb1EES19_IbLb0EEEEDaS15_S16_EUlS15_E_NS1_11comp_targetILNS1_3genE5ELNS1_11target_archE942ELNS1_3gpuE9ELNS1_3repE0EEENS1_30default_config_static_selectorELNS0_4arch9wavefront6targetE1EEEvT1_.num_named_barrier, 0
	.set _ZN7rocprim17ROCPRIM_400000_NS6detail17trampoline_kernelINS0_14default_configENS1_25partition_config_selectorILNS1_17partition_subalgoE8EtNS0_10empty_typeEbEEZZNS1_14partition_implILS5_8ELb0ES3_jN6thrust23THRUST_200600_302600_NS6detail15normal_iteratorINSA_10device_ptrItEEEEPS6_PKS6_NS0_5tupleIJSF_S6_EEENSJ_IJSG_SG_EEENS0_18inequality_wrapperI22is_equal_div_10_uniqueItEEEPmJS6_EEE10hipError_tPvRmT3_T4_T5_T6_T7_T9_mT8_P12ihipStream_tbDpT10_ENKUlT_T0_E_clISt17integral_constantIbLb1EES19_IbLb0EEEEDaS15_S16_EUlS15_E_NS1_11comp_targetILNS1_3genE5ELNS1_11target_archE942ELNS1_3gpuE9ELNS1_3repE0EEENS1_30default_config_static_selectorELNS0_4arch9wavefront6targetE1EEEvT1_.private_seg_size, 0
	.set _ZN7rocprim17ROCPRIM_400000_NS6detail17trampoline_kernelINS0_14default_configENS1_25partition_config_selectorILNS1_17partition_subalgoE8EtNS0_10empty_typeEbEEZZNS1_14partition_implILS5_8ELb0ES3_jN6thrust23THRUST_200600_302600_NS6detail15normal_iteratorINSA_10device_ptrItEEEEPS6_PKS6_NS0_5tupleIJSF_S6_EEENSJ_IJSG_SG_EEENS0_18inequality_wrapperI22is_equal_div_10_uniqueItEEEPmJS6_EEE10hipError_tPvRmT3_T4_T5_T6_T7_T9_mT8_P12ihipStream_tbDpT10_ENKUlT_T0_E_clISt17integral_constantIbLb1EES19_IbLb0EEEEDaS15_S16_EUlS15_E_NS1_11comp_targetILNS1_3genE5ELNS1_11target_archE942ELNS1_3gpuE9ELNS1_3repE0EEENS1_30default_config_static_selectorELNS0_4arch9wavefront6targetE1EEEvT1_.uses_vcc, 0
	.set _ZN7rocprim17ROCPRIM_400000_NS6detail17trampoline_kernelINS0_14default_configENS1_25partition_config_selectorILNS1_17partition_subalgoE8EtNS0_10empty_typeEbEEZZNS1_14partition_implILS5_8ELb0ES3_jN6thrust23THRUST_200600_302600_NS6detail15normal_iteratorINSA_10device_ptrItEEEEPS6_PKS6_NS0_5tupleIJSF_S6_EEENSJ_IJSG_SG_EEENS0_18inequality_wrapperI22is_equal_div_10_uniqueItEEEPmJS6_EEE10hipError_tPvRmT3_T4_T5_T6_T7_T9_mT8_P12ihipStream_tbDpT10_ENKUlT_T0_E_clISt17integral_constantIbLb1EES19_IbLb0EEEEDaS15_S16_EUlS15_E_NS1_11comp_targetILNS1_3genE5ELNS1_11target_archE942ELNS1_3gpuE9ELNS1_3repE0EEENS1_30default_config_static_selectorELNS0_4arch9wavefront6targetE1EEEvT1_.uses_flat_scratch, 0
	.set _ZN7rocprim17ROCPRIM_400000_NS6detail17trampoline_kernelINS0_14default_configENS1_25partition_config_selectorILNS1_17partition_subalgoE8EtNS0_10empty_typeEbEEZZNS1_14partition_implILS5_8ELb0ES3_jN6thrust23THRUST_200600_302600_NS6detail15normal_iteratorINSA_10device_ptrItEEEEPS6_PKS6_NS0_5tupleIJSF_S6_EEENSJ_IJSG_SG_EEENS0_18inequality_wrapperI22is_equal_div_10_uniqueItEEEPmJS6_EEE10hipError_tPvRmT3_T4_T5_T6_T7_T9_mT8_P12ihipStream_tbDpT10_ENKUlT_T0_E_clISt17integral_constantIbLb1EES19_IbLb0EEEEDaS15_S16_EUlS15_E_NS1_11comp_targetILNS1_3genE5ELNS1_11target_archE942ELNS1_3gpuE9ELNS1_3repE0EEENS1_30default_config_static_selectorELNS0_4arch9wavefront6targetE1EEEvT1_.has_dyn_sized_stack, 0
	.set _ZN7rocprim17ROCPRIM_400000_NS6detail17trampoline_kernelINS0_14default_configENS1_25partition_config_selectorILNS1_17partition_subalgoE8EtNS0_10empty_typeEbEEZZNS1_14partition_implILS5_8ELb0ES3_jN6thrust23THRUST_200600_302600_NS6detail15normal_iteratorINSA_10device_ptrItEEEEPS6_PKS6_NS0_5tupleIJSF_S6_EEENSJ_IJSG_SG_EEENS0_18inequality_wrapperI22is_equal_div_10_uniqueItEEEPmJS6_EEE10hipError_tPvRmT3_T4_T5_T6_T7_T9_mT8_P12ihipStream_tbDpT10_ENKUlT_T0_E_clISt17integral_constantIbLb1EES19_IbLb0EEEEDaS15_S16_EUlS15_E_NS1_11comp_targetILNS1_3genE5ELNS1_11target_archE942ELNS1_3gpuE9ELNS1_3repE0EEENS1_30default_config_static_selectorELNS0_4arch9wavefront6targetE1EEEvT1_.has_recursion, 0
	.set _ZN7rocprim17ROCPRIM_400000_NS6detail17trampoline_kernelINS0_14default_configENS1_25partition_config_selectorILNS1_17partition_subalgoE8EtNS0_10empty_typeEbEEZZNS1_14partition_implILS5_8ELb0ES3_jN6thrust23THRUST_200600_302600_NS6detail15normal_iteratorINSA_10device_ptrItEEEEPS6_PKS6_NS0_5tupleIJSF_S6_EEENSJ_IJSG_SG_EEENS0_18inequality_wrapperI22is_equal_div_10_uniqueItEEEPmJS6_EEE10hipError_tPvRmT3_T4_T5_T6_T7_T9_mT8_P12ihipStream_tbDpT10_ENKUlT_T0_E_clISt17integral_constantIbLb1EES19_IbLb0EEEEDaS15_S16_EUlS15_E_NS1_11comp_targetILNS1_3genE5ELNS1_11target_archE942ELNS1_3gpuE9ELNS1_3repE0EEENS1_30default_config_static_selectorELNS0_4arch9wavefront6targetE1EEEvT1_.has_indirect_call, 0
	.section	.AMDGPU.csdata,"",@progbits
; Kernel info:
; codeLenInByte = 0
; TotalNumSgprs: 4
; NumVgprs: 0
; ScratchSize: 0
; MemoryBound: 0
; FloatMode: 240
; IeeeMode: 1
; LDSByteSize: 0 bytes/workgroup (compile time only)
; SGPRBlocks: 0
; VGPRBlocks: 0
; NumSGPRsForWavesPerEU: 4
; NumVGPRsForWavesPerEU: 1
; Occupancy: 10
; WaveLimiterHint : 0
; COMPUTE_PGM_RSRC2:SCRATCH_EN: 0
; COMPUTE_PGM_RSRC2:USER_SGPR: 6
; COMPUTE_PGM_RSRC2:TRAP_HANDLER: 0
; COMPUTE_PGM_RSRC2:TGID_X_EN: 1
; COMPUTE_PGM_RSRC2:TGID_Y_EN: 0
; COMPUTE_PGM_RSRC2:TGID_Z_EN: 0
; COMPUTE_PGM_RSRC2:TIDIG_COMP_CNT: 0
	.section	.text._ZN7rocprim17ROCPRIM_400000_NS6detail17trampoline_kernelINS0_14default_configENS1_25partition_config_selectorILNS1_17partition_subalgoE8EtNS0_10empty_typeEbEEZZNS1_14partition_implILS5_8ELb0ES3_jN6thrust23THRUST_200600_302600_NS6detail15normal_iteratorINSA_10device_ptrItEEEEPS6_PKS6_NS0_5tupleIJSF_S6_EEENSJ_IJSG_SG_EEENS0_18inequality_wrapperI22is_equal_div_10_uniqueItEEEPmJS6_EEE10hipError_tPvRmT3_T4_T5_T6_T7_T9_mT8_P12ihipStream_tbDpT10_ENKUlT_T0_E_clISt17integral_constantIbLb1EES19_IbLb0EEEEDaS15_S16_EUlS15_E_NS1_11comp_targetILNS1_3genE4ELNS1_11target_archE910ELNS1_3gpuE8ELNS1_3repE0EEENS1_30default_config_static_selectorELNS0_4arch9wavefront6targetE1EEEvT1_,"axG",@progbits,_ZN7rocprim17ROCPRIM_400000_NS6detail17trampoline_kernelINS0_14default_configENS1_25partition_config_selectorILNS1_17partition_subalgoE8EtNS0_10empty_typeEbEEZZNS1_14partition_implILS5_8ELb0ES3_jN6thrust23THRUST_200600_302600_NS6detail15normal_iteratorINSA_10device_ptrItEEEEPS6_PKS6_NS0_5tupleIJSF_S6_EEENSJ_IJSG_SG_EEENS0_18inequality_wrapperI22is_equal_div_10_uniqueItEEEPmJS6_EEE10hipError_tPvRmT3_T4_T5_T6_T7_T9_mT8_P12ihipStream_tbDpT10_ENKUlT_T0_E_clISt17integral_constantIbLb1EES19_IbLb0EEEEDaS15_S16_EUlS15_E_NS1_11comp_targetILNS1_3genE4ELNS1_11target_archE910ELNS1_3gpuE8ELNS1_3repE0EEENS1_30default_config_static_selectorELNS0_4arch9wavefront6targetE1EEEvT1_,comdat
	.protected	_ZN7rocprim17ROCPRIM_400000_NS6detail17trampoline_kernelINS0_14default_configENS1_25partition_config_selectorILNS1_17partition_subalgoE8EtNS0_10empty_typeEbEEZZNS1_14partition_implILS5_8ELb0ES3_jN6thrust23THRUST_200600_302600_NS6detail15normal_iteratorINSA_10device_ptrItEEEEPS6_PKS6_NS0_5tupleIJSF_S6_EEENSJ_IJSG_SG_EEENS0_18inequality_wrapperI22is_equal_div_10_uniqueItEEEPmJS6_EEE10hipError_tPvRmT3_T4_T5_T6_T7_T9_mT8_P12ihipStream_tbDpT10_ENKUlT_T0_E_clISt17integral_constantIbLb1EES19_IbLb0EEEEDaS15_S16_EUlS15_E_NS1_11comp_targetILNS1_3genE4ELNS1_11target_archE910ELNS1_3gpuE8ELNS1_3repE0EEENS1_30default_config_static_selectorELNS0_4arch9wavefront6targetE1EEEvT1_ ; -- Begin function _ZN7rocprim17ROCPRIM_400000_NS6detail17trampoline_kernelINS0_14default_configENS1_25partition_config_selectorILNS1_17partition_subalgoE8EtNS0_10empty_typeEbEEZZNS1_14partition_implILS5_8ELb0ES3_jN6thrust23THRUST_200600_302600_NS6detail15normal_iteratorINSA_10device_ptrItEEEEPS6_PKS6_NS0_5tupleIJSF_S6_EEENSJ_IJSG_SG_EEENS0_18inequality_wrapperI22is_equal_div_10_uniqueItEEEPmJS6_EEE10hipError_tPvRmT3_T4_T5_T6_T7_T9_mT8_P12ihipStream_tbDpT10_ENKUlT_T0_E_clISt17integral_constantIbLb1EES19_IbLb0EEEEDaS15_S16_EUlS15_E_NS1_11comp_targetILNS1_3genE4ELNS1_11target_archE910ELNS1_3gpuE8ELNS1_3repE0EEENS1_30default_config_static_selectorELNS0_4arch9wavefront6targetE1EEEvT1_
	.globl	_ZN7rocprim17ROCPRIM_400000_NS6detail17trampoline_kernelINS0_14default_configENS1_25partition_config_selectorILNS1_17partition_subalgoE8EtNS0_10empty_typeEbEEZZNS1_14partition_implILS5_8ELb0ES3_jN6thrust23THRUST_200600_302600_NS6detail15normal_iteratorINSA_10device_ptrItEEEEPS6_PKS6_NS0_5tupleIJSF_S6_EEENSJ_IJSG_SG_EEENS0_18inequality_wrapperI22is_equal_div_10_uniqueItEEEPmJS6_EEE10hipError_tPvRmT3_T4_T5_T6_T7_T9_mT8_P12ihipStream_tbDpT10_ENKUlT_T0_E_clISt17integral_constantIbLb1EES19_IbLb0EEEEDaS15_S16_EUlS15_E_NS1_11comp_targetILNS1_3genE4ELNS1_11target_archE910ELNS1_3gpuE8ELNS1_3repE0EEENS1_30default_config_static_selectorELNS0_4arch9wavefront6targetE1EEEvT1_
	.p2align	8
	.type	_ZN7rocprim17ROCPRIM_400000_NS6detail17trampoline_kernelINS0_14default_configENS1_25partition_config_selectorILNS1_17partition_subalgoE8EtNS0_10empty_typeEbEEZZNS1_14partition_implILS5_8ELb0ES3_jN6thrust23THRUST_200600_302600_NS6detail15normal_iteratorINSA_10device_ptrItEEEEPS6_PKS6_NS0_5tupleIJSF_S6_EEENSJ_IJSG_SG_EEENS0_18inequality_wrapperI22is_equal_div_10_uniqueItEEEPmJS6_EEE10hipError_tPvRmT3_T4_T5_T6_T7_T9_mT8_P12ihipStream_tbDpT10_ENKUlT_T0_E_clISt17integral_constantIbLb1EES19_IbLb0EEEEDaS15_S16_EUlS15_E_NS1_11comp_targetILNS1_3genE4ELNS1_11target_archE910ELNS1_3gpuE8ELNS1_3repE0EEENS1_30default_config_static_selectorELNS0_4arch9wavefront6targetE1EEEvT1_,@function
_ZN7rocprim17ROCPRIM_400000_NS6detail17trampoline_kernelINS0_14default_configENS1_25partition_config_selectorILNS1_17partition_subalgoE8EtNS0_10empty_typeEbEEZZNS1_14partition_implILS5_8ELb0ES3_jN6thrust23THRUST_200600_302600_NS6detail15normal_iteratorINSA_10device_ptrItEEEEPS6_PKS6_NS0_5tupleIJSF_S6_EEENSJ_IJSG_SG_EEENS0_18inequality_wrapperI22is_equal_div_10_uniqueItEEEPmJS6_EEE10hipError_tPvRmT3_T4_T5_T6_T7_T9_mT8_P12ihipStream_tbDpT10_ENKUlT_T0_E_clISt17integral_constantIbLb1EES19_IbLb0EEEEDaS15_S16_EUlS15_E_NS1_11comp_targetILNS1_3genE4ELNS1_11target_archE910ELNS1_3gpuE8ELNS1_3repE0EEENS1_30default_config_static_selectorELNS0_4arch9wavefront6targetE1EEEvT1_: ; @_ZN7rocprim17ROCPRIM_400000_NS6detail17trampoline_kernelINS0_14default_configENS1_25partition_config_selectorILNS1_17partition_subalgoE8EtNS0_10empty_typeEbEEZZNS1_14partition_implILS5_8ELb0ES3_jN6thrust23THRUST_200600_302600_NS6detail15normal_iteratorINSA_10device_ptrItEEEEPS6_PKS6_NS0_5tupleIJSF_S6_EEENSJ_IJSG_SG_EEENS0_18inequality_wrapperI22is_equal_div_10_uniqueItEEEPmJS6_EEE10hipError_tPvRmT3_T4_T5_T6_T7_T9_mT8_P12ihipStream_tbDpT10_ENKUlT_T0_E_clISt17integral_constantIbLb1EES19_IbLb0EEEEDaS15_S16_EUlS15_E_NS1_11comp_targetILNS1_3genE4ELNS1_11target_archE910ELNS1_3gpuE8ELNS1_3repE0EEENS1_30default_config_static_selectorELNS0_4arch9wavefront6targetE1EEEvT1_
; %bb.0:
	.section	.rodata,"a",@progbits
	.p2align	6, 0x0
	.amdhsa_kernel _ZN7rocprim17ROCPRIM_400000_NS6detail17trampoline_kernelINS0_14default_configENS1_25partition_config_selectorILNS1_17partition_subalgoE8EtNS0_10empty_typeEbEEZZNS1_14partition_implILS5_8ELb0ES3_jN6thrust23THRUST_200600_302600_NS6detail15normal_iteratorINSA_10device_ptrItEEEEPS6_PKS6_NS0_5tupleIJSF_S6_EEENSJ_IJSG_SG_EEENS0_18inequality_wrapperI22is_equal_div_10_uniqueItEEEPmJS6_EEE10hipError_tPvRmT3_T4_T5_T6_T7_T9_mT8_P12ihipStream_tbDpT10_ENKUlT_T0_E_clISt17integral_constantIbLb1EES19_IbLb0EEEEDaS15_S16_EUlS15_E_NS1_11comp_targetILNS1_3genE4ELNS1_11target_archE910ELNS1_3gpuE8ELNS1_3repE0EEENS1_30default_config_static_selectorELNS0_4arch9wavefront6targetE1EEEvT1_
		.amdhsa_group_segment_fixed_size 0
		.amdhsa_private_segment_fixed_size 0
		.amdhsa_kernarg_size 112
		.amdhsa_user_sgpr_count 6
		.amdhsa_user_sgpr_private_segment_buffer 1
		.amdhsa_user_sgpr_dispatch_ptr 0
		.amdhsa_user_sgpr_queue_ptr 0
		.amdhsa_user_sgpr_kernarg_segment_ptr 1
		.amdhsa_user_sgpr_dispatch_id 0
		.amdhsa_user_sgpr_flat_scratch_init 0
		.amdhsa_user_sgpr_private_segment_size 0
		.amdhsa_uses_dynamic_stack 0
		.amdhsa_system_sgpr_private_segment_wavefront_offset 0
		.amdhsa_system_sgpr_workgroup_id_x 1
		.amdhsa_system_sgpr_workgroup_id_y 0
		.amdhsa_system_sgpr_workgroup_id_z 0
		.amdhsa_system_sgpr_workgroup_info 0
		.amdhsa_system_vgpr_workitem_id 0
		.amdhsa_next_free_vgpr 1
		.amdhsa_next_free_sgpr 0
		.amdhsa_reserve_vcc 0
		.amdhsa_reserve_flat_scratch 0
		.amdhsa_float_round_mode_32 0
		.amdhsa_float_round_mode_16_64 0
		.amdhsa_float_denorm_mode_32 3
		.amdhsa_float_denorm_mode_16_64 3
		.amdhsa_dx10_clamp 1
		.amdhsa_ieee_mode 1
		.amdhsa_fp16_overflow 0
		.amdhsa_exception_fp_ieee_invalid_op 0
		.amdhsa_exception_fp_denorm_src 0
		.amdhsa_exception_fp_ieee_div_zero 0
		.amdhsa_exception_fp_ieee_overflow 0
		.amdhsa_exception_fp_ieee_underflow 0
		.amdhsa_exception_fp_ieee_inexact 0
		.amdhsa_exception_int_div_zero 0
	.end_amdhsa_kernel
	.section	.text._ZN7rocprim17ROCPRIM_400000_NS6detail17trampoline_kernelINS0_14default_configENS1_25partition_config_selectorILNS1_17partition_subalgoE8EtNS0_10empty_typeEbEEZZNS1_14partition_implILS5_8ELb0ES3_jN6thrust23THRUST_200600_302600_NS6detail15normal_iteratorINSA_10device_ptrItEEEEPS6_PKS6_NS0_5tupleIJSF_S6_EEENSJ_IJSG_SG_EEENS0_18inequality_wrapperI22is_equal_div_10_uniqueItEEEPmJS6_EEE10hipError_tPvRmT3_T4_T5_T6_T7_T9_mT8_P12ihipStream_tbDpT10_ENKUlT_T0_E_clISt17integral_constantIbLb1EES19_IbLb0EEEEDaS15_S16_EUlS15_E_NS1_11comp_targetILNS1_3genE4ELNS1_11target_archE910ELNS1_3gpuE8ELNS1_3repE0EEENS1_30default_config_static_selectorELNS0_4arch9wavefront6targetE1EEEvT1_,"axG",@progbits,_ZN7rocprim17ROCPRIM_400000_NS6detail17trampoline_kernelINS0_14default_configENS1_25partition_config_selectorILNS1_17partition_subalgoE8EtNS0_10empty_typeEbEEZZNS1_14partition_implILS5_8ELb0ES3_jN6thrust23THRUST_200600_302600_NS6detail15normal_iteratorINSA_10device_ptrItEEEEPS6_PKS6_NS0_5tupleIJSF_S6_EEENSJ_IJSG_SG_EEENS0_18inequality_wrapperI22is_equal_div_10_uniqueItEEEPmJS6_EEE10hipError_tPvRmT3_T4_T5_T6_T7_T9_mT8_P12ihipStream_tbDpT10_ENKUlT_T0_E_clISt17integral_constantIbLb1EES19_IbLb0EEEEDaS15_S16_EUlS15_E_NS1_11comp_targetILNS1_3genE4ELNS1_11target_archE910ELNS1_3gpuE8ELNS1_3repE0EEENS1_30default_config_static_selectorELNS0_4arch9wavefront6targetE1EEEvT1_,comdat
.Lfunc_end325:
	.size	_ZN7rocprim17ROCPRIM_400000_NS6detail17trampoline_kernelINS0_14default_configENS1_25partition_config_selectorILNS1_17partition_subalgoE8EtNS0_10empty_typeEbEEZZNS1_14partition_implILS5_8ELb0ES3_jN6thrust23THRUST_200600_302600_NS6detail15normal_iteratorINSA_10device_ptrItEEEEPS6_PKS6_NS0_5tupleIJSF_S6_EEENSJ_IJSG_SG_EEENS0_18inequality_wrapperI22is_equal_div_10_uniqueItEEEPmJS6_EEE10hipError_tPvRmT3_T4_T5_T6_T7_T9_mT8_P12ihipStream_tbDpT10_ENKUlT_T0_E_clISt17integral_constantIbLb1EES19_IbLb0EEEEDaS15_S16_EUlS15_E_NS1_11comp_targetILNS1_3genE4ELNS1_11target_archE910ELNS1_3gpuE8ELNS1_3repE0EEENS1_30default_config_static_selectorELNS0_4arch9wavefront6targetE1EEEvT1_, .Lfunc_end325-_ZN7rocprim17ROCPRIM_400000_NS6detail17trampoline_kernelINS0_14default_configENS1_25partition_config_selectorILNS1_17partition_subalgoE8EtNS0_10empty_typeEbEEZZNS1_14partition_implILS5_8ELb0ES3_jN6thrust23THRUST_200600_302600_NS6detail15normal_iteratorINSA_10device_ptrItEEEEPS6_PKS6_NS0_5tupleIJSF_S6_EEENSJ_IJSG_SG_EEENS0_18inequality_wrapperI22is_equal_div_10_uniqueItEEEPmJS6_EEE10hipError_tPvRmT3_T4_T5_T6_T7_T9_mT8_P12ihipStream_tbDpT10_ENKUlT_T0_E_clISt17integral_constantIbLb1EES19_IbLb0EEEEDaS15_S16_EUlS15_E_NS1_11comp_targetILNS1_3genE4ELNS1_11target_archE910ELNS1_3gpuE8ELNS1_3repE0EEENS1_30default_config_static_selectorELNS0_4arch9wavefront6targetE1EEEvT1_
                                        ; -- End function
	.set _ZN7rocprim17ROCPRIM_400000_NS6detail17trampoline_kernelINS0_14default_configENS1_25partition_config_selectorILNS1_17partition_subalgoE8EtNS0_10empty_typeEbEEZZNS1_14partition_implILS5_8ELb0ES3_jN6thrust23THRUST_200600_302600_NS6detail15normal_iteratorINSA_10device_ptrItEEEEPS6_PKS6_NS0_5tupleIJSF_S6_EEENSJ_IJSG_SG_EEENS0_18inequality_wrapperI22is_equal_div_10_uniqueItEEEPmJS6_EEE10hipError_tPvRmT3_T4_T5_T6_T7_T9_mT8_P12ihipStream_tbDpT10_ENKUlT_T0_E_clISt17integral_constantIbLb1EES19_IbLb0EEEEDaS15_S16_EUlS15_E_NS1_11comp_targetILNS1_3genE4ELNS1_11target_archE910ELNS1_3gpuE8ELNS1_3repE0EEENS1_30default_config_static_selectorELNS0_4arch9wavefront6targetE1EEEvT1_.num_vgpr, 0
	.set _ZN7rocprim17ROCPRIM_400000_NS6detail17trampoline_kernelINS0_14default_configENS1_25partition_config_selectorILNS1_17partition_subalgoE8EtNS0_10empty_typeEbEEZZNS1_14partition_implILS5_8ELb0ES3_jN6thrust23THRUST_200600_302600_NS6detail15normal_iteratorINSA_10device_ptrItEEEEPS6_PKS6_NS0_5tupleIJSF_S6_EEENSJ_IJSG_SG_EEENS0_18inequality_wrapperI22is_equal_div_10_uniqueItEEEPmJS6_EEE10hipError_tPvRmT3_T4_T5_T6_T7_T9_mT8_P12ihipStream_tbDpT10_ENKUlT_T0_E_clISt17integral_constantIbLb1EES19_IbLb0EEEEDaS15_S16_EUlS15_E_NS1_11comp_targetILNS1_3genE4ELNS1_11target_archE910ELNS1_3gpuE8ELNS1_3repE0EEENS1_30default_config_static_selectorELNS0_4arch9wavefront6targetE1EEEvT1_.num_agpr, 0
	.set _ZN7rocprim17ROCPRIM_400000_NS6detail17trampoline_kernelINS0_14default_configENS1_25partition_config_selectorILNS1_17partition_subalgoE8EtNS0_10empty_typeEbEEZZNS1_14partition_implILS5_8ELb0ES3_jN6thrust23THRUST_200600_302600_NS6detail15normal_iteratorINSA_10device_ptrItEEEEPS6_PKS6_NS0_5tupleIJSF_S6_EEENSJ_IJSG_SG_EEENS0_18inequality_wrapperI22is_equal_div_10_uniqueItEEEPmJS6_EEE10hipError_tPvRmT3_T4_T5_T6_T7_T9_mT8_P12ihipStream_tbDpT10_ENKUlT_T0_E_clISt17integral_constantIbLb1EES19_IbLb0EEEEDaS15_S16_EUlS15_E_NS1_11comp_targetILNS1_3genE4ELNS1_11target_archE910ELNS1_3gpuE8ELNS1_3repE0EEENS1_30default_config_static_selectorELNS0_4arch9wavefront6targetE1EEEvT1_.numbered_sgpr, 0
	.set _ZN7rocprim17ROCPRIM_400000_NS6detail17trampoline_kernelINS0_14default_configENS1_25partition_config_selectorILNS1_17partition_subalgoE8EtNS0_10empty_typeEbEEZZNS1_14partition_implILS5_8ELb0ES3_jN6thrust23THRUST_200600_302600_NS6detail15normal_iteratorINSA_10device_ptrItEEEEPS6_PKS6_NS0_5tupleIJSF_S6_EEENSJ_IJSG_SG_EEENS0_18inequality_wrapperI22is_equal_div_10_uniqueItEEEPmJS6_EEE10hipError_tPvRmT3_T4_T5_T6_T7_T9_mT8_P12ihipStream_tbDpT10_ENKUlT_T0_E_clISt17integral_constantIbLb1EES19_IbLb0EEEEDaS15_S16_EUlS15_E_NS1_11comp_targetILNS1_3genE4ELNS1_11target_archE910ELNS1_3gpuE8ELNS1_3repE0EEENS1_30default_config_static_selectorELNS0_4arch9wavefront6targetE1EEEvT1_.num_named_barrier, 0
	.set _ZN7rocprim17ROCPRIM_400000_NS6detail17trampoline_kernelINS0_14default_configENS1_25partition_config_selectorILNS1_17partition_subalgoE8EtNS0_10empty_typeEbEEZZNS1_14partition_implILS5_8ELb0ES3_jN6thrust23THRUST_200600_302600_NS6detail15normal_iteratorINSA_10device_ptrItEEEEPS6_PKS6_NS0_5tupleIJSF_S6_EEENSJ_IJSG_SG_EEENS0_18inequality_wrapperI22is_equal_div_10_uniqueItEEEPmJS6_EEE10hipError_tPvRmT3_T4_T5_T6_T7_T9_mT8_P12ihipStream_tbDpT10_ENKUlT_T0_E_clISt17integral_constantIbLb1EES19_IbLb0EEEEDaS15_S16_EUlS15_E_NS1_11comp_targetILNS1_3genE4ELNS1_11target_archE910ELNS1_3gpuE8ELNS1_3repE0EEENS1_30default_config_static_selectorELNS0_4arch9wavefront6targetE1EEEvT1_.private_seg_size, 0
	.set _ZN7rocprim17ROCPRIM_400000_NS6detail17trampoline_kernelINS0_14default_configENS1_25partition_config_selectorILNS1_17partition_subalgoE8EtNS0_10empty_typeEbEEZZNS1_14partition_implILS5_8ELb0ES3_jN6thrust23THRUST_200600_302600_NS6detail15normal_iteratorINSA_10device_ptrItEEEEPS6_PKS6_NS0_5tupleIJSF_S6_EEENSJ_IJSG_SG_EEENS0_18inequality_wrapperI22is_equal_div_10_uniqueItEEEPmJS6_EEE10hipError_tPvRmT3_T4_T5_T6_T7_T9_mT8_P12ihipStream_tbDpT10_ENKUlT_T0_E_clISt17integral_constantIbLb1EES19_IbLb0EEEEDaS15_S16_EUlS15_E_NS1_11comp_targetILNS1_3genE4ELNS1_11target_archE910ELNS1_3gpuE8ELNS1_3repE0EEENS1_30default_config_static_selectorELNS0_4arch9wavefront6targetE1EEEvT1_.uses_vcc, 0
	.set _ZN7rocprim17ROCPRIM_400000_NS6detail17trampoline_kernelINS0_14default_configENS1_25partition_config_selectorILNS1_17partition_subalgoE8EtNS0_10empty_typeEbEEZZNS1_14partition_implILS5_8ELb0ES3_jN6thrust23THRUST_200600_302600_NS6detail15normal_iteratorINSA_10device_ptrItEEEEPS6_PKS6_NS0_5tupleIJSF_S6_EEENSJ_IJSG_SG_EEENS0_18inequality_wrapperI22is_equal_div_10_uniqueItEEEPmJS6_EEE10hipError_tPvRmT3_T4_T5_T6_T7_T9_mT8_P12ihipStream_tbDpT10_ENKUlT_T0_E_clISt17integral_constantIbLb1EES19_IbLb0EEEEDaS15_S16_EUlS15_E_NS1_11comp_targetILNS1_3genE4ELNS1_11target_archE910ELNS1_3gpuE8ELNS1_3repE0EEENS1_30default_config_static_selectorELNS0_4arch9wavefront6targetE1EEEvT1_.uses_flat_scratch, 0
	.set _ZN7rocprim17ROCPRIM_400000_NS6detail17trampoline_kernelINS0_14default_configENS1_25partition_config_selectorILNS1_17partition_subalgoE8EtNS0_10empty_typeEbEEZZNS1_14partition_implILS5_8ELb0ES3_jN6thrust23THRUST_200600_302600_NS6detail15normal_iteratorINSA_10device_ptrItEEEEPS6_PKS6_NS0_5tupleIJSF_S6_EEENSJ_IJSG_SG_EEENS0_18inequality_wrapperI22is_equal_div_10_uniqueItEEEPmJS6_EEE10hipError_tPvRmT3_T4_T5_T6_T7_T9_mT8_P12ihipStream_tbDpT10_ENKUlT_T0_E_clISt17integral_constantIbLb1EES19_IbLb0EEEEDaS15_S16_EUlS15_E_NS1_11comp_targetILNS1_3genE4ELNS1_11target_archE910ELNS1_3gpuE8ELNS1_3repE0EEENS1_30default_config_static_selectorELNS0_4arch9wavefront6targetE1EEEvT1_.has_dyn_sized_stack, 0
	.set _ZN7rocprim17ROCPRIM_400000_NS6detail17trampoline_kernelINS0_14default_configENS1_25partition_config_selectorILNS1_17partition_subalgoE8EtNS0_10empty_typeEbEEZZNS1_14partition_implILS5_8ELb0ES3_jN6thrust23THRUST_200600_302600_NS6detail15normal_iteratorINSA_10device_ptrItEEEEPS6_PKS6_NS0_5tupleIJSF_S6_EEENSJ_IJSG_SG_EEENS0_18inequality_wrapperI22is_equal_div_10_uniqueItEEEPmJS6_EEE10hipError_tPvRmT3_T4_T5_T6_T7_T9_mT8_P12ihipStream_tbDpT10_ENKUlT_T0_E_clISt17integral_constantIbLb1EES19_IbLb0EEEEDaS15_S16_EUlS15_E_NS1_11comp_targetILNS1_3genE4ELNS1_11target_archE910ELNS1_3gpuE8ELNS1_3repE0EEENS1_30default_config_static_selectorELNS0_4arch9wavefront6targetE1EEEvT1_.has_recursion, 0
	.set _ZN7rocprim17ROCPRIM_400000_NS6detail17trampoline_kernelINS0_14default_configENS1_25partition_config_selectorILNS1_17partition_subalgoE8EtNS0_10empty_typeEbEEZZNS1_14partition_implILS5_8ELb0ES3_jN6thrust23THRUST_200600_302600_NS6detail15normal_iteratorINSA_10device_ptrItEEEEPS6_PKS6_NS0_5tupleIJSF_S6_EEENSJ_IJSG_SG_EEENS0_18inequality_wrapperI22is_equal_div_10_uniqueItEEEPmJS6_EEE10hipError_tPvRmT3_T4_T5_T6_T7_T9_mT8_P12ihipStream_tbDpT10_ENKUlT_T0_E_clISt17integral_constantIbLb1EES19_IbLb0EEEEDaS15_S16_EUlS15_E_NS1_11comp_targetILNS1_3genE4ELNS1_11target_archE910ELNS1_3gpuE8ELNS1_3repE0EEENS1_30default_config_static_selectorELNS0_4arch9wavefront6targetE1EEEvT1_.has_indirect_call, 0
	.section	.AMDGPU.csdata,"",@progbits
; Kernel info:
; codeLenInByte = 0
; TotalNumSgprs: 4
; NumVgprs: 0
; ScratchSize: 0
; MemoryBound: 0
; FloatMode: 240
; IeeeMode: 1
; LDSByteSize: 0 bytes/workgroup (compile time only)
; SGPRBlocks: 0
; VGPRBlocks: 0
; NumSGPRsForWavesPerEU: 4
; NumVGPRsForWavesPerEU: 1
; Occupancy: 10
; WaveLimiterHint : 0
; COMPUTE_PGM_RSRC2:SCRATCH_EN: 0
; COMPUTE_PGM_RSRC2:USER_SGPR: 6
; COMPUTE_PGM_RSRC2:TRAP_HANDLER: 0
; COMPUTE_PGM_RSRC2:TGID_X_EN: 1
; COMPUTE_PGM_RSRC2:TGID_Y_EN: 0
; COMPUTE_PGM_RSRC2:TGID_Z_EN: 0
; COMPUTE_PGM_RSRC2:TIDIG_COMP_CNT: 0
	.section	.text._ZN7rocprim17ROCPRIM_400000_NS6detail17trampoline_kernelINS0_14default_configENS1_25partition_config_selectorILNS1_17partition_subalgoE8EtNS0_10empty_typeEbEEZZNS1_14partition_implILS5_8ELb0ES3_jN6thrust23THRUST_200600_302600_NS6detail15normal_iteratorINSA_10device_ptrItEEEEPS6_PKS6_NS0_5tupleIJSF_S6_EEENSJ_IJSG_SG_EEENS0_18inequality_wrapperI22is_equal_div_10_uniqueItEEEPmJS6_EEE10hipError_tPvRmT3_T4_T5_T6_T7_T9_mT8_P12ihipStream_tbDpT10_ENKUlT_T0_E_clISt17integral_constantIbLb1EES19_IbLb0EEEEDaS15_S16_EUlS15_E_NS1_11comp_targetILNS1_3genE3ELNS1_11target_archE908ELNS1_3gpuE7ELNS1_3repE0EEENS1_30default_config_static_selectorELNS0_4arch9wavefront6targetE1EEEvT1_,"axG",@progbits,_ZN7rocprim17ROCPRIM_400000_NS6detail17trampoline_kernelINS0_14default_configENS1_25partition_config_selectorILNS1_17partition_subalgoE8EtNS0_10empty_typeEbEEZZNS1_14partition_implILS5_8ELb0ES3_jN6thrust23THRUST_200600_302600_NS6detail15normal_iteratorINSA_10device_ptrItEEEEPS6_PKS6_NS0_5tupleIJSF_S6_EEENSJ_IJSG_SG_EEENS0_18inequality_wrapperI22is_equal_div_10_uniqueItEEEPmJS6_EEE10hipError_tPvRmT3_T4_T5_T6_T7_T9_mT8_P12ihipStream_tbDpT10_ENKUlT_T0_E_clISt17integral_constantIbLb1EES19_IbLb0EEEEDaS15_S16_EUlS15_E_NS1_11comp_targetILNS1_3genE3ELNS1_11target_archE908ELNS1_3gpuE7ELNS1_3repE0EEENS1_30default_config_static_selectorELNS0_4arch9wavefront6targetE1EEEvT1_,comdat
	.protected	_ZN7rocprim17ROCPRIM_400000_NS6detail17trampoline_kernelINS0_14default_configENS1_25partition_config_selectorILNS1_17partition_subalgoE8EtNS0_10empty_typeEbEEZZNS1_14partition_implILS5_8ELb0ES3_jN6thrust23THRUST_200600_302600_NS6detail15normal_iteratorINSA_10device_ptrItEEEEPS6_PKS6_NS0_5tupleIJSF_S6_EEENSJ_IJSG_SG_EEENS0_18inequality_wrapperI22is_equal_div_10_uniqueItEEEPmJS6_EEE10hipError_tPvRmT3_T4_T5_T6_T7_T9_mT8_P12ihipStream_tbDpT10_ENKUlT_T0_E_clISt17integral_constantIbLb1EES19_IbLb0EEEEDaS15_S16_EUlS15_E_NS1_11comp_targetILNS1_3genE3ELNS1_11target_archE908ELNS1_3gpuE7ELNS1_3repE0EEENS1_30default_config_static_selectorELNS0_4arch9wavefront6targetE1EEEvT1_ ; -- Begin function _ZN7rocprim17ROCPRIM_400000_NS6detail17trampoline_kernelINS0_14default_configENS1_25partition_config_selectorILNS1_17partition_subalgoE8EtNS0_10empty_typeEbEEZZNS1_14partition_implILS5_8ELb0ES3_jN6thrust23THRUST_200600_302600_NS6detail15normal_iteratorINSA_10device_ptrItEEEEPS6_PKS6_NS0_5tupleIJSF_S6_EEENSJ_IJSG_SG_EEENS0_18inequality_wrapperI22is_equal_div_10_uniqueItEEEPmJS6_EEE10hipError_tPvRmT3_T4_T5_T6_T7_T9_mT8_P12ihipStream_tbDpT10_ENKUlT_T0_E_clISt17integral_constantIbLb1EES19_IbLb0EEEEDaS15_S16_EUlS15_E_NS1_11comp_targetILNS1_3genE3ELNS1_11target_archE908ELNS1_3gpuE7ELNS1_3repE0EEENS1_30default_config_static_selectorELNS0_4arch9wavefront6targetE1EEEvT1_
	.globl	_ZN7rocprim17ROCPRIM_400000_NS6detail17trampoline_kernelINS0_14default_configENS1_25partition_config_selectorILNS1_17partition_subalgoE8EtNS0_10empty_typeEbEEZZNS1_14partition_implILS5_8ELb0ES3_jN6thrust23THRUST_200600_302600_NS6detail15normal_iteratorINSA_10device_ptrItEEEEPS6_PKS6_NS0_5tupleIJSF_S6_EEENSJ_IJSG_SG_EEENS0_18inequality_wrapperI22is_equal_div_10_uniqueItEEEPmJS6_EEE10hipError_tPvRmT3_T4_T5_T6_T7_T9_mT8_P12ihipStream_tbDpT10_ENKUlT_T0_E_clISt17integral_constantIbLb1EES19_IbLb0EEEEDaS15_S16_EUlS15_E_NS1_11comp_targetILNS1_3genE3ELNS1_11target_archE908ELNS1_3gpuE7ELNS1_3repE0EEENS1_30default_config_static_selectorELNS0_4arch9wavefront6targetE1EEEvT1_
	.p2align	8
	.type	_ZN7rocprim17ROCPRIM_400000_NS6detail17trampoline_kernelINS0_14default_configENS1_25partition_config_selectorILNS1_17partition_subalgoE8EtNS0_10empty_typeEbEEZZNS1_14partition_implILS5_8ELb0ES3_jN6thrust23THRUST_200600_302600_NS6detail15normal_iteratorINSA_10device_ptrItEEEEPS6_PKS6_NS0_5tupleIJSF_S6_EEENSJ_IJSG_SG_EEENS0_18inequality_wrapperI22is_equal_div_10_uniqueItEEEPmJS6_EEE10hipError_tPvRmT3_T4_T5_T6_T7_T9_mT8_P12ihipStream_tbDpT10_ENKUlT_T0_E_clISt17integral_constantIbLb1EES19_IbLb0EEEEDaS15_S16_EUlS15_E_NS1_11comp_targetILNS1_3genE3ELNS1_11target_archE908ELNS1_3gpuE7ELNS1_3repE0EEENS1_30default_config_static_selectorELNS0_4arch9wavefront6targetE1EEEvT1_,@function
_ZN7rocprim17ROCPRIM_400000_NS6detail17trampoline_kernelINS0_14default_configENS1_25partition_config_selectorILNS1_17partition_subalgoE8EtNS0_10empty_typeEbEEZZNS1_14partition_implILS5_8ELb0ES3_jN6thrust23THRUST_200600_302600_NS6detail15normal_iteratorINSA_10device_ptrItEEEEPS6_PKS6_NS0_5tupleIJSF_S6_EEENSJ_IJSG_SG_EEENS0_18inequality_wrapperI22is_equal_div_10_uniqueItEEEPmJS6_EEE10hipError_tPvRmT3_T4_T5_T6_T7_T9_mT8_P12ihipStream_tbDpT10_ENKUlT_T0_E_clISt17integral_constantIbLb1EES19_IbLb0EEEEDaS15_S16_EUlS15_E_NS1_11comp_targetILNS1_3genE3ELNS1_11target_archE908ELNS1_3gpuE7ELNS1_3repE0EEENS1_30default_config_static_selectorELNS0_4arch9wavefront6targetE1EEEvT1_: ; @_ZN7rocprim17ROCPRIM_400000_NS6detail17trampoline_kernelINS0_14default_configENS1_25partition_config_selectorILNS1_17partition_subalgoE8EtNS0_10empty_typeEbEEZZNS1_14partition_implILS5_8ELb0ES3_jN6thrust23THRUST_200600_302600_NS6detail15normal_iteratorINSA_10device_ptrItEEEEPS6_PKS6_NS0_5tupleIJSF_S6_EEENSJ_IJSG_SG_EEENS0_18inequality_wrapperI22is_equal_div_10_uniqueItEEEPmJS6_EEE10hipError_tPvRmT3_T4_T5_T6_T7_T9_mT8_P12ihipStream_tbDpT10_ENKUlT_T0_E_clISt17integral_constantIbLb1EES19_IbLb0EEEEDaS15_S16_EUlS15_E_NS1_11comp_targetILNS1_3genE3ELNS1_11target_archE908ELNS1_3gpuE7ELNS1_3repE0EEENS1_30default_config_static_selectorELNS0_4arch9wavefront6targetE1EEEvT1_
; %bb.0:
	.section	.rodata,"a",@progbits
	.p2align	6, 0x0
	.amdhsa_kernel _ZN7rocprim17ROCPRIM_400000_NS6detail17trampoline_kernelINS0_14default_configENS1_25partition_config_selectorILNS1_17partition_subalgoE8EtNS0_10empty_typeEbEEZZNS1_14partition_implILS5_8ELb0ES3_jN6thrust23THRUST_200600_302600_NS6detail15normal_iteratorINSA_10device_ptrItEEEEPS6_PKS6_NS0_5tupleIJSF_S6_EEENSJ_IJSG_SG_EEENS0_18inequality_wrapperI22is_equal_div_10_uniqueItEEEPmJS6_EEE10hipError_tPvRmT3_T4_T5_T6_T7_T9_mT8_P12ihipStream_tbDpT10_ENKUlT_T0_E_clISt17integral_constantIbLb1EES19_IbLb0EEEEDaS15_S16_EUlS15_E_NS1_11comp_targetILNS1_3genE3ELNS1_11target_archE908ELNS1_3gpuE7ELNS1_3repE0EEENS1_30default_config_static_selectorELNS0_4arch9wavefront6targetE1EEEvT1_
		.amdhsa_group_segment_fixed_size 0
		.amdhsa_private_segment_fixed_size 0
		.amdhsa_kernarg_size 112
		.amdhsa_user_sgpr_count 6
		.amdhsa_user_sgpr_private_segment_buffer 1
		.amdhsa_user_sgpr_dispatch_ptr 0
		.amdhsa_user_sgpr_queue_ptr 0
		.amdhsa_user_sgpr_kernarg_segment_ptr 1
		.amdhsa_user_sgpr_dispatch_id 0
		.amdhsa_user_sgpr_flat_scratch_init 0
		.amdhsa_user_sgpr_private_segment_size 0
		.amdhsa_uses_dynamic_stack 0
		.amdhsa_system_sgpr_private_segment_wavefront_offset 0
		.amdhsa_system_sgpr_workgroup_id_x 1
		.amdhsa_system_sgpr_workgroup_id_y 0
		.amdhsa_system_sgpr_workgroup_id_z 0
		.amdhsa_system_sgpr_workgroup_info 0
		.amdhsa_system_vgpr_workitem_id 0
		.amdhsa_next_free_vgpr 1
		.amdhsa_next_free_sgpr 0
		.amdhsa_reserve_vcc 0
		.amdhsa_reserve_flat_scratch 0
		.amdhsa_float_round_mode_32 0
		.amdhsa_float_round_mode_16_64 0
		.amdhsa_float_denorm_mode_32 3
		.amdhsa_float_denorm_mode_16_64 3
		.amdhsa_dx10_clamp 1
		.amdhsa_ieee_mode 1
		.amdhsa_fp16_overflow 0
		.amdhsa_exception_fp_ieee_invalid_op 0
		.amdhsa_exception_fp_denorm_src 0
		.amdhsa_exception_fp_ieee_div_zero 0
		.amdhsa_exception_fp_ieee_overflow 0
		.amdhsa_exception_fp_ieee_underflow 0
		.amdhsa_exception_fp_ieee_inexact 0
		.amdhsa_exception_int_div_zero 0
	.end_amdhsa_kernel
	.section	.text._ZN7rocprim17ROCPRIM_400000_NS6detail17trampoline_kernelINS0_14default_configENS1_25partition_config_selectorILNS1_17partition_subalgoE8EtNS0_10empty_typeEbEEZZNS1_14partition_implILS5_8ELb0ES3_jN6thrust23THRUST_200600_302600_NS6detail15normal_iteratorINSA_10device_ptrItEEEEPS6_PKS6_NS0_5tupleIJSF_S6_EEENSJ_IJSG_SG_EEENS0_18inequality_wrapperI22is_equal_div_10_uniqueItEEEPmJS6_EEE10hipError_tPvRmT3_T4_T5_T6_T7_T9_mT8_P12ihipStream_tbDpT10_ENKUlT_T0_E_clISt17integral_constantIbLb1EES19_IbLb0EEEEDaS15_S16_EUlS15_E_NS1_11comp_targetILNS1_3genE3ELNS1_11target_archE908ELNS1_3gpuE7ELNS1_3repE0EEENS1_30default_config_static_selectorELNS0_4arch9wavefront6targetE1EEEvT1_,"axG",@progbits,_ZN7rocprim17ROCPRIM_400000_NS6detail17trampoline_kernelINS0_14default_configENS1_25partition_config_selectorILNS1_17partition_subalgoE8EtNS0_10empty_typeEbEEZZNS1_14partition_implILS5_8ELb0ES3_jN6thrust23THRUST_200600_302600_NS6detail15normal_iteratorINSA_10device_ptrItEEEEPS6_PKS6_NS0_5tupleIJSF_S6_EEENSJ_IJSG_SG_EEENS0_18inequality_wrapperI22is_equal_div_10_uniqueItEEEPmJS6_EEE10hipError_tPvRmT3_T4_T5_T6_T7_T9_mT8_P12ihipStream_tbDpT10_ENKUlT_T0_E_clISt17integral_constantIbLb1EES19_IbLb0EEEEDaS15_S16_EUlS15_E_NS1_11comp_targetILNS1_3genE3ELNS1_11target_archE908ELNS1_3gpuE7ELNS1_3repE0EEENS1_30default_config_static_selectorELNS0_4arch9wavefront6targetE1EEEvT1_,comdat
.Lfunc_end326:
	.size	_ZN7rocprim17ROCPRIM_400000_NS6detail17trampoline_kernelINS0_14default_configENS1_25partition_config_selectorILNS1_17partition_subalgoE8EtNS0_10empty_typeEbEEZZNS1_14partition_implILS5_8ELb0ES3_jN6thrust23THRUST_200600_302600_NS6detail15normal_iteratorINSA_10device_ptrItEEEEPS6_PKS6_NS0_5tupleIJSF_S6_EEENSJ_IJSG_SG_EEENS0_18inequality_wrapperI22is_equal_div_10_uniqueItEEEPmJS6_EEE10hipError_tPvRmT3_T4_T5_T6_T7_T9_mT8_P12ihipStream_tbDpT10_ENKUlT_T0_E_clISt17integral_constantIbLb1EES19_IbLb0EEEEDaS15_S16_EUlS15_E_NS1_11comp_targetILNS1_3genE3ELNS1_11target_archE908ELNS1_3gpuE7ELNS1_3repE0EEENS1_30default_config_static_selectorELNS0_4arch9wavefront6targetE1EEEvT1_, .Lfunc_end326-_ZN7rocprim17ROCPRIM_400000_NS6detail17trampoline_kernelINS0_14default_configENS1_25partition_config_selectorILNS1_17partition_subalgoE8EtNS0_10empty_typeEbEEZZNS1_14partition_implILS5_8ELb0ES3_jN6thrust23THRUST_200600_302600_NS6detail15normal_iteratorINSA_10device_ptrItEEEEPS6_PKS6_NS0_5tupleIJSF_S6_EEENSJ_IJSG_SG_EEENS0_18inequality_wrapperI22is_equal_div_10_uniqueItEEEPmJS6_EEE10hipError_tPvRmT3_T4_T5_T6_T7_T9_mT8_P12ihipStream_tbDpT10_ENKUlT_T0_E_clISt17integral_constantIbLb1EES19_IbLb0EEEEDaS15_S16_EUlS15_E_NS1_11comp_targetILNS1_3genE3ELNS1_11target_archE908ELNS1_3gpuE7ELNS1_3repE0EEENS1_30default_config_static_selectorELNS0_4arch9wavefront6targetE1EEEvT1_
                                        ; -- End function
	.set _ZN7rocprim17ROCPRIM_400000_NS6detail17trampoline_kernelINS0_14default_configENS1_25partition_config_selectorILNS1_17partition_subalgoE8EtNS0_10empty_typeEbEEZZNS1_14partition_implILS5_8ELb0ES3_jN6thrust23THRUST_200600_302600_NS6detail15normal_iteratorINSA_10device_ptrItEEEEPS6_PKS6_NS0_5tupleIJSF_S6_EEENSJ_IJSG_SG_EEENS0_18inequality_wrapperI22is_equal_div_10_uniqueItEEEPmJS6_EEE10hipError_tPvRmT3_T4_T5_T6_T7_T9_mT8_P12ihipStream_tbDpT10_ENKUlT_T0_E_clISt17integral_constantIbLb1EES19_IbLb0EEEEDaS15_S16_EUlS15_E_NS1_11comp_targetILNS1_3genE3ELNS1_11target_archE908ELNS1_3gpuE7ELNS1_3repE0EEENS1_30default_config_static_selectorELNS0_4arch9wavefront6targetE1EEEvT1_.num_vgpr, 0
	.set _ZN7rocprim17ROCPRIM_400000_NS6detail17trampoline_kernelINS0_14default_configENS1_25partition_config_selectorILNS1_17partition_subalgoE8EtNS0_10empty_typeEbEEZZNS1_14partition_implILS5_8ELb0ES3_jN6thrust23THRUST_200600_302600_NS6detail15normal_iteratorINSA_10device_ptrItEEEEPS6_PKS6_NS0_5tupleIJSF_S6_EEENSJ_IJSG_SG_EEENS0_18inequality_wrapperI22is_equal_div_10_uniqueItEEEPmJS6_EEE10hipError_tPvRmT3_T4_T5_T6_T7_T9_mT8_P12ihipStream_tbDpT10_ENKUlT_T0_E_clISt17integral_constantIbLb1EES19_IbLb0EEEEDaS15_S16_EUlS15_E_NS1_11comp_targetILNS1_3genE3ELNS1_11target_archE908ELNS1_3gpuE7ELNS1_3repE0EEENS1_30default_config_static_selectorELNS0_4arch9wavefront6targetE1EEEvT1_.num_agpr, 0
	.set _ZN7rocprim17ROCPRIM_400000_NS6detail17trampoline_kernelINS0_14default_configENS1_25partition_config_selectorILNS1_17partition_subalgoE8EtNS0_10empty_typeEbEEZZNS1_14partition_implILS5_8ELb0ES3_jN6thrust23THRUST_200600_302600_NS6detail15normal_iteratorINSA_10device_ptrItEEEEPS6_PKS6_NS0_5tupleIJSF_S6_EEENSJ_IJSG_SG_EEENS0_18inequality_wrapperI22is_equal_div_10_uniqueItEEEPmJS6_EEE10hipError_tPvRmT3_T4_T5_T6_T7_T9_mT8_P12ihipStream_tbDpT10_ENKUlT_T0_E_clISt17integral_constantIbLb1EES19_IbLb0EEEEDaS15_S16_EUlS15_E_NS1_11comp_targetILNS1_3genE3ELNS1_11target_archE908ELNS1_3gpuE7ELNS1_3repE0EEENS1_30default_config_static_selectorELNS0_4arch9wavefront6targetE1EEEvT1_.numbered_sgpr, 0
	.set _ZN7rocprim17ROCPRIM_400000_NS6detail17trampoline_kernelINS0_14default_configENS1_25partition_config_selectorILNS1_17partition_subalgoE8EtNS0_10empty_typeEbEEZZNS1_14partition_implILS5_8ELb0ES3_jN6thrust23THRUST_200600_302600_NS6detail15normal_iteratorINSA_10device_ptrItEEEEPS6_PKS6_NS0_5tupleIJSF_S6_EEENSJ_IJSG_SG_EEENS0_18inequality_wrapperI22is_equal_div_10_uniqueItEEEPmJS6_EEE10hipError_tPvRmT3_T4_T5_T6_T7_T9_mT8_P12ihipStream_tbDpT10_ENKUlT_T0_E_clISt17integral_constantIbLb1EES19_IbLb0EEEEDaS15_S16_EUlS15_E_NS1_11comp_targetILNS1_3genE3ELNS1_11target_archE908ELNS1_3gpuE7ELNS1_3repE0EEENS1_30default_config_static_selectorELNS0_4arch9wavefront6targetE1EEEvT1_.num_named_barrier, 0
	.set _ZN7rocprim17ROCPRIM_400000_NS6detail17trampoline_kernelINS0_14default_configENS1_25partition_config_selectorILNS1_17partition_subalgoE8EtNS0_10empty_typeEbEEZZNS1_14partition_implILS5_8ELb0ES3_jN6thrust23THRUST_200600_302600_NS6detail15normal_iteratorINSA_10device_ptrItEEEEPS6_PKS6_NS0_5tupleIJSF_S6_EEENSJ_IJSG_SG_EEENS0_18inequality_wrapperI22is_equal_div_10_uniqueItEEEPmJS6_EEE10hipError_tPvRmT3_T4_T5_T6_T7_T9_mT8_P12ihipStream_tbDpT10_ENKUlT_T0_E_clISt17integral_constantIbLb1EES19_IbLb0EEEEDaS15_S16_EUlS15_E_NS1_11comp_targetILNS1_3genE3ELNS1_11target_archE908ELNS1_3gpuE7ELNS1_3repE0EEENS1_30default_config_static_selectorELNS0_4arch9wavefront6targetE1EEEvT1_.private_seg_size, 0
	.set _ZN7rocprim17ROCPRIM_400000_NS6detail17trampoline_kernelINS0_14default_configENS1_25partition_config_selectorILNS1_17partition_subalgoE8EtNS0_10empty_typeEbEEZZNS1_14partition_implILS5_8ELb0ES3_jN6thrust23THRUST_200600_302600_NS6detail15normal_iteratorINSA_10device_ptrItEEEEPS6_PKS6_NS0_5tupleIJSF_S6_EEENSJ_IJSG_SG_EEENS0_18inequality_wrapperI22is_equal_div_10_uniqueItEEEPmJS6_EEE10hipError_tPvRmT3_T4_T5_T6_T7_T9_mT8_P12ihipStream_tbDpT10_ENKUlT_T0_E_clISt17integral_constantIbLb1EES19_IbLb0EEEEDaS15_S16_EUlS15_E_NS1_11comp_targetILNS1_3genE3ELNS1_11target_archE908ELNS1_3gpuE7ELNS1_3repE0EEENS1_30default_config_static_selectorELNS0_4arch9wavefront6targetE1EEEvT1_.uses_vcc, 0
	.set _ZN7rocprim17ROCPRIM_400000_NS6detail17trampoline_kernelINS0_14default_configENS1_25partition_config_selectorILNS1_17partition_subalgoE8EtNS0_10empty_typeEbEEZZNS1_14partition_implILS5_8ELb0ES3_jN6thrust23THRUST_200600_302600_NS6detail15normal_iteratorINSA_10device_ptrItEEEEPS6_PKS6_NS0_5tupleIJSF_S6_EEENSJ_IJSG_SG_EEENS0_18inequality_wrapperI22is_equal_div_10_uniqueItEEEPmJS6_EEE10hipError_tPvRmT3_T4_T5_T6_T7_T9_mT8_P12ihipStream_tbDpT10_ENKUlT_T0_E_clISt17integral_constantIbLb1EES19_IbLb0EEEEDaS15_S16_EUlS15_E_NS1_11comp_targetILNS1_3genE3ELNS1_11target_archE908ELNS1_3gpuE7ELNS1_3repE0EEENS1_30default_config_static_selectorELNS0_4arch9wavefront6targetE1EEEvT1_.uses_flat_scratch, 0
	.set _ZN7rocprim17ROCPRIM_400000_NS6detail17trampoline_kernelINS0_14default_configENS1_25partition_config_selectorILNS1_17partition_subalgoE8EtNS0_10empty_typeEbEEZZNS1_14partition_implILS5_8ELb0ES3_jN6thrust23THRUST_200600_302600_NS6detail15normal_iteratorINSA_10device_ptrItEEEEPS6_PKS6_NS0_5tupleIJSF_S6_EEENSJ_IJSG_SG_EEENS0_18inequality_wrapperI22is_equal_div_10_uniqueItEEEPmJS6_EEE10hipError_tPvRmT3_T4_T5_T6_T7_T9_mT8_P12ihipStream_tbDpT10_ENKUlT_T0_E_clISt17integral_constantIbLb1EES19_IbLb0EEEEDaS15_S16_EUlS15_E_NS1_11comp_targetILNS1_3genE3ELNS1_11target_archE908ELNS1_3gpuE7ELNS1_3repE0EEENS1_30default_config_static_selectorELNS0_4arch9wavefront6targetE1EEEvT1_.has_dyn_sized_stack, 0
	.set _ZN7rocprim17ROCPRIM_400000_NS6detail17trampoline_kernelINS0_14default_configENS1_25partition_config_selectorILNS1_17partition_subalgoE8EtNS0_10empty_typeEbEEZZNS1_14partition_implILS5_8ELb0ES3_jN6thrust23THRUST_200600_302600_NS6detail15normal_iteratorINSA_10device_ptrItEEEEPS6_PKS6_NS0_5tupleIJSF_S6_EEENSJ_IJSG_SG_EEENS0_18inequality_wrapperI22is_equal_div_10_uniqueItEEEPmJS6_EEE10hipError_tPvRmT3_T4_T5_T6_T7_T9_mT8_P12ihipStream_tbDpT10_ENKUlT_T0_E_clISt17integral_constantIbLb1EES19_IbLb0EEEEDaS15_S16_EUlS15_E_NS1_11comp_targetILNS1_3genE3ELNS1_11target_archE908ELNS1_3gpuE7ELNS1_3repE0EEENS1_30default_config_static_selectorELNS0_4arch9wavefront6targetE1EEEvT1_.has_recursion, 0
	.set _ZN7rocprim17ROCPRIM_400000_NS6detail17trampoline_kernelINS0_14default_configENS1_25partition_config_selectorILNS1_17partition_subalgoE8EtNS0_10empty_typeEbEEZZNS1_14partition_implILS5_8ELb0ES3_jN6thrust23THRUST_200600_302600_NS6detail15normal_iteratorINSA_10device_ptrItEEEEPS6_PKS6_NS0_5tupleIJSF_S6_EEENSJ_IJSG_SG_EEENS0_18inequality_wrapperI22is_equal_div_10_uniqueItEEEPmJS6_EEE10hipError_tPvRmT3_T4_T5_T6_T7_T9_mT8_P12ihipStream_tbDpT10_ENKUlT_T0_E_clISt17integral_constantIbLb1EES19_IbLb0EEEEDaS15_S16_EUlS15_E_NS1_11comp_targetILNS1_3genE3ELNS1_11target_archE908ELNS1_3gpuE7ELNS1_3repE0EEENS1_30default_config_static_selectorELNS0_4arch9wavefront6targetE1EEEvT1_.has_indirect_call, 0
	.section	.AMDGPU.csdata,"",@progbits
; Kernel info:
; codeLenInByte = 0
; TotalNumSgprs: 4
; NumVgprs: 0
; ScratchSize: 0
; MemoryBound: 0
; FloatMode: 240
; IeeeMode: 1
; LDSByteSize: 0 bytes/workgroup (compile time only)
; SGPRBlocks: 0
; VGPRBlocks: 0
; NumSGPRsForWavesPerEU: 4
; NumVGPRsForWavesPerEU: 1
; Occupancy: 10
; WaveLimiterHint : 0
; COMPUTE_PGM_RSRC2:SCRATCH_EN: 0
; COMPUTE_PGM_RSRC2:USER_SGPR: 6
; COMPUTE_PGM_RSRC2:TRAP_HANDLER: 0
; COMPUTE_PGM_RSRC2:TGID_X_EN: 1
; COMPUTE_PGM_RSRC2:TGID_Y_EN: 0
; COMPUTE_PGM_RSRC2:TGID_Z_EN: 0
; COMPUTE_PGM_RSRC2:TIDIG_COMP_CNT: 0
	.section	.text._ZN7rocprim17ROCPRIM_400000_NS6detail17trampoline_kernelINS0_14default_configENS1_25partition_config_selectorILNS1_17partition_subalgoE8EtNS0_10empty_typeEbEEZZNS1_14partition_implILS5_8ELb0ES3_jN6thrust23THRUST_200600_302600_NS6detail15normal_iteratorINSA_10device_ptrItEEEEPS6_PKS6_NS0_5tupleIJSF_S6_EEENSJ_IJSG_SG_EEENS0_18inequality_wrapperI22is_equal_div_10_uniqueItEEEPmJS6_EEE10hipError_tPvRmT3_T4_T5_T6_T7_T9_mT8_P12ihipStream_tbDpT10_ENKUlT_T0_E_clISt17integral_constantIbLb1EES19_IbLb0EEEEDaS15_S16_EUlS15_E_NS1_11comp_targetILNS1_3genE2ELNS1_11target_archE906ELNS1_3gpuE6ELNS1_3repE0EEENS1_30default_config_static_selectorELNS0_4arch9wavefront6targetE1EEEvT1_,"axG",@progbits,_ZN7rocprim17ROCPRIM_400000_NS6detail17trampoline_kernelINS0_14default_configENS1_25partition_config_selectorILNS1_17partition_subalgoE8EtNS0_10empty_typeEbEEZZNS1_14partition_implILS5_8ELb0ES3_jN6thrust23THRUST_200600_302600_NS6detail15normal_iteratorINSA_10device_ptrItEEEEPS6_PKS6_NS0_5tupleIJSF_S6_EEENSJ_IJSG_SG_EEENS0_18inequality_wrapperI22is_equal_div_10_uniqueItEEEPmJS6_EEE10hipError_tPvRmT3_T4_T5_T6_T7_T9_mT8_P12ihipStream_tbDpT10_ENKUlT_T0_E_clISt17integral_constantIbLb1EES19_IbLb0EEEEDaS15_S16_EUlS15_E_NS1_11comp_targetILNS1_3genE2ELNS1_11target_archE906ELNS1_3gpuE6ELNS1_3repE0EEENS1_30default_config_static_selectorELNS0_4arch9wavefront6targetE1EEEvT1_,comdat
	.protected	_ZN7rocprim17ROCPRIM_400000_NS6detail17trampoline_kernelINS0_14default_configENS1_25partition_config_selectorILNS1_17partition_subalgoE8EtNS0_10empty_typeEbEEZZNS1_14partition_implILS5_8ELb0ES3_jN6thrust23THRUST_200600_302600_NS6detail15normal_iteratorINSA_10device_ptrItEEEEPS6_PKS6_NS0_5tupleIJSF_S6_EEENSJ_IJSG_SG_EEENS0_18inequality_wrapperI22is_equal_div_10_uniqueItEEEPmJS6_EEE10hipError_tPvRmT3_T4_T5_T6_T7_T9_mT8_P12ihipStream_tbDpT10_ENKUlT_T0_E_clISt17integral_constantIbLb1EES19_IbLb0EEEEDaS15_S16_EUlS15_E_NS1_11comp_targetILNS1_3genE2ELNS1_11target_archE906ELNS1_3gpuE6ELNS1_3repE0EEENS1_30default_config_static_selectorELNS0_4arch9wavefront6targetE1EEEvT1_ ; -- Begin function _ZN7rocprim17ROCPRIM_400000_NS6detail17trampoline_kernelINS0_14default_configENS1_25partition_config_selectorILNS1_17partition_subalgoE8EtNS0_10empty_typeEbEEZZNS1_14partition_implILS5_8ELb0ES3_jN6thrust23THRUST_200600_302600_NS6detail15normal_iteratorINSA_10device_ptrItEEEEPS6_PKS6_NS0_5tupleIJSF_S6_EEENSJ_IJSG_SG_EEENS0_18inequality_wrapperI22is_equal_div_10_uniqueItEEEPmJS6_EEE10hipError_tPvRmT3_T4_T5_T6_T7_T9_mT8_P12ihipStream_tbDpT10_ENKUlT_T0_E_clISt17integral_constantIbLb1EES19_IbLb0EEEEDaS15_S16_EUlS15_E_NS1_11comp_targetILNS1_3genE2ELNS1_11target_archE906ELNS1_3gpuE6ELNS1_3repE0EEENS1_30default_config_static_selectorELNS0_4arch9wavefront6targetE1EEEvT1_
	.globl	_ZN7rocprim17ROCPRIM_400000_NS6detail17trampoline_kernelINS0_14default_configENS1_25partition_config_selectorILNS1_17partition_subalgoE8EtNS0_10empty_typeEbEEZZNS1_14partition_implILS5_8ELb0ES3_jN6thrust23THRUST_200600_302600_NS6detail15normal_iteratorINSA_10device_ptrItEEEEPS6_PKS6_NS0_5tupleIJSF_S6_EEENSJ_IJSG_SG_EEENS0_18inequality_wrapperI22is_equal_div_10_uniqueItEEEPmJS6_EEE10hipError_tPvRmT3_T4_T5_T6_T7_T9_mT8_P12ihipStream_tbDpT10_ENKUlT_T0_E_clISt17integral_constantIbLb1EES19_IbLb0EEEEDaS15_S16_EUlS15_E_NS1_11comp_targetILNS1_3genE2ELNS1_11target_archE906ELNS1_3gpuE6ELNS1_3repE0EEENS1_30default_config_static_selectorELNS0_4arch9wavefront6targetE1EEEvT1_
	.p2align	8
	.type	_ZN7rocprim17ROCPRIM_400000_NS6detail17trampoline_kernelINS0_14default_configENS1_25partition_config_selectorILNS1_17partition_subalgoE8EtNS0_10empty_typeEbEEZZNS1_14partition_implILS5_8ELb0ES3_jN6thrust23THRUST_200600_302600_NS6detail15normal_iteratorINSA_10device_ptrItEEEEPS6_PKS6_NS0_5tupleIJSF_S6_EEENSJ_IJSG_SG_EEENS0_18inequality_wrapperI22is_equal_div_10_uniqueItEEEPmJS6_EEE10hipError_tPvRmT3_T4_T5_T6_T7_T9_mT8_P12ihipStream_tbDpT10_ENKUlT_T0_E_clISt17integral_constantIbLb1EES19_IbLb0EEEEDaS15_S16_EUlS15_E_NS1_11comp_targetILNS1_3genE2ELNS1_11target_archE906ELNS1_3gpuE6ELNS1_3repE0EEENS1_30default_config_static_selectorELNS0_4arch9wavefront6targetE1EEEvT1_,@function
_ZN7rocprim17ROCPRIM_400000_NS6detail17trampoline_kernelINS0_14default_configENS1_25partition_config_selectorILNS1_17partition_subalgoE8EtNS0_10empty_typeEbEEZZNS1_14partition_implILS5_8ELb0ES3_jN6thrust23THRUST_200600_302600_NS6detail15normal_iteratorINSA_10device_ptrItEEEEPS6_PKS6_NS0_5tupleIJSF_S6_EEENSJ_IJSG_SG_EEENS0_18inequality_wrapperI22is_equal_div_10_uniqueItEEEPmJS6_EEE10hipError_tPvRmT3_T4_T5_T6_T7_T9_mT8_P12ihipStream_tbDpT10_ENKUlT_T0_E_clISt17integral_constantIbLb1EES19_IbLb0EEEEDaS15_S16_EUlS15_E_NS1_11comp_targetILNS1_3genE2ELNS1_11target_archE906ELNS1_3gpuE6ELNS1_3repE0EEENS1_30default_config_static_selectorELNS0_4arch9wavefront6targetE1EEEvT1_: ; @_ZN7rocprim17ROCPRIM_400000_NS6detail17trampoline_kernelINS0_14default_configENS1_25partition_config_selectorILNS1_17partition_subalgoE8EtNS0_10empty_typeEbEEZZNS1_14partition_implILS5_8ELb0ES3_jN6thrust23THRUST_200600_302600_NS6detail15normal_iteratorINSA_10device_ptrItEEEEPS6_PKS6_NS0_5tupleIJSF_S6_EEENSJ_IJSG_SG_EEENS0_18inequality_wrapperI22is_equal_div_10_uniqueItEEEPmJS6_EEE10hipError_tPvRmT3_T4_T5_T6_T7_T9_mT8_P12ihipStream_tbDpT10_ENKUlT_T0_E_clISt17integral_constantIbLb1EES19_IbLb0EEEEDaS15_S16_EUlS15_E_NS1_11comp_targetILNS1_3genE2ELNS1_11target_archE906ELNS1_3gpuE6ELNS1_3repE0EEENS1_30default_config_static_selectorELNS0_4arch9wavefront6targetE1EEEvT1_
; %bb.0:
	s_endpgm
	.section	.rodata,"a",@progbits
	.p2align	6, 0x0
	.amdhsa_kernel _ZN7rocprim17ROCPRIM_400000_NS6detail17trampoline_kernelINS0_14default_configENS1_25partition_config_selectorILNS1_17partition_subalgoE8EtNS0_10empty_typeEbEEZZNS1_14partition_implILS5_8ELb0ES3_jN6thrust23THRUST_200600_302600_NS6detail15normal_iteratorINSA_10device_ptrItEEEEPS6_PKS6_NS0_5tupleIJSF_S6_EEENSJ_IJSG_SG_EEENS0_18inequality_wrapperI22is_equal_div_10_uniqueItEEEPmJS6_EEE10hipError_tPvRmT3_T4_T5_T6_T7_T9_mT8_P12ihipStream_tbDpT10_ENKUlT_T0_E_clISt17integral_constantIbLb1EES19_IbLb0EEEEDaS15_S16_EUlS15_E_NS1_11comp_targetILNS1_3genE2ELNS1_11target_archE906ELNS1_3gpuE6ELNS1_3repE0EEENS1_30default_config_static_selectorELNS0_4arch9wavefront6targetE1EEEvT1_
		.amdhsa_group_segment_fixed_size 0
		.amdhsa_private_segment_fixed_size 0
		.amdhsa_kernarg_size 112
		.amdhsa_user_sgpr_count 6
		.amdhsa_user_sgpr_private_segment_buffer 1
		.amdhsa_user_sgpr_dispatch_ptr 0
		.amdhsa_user_sgpr_queue_ptr 0
		.amdhsa_user_sgpr_kernarg_segment_ptr 1
		.amdhsa_user_sgpr_dispatch_id 0
		.amdhsa_user_sgpr_flat_scratch_init 0
		.amdhsa_user_sgpr_private_segment_size 0
		.amdhsa_uses_dynamic_stack 0
		.amdhsa_system_sgpr_private_segment_wavefront_offset 0
		.amdhsa_system_sgpr_workgroup_id_x 1
		.amdhsa_system_sgpr_workgroup_id_y 0
		.amdhsa_system_sgpr_workgroup_id_z 0
		.amdhsa_system_sgpr_workgroup_info 0
		.amdhsa_system_vgpr_workitem_id 0
		.amdhsa_next_free_vgpr 1
		.amdhsa_next_free_sgpr 0
		.amdhsa_reserve_vcc 0
		.amdhsa_reserve_flat_scratch 0
		.amdhsa_float_round_mode_32 0
		.amdhsa_float_round_mode_16_64 0
		.amdhsa_float_denorm_mode_32 3
		.amdhsa_float_denorm_mode_16_64 3
		.amdhsa_dx10_clamp 1
		.amdhsa_ieee_mode 1
		.amdhsa_fp16_overflow 0
		.amdhsa_exception_fp_ieee_invalid_op 0
		.amdhsa_exception_fp_denorm_src 0
		.amdhsa_exception_fp_ieee_div_zero 0
		.amdhsa_exception_fp_ieee_overflow 0
		.amdhsa_exception_fp_ieee_underflow 0
		.amdhsa_exception_fp_ieee_inexact 0
		.amdhsa_exception_int_div_zero 0
	.end_amdhsa_kernel
	.section	.text._ZN7rocprim17ROCPRIM_400000_NS6detail17trampoline_kernelINS0_14default_configENS1_25partition_config_selectorILNS1_17partition_subalgoE8EtNS0_10empty_typeEbEEZZNS1_14partition_implILS5_8ELb0ES3_jN6thrust23THRUST_200600_302600_NS6detail15normal_iteratorINSA_10device_ptrItEEEEPS6_PKS6_NS0_5tupleIJSF_S6_EEENSJ_IJSG_SG_EEENS0_18inequality_wrapperI22is_equal_div_10_uniqueItEEEPmJS6_EEE10hipError_tPvRmT3_T4_T5_T6_T7_T9_mT8_P12ihipStream_tbDpT10_ENKUlT_T0_E_clISt17integral_constantIbLb1EES19_IbLb0EEEEDaS15_S16_EUlS15_E_NS1_11comp_targetILNS1_3genE2ELNS1_11target_archE906ELNS1_3gpuE6ELNS1_3repE0EEENS1_30default_config_static_selectorELNS0_4arch9wavefront6targetE1EEEvT1_,"axG",@progbits,_ZN7rocprim17ROCPRIM_400000_NS6detail17trampoline_kernelINS0_14default_configENS1_25partition_config_selectorILNS1_17partition_subalgoE8EtNS0_10empty_typeEbEEZZNS1_14partition_implILS5_8ELb0ES3_jN6thrust23THRUST_200600_302600_NS6detail15normal_iteratorINSA_10device_ptrItEEEEPS6_PKS6_NS0_5tupleIJSF_S6_EEENSJ_IJSG_SG_EEENS0_18inequality_wrapperI22is_equal_div_10_uniqueItEEEPmJS6_EEE10hipError_tPvRmT3_T4_T5_T6_T7_T9_mT8_P12ihipStream_tbDpT10_ENKUlT_T0_E_clISt17integral_constantIbLb1EES19_IbLb0EEEEDaS15_S16_EUlS15_E_NS1_11comp_targetILNS1_3genE2ELNS1_11target_archE906ELNS1_3gpuE6ELNS1_3repE0EEENS1_30default_config_static_selectorELNS0_4arch9wavefront6targetE1EEEvT1_,comdat
.Lfunc_end327:
	.size	_ZN7rocprim17ROCPRIM_400000_NS6detail17trampoline_kernelINS0_14default_configENS1_25partition_config_selectorILNS1_17partition_subalgoE8EtNS0_10empty_typeEbEEZZNS1_14partition_implILS5_8ELb0ES3_jN6thrust23THRUST_200600_302600_NS6detail15normal_iteratorINSA_10device_ptrItEEEEPS6_PKS6_NS0_5tupleIJSF_S6_EEENSJ_IJSG_SG_EEENS0_18inequality_wrapperI22is_equal_div_10_uniqueItEEEPmJS6_EEE10hipError_tPvRmT3_T4_T5_T6_T7_T9_mT8_P12ihipStream_tbDpT10_ENKUlT_T0_E_clISt17integral_constantIbLb1EES19_IbLb0EEEEDaS15_S16_EUlS15_E_NS1_11comp_targetILNS1_3genE2ELNS1_11target_archE906ELNS1_3gpuE6ELNS1_3repE0EEENS1_30default_config_static_selectorELNS0_4arch9wavefront6targetE1EEEvT1_, .Lfunc_end327-_ZN7rocprim17ROCPRIM_400000_NS6detail17trampoline_kernelINS0_14default_configENS1_25partition_config_selectorILNS1_17partition_subalgoE8EtNS0_10empty_typeEbEEZZNS1_14partition_implILS5_8ELb0ES3_jN6thrust23THRUST_200600_302600_NS6detail15normal_iteratorINSA_10device_ptrItEEEEPS6_PKS6_NS0_5tupleIJSF_S6_EEENSJ_IJSG_SG_EEENS0_18inequality_wrapperI22is_equal_div_10_uniqueItEEEPmJS6_EEE10hipError_tPvRmT3_T4_T5_T6_T7_T9_mT8_P12ihipStream_tbDpT10_ENKUlT_T0_E_clISt17integral_constantIbLb1EES19_IbLb0EEEEDaS15_S16_EUlS15_E_NS1_11comp_targetILNS1_3genE2ELNS1_11target_archE906ELNS1_3gpuE6ELNS1_3repE0EEENS1_30default_config_static_selectorELNS0_4arch9wavefront6targetE1EEEvT1_
                                        ; -- End function
	.set _ZN7rocprim17ROCPRIM_400000_NS6detail17trampoline_kernelINS0_14default_configENS1_25partition_config_selectorILNS1_17partition_subalgoE8EtNS0_10empty_typeEbEEZZNS1_14partition_implILS5_8ELb0ES3_jN6thrust23THRUST_200600_302600_NS6detail15normal_iteratorINSA_10device_ptrItEEEEPS6_PKS6_NS0_5tupleIJSF_S6_EEENSJ_IJSG_SG_EEENS0_18inequality_wrapperI22is_equal_div_10_uniqueItEEEPmJS6_EEE10hipError_tPvRmT3_T4_T5_T6_T7_T9_mT8_P12ihipStream_tbDpT10_ENKUlT_T0_E_clISt17integral_constantIbLb1EES19_IbLb0EEEEDaS15_S16_EUlS15_E_NS1_11comp_targetILNS1_3genE2ELNS1_11target_archE906ELNS1_3gpuE6ELNS1_3repE0EEENS1_30default_config_static_selectorELNS0_4arch9wavefront6targetE1EEEvT1_.num_vgpr, 0
	.set _ZN7rocprim17ROCPRIM_400000_NS6detail17trampoline_kernelINS0_14default_configENS1_25partition_config_selectorILNS1_17partition_subalgoE8EtNS0_10empty_typeEbEEZZNS1_14partition_implILS5_8ELb0ES3_jN6thrust23THRUST_200600_302600_NS6detail15normal_iteratorINSA_10device_ptrItEEEEPS6_PKS6_NS0_5tupleIJSF_S6_EEENSJ_IJSG_SG_EEENS0_18inequality_wrapperI22is_equal_div_10_uniqueItEEEPmJS6_EEE10hipError_tPvRmT3_T4_T5_T6_T7_T9_mT8_P12ihipStream_tbDpT10_ENKUlT_T0_E_clISt17integral_constantIbLb1EES19_IbLb0EEEEDaS15_S16_EUlS15_E_NS1_11comp_targetILNS1_3genE2ELNS1_11target_archE906ELNS1_3gpuE6ELNS1_3repE0EEENS1_30default_config_static_selectorELNS0_4arch9wavefront6targetE1EEEvT1_.num_agpr, 0
	.set _ZN7rocprim17ROCPRIM_400000_NS6detail17trampoline_kernelINS0_14default_configENS1_25partition_config_selectorILNS1_17partition_subalgoE8EtNS0_10empty_typeEbEEZZNS1_14partition_implILS5_8ELb0ES3_jN6thrust23THRUST_200600_302600_NS6detail15normal_iteratorINSA_10device_ptrItEEEEPS6_PKS6_NS0_5tupleIJSF_S6_EEENSJ_IJSG_SG_EEENS0_18inequality_wrapperI22is_equal_div_10_uniqueItEEEPmJS6_EEE10hipError_tPvRmT3_T4_T5_T6_T7_T9_mT8_P12ihipStream_tbDpT10_ENKUlT_T0_E_clISt17integral_constantIbLb1EES19_IbLb0EEEEDaS15_S16_EUlS15_E_NS1_11comp_targetILNS1_3genE2ELNS1_11target_archE906ELNS1_3gpuE6ELNS1_3repE0EEENS1_30default_config_static_selectorELNS0_4arch9wavefront6targetE1EEEvT1_.numbered_sgpr, 0
	.set _ZN7rocprim17ROCPRIM_400000_NS6detail17trampoline_kernelINS0_14default_configENS1_25partition_config_selectorILNS1_17partition_subalgoE8EtNS0_10empty_typeEbEEZZNS1_14partition_implILS5_8ELb0ES3_jN6thrust23THRUST_200600_302600_NS6detail15normal_iteratorINSA_10device_ptrItEEEEPS6_PKS6_NS0_5tupleIJSF_S6_EEENSJ_IJSG_SG_EEENS0_18inequality_wrapperI22is_equal_div_10_uniqueItEEEPmJS6_EEE10hipError_tPvRmT3_T4_T5_T6_T7_T9_mT8_P12ihipStream_tbDpT10_ENKUlT_T0_E_clISt17integral_constantIbLb1EES19_IbLb0EEEEDaS15_S16_EUlS15_E_NS1_11comp_targetILNS1_3genE2ELNS1_11target_archE906ELNS1_3gpuE6ELNS1_3repE0EEENS1_30default_config_static_selectorELNS0_4arch9wavefront6targetE1EEEvT1_.num_named_barrier, 0
	.set _ZN7rocprim17ROCPRIM_400000_NS6detail17trampoline_kernelINS0_14default_configENS1_25partition_config_selectorILNS1_17partition_subalgoE8EtNS0_10empty_typeEbEEZZNS1_14partition_implILS5_8ELb0ES3_jN6thrust23THRUST_200600_302600_NS6detail15normal_iteratorINSA_10device_ptrItEEEEPS6_PKS6_NS0_5tupleIJSF_S6_EEENSJ_IJSG_SG_EEENS0_18inequality_wrapperI22is_equal_div_10_uniqueItEEEPmJS6_EEE10hipError_tPvRmT3_T4_T5_T6_T7_T9_mT8_P12ihipStream_tbDpT10_ENKUlT_T0_E_clISt17integral_constantIbLb1EES19_IbLb0EEEEDaS15_S16_EUlS15_E_NS1_11comp_targetILNS1_3genE2ELNS1_11target_archE906ELNS1_3gpuE6ELNS1_3repE0EEENS1_30default_config_static_selectorELNS0_4arch9wavefront6targetE1EEEvT1_.private_seg_size, 0
	.set _ZN7rocprim17ROCPRIM_400000_NS6detail17trampoline_kernelINS0_14default_configENS1_25partition_config_selectorILNS1_17partition_subalgoE8EtNS0_10empty_typeEbEEZZNS1_14partition_implILS5_8ELb0ES3_jN6thrust23THRUST_200600_302600_NS6detail15normal_iteratorINSA_10device_ptrItEEEEPS6_PKS6_NS0_5tupleIJSF_S6_EEENSJ_IJSG_SG_EEENS0_18inequality_wrapperI22is_equal_div_10_uniqueItEEEPmJS6_EEE10hipError_tPvRmT3_T4_T5_T6_T7_T9_mT8_P12ihipStream_tbDpT10_ENKUlT_T0_E_clISt17integral_constantIbLb1EES19_IbLb0EEEEDaS15_S16_EUlS15_E_NS1_11comp_targetILNS1_3genE2ELNS1_11target_archE906ELNS1_3gpuE6ELNS1_3repE0EEENS1_30default_config_static_selectorELNS0_4arch9wavefront6targetE1EEEvT1_.uses_vcc, 0
	.set _ZN7rocprim17ROCPRIM_400000_NS6detail17trampoline_kernelINS0_14default_configENS1_25partition_config_selectorILNS1_17partition_subalgoE8EtNS0_10empty_typeEbEEZZNS1_14partition_implILS5_8ELb0ES3_jN6thrust23THRUST_200600_302600_NS6detail15normal_iteratorINSA_10device_ptrItEEEEPS6_PKS6_NS0_5tupleIJSF_S6_EEENSJ_IJSG_SG_EEENS0_18inequality_wrapperI22is_equal_div_10_uniqueItEEEPmJS6_EEE10hipError_tPvRmT3_T4_T5_T6_T7_T9_mT8_P12ihipStream_tbDpT10_ENKUlT_T0_E_clISt17integral_constantIbLb1EES19_IbLb0EEEEDaS15_S16_EUlS15_E_NS1_11comp_targetILNS1_3genE2ELNS1_11target_archE906ELNS1_3gpuE6ELNS1_3repE0EEENS1_30default_config_static_selectorELNS0_4arch9wavefront6targetE1EEEvT1_.uses_flat_scratch, 0
	.set _ZN7rocprim17ROCPRIM_400000_NS6detail17trampoline_kernelINS0_14default_configENS1_25partition_config_selectorILNS1_17partition_subalgoE8EtNS0_10empty_typeEbEEZZNS1_14partition_implILS5_8ELb0ES3_jN6thrust23THRUST_200600_302600_NS6detail15normal_iteratorINSA_10device_ptrItEEEEPS6_PKS6_NS0_5tupleIJSF_S6_EEENSJ_IJSG_SG_EEENS0_18inequality_wrapperI22is_equal_div_10_uniqueItEEEPmJS6_EEE10hipError_tPvRmT3_T4_T5_T6_T7_T9_mT8_P12ihipStream_tbDpT10_ENKUlT_T0_E_clISt17integral_constantIbLb1EES19_IbLb0EEEEDaS15_S16_EUlS15_E_NS1_11comp_targetILNS1_3genE2ELNS1_11target_archE906ELNS1_3gpuE6ELNS1_3repE0EEENS1_30default_config_static_selectorELNS0_4arch9wavefront6targetE1EEEvT1_.has_dyn_sized_stack, 0
	.set _ZN7rocprim17ROCPRIM_400000_NS6detail17trampoline_kernelINS0_14default_configENS1_25partition_config_selectorILNS1_17partition_subalgoE8EtNS0_10empty_typeEbEEZZNS1_14partition_implILS5_8ELb0ES3_jN6thrust23THRUST_200600_302600_NS6detail15normal_iteratorINSA_10device_ptrItEEEEPS6_PKS6_NS0_5tupleIJSF_S6_EEENSJ_IJSG_SG_EEENS0_18inequality_wrapperI22is_equal_div_10_uniqueItEEEPmJS6_EEE10hipError_tPvRmT3_T4_T5_T6_T7_T9_mT8_P12ihipStream_tbDpT10_ENKUlT_T0_E_clISt17integral_constantIbLb1EES19_IbLb0EEEEDaS15_S16_EUlS15_E_NS1_11comp_targetILNS1_3genE2ELNS1_11target_archE906ELNS1_3gpuE6ELNS1_3repE0EEENS1_30default_config_static_selectorELNS0_4arch9wavefront6targetE1EEEvT1_.has_recursion, 0
	.set _ZN7rocprim17ROCPRIM_400000_NS6detail17trampoline_kernelINS0_14default_configENS1_25partition_config_selectorILNS1_17partition_subalgoE8EtNS0_10empty_typeEbEEZZNS1_14partition_implILS5_8ELb0ES3_jN6thrust23THRUST_200600_302600_NS6detail15normal_iteratorINSA_10device_ptrItEEEEPS6_PKS6_NS0_5tupleIJSF_S6_EEENSJ_IJSG_SG_EEENS0_18inequality_wrapperI22is_equal_div_10_uniqueItEEEPmJS6_EEE10hipError_tPvRmT3_T4_T5_T6_T7_T9_mT8_P12ihipStream_tbDpT10_ENKUlT_T0_E_clISt17integral_constantIbLb1EES19_IbLb0EEEEDaS15_S16_EUlS15_E_NS1_11comp_targetILNS1_3genE2ELNS1_11target_archE906ELNS1_3gpuE6ELNS1_3repE0EEENS1_30default_config_static_selectorELNS0_4arch9wavefront6targetE1EEEvT1_.has_indirect_call, 0
	.section	.AMDGPU.csdata,"",@progbits
; Kernel info:
; codeLenInByte = 4
; TotalNumSgprs: 4
; NumVgprs: 0
; ScratchSize: 0
; MemoryBound: 0
; FloatMode: 240
; IeeeMode: 1
; LDSByteSize: 0 bytes/workgroup (compile time only)
; SGPRBlocks: 0
; VGPRBlocks: 0
; NumSGPRsForWavesPerEU: 4
; NumVGPRsForWavesPerEU: 1
; Occupancy: 10
; WaveLimiterHint : 0
; COMPUTE_PGM_RSRC2:SCRATCH_EN: 0
; COMPUTE_PGM_RSRC2:USER_SGPR: 6
; COMPUTE_PGM_RSRC2:TRAP_HANDLER: 0
; COMPUTE_PGM_RSRC2:TGID_X_EN: 1
; COMPUTE_PGM_RSRC2:TGID_Y_EN: 0
; COMPUTE_PGM_RSRC2:TGID_Z_EN: 0
; COMPUTE_PGM_RSRC2:TIDIG_COMP_CNT: 0
	.section	.text._ZN7rocprim17ROCPRIM_400000_NS6detail17trampoline_kernelINS0_14default_configENS1_25partition_config_selectorILNS1_17partition_subalgoE8EtNS0_10empty_typeEbEEZZNS1_14partition_implILS5_8ELb0ES3_jN6thrust23THRUST_200600_302600_NS6detail15normal_iteratorINSA_10device_ptrItEEEEPS6_PKS6_NS0_5tupleIJSF_S6_EEENSJ_IJSG_SG_EEENS0_18inequality_wrapperI22is_equal_div_10_uniqueItEEEPmJS6_EEE10hipError_tPvRmT3_T4_T5_T6_T7_T9_mT8_P12ihipStream_tbDpT10_ENKUlT_T0_E_clISt17integral_constantIbLb1EES19_IbLb0EEEEDaS15_S16_EUlS15_E_NS1_11comp_targetILNS1_3genE10ELNS1_11target_archE1200ELNS1_3gpuE4ELNS1_3repE0EEENS1_30default_config_static_selectorELNS0_4arch9wavefront6targetE1EEEvT1_,"axG",@progbits,_ZN7rocprim17ROCPRIM_400000_NS6detail17trampoline_kernelINS0_14default_configENS1_25partition_config_selectorILNS1_17partition_subalgoE8EtNS0_10empty_typeEbEEZZNS1_14partition_implILS5_8ELb0ES3_jN6thrust23THRUST_200600_302600_NS6detail15normal_iteratorINSA_10device_ptrItEEEEPS6_PKS6_NS0_5tupleIJSF_S6_EEENSJ_IJSG_SG_EEENS0_18inequality_wrapperI22is_equal_div_10_uniqueItEEEPmJS6_EEE10hipError_tPvRmT3_T4_T5_T6_T7_T9_mT8_P12ihipStream_tbDpT10_ENKUlT_T0_E_clISt17integral_constantIbLb1EES19_IbLb0EEEEDaS15_S16_EUlS15_E_NS1_11comp_targetILNS1_3genE10ELNS1_11target_archE1200ELNS1_3gpuE4ELNS1_3repE0EEENS1_30default_config_static_selectorELNS0_4arch9wavefront6targetE1EEEvT1_,comdat
	.protected	_ZN7rocprim17ROCPRIM_400000_NS6detail17trampoline_kernelINS0_14default_configENS1_25partition_config_selectorILNS1_17partition_subalgoE8EtNS0_10empty_typeEbEEZZNS1_14partition_implILS5_8ELb0ES3_jN6thrust23THRUST_200600_302600_NS6detail15normal_iteratorINSA_10device_ptrItEEEEPS6_PKS6_NS0_5tupleIJSF_S6_EEENSJ_IJSG_SG_EEENS0_18inequality_wrapperI22is_equal_div_10_uniqueItEEEPmJS6_EEE10hipError_tPvRmT3_T4_T5_T6_T7_T9_mT8_P12ihipStream_tbDpT10_ENKUlT_T0_E_clISt17integral_constantIbLb1EES19_IbLb0EEEEDaS15_S16_EUlS15_E_NS1_11comp_targetILNS1_3genE10ELNS1_11target_archE1200ELNS1_3gpuE4ELNS1_3repE0EEENS1_30default_config_static_selectorELNS0_4arch9wavefront6targetE1EEEvT1_ ; -- Begin function _ZN7rocprim17ROCPRIM_400000_NS6detail17trampoline_kernelINS0_14default_configENS1_25partition_config_selectorILNS1_17partition_subalgoE8EtNS0_10empty_typeEbEEZZNS1_14partition_implILS5_8ELb0ES3_jN6thrust23THRUST_200600_302600_NS6detail15normal_iteratorINSA_10device_ptrItEEEEPS6_PKS6_NS0_5tupleIJSF_S6_EEENSJ_IJSG_SG_EEENS0_18inequality_wrapperI22is_equal_div_10_uniqueItEEEPmJS6_EEE10hipError_tPvRmT3_T4_T5_T6_T7_T9_mT8_P12ihipStream_tbDpT10_ENKUlT_T0_E_clISt17integral_constantIbLb1EES19_IbLb0EEEEDaS15_S16_EUlS15_E_NS1_11comp_targetILNS1_3genE10ELNS1_11target_archE1200ELNS1_3gpuE4ELNS1_3repE0EEENS1_30default_config_static_selectorELNS0_4arch9wavefront6targetE1EEEvT1_
	.globl	_ZN7rocprim17ROCPRIM_400000_NS6detail17trampoline_kernelINS0_14default_configENS1_25partition_config_selectorILNS1_17partition_subalgoE8EtNS0_10empty_typeEbEEZZNS1_14partition_implILS5_8ELb0ES3_jN6thrust23THRUST_200600_302600_NS6detail15normal_iteratorINSA_10device_ptrItEEEEPS6_PKS6_NS0_5tupleIJSF_S6_EEENSJ_IJSG_SG_EEENS0_18inequality_wrapperI22is_equal_div_10_uniqueItEEEPmJS6_EEE10hipError_tPvRmT3_T4_T5_T6_T7_T9_mT8_P12ihipStream_tbDpT10_ENKUlT_T0_E_clISt17integral_constantIbLb1EES19_IbLb0EEEEDaS15_S16_EUlS15_E_NS1_11comp_targetILNS1_3genE10ELNS1_11target_archE1200ELNS1_3gpuE4ELNS1_3repE0EEENS1_30default_config_static_selectorELNS0_4arch9wavefront6targetE1EEEvT1_
	.p2align	8
	.type	_ZN7rocprim17ROCPRIM_400000_NS6detail17trampoline_kernelINS0_14default_configENS1_25partition_config_selectorILNS1_17partition_subalgoE8EtNS0_10empty_typeEbEEZZNS1_14partition_implILS5_8ELb0ES3_jN6thrust23THRUST_200600_302600_NS6detail15normal_iteratorINSA_10device_ptrItEEEEPS6_PKS6_NS0_5tupleIJSF_S6_EEENSJ_IJSG_SG_EEENS0_18inequality_wrapperI22is_equal_div_10_uniqueItEEEPmJS6_EEE10hipError_tPvRmT3_T4_T5_T6_T7_T9_mT8_P12ihipStream_tbDpT10_ENKUlT_T0_E_clISt17integral_constantIbLb1EES19_IbLb0EEEEDaS15_S16_EUlS15_E_NS1_11comp_targetILNS1_3genE10ELNS1_11target_archE1200ELNS1_3gpuE4ELNS1_3repE0EEENS1_30default_config_static_selectorELNS0_4arch9wavefront6targetE1EEEvT1_,@function
_ZN7rocprim17ROCPRIM_400000_NS6detail17trampoline_kernelINS0_14default_configENS1_25partition_config_selectorILNS1_17partition_subalgoE8EtNS0_10empty_typeEbEEZZNS1_14partition_implILS5_8ELb0ES3_jN6thrust23THRUST_200600_302600_NS6detail15normal_iteratorINSA_10device_ptrItEEEEPS6_PKS6_NS0_5tupleIJSF_S6_EEENSJ_IJSG_SG_EEENS0_18inequality_wrapperI22is_equal_div_10_uniqueItEEEPmJS6_EEE10hipError_tPvRmT3_T4_T5_T6_T7_T9_mT8_P12ihipStream_tbDpT10_ENKUlT_T0_E_clISt17integral_constantIbLb1EES19_IbLb0EEEEDaS15_S16_EUlS15_E_NS1_11comp_targetILNS1_3genE10ELNS1_11target_archE1200ELNS1_3gpuE4ELNS1_3repE0EEENS1_30default_config_static_selectorELNS0_4arch9wavefront6targetE1EEEvT1_: ; @_ZN7rocprim17ROCPRIM_400000_NS6detail17trampoline_kernelINS0_14default_configENS1_25partition_config_selectorILNS1_17partition_subalgoE8EtNS0_10empty_typeEbEEZZNS1_14partition_implILS5_8ELb0ES3_jN6thrust23THRUST_200600_302600_NS6detail15normal_iteratorINSA_10device_ptrItEEEEPS6_PKS6_NS0_5tupleIJSF_S6_EEENSJ_IJSG_SG_EEENS0_18inequality_wrapperI22is_equal_div_10_uniqueItEEEPmJS6_EEE10hipError_tPvRmT3_T4_T5_T6_T7_T9_mT8_P12ihipStream_tbDpT10_ENKUlT_T0_E_clISt17integral_constantIbLb1EES19_IbLb0EEEEDaS15_S16_EUlS15_E_NS1_11comp_targetILNS1_3genE10ELNS1_11target_archE1200ELNS1_3gpuE4ELNS1_3repE0EEENS1_30default_config_static_selectorELNS0_4arch9wavefront6targetE1EEEvT1_
; %bb.0:
	.section	.rodata,"a",@progbits
	.p2align	6, 0x0
	.amdhsa_kernel _ZN7rocprim17ROCPRIM_400000_NS6detail17trampoline_kernelINS0_14default_configENS1_25partition_config_selectorILNS1_17partition_subalgoE8EtNS0_10empty_typeEbEEZZNS1_14partition_implILS5_8ELb0ES3_jN6thrust23THRUST_200600_302600_NS6detail15normal_iteratorINSA_10device_ptrItEEEEPS6_PKS6_NS0_5tupleIJSF_S6_EEENSJ_IJSG_SG_EEENS0_18inequality_wrapperI22is_equal_div_10_uniqueItEEEPmJS6_EEE10hipError_tPvRmT3_T4_T5_T6_T7_T9_mT8_P12ihipStream_tbDpT10_ENKUlT_T0_E_clISt17integral_constantIbLb1EES19_IbLb0EEEEDaS15_S16_EUlS15_E_NS1_11comp_targetILNS1_3genE10ELNS1_11target_archE1200ELNS1_3gpuE4ELNS1_3repE0EEENS1_30default_config_static_selectorELNS0_4arch9wavefront6targetE1EEEvT1_
		.amdhsa_group_segment_fixed_size 0
		.amdhsa_private_segment_fixed_size 0
		.amdhsa_kernarg_size 112
		.amdhsa_user_sgpr_count 6
		.amdhsa_user_sgpr_private_segment_buffer 1
		.amdhsa_user_sgpr_dispatch_ptr 0
		.amdhsa_user_sgpr_queue_ptr 0
		.amdhsa_user_sgpr_kernarg_segment_ptr 1
		.amdhsa_user_sgpr_dispatch_id 0
		.amdhsa_user_sgpr_flat_scratch_init 0
		.amdhsa_user_sgpr_private_segment_size 0
		.amdhsa_uses_dynamic_stack 0
		.amdhsa_system_sgpr_private_segment_wavefront_offset 0
		.amdhsa_system_sgpr_workgroup_id_x 1
		.amdhsa_system_sgpr_workgroup_id_y 0
		.amdhsa_system_sgpr_workgroup_id_z 0
		.amdhsa_system_sgpr_workgroup_info 0
		.amdhsa_system_vgpr_workitem_id 0
		.amdhsa_next_free_vgpr 1
		.amdhsa_next_free_sgpr 0
		.amdhsa_reserve_vcc 0
		.amdhsa_reserve_flat_scratch 0
		.amdhsa_float_round_mode_32 0
		.amdhsa_float_round_mode_16_64 0
		.amdhsa_float_denorm_mode_32 3
		.amdhsa_float_denorm_mode_16_64 3
		.amdhsa_dx10_clamp 1
		.amdhsa_ieee_mode 1
		.amdhsa_fp16_overflow 0
		.amdhsa_exception_fp_ieee_invalid_op 0
		.amdhsa_exception_fp_denorm_src 0
		.amdhsa_exception_fp_ieee_div_zero 0
		.amdhsa_exception_fp_ieee_overflow 0
		.amdhsa_exception_fp_ieee_underflow 0
		.amdhsa_exception_fp_ieee_inexact 0
		.amdhsa_exception_int_div_zero 0
	.end_amdhsa_kernel
	.section	.text._ZN7rocprim17ROCPRIM_400000_NS6detail17trampoline_kernelINS0_14default_configENS1_25partition_config_selectorILNS1_17partition_subalgoE8EtNS0_10empty_typeEbEEZZNS1_14partition_implILS5_8ELb0ES3_jN6thrust23THRUST_200600_302600_NS6detail15normal_iteratorINSA_10device_ptrItEEEEPS6_PKS6_NS0_5tupleIJSF_S6_EEENSJ_IJSG_SG_EEENS0_18inequality_wrapperI22is_equal_div_10_uniqueItEEEPmJS6_EEE10hipError_tPvRmT3_T4_T5_T6_T7_T9_mT8_P12ihipStream_tbDpT10_ENKUlT_T0_E_clISt17integral_constantIbLb1EES19_IbLb0EEEEDaS15_S16_EUlS15_E_NS1_11comp_targetILNS1_3genE10ELNS1_11target_archE1200ELNS1_3gpuE4ELNS1_3repE0EEENS1_30default_config_static_selectorELNS0_4arch9wavefront6targetE1EEEvT1_,"axG",@progbits,_ZN7rocprim17ROCPRIM_400000_NS6detail17trampoline_kernelINS0_14default_configENS1_25partition_config_selectorILNS1_17partition_subalgoE8EtNS0_10empty_typeEbEEZZNS1_14partition_implILS5_8ELb0ES3_jN6thrust23THRUST_200600_302600_NS6detail15normal_iteratorINSA_10device_ptrItEEEEPS6_PKS6_NS0_5tupleIJSF_S6_EEENSJ_IJSG_SG_EEENS0_18inequality_wrapperI22is_equal_div_10_uniqueItEEEPmJS6_EEE10hipError_tPvRmT3_T4_T5_T6_T7_T9_mT8_P12ihipStream_tbDpT10_ENKUlT_T0_E_clISt17integral_constantIbLb1EES19_IbLb0EEEEDaS15_S16_EUlS15_E_NS1_11comp_targetILNS1_3genE10ELNS1_11target_archE1200ELNS1_3gpuE4ELNS1_3repE0EEENS1_30default_config_static_selectorELNS0_4arch9wavefront6targetE1EEEvT1_,comdat
.Lfunc_end328:
	.size	_ZN7rocprim17ROCPRIM_400000_NS6detail17trampoline_kernelINS0_14default_configENS1_25partition_config_selectorILNS1_17partition_subalgoE8EtNS0_10empty_typeEbEEZZNS1_14partition_implILS5_8ELb0ES3_jN6thrust23THRUST_200600_302600_NS6detail15normal_iteratorINSA_10device_ptrItEEEEPS6_PKS6_NS0_5tupleIJSF_S6_EEENSJ_IJSG_SG_EEENS0_18inequality_wrapperI22is_equal_div_10_uniqueItEEEPmJS6_EEE10hipError_tPvRmT3_T4_T5_T6_T7_T9_mT8_P12ihipStream_tbDpT10_ENKUlT_T0_E_clISt17integral_constantIbLb1EES19_IbLb0EEEEDaS15_S16_EUlS15_E_NS1_11comp_targetILNS1_3genE10ELNS1_11target_archE1200ELNS1_3gpuE4ELNS1_3repE0EEENS1_30default_config_static_selectorELNS0_4arch9wavefront6targetE1EEEvT1_, .Lfunc_end328-_ZN7rocprim17ROCPRIM_400000_NS6detail17trampoline_kernelINS0_14default_configENS1_25partition_config_selectorILNS1_17partition_subalgoE8EtNS0_10empty_typeEbEEZZNS1_14partition_implILS5_8ELb0ES3_jN6thrust23THRUST_200600_302600_NS6detail15normal_iteratorINSA_10device_ptrItEEEEPS6_PKS6_NS0_5tupleIJSF_S6_EEENSJ_IJSG_SG_EEENS0_18inequality_wrapperI22is_equal_div_10_uniqueItEEEPmJS6_EEE10hipError_tPvRmT3_T4_T5_T6_T7_T9_mT8_P12ihipStream_tbDpT10_ENKUlT_T0_E_clISt17integral_constantIbLb1EES19_IbLb0EEEEDaS15_S16_EUlS15_E_NS1_11comp_targetILNS1_3genE10ELNS1_11target_archE1200ELNS1_3gpuE4ELNS1_3repE0EEENS1_30default_config_static_selectorELNS0_4arch9wavefront6targetE1EEEvT1_
                                        ; -- End function
	.set _ZN7rocprim17ROCPRIM_400000_NS6detail17trampoline_kernelINS0_14default_configENS1_25partition_config_selectorILNS1_17partition_subalgoE8EtNS0_10empty_typeEbEEZZNS1_14partition_implILS5_8ELb0ES3_jN6thrust23THRUST_200600_302600_NS6detail15normal_iteratorINSA_10device_ptrItEEEEPS6_PKS6_NS0_5tupleIJSF_S6_EEENSJ_IJSG_SG_EEENS0_18inequality_wrapperI22is_equal_div_10_uniqueItEEEPmJS6_EEE10hipError_tPvRmT3_T4_T5_T6_T7_T9_mT8_P12ihipStream_tbDpT10_ENKUlT_T0_E_clISt17integral_constantIbLb1EES19_IbLb0EEEEDaS15_S16_EUlS15_E_NS1_11comp_targetILNS1_3genE10ELNS1_11target_archE1200ELNS1_3gpuE4ELNS1_3repE0EEENS1_30default_config_static_selectorELNS0_4arch9wavefront6targetE1EEEvT1_.num_vgpr, 0
	.set _ZN7rocprim17ROCPRIM_400000_NS6detail17trampoline_kernelINS0_14default_configENS1_25partition_config_selectorILNS1_17partition_subalgoE8EtNS0_10empty_typeEbEEZZNS1_14partition_implILS5_8ELb0ES3_jN6thrust23THRUST_200600_302600_NS6detail15normal_iteratorINSA_10device_ptrItEEEEPS6_PKS6_NS0_5tupleIJSF_S6_EEENSJ_IJSG_SG_EEENS0_18inequality_wrapperI22is_equal_div_10_uniqueItEEEPmJS6_EEE10hipError_tPvRmT3_T4_T5_T6_T7_T9_mT8_P12ihipStream_tbDpT10_ENKUlT_T0_E_clISt17integral_constantIbLb1EES19_IbLb0EEEEDaS15_S16_EUlS15_E_NS1_11comp_targetILNS1_3genE10ELNS1_11target_archE1200ELNS1_3gpuE4ELNS1_3repE0EEENS1_30default_config_static_selectorELNS0_4arch9wavefront6targetE1EEEvT1_.num_agpr, 0
	.set _ZN7rocprim17ROCPRIM_400000_NS6detail17trampoline_kernelINS0_14default_configENS1_25partition_config_selectorILNS1_17partition_subalgoE8EtNS0_10empty_typeEbEEZZNS1_14partition_implILS5_8ELb0ES3_jN6thrust23THRUST_200600_302600_NS6detail15normal_iteratorINSA_10device_ptrItEEEEPS6_PKS6_NS0_5tupleIJSF_S6_EEENSJ_IJSG_SG_EEENS0_18inequality_wrapperI22is_equal_div_10_uniqueItEEEPmJS6_EEE10hipError_tPvRmT3_T4_T5_T6_T7_T9_mT8_P12ihipStream_tbDpT10_ENKUlT_T0_E_clISt17integral_constantIbLb1EES19_IbLb0EEEEDaS15_S16_EUlS15_E_NS1_11comp_targetILNS1_3genE10ELNS1_11target_archE1200ELNS1_3gpuE4ELNS1_3repE0EEENS1_30default_config_static_selectorELNS0_4arch9wavefront6targetE1EEEvT1_.numbered_sgpr, 0
	.set _ZN7rocprim17ROCPRIM_400000_NS6detail17trampoline_kernelINS0_14default_configENS1_25partition_config_selectorILNS1_17partition_subalgoE8EtNS0_10empty_typeEbEEZZNS1_14partition_implILS5_8ELb0ES3_jN6thrust23THRUST_200600_302600_NS6detail15normal_iteratorINSA_10device_ptrItEEEEPS6_PKS6_NS0_5tupleIJSF_S6_EEENSJ_IJSG_SG_EEENS0_18inequality_wrapperI22is_equal_div_10_uniqueItEEEPmJS6_EEE10hipError_tPvRmT3_T4_T5_T6_T7_T9_mT8_P12ihipStream_tbDpT10_ENKUlT_T0_E_clISt17integral_constantIbLb1EES19_IbLb0EEEEDaS15_S16_EUlS15_E_NS1_11comp_targetILNS1_3genE10ELNS1_11target_archE1200ELNS1_3gpuE4ELNS1_3repE0EEENS1_30default_config_static_selectorELNS0_4arch9wavefront6targetE1EEEvT1_.num_named_barrier, 0
	.set _ZN7rocprim17ROCPRIM_400000_NS6detail17trampoline_kernelINS0_14default_configENS1_25partition_config_selectorILNS1_17partition_subalgoE8EtNS0_10empty_typeEbEEZZNS1_14partition_implILS5_8ELb0ES3_jN6thrust23THRUST_200600_302600_NS6detail15normal_iteratorINSA_10device_ptrItEEEEPS6_PKS6_NS0_5tupleIJSF_S6_EEENSJ_IJSG_SG_EEENS0_18inequality_wrapperI22is_equal_div_10_uniqueItEEEPmJS6_EEE10hipError_tPvRmT3_T4_T5_T6_T7_T9_mT8_P12ihipStream_tbDpT10_ENKUlT_T0_E_clISt17integral_constantIbLb1EES19_IbLb0EEEEDaS15_S16_EUlS15_E_NS1_11comp_targetILNS1_3genE10ELNS1_11target_archE1200ELNS1_3gpuE4ELNS1_3repE0EEENS1_30default_config_static_selectorELNS0_4arch9wavefront6targetE1EEEvT1_.private_seg_size, 0
	.set _ZN7rocprim17ROCPRIM_400000_NS6detail17trampoline_kernelINS0_14default_configENS1_25partition_config_selectorILNS1_17partition_subalgoE8EtNS0_10empty_typeEbEEZZNS1_14partition_implILS5_8ELb0ES3_jN6thrust23THRUST_200600_302600_NS6detail15normal_iteratorINSA_10device_ptrItEEEEPS6_PKS6_NS0_5tupleIJSF_S6_EEENSJ_IJSG_SG_EEENS0_18inequality_wrapperI22is_equal_div_10_uniqueItEEEPmJS6_EEE10hipError_tPvRmT3_T4_T5_T6_T7_T9_mT8_P12ihipStream_tbDpT10_ENKUlT_T0_E_clISt17integral_constantIbLb1EES19_IbLb0EEEEDaS15_S16_EUlS15_E_NS1_11comp_targetILNS1_3genE10ELNS1_11target_archE1200ELNS1_3gpuE4ELNS1_3repE0EEENS1_30default_config_static_selectorELNS0_4arch9wavefront6targetE1EEEvT1_.uses_vcc, 0
	.set _ZN7rocprim17ROCPRIM_400000_NS6detail17trampoline_kernelINS0_14default_configENS1_25partition_config_selectorILNS1_17partition_subalgoE8EtNS0_10empty_typeEbEEZZNS1_14partition_implILS5_8ELb0ES3_jN6thrust23THRUST_200600_302600_NS6detail15normal_iteratorINSA_10device_ptrItEEEEPS6_PKS6_NS0_5tupleIJSF_S6_EEENSJ_IJSG_SG_EEENS0_18inequality_wrapperI22is_equal_div_10_uniqueItEEEPmJS6_EEE10hipError_tPvRmT3_T4_T5_T6_T7_T9_mT8_P12ihipStream_tbDpT10_ENKUlT_T0_E_clISt17integral_constantIbLb1EES19_IbLb0EEEEDaS15_S16_EUlS15_E_NS1_11comp_targetILNS1_3genE10ELNS1_11target_archE1200ELNS1_3gpuE4ELNS1_3repE0EEENS1_30default_config_static_selectorELNS0_4arch9wavefront6targetE1EEEvT1_.uses_flat_scratch, 0
	.set _ZN7rocprim17ROCPRIM_400000_NS6detail17trampoline_kernelINS0_14default_configENS1_25partition_config_selectorILNS1_17partition_subalgoE8EtNS0_10empty_typeEbEEZZNS1_14partition_implILS5_8ELb0ES3_jN6thrust23THRUST_200600_302600_NS6detail15normal_iteratorINSA_10device_ptrItEEEEPS6_PKS6_NS0_5tupleIJSF_S6_EEENSJ_IJSG_SG_EEENS0_18inequality_wrapperI22is_equal_div_10_uniqueItEEEPmJS6_EEE10hipError_tPvRmT3_T4_T5_T6_T7_T9_mT8_P12ihipStream_tbDpT10_ENKUlT_T0_E_clISt17integral_constantIbLb1EES19_IbLb0EEEEDaS15_S16_EUlS15_E_NS1_11comp_targetILNS1_3genE10ELNS1_11target_archE1200ELNS1_3gpuE4ELNS1_3repE0EEENS1_30default_config_static_selectorELNS0_4arch9wavefront6targetE1EEEvT1_.has_dyn_sized_stack, 0
	.set _ZN7rocprim17ROCPRIM_400000_NS6detail17trampoline_kernelINS0_14default_configENS1_25partition_config_selectorILNS1_17partition_subalgoE8EtNS0_10empty_typeEbEEZZNS1_14partition_implILS5_8ELb0ES3_jN6thrust23THRUST_200600_302600_NS6detail15normal_iteratorINSA_10device_ptrItEEEEPS6_PKS6_NS0_5tupleIJSF_S6_EEENSJ_IJSG_SG_EEENS0_18inequality_wrapperI22is_equal_div_10_uniqueItEEEPmJS6_EEE10hipError_tPvRmT3_T4_T5_T6_T7_T9_mT8_P12ihipStream_tbDpT10_ENKUlT_T0_E_clISt17integral_constantIbLb1EES19_IbLb0EEEEDaS15_S16_EUlS15_E_NS1_11comp_targetILNS1_3genE10ELNS1_11target_archE1200ELNS1_3gpuE4ELNS1_3repE0EEENS1_30default_config_static_selectorELNS0_4arch9wavefront6targetE1EEEvT1_.has_recursion, 0
	.set _ZN7rocprim17ROCPRIM_400000_NS6detail17trampoline_kernelINS0_14default_configENS1_25partition_config_selectorILNS1_17partition_subalgoE8EtNS0_10empty_typeEbEEZZNS1_14partition_implILS5_8ELb0ES3_jN6thrust23THRUST_200600_302600_NS6detail15normal_iteratorINSA_10device_ptrItEEEEPS6_PKS6_NS0_5tupleIJSF_S6_EEENSJ_IJSG_SG_EEENS0_18inequality_wrapperI22is_equal_div_10_uniqueItEEEPmJS6_EEE10hipError_tPvRmT3_T4_T5_T6_T7_T9_mT8_P12ihipStream_tbDpT10_ENKUlT_T0_E_clISt17integral_constantIbLb1EES19_IbLb0EEEEDaS15_S16_EUlS15_E_NS1_11comp_targetILNS1_3genE10ELNS1_11target_archE1200ELNS1_3gpuE4ELNS1_3repE0EEENS1_30default_config_static_selectorELNS0_4arch9wavefront6targetE1EEEvT1_.has_indirect_call, 0
	.section	.AMDGPU.csdata,"",@progbits
; Kernel info:
; codeLenInByte = 0
; TotalNumSgprs: 4
; NumVgprs: 0
; ScratchSize: 0
; MemoryBound: 0
; FloatMode: 240
; IeeeMode: 1
; LDSByteSize: 0 bytes/workgroup (compile time only)
; SGPRBlocks: 0
; VGPRBlocks: 0
; NumSGPRsForWavesPerEU: 4
; NumVGPRsForWavesPerEU: 1
; Occupancy: 10
; WaveLimiterHint : 0
; COMPUTE_PGM_RSRC2:SCRATCH_EN: 0
; COMPUTE_PGM_RSRC2:USER_SGPR: 6
; COMPUTE_PGM_RSRC2:TRAP_HANDLER: 0
; COMPUTE_PGM_RSRC2:TGID_X_EN: 1
; COMPUTE_PGM_RSRC2:TGID_Y_EN: 0
; COMPUTE_PGM_RSRC2:TGID_Z_EN: 0
; COMPUTE_PGM_RSRC2:TIDIG_COMP_CNT: 0
	.section	.text._ZN7rocprim17ROCPRIM_400000_NS6detail17trampoline_kernelINS0_14default_configENS1_25partition_config_selectorILNS1_17partition_subalgoE8EtNS0_10empty_typeEbEEZZNS1_14partition_implILS5_8ELb0ES3_jN6thrust23THRUST_200600_302600_NS6detail15normal_iteratorINSA_10device_ptrItEEEEPS6_PKS6_NS0_5tupleIJSF_S6_EEENSJ_IJSG_SG_EEENS0_18inequality_wrapperI22is_equal_div_10_uniqueItEEEPmJS6_EEE10hipError_tPvRmT3_T4_T5_T6_T7_T9_mT8_P12ihipStream_tbDpT10_ENKUlT_T0_E_clISt17integral_constantIbLb1EES19_IbLb0EEEEDaS15_S16_EUlS15_E_NS1_11comp_targetILNS1_3genE9ELNS1_11target_archE1100ELNS1_3gpuE3ELNS1_3repE0EEENS1_30default_config_static_selectorELNS0_4arch9wavefront6targetE1EEEvT1_,"axG",@progbits,_ZN7rocprim17ROCPRIM_400000_NS6detail17trampoline_kernelINS0_14default_configENS1_25partition_config_selectorILNS1_17partition_subalgoE8EtNS0_10empty_typeEbEEZZNS1_14partition_implILS5_8ELb0ES3_jN6thrust23THRUST_200600_302600_NS6detail15normal_iteratorINSA_10device_ptrItEEEEPS6_PKS6_NS0_5tupleIJSF_S6_EEENSJ_IJSG_SG_EEENS0_18inequality_wrapperI22is_equal_div_10_uniqueItEEEPmJS6_EEE10hipError_tPvRmT3_T4_T5_T6_T7_T9_mT8_P12ihipStream_tbDpT10_ENKUlT_T0_E_clISt17integral_constantIbLb1EES19_IbLb0EEEEDaS15_S16_EUlS15_E_NS1_11comp_targetILNS1_3genE9ELNS1_11target_archE1100ELNS1_3gpuE3ELNS1_3repE0EEENS1_30default_config_static_selectorELNS0_4arch9wavefront6targetE1EEEvT1_,comdat
	.protected	_ZN7rocprim17ROCPRIM_400000_NS6detail17trampoline_kernelINS0_14default_configENS1_25partition_config_selectorILNS1_17partition_subalgoE8EtNS0_10empty_typeEbEEZZNS1_14partition_implILS5_8ELb0ES3_jN6thrust23THRUST_200600_302600_NS6detail15normal_iteratorINSA_10device_ptrItEEEEPS6_PKS6_NS0_5tupleIJSF_S6_EEENSJ_IJSG_SG_EEENS0_18inequality_wrapperI22is_equal_div_10_uniqueItEEEPmJS6_EEE10hipError_tPvRmT3_T4_T5_T6_T7_T9_mT8_P12ihipStream_tbDpT10_ENKUlT_T0_E_clISt17integral_constantIbLb1EES19_IbLb0EEEEDaS15_S16_EUlS15_E_NS1_11comp_targetILNS1_3genE9ELNS1_11target_archE1100ELNS1_3gpuE3ELNS1_3repE0EEENS1_30default_config_static_selectorELNS0_4arch9wavefront6targetE1EEEvT1_ ; -- Begin function _ZN7rocprim17ROCPRIM_400000_NS6detail17trampoline_kernelINS0_14default_configENS1_25partition_config_selectorILNS1_17partition_subalgoE8EtNS0_10empty_typeEbEEZZNS1_14partition_implILS5_8ELb0ES3_jN6thrust23THRUST_200600_302600_NS6detail15normal_iteratorINSA_10device_ptrItEEEEPS6_PKS6_NS0_5tupleIJSF_S6_EEENSJ_IJSG_SG_EEENS0_18inequality_wrapperI22is_equal_div_10_uniqueItEEEPmJS6_EEE10hipError_tPvRmT3_T4_T5_T6_T7_T9_mT8_P12ihipStream_tbDpT10_ENKUlT_T0_E_clISt17integral_constantIbLb1EES19_IbLb0EEEEDaS15_S16_EUlS15_E_NS1_11comp_targetILNS1_3genE9ELNS1_11target_archE1100ELNS1_3gpuE3ELNS1_3repE0EEENS1_30default_config_static_selectorELNS0_4arch9wavefront6targetE1EEEvT1_
	.globl	_ZN7rocprim17ROCPRIM_400000_NS6detail17trampoline_kernelINS0_14default_configENS1_25partition_config_selectorILNS1_17partition_subalgoE8EtNS0_10empty_typeEbEEZZNS1_14partition_implILS5_8ELb0ES3_jN6thrust23THRUST_200600_302600_NS6detail15normal_iteratorINSA_10device_ptrItEEEEPS6_PKS6_NS0_5tupleIJSF_S6_EEENSJ_IJSG_SG_EEENS0_18inequality_wrapperI22is_equal_div_10_uniqueItEEEPmJS6_EEE10hipError_tPvRmT3_T4_T5_T6_T7_T9_mT8_P12ihipStream_tbDpT10_ENKUlT_T0_E_clISt17integral_constantIbLb1EES19_IbLb0EEEEDaS15_S16_EUlS15_E_NS1_11comp_targetILNS1_3genE9ELNS1_11target_archE1100ELNS1_3gpuE3ELNS1_3repE0EEENS1_30default_config_static_selectorELNS0_4arch9wavefront6targetE1EEEvT1_
	.p2align	8
	.type	_ZN7rocprim17ROCPRIM_400000_NS6detail17trampoline_kernelINS0_14default_configENS1_25partition_config_selectorILNS1_17partition_subalgoE8EtNS0_10empty_typeEbEEZZNS1_14partition_implILS5_8ELb0ES3_jN6thrust23THRUST_200600_302600_NS6detail15normal_iteratorINSA_10device_ptrItEEEEPS6_PKS6_NS0_5tupleIJSF_S6_EEENSJ_IJSG_SG_EEENS0_18inequality_wrapperI22is_equal_div_10_uniqueItEEEPmJS6_EEE10hipError_tPvRmT3_T4_T5_T6_T7_T9_mT8_P12ihipStream_tbDpT10_ENKUlT_T0_E_clISt17integral_constantIbLb1EES19_IbLb0EEEEDaS15_S16_EUlS15_E_NS1_11comp_targetILNS1_3genE9ELNS1_11target_archE1100ELNS1_3gpuE3ELNS1_3repE0EEENS1_30default_config_static_selectorELNS0_4arch9wavefront6targetE1EEEvT1_,@function
_ZN7rocprim17ROCPRIM_400000_NS6detail17trampoline_kernelINS0_14default_configENS1_25partition_config_selectorILNS1_17partition_subalgoE8EtNS0_10empty_typeEbEEZZNS1_14partition_implILS5_8ELb0ES3_jN6thrust23THRUST_200600_302600_NS6detail15normal_iteratorINSA_10device_ptrItEEEEPS6_PKS6_NS0_5tupleIJSF_S6_EEENSJ_IJSG_SG_EEENS0_18inequality_wrapperI22is_equal_div_10_uniqueItEEEPmJS6_EEE10hipError_tPvRmT3_T4_T5_T6_T7_T9_mT8_P12ihipStream_tbDpT10_ENKUlT_T0_E_clISt17integral_constantIbLb1EES19_IbLb0EEEEDaS15_S16_EUlS15_E_NS1_11comp_targetILNS1_3genE9ELNS1_11target_archE1100ELNS1_3gpuE3ELNS1_3repE0EEENS1_30default_config_static_selectorELNS0_4arch9wavefront6targetE1EEEvT1_: ; @_ZN7rocprim17ROCPRIM_400000_NS6detail17trampoline_kernelINS0_14default_configENS1_25partition_config_selectorILNS1_17partition_subalgoE8EtNS0_10empty_typeEbEEZZNS1_14partition_implILS5_8ELb0ES3_jN6thrust23THRUST_200600_302600_NS6detail15normal_iteratorINSA_10device_ptrItEEEEPS6_PKS6_NS0_5tupleIJSF_S6_EEENSJ_IJSG_SG_EEENS0_18inequality_wrapperI22is_equal_div_10_uniqueItEEEPmJS6_EEE10hipError_tPvRmT3_T4_T5_T6_T7_T9_mT8_P12ihipStream_tbDpT10_ENKUlT_T0_E_clISt17integral_constantIbLb1EES19_IbLb0EEEEDaS15_S16_EUlS15_E_NS1_11comp_targetILNS1_3genE9ELNS1_11target_archE1100ELNS1_3gpuE3ELNS1_3repE0EEENS1_30default_config_static_selectorELNS0_4arch9wavefront6targetE1EEEvT1_
; %bb.0:
	.section	.rodata,"a",@progbits
	.p2align	6, 0x0
	.amdhsa_kernel _ZN7rocprim17ROCPRIM_400000_NS6detail17trampoline_kernelINS0_14default_configENS1_25partition_config_selectorILNS1_17partition_subalgoE8EtNS0_10empty_typeEbEEZZNS1_14partition_implILS5_8ELb0ES3_jN6thrust23THRUST_200600_302600_NS6detail15normal_iteratorINSA_10device_ptrItEEEEPS6_PKS6_NS0_5tupleIJSF_S6_EEENSJ_IJSG_SG_EEENS0_18inequality_wrapperI22is_equal_div_10_uniqueItEEEPmJS6_EEE10hipError_tPvRmT3_T4_T5_T6_T7_T9_mT8_P12ihipStream_tbDpT10_ENKUlT_T0_E_clISt17integral_constantIbLb1EES19_IbLb0EEEEDaS15_S16_EUlS15_E_NS1_11comp_targetILNS1_3genE9ELNS1_11target_archE1100ELNS1_3gpuE3ELNS1_3repE0EEENS1_30default_config_static_selectorELNS0_4arch9wavefront6targetE1EEEvT1_
		.amdhsa_group_segment_fixed_size 0
		.amdhsa_private_segment_fixed_size 0
		.amdhsa_kernarg_size 112
		.amdhsa_user_sgpr_count 6
		.amdhsa_user_sgpr_private_segment_buffer 1
		.amdhsa_user_sgpr_dispatch_ptr 0
		.amdhsa_user_sgpr_queue_ptr 0
		.amdhsa_user_sgpr_kernarg_segment_ptr 1
		.amdhsa_user_sgpr_dispatch_id 0
		.amdhsa_user_sgpr_flat_scratch_init 0
		.amdhsa_user_sgpr_private_segment_size 0
		.amdhsa_uses_dynamic_stack 0
		.amdhsa_system_sgpr_private_segment_wavefront_offset 0
		.amdhsa_system_sgpr_workgroup_id_x 1
		.amdhsa_system_sgpr_workgroup_id_y 0
		.amdhsa_system_sgpr_workgroup_id_z 0
		.amdhsa_system_sgpr_workgroup_info 0
		.amdhsa_system_vgpr_workitem_id 0
		.amdhsa_next_free_vgpr 1
		.amdhsa_next_free_sgpr 0
		.amdhsa_reserve_vcc 0
		.amdhsa_reserve_flat_scratch 0
		.amdhsa_float_round_mode_32 0
		.amdhsa_float_round_mode_16_64 0
		.amdhsa_float_denorm_mode_32 3
		.amdhsa_float_denorm_mode_16_64 3
		.amdhsa_dx10_clamp 1
		.amdhsa_ieee_mode 1
		.amdhsa_fp16_overflow 0
		.amdhsa_exception_fp_ieee_invalid_op 0
		.amdhsa_exception_fp_denorm_src 0
		.amdhsa_exception_fp_ieee_div_zero 0
		.amdhsa_exception_fp_ieee_overflow 0
		.amdhsa_exception_fp_ieee_underflow 0
		.amdhsa_exception_fp_ieee_inexact 0
		.amdhsa_exception_int_div_zero 0
	.end_amdhsa_kernel
	.section	.text._ZN7rocprim17ROCPRIM_400000_NS6detail17trampoline_kernelINS0_14default_configENS1_25partition_config_selectorILNS1_17partition_subalgoE8EtNS0_10empty_typeEbEEZZNS1_14partition_implILS5_8ELb0ES3_jN6thrust23THRUST_200600_302600_NS6detail15normal_iteratorINSA_10device_ptrItEEEEPS6_PKS6_NS0_5tupleIJSF_S6_EEENSJ_IJSG_SG_EEENS0_18inequality_wrapperI22is_equal_div_10_uniqueItEEEPmJS6_EEE10hipError_tPvRmT3_T4_T5_T6_T7_T9_mT8_P12ihipStream_tbDpT10_ENKUlT_T0_E_clISt17integral_constantIbLb1EES19_IbLb0EEEEDaS15_S16_EUlS15_E_NS1_11comp_targetILNS1_3genE9ELNS1_11target_archE1100ELNS1_3gpuE3ELNS1_3repE0EEENS1_30default_config_static_selectorELNS0_4arch9wavefront6targetE1EEEvT1_,"axG",@progbits,_ZN7rocprim17ROCPRIM_400000_NS6detail17trampoline_kernelINS0_14default_configENS1_25partition_config_selectorILNS1_17partition_subalgoE8EtNS0_10empty_typeEbEEZZNS1_14partition_implILS5_8ELb0ES3_jN6thrust23THRUST_200600_302600_NS6detail15normal_iteratorINSA_10device_ptrItEEEEPS6_PKS6_NS0_5tupleIJSF_S6_EEENSJ_IJSG_SG_EEENS0_18inequality_wrapperI22is_equal_div_10_uniqueItEEEPmJS6_EEE10hipError_tPvRmT3_T4_T5_T6_T7_T9_mT8_P12ihipStream_tbDpT10_ENKUlT_T0_E_clISt17integral_constantIbLb1EES19_IbLb0EEEEDaS15_S16_EUlS15_E_NS1_11comp_targetILNS1_3genE9ELNS1_11target_archE1100ELNS1_3gpuE3ELNS1_3repE0EEENS1_30default_config_static_selectorELNS0_4arch9wavefront6targetE1EEEvT1_,comdat
.Lfunc_end329:
	.size	_ZN7rocprim17ROCPRIM_400000_NS6detail17trampoline_kernelINS0_14default_configENS1_25partition_config_selectorILNS1_17partition_subalgoE8EtNS0_10empty_typeEbEEZZNS1_14partition_implILS5_8ELb0ES3_jN6thrust23THRUST_200600_302600_NS6detail15normal_iteratorINSA_10device_ptrItEEEEPS6_PKS6_NS0_5tupleIJSF_S6_EEENSJ_IJSG_SG_EEENS0_18inequality_wrapperI22is_equal_div_10_uniqueItEEEPmJS6_EEE10hipError_tPvRmT3_T4_T5_T6_T7_T9_mT8_P12ihipStream_tbDpT10_ENKUlT_T0_E_clISt17integral_constantIbLb1EES19_IbLb0EEEEDaS15_S16_EUlS15_E_NS1_11comp_targetILNS1_3genE9ELNS1_11target_archE1100ELNS1_3gpuE3ELNS1_3repE0EEENS1_30default_config_static_selectorELNS0_4arch9wavefront6targetE1EEEvT1_, .Lfunc_end329-_ZN7rocprim17ROCPRIM_400000_NS6detail17trampoline_kernelINS0_14default_configENS1_25partition_config_selectorILNS1_17partition_subalgoE8EtNS0_10empty_typeEbEEZZNS1_14partition_implILS5_8ELb0ES3_jN6thrust23THRUST_200600_302600_NS6detail15normal_iteratorINSA_10device_ptrItEEEEPS6_PKS6_NS0_5tupleIJSF_S6_EEENSJ_IJSG_SG_EEENS0_18inequality_wrapperI22is_equal_div_10_uniqueItEEEPmJS6_EEE10hipError_tPvRmT3_T4_T5_T6_T7_T9_mT8_P12ihipStream_tbDpT10_ENKUlT_T0_E_clISt17integral_constantIbLb1EES19_IbLb0EEEEDaS15_S16_EUlS15_E_NS1_11comp_targetILNS1_3genE9ELNS1_11target_archE1100ELNS1_3gpuE3ELNS1_3repE0EEENS1_30default_config_static_selectorELNS0_4arch9wavefront6targetE1EEEvT1_
                                        ; -- End function
	.set _ZN7rocprim17ROCPRIM_400000_NS6detail17trampoline_kernelINS0_14default_configENS1_25partition_config_selectorILNS1_17partition_subalgoE8EtNS0_10empty_typeEbEEZZNS1_14partition_implILS5_8ELb0ES3_jN6thrust23THRUST_200600_302600_NS6detail15normal_iteratorINSA_10device_ptrItEEEEPS6_PKS6_NS0_5tupleIJSF_S6_EEENSJ_IJSG_SG_EEENS0_18inequality_wrapperI22is_equal_div_10_uniqueItEEEPmJS6_EEE10hipError_tPvRmT3_T4_T5_T6_T7_T9_mT8_P12ihipStream_tbDpT10_ENKUlT_T0_E_clISt17integral_constantIbLb1EES19_IbLb0EEEEDaS15_S16_EUlS15_E_NS1_11comp_targetILNS1_3genE9ELNS1_11target_archE1100ELNS1_3gpuE3ELNS1_3repE0EEENS1_30default_config_static_selectorELNS0_4arch9wavefront6targetE1EEEvT1_.num_vgpr, 0
	.set _ZN7rocprim17ROCPRIM_400000_NS6detail17trampoline_kernelINS0_14default_configENS1_25partition_config_selectorILNS1_17partition_subalgoE8EtNS0_10empty_typeEbEEZZNS1_14partition_implILS5_8ELb0ES3_jN6thrust23THRUST_200600_302600_NS6detail15normal_iteratorINSA_10device_ptrItEEEEPS6_PKS6_NS0_5tupleIJSF_S6_EEENSJ_IJSG_SG_EEENS0_18inequality_wrapperI22is_equal_div_10_uniqueItEEEPmJS6_EEE10hipError_tPvRmT3_T4_T5_T6_T7_T9_mT8_P12ihipStream_tbDpT10_ENKUlT_T0_E_clISt17integral_constantIbLb1EES19_IbLb0EEEEDaS15_S16_EUlS15_E_NS1_11comp_targetILNS1_3genE9ELNS1_11target_archE1100ELNS1_3gpuE3ELNS1_3repE0EEENS1_30default_config_static_selectorELNS0_4arch9wavefront6targetE1EEEvT1_.num_agpr, 0
	.set _ZN7rocprim17ROCPRIM_400000_NS6detail17trampoline_kernelINS0_14default_configENS1_25partition_config_selectorILNS1_17partition_subalgoE8EtNS0_10empty_typeEbEEZZNS1_14partition_implILS5_8ELb0ES3_jN6thrust23THRUST_200600_302600_NS6detail15normal_iteratorINSA_10device_ptrItEEEEPS6_PKS6_NS0_5tupleIJSF_S6_EEENSJ_IJSG_SG_EEENS0_18inequality_wrapperI22is_equal_div_10_uniqueItEEEPmJS6_EEE10hipError_tPvRmT3_T4_T5_T6_T7_T9_mT8_P12ihipStream_tbDpT10_ENKUlT_T0_E_clISt17integral_constantIbLb1EES19_IbLb0EEEEDaS15_S16_EUlS15_E_NS1_11comp_targetILNS1_3genE9ELNS1_11target_archE1100ELNS1_3gpuE3ELNS1_3repE0EEENS1_30default_config_static_selectorELNS0_4arch9wavefront6targetE1EEEvT1_.numbered_sgpr, 0
	.set _ZN7rocprim17ROCPRIM_400000_NS6detail17trampoline_kernelINS0_14default_configENS1_25partition_config_selectorILNS1_17partition_subalgoE8EtNS0_10empty_typeEbEEZZNS1_14partition_implILS5_8ELb0ES3_jN6thrust23THRUST_200600_302600_NS6detail15normal_iteratorINSA_10device_ptrItEEEEPS6_PKS6_NS0_5tupleIJSF_S6_EEENSJ_IJSG_SG_EEENS0_18inequality_wrapperI22is_equal_div_10_uniqueItEEEPmJS6_EEE10hipError_tPvRmT3_T4_T5_T6_T7_T9_mT8_P12ihipStream_tbDpT10_ENKUlT_T0_E_clISt17integral_constantIbLb1EES19_IbLb0EEEEDaS15_S16_EUlS15_E_NS1_11comp_targetILNS1_3genE9ELNS1_11target_archE1100ELNS1_3gpuE3ELNS1_3repE0EEENS1_30default_config_static_selectorELNS0_4arch9wavefront6targetE1EEEvT1_.num_named_barrier, 0
	.set _ZN7rocprim17ROCPRIM_400000_NS6detail17trampoline_kernelINS0_14default_configENS1_25partition_config_selectorILNS1_17partition_subalgoE8EtNS0_10empty_typeEbEEZZNS1_14partition_implILS5_8ELb0ES3_jN6thrust23THRUST_200600_302600_NS6detail15normal_iteratorINSA_10device_ptrItEEEEPS6_PKS6_NS0_5tupleIJSF_S6_EEENSJ_IJSG_SG_EEENS0_18inequality_wrapperI22is_equal_div_10_uniqueItEEEPmJS6_EEE10hipError_tPvRmT3_T4_T5_T6_T7_T9_mT8_P12ihipStream_tbDpT10_ENKUlT_T0_E_clISt17integral_constantIbLb1EES19_IbLb0EEEEDaS15_S16_EUlS15_E_NS1_11comp_targetILNS1_3genE9ELNS1_11target_archE1100ELNS1_3gpuE3ELNS1_3repE0EEENS1_30default_config_static_selectorELNS0_4arch9wavefront6targetE1EEEvT1_.private_seg_size, 0
	.set _ZN7rocprim17ROCPRIM_400000_NS6detail17trampoline_kernelINS0_14default_configENS1_25partition_config_selectorILNS1_17partition_subalgoE8EtNS0_10empty_typeEbEEZZNS1_14partition_implILS5_8ELb0ES3_jN6thrust23THRUST_200600_302600_NS6detail15normal_iteratorINSA_10device_ptrItEEEEPS6_PKS6_NS0_5tupleIJSF_S6_EEENSJ_IJSG_SG_EEENS0_18inequality_wrapperI22is_equal_div_10_uniqueItEEEPmJS6_EEE10hipError_tPvRmT3_T4_T5_T6_T7_T9_mT8_P12ihipStream_tbDpT10_ENKUlT_T0_E_clISt17integral_constantIbLb1EES19_IbLb0EEEEDaS15_S16_EUlS15_E_NS1_11comp_targetILNS1_3genE9ELNS1_11target_archE1100ELNS1_3gpuE3ELNS1_3repE0EEENS1_30default_config_static_selectorELNS0_4arch9wavefront6targetE1EEEvT1_.uses_vcc, 0
	.set _ZN7rocprim17ROCPRIM_400000_NS6detail17trampoline_kernelINS0_14default_configENS1_25partition_config_selectorILNS1_17partition_subalgoE8EtNS0_10empty_typeEbEEZZNS1_14partition_implILS5_8ELb0ES3_jN6thrust23THRUST_200600_302600_NS6detail15normal_iteratorINSA_10device_ptrItEEEEPS6_PKS6_NS0_5tupleIJSF_S6_EEENSJ_IJSG_SG_EEENS0_18inequality_wrapperI22is_equal_div_10_uniqueItEEEPmJS6_EEE10hipError_tPvRmT3_T4_T5_T6_T7_T9_mT8_P12ihipStream_tbDpT10_ENKUlT_T0_E_clISt17integral_constantIbLb1EES19_IbLb0EEEEDaS15_S16_EUlS15_E_NS1_11comp_targetILNS1_3genE9ELNS1_11target_archE1100ELNS1_3gpuE3ELNS1_3repE0EEENS1_30default_config_static_selectorELNS0_4arch9wavefront6targetE1EEEvT1_.uses_flat_scratch, 0
	.set _ZN7rocprim17ROCPRIM_400000_NS6detail17trampoline_kernelINS0_14default_configENS1_25partition_config_selectorILNS1_17partition_subalgoE8EtNS0_10empty_typeEbEEZZNS1_14partition_implILS5_8ELb0ES3_jN6thrust23THRUST_200600_302600_NS6detail15normal_iteratorINSA_10device_ptrItEEEEPS6_PKS6_NS0_5tupleIJSF_S6_EEENSJ_IJSG_SG_EEENS0_18inequality_wrapperI22is_equal_div_10_uniqueItEEEPmJS6_EEE10hipError_tPvRmT3_T4_T5_T6_T7_T9_mT8_P12ihipStream_tbDpT10_ENKUlT_T0_E_clISt17integral_constantIbLb1EES19_IbLb0EEEEDaS15_S16_EUlS15_E_NS1_11comp_targetILNS1_3genE9ELNS1_11target_archE1100ELNS1_3gpuE3ELNS1_3repE0EEENS1_30default_config_static_selectorELNS0_4arch9wavefront6targetE1EEEvT1_.has_dyn_sized_stack, 0
	.set _ZN7rocprim17ROCPRIM_400000_NS6detail17trampoline_kernelINS0_14default_configENS1_25partition_config_selectorILNS1_17partition_subalgoE8EtNS0_10empty_typeEbEEZZNS1_14partition_implILS5_8ELb0ES3_jN6thrust23THRUST_200600_302600_NS6detail15normal_iteratorINSA_10device_ptrItEEEEPS6_PKS6_NS0_5tupleIJSF_S6_EEENSJ_IJSG_SG_EEENS0_18inequality_wrapperI22is_equal_div_10_uniqueItEEEPmJS6_EEE10hipError_tPvRmT3_T4_T5_T6_T7_T9_mT8_P12ihipStream_tbDpT10_ENKUlT_T0_E_clISt17integral_constantIbLb1EES19_IbLb0EEEEDaS15_S16_EUlS15_E_NS1_11comp_targetILNS1_3genE9ELNS1_11target_archE1100ELNS1_3gpuE3ELNS1_3repE0EEENS1_30default_config_static_selectorELNS0_4arch9wavefront6targetE1EEEvT1_.has_recursion, 0
	.set _ZN7rocprim17ROCPRIM_400000_NS6detail17trampoline_kernelINS0_14default_configENS1_25partition_config_selectorILNS1_17partition_subalgoE8EtNS0_10empty_typeEbEEZZNS1_14partition_implILS5_8ELb0ES3_jN6thrust23THRUST_200600_302600_NS6detail15normal_iteratorINSA_10device_ptrItEEEEPS6_PKS6_NS0_5tupleIJSF_S6_EEENSJ_IJSG_SG_EEENS0_18inequality_wrapperI22is_equal_div_10_uniqueItEEEPmJS6_EEE10hipError_tPvRmT3_T4_T5_T6_T7_T9_mT8_P12ihipStream_tbDpT10_ENKUlT_T0_E_clISt17integral_constantIbLb1EES19_IbLb0EEEEDaS15_S16_EUlS15_E_NS1_11comp_targetILNS1_3genE9ELNS1_11target_archE1100ELNS1_3gpuE3ELNS1_3repE0EEENS1_30default_config_static_selectorELNS0_4arch9wavefront6targetE1EEEvT1_.has_indirect_call, 0
	.section	.AMDGPU.csdata,"",@progbits
; Kernel info:
; codeLenInByte = 0
; TotalNumSgprs: 4
; NumVgprs: 0
; ScratchSize: 0
; MemoryBound: 0
; FloatMode: 240
; IeeeMode: 1
; LDSByteSize: 0 bytes/workgroup (compile time only)
; SGPRBlocks: 0
; VGPRBlocks: 0
; NumSGPRsForWavesPerEU: 4
; NumVGPRsForWavesPerEU: 1
; Occupancy: 10
; WaveLimiterHint : 0
; COMPUTE_PGM_RSRC2:SCRATCH_EN: 0
; COMPUTE_PGM_RSRC2:USER_SGPR: 6
; COMPUTE_PGM_RSRC2:TRAP_HANDLER: 0
; COMPUTE_PGM_RSRC2:TGID_X_EN: 1
; COMPUTE_PGM_RSRC2:TGID_Y_EN: 0
; COMPUTE_PGM_RSRC2:TGID_Z_EN: 0
; COMPUTE_PGM_RSRC2:TIDIG_COMP_CNT: 0
	.section	.text._ZN7rocprim17ROCPRIM_400000_NS6detail17trampoline_kernelINS0_14default_configENS1_25partition_config_selectorILNS1_17partition_subalgoE8EtNS0_10empty_typeEbEEZZNS1_14partition_implILS5_8ELb0ES3_jN6thrust23THRUST_200600_302600_NS6detail15normal_iteratorINSA_10device_ptrItEEEEPS6_PKS6_NS0_5tupleIJSF_S6_EEENSJ_IJSG_SG_EEENS0_18inequality_wrapperI22is_equal_div_10_uniqueItEEEPmJS6_EEE10hipError_tPvRmT3_T4_T5_T6_T7_T9_mT8_P12ihipStream_tbDpT10_ENKUlT_T0_E_clISt17integral_constantIbLb1EES19_IbLb0EEEEDaS15_S16_EUlS15_E_NS1_11comp_targetILNS1_3genE8ELNS1_11target_archE1030ELNS1_3gpuE2ELNS1_3repE0EEENS1_30default_config_static_selectorELNS0_4arch9wavefront6targetE1EEEvT1_,"axG",@progbits,_ZN7rocprim17ROCPRIM_400000_NS6detail17trampoline_kernelINS0_14default_configENS1_25partition_config_selectorILNS1_17partition_subalgoE8EtNS0_10empty_typeEbEEZZNS1_14partition_implILS5_8ELb0ES3_jN6thrust23THRUST_200600_302600_NS6detail15normal_iteratorINSA_10device_ptrItEEEEPS6_PKS6_NS0_5tupleIJSF_S6_EEENSJ_IJSG_SG_EEENS0_18inequality_wrapperI22is_equal_div_10_uniqueItEEEPmJS6_EEE10hipError_tPvRmT3_T4_T5_T6_T7_T9_mT8_P12ihipStream_tbDpT10_ENKUlT_T0_E_clISt17integral_constantIbLb1EES19_IbLb0EEEEDaS15_S16_EUlS15_E_NS1_11comp_targetILNS1_3genE8ELNS1_11target_archE1030ELNS1_3gpuE2ELNS1_3repE0EEENS1_30default_config_static_selectorELNS0_4arch9wavefront6targetE1EEEvT1_,comdat
	.protected	_ZN7rocprim17ROCPRIM_400000_NS6detail17trampoline_kernelINS0_14default_configENS1_25partition_config_selectorILNS1_17partition_subalgoE8EtNS0_10empty_typeEbEEZZNS1_14partition_implILS5_8ELb0ES3_jN6thrust23THRUST_200600_302600_NS6detail15normal_iteratorINSA_10device_ptrItEEEEPS6_PKS6_NS0_5tupleIJSF_S6_EEENSJ_IJSG_SG_EEENS0_18inequality_wrapperI22is_equal_div_10_uniqueItEEEPmJS6_EEE10hipError_tPvRmT3_T4_T5_T6_T7_T9_mT8_P12ihipStream_tbDpT10_ENKUlT_T0_E_clISt17integral_constantIbLb1EES19_IbLb0EEEEDaS15_S16_EUlS15_E_NS1_11comp_targetILNS1_3genE8ELNS1_11target_archE1030ELNS1_3gpuE2ELNS1_3repE0EEENS1_30default_config_static_selectorELNS0_4arch9wavefront6targetE1EEEvT1_ ; -- Begin function _ZN7rocprim17ROCPRIM_400000_NS6detail17trampoline_kernelINS0_14default_configENS1_25partition_config_selectorILNS1_17partition_subalgoE8EtNS0_10empty_typeEbEEZZNS1_14partition_implILS5_8ELb0ES3_jN6thrust23THRUST_200600_302600_NS6detail15normal_iteratorINSA_10device_ptrItEEEEPS6_PKS6_NS0_5tupleIJSF_S6_EEENSJ_IJSG_SG_EEENS0_18inequality_wrapperI22is_equal_div_10_uniqueItEEEPmJS6_EEE10hipError_tPvRmT3_T4_T5_T6_T7_T9_mT8_P12ihipStream_tbDpT10_ENKUlT_T0_E_clISt17integral_constantIbLb1EES19_IbLb0EEEEDaS15_S16_EUlS15_E_NS1_11comp_targetILNS1_3genE8ELNS1_11target_archE1030ELNS1_3gpuE2ELNS1_3repE0EEENS1_30default_config_static_selectorELNS0_4arch9wavefront6targetE1EEEvT1_
	.globl	_ZN7rocprim17ROCPRIM_400000_NS6detail17trampoline_kernelINS0_14default_configENS1_25partition_config_selectorILNS1_17partition_subalgoE8EtNS0_10empty_typeEbEEZZNS1_14partition_implILS5_8ELb0ES3_jN6thrust23THRUST_200600_302600_NS6detail15normal_iteratorINSA_10device_ptrItEEEEPS6_PKS6_NS0_5tupleIJSF_S6_EEENSJ_IJSG_SG_EEENS0_18inequality_wrapperI22is_equal_div_10_uniqueItEEEPmJS6_EEE10hipError_tPvRmT3_T4_T5_T6_T7_T9_mT8_P12ihipStream_tbDpT10_ENKUlT_T0_E_clISt17integral_constantIbLb1EES19_IbLb0EEEEDaS15_S16_EUlS15_E_NS1_11comp_targetILNS1_3genE8ELNS1_11target_archE1030ELNS1_3gpuE2ELNS1_3repE0EEENS1_30default_config_static_selectorELNS0_4arch9wavefront6targetE1EEEvT1_
	.p2align	8
	.type	_ZN7rocprim17ROCPRIM_400000_NS6detail17trampoline_kernelINS0_14default_configENS1_25partition_config_selectorILNS1_17partition_subalgoE8EtNS0_10empty_typeEbEEZZNS1_14partition_implILS5_8ELb0ES3_jN6thrust23THRUST_200600_302600_NS6detail15normal_iteratorINSA_10device_ptrItEEEEPS6_PKS6_NS0_5tupleIJSF_S6_EEENSJ_IJSG_SG_EEENS0_18inequality_wrapperI22is_equal_div_10_uniqueItEEEPmJS6_EEE10hipError_tPvRmT3_T4_T5_T6_T7_T9_mT8_P12ihipStream_tbDpT10_ENKUlT_T0_E_clISt17integral_constantIbLb1EES19_IbLb0EEEEDaS15_S16_EUlS15_E_NS1_11comp_targetILNS1_3genE8ELNS1_11target_archE1030ELNS1_3gpuE2ELNS1_3repE0EEENS1_30default_config_static_selectorELNS0_4arch9wavefront6targetE1EEEvT1_,@function
_ZN7rocprim17ROCPRIM_400000_NS6detail17trampoline_kernelINS0_14default_configENS1_25partition_config_selectorILNS1_17partition_subalgoE8EtNS0_10empty_typeEbEEZZNS1_14partition_implILS5_8ELb0ES3_jN6thrust23THRUST_200600_302600_NS6detail15normal_iteratorINSA_10device_ptrItEEEEPS6_PKS6_NS0_5tupleIJSF_S6_EEENSJ_IJSG_SG_EEENS0_18inequality_wrapperI22is_equal_div_10_uniqueItEEEPmJS6_EEE10hipError_tPvRmT3_T4_T5_T6_T7_T9_mT8_P12ihipStream_tbDpT10_ENKUlT_T0_E_clISt17integral_constantIbLb1EES19_IbLb0EEEEDaS15_S16_EUlS15_E_NS1_11comp_targetILNS1_3genE8ELNS1_11target_archE1030ELNS1_3gpuE2ELNS1_3repE0EEENS1_30default_config_static_selectorELNS0_4arch9wavefront6targetE1EEEvT1_: ; @_ZN7rocprim17ROCPRIM_400000_NS6detail17trampoline_kernelINS0_14default_configENS1_25partition_config_selectorILNS1_17partition_subalgoE8EtNS0_10empty_typeEbEEZZNS1_14partition_implILS5_8ELb0ES3_jN6thrust23THRUST_200600_302600_NS6detail15normal_iteratorINSA_10device_ptrItEEEEPS6_PKS6_NS0_5tupleIJSF_S6_EEENSJ_IJSG_SG_EEENS0_18inequality_wrapperI22is_equal_div_10_uniqueItEEEPmJS6_EEE10hipError_tPvRmT3_T4_T5_T6_T7_T9_mT8_P12ihipStream_tbDpT10_ENKUlT_T0_E_clISt17integral_constantIbLb1EES19_IbLb0EEEEDaS15_S16_EUlS15_E_NS1_11comp_targetILNS1_3genE8ELNS1_11target_archE1030ELNS1_3gpuE2ELNS1_3repE0EEENS1_30default_config_static_selectorELNS0_4arch9wavefront6targetE1EEEvT1_
; %bb.0:
	.section	.rodata,"a",@progbits
	.p2align	6, 0x0
	.amdhsa_kernel _ZN7rocprim17ROCPRIM_400000_NS6detail17trampoline_kernelINS0_14default_configENS1_25partition_config_selectorILNS1_17partition_subalgoE8EtNS0_10empty_typeEbEEZZNS1_14partition_implILS5_8ELb0ES3_jN6thrust23THRUST_200600_302600_NS6detail15normal_iteratorINSA_10device_ptrItEEEEPS6_PKS6_NS0_5tupleIJSF_S6_EEENSJ_IJSG_SG_EEENS0_18inequality_wrapperI22is_equal_div_10_uniqueItEEEPmJS6_EEE10hipError_tPvRmT3_T4_T5_T6_T7_T9_mT8_P12ihipStream_tbDpT10_ENKUlT_T0_E_clISt17integral_constantIbLb1EES19_IbLb0EEEEDaS15_S16_EUlS15_E_NS1_11comp_targetILNS1_3genE8ELNS1_11target_archE1030ELNS1_3gpuE2ELNS1_3repE0EEENS1_30default_config_static_selectorELNS0_4arch9wavefront6targetE1EEEvT1_
		.amdhsa_group_segment_fixed_size 0
		.amdhsa_private_segment_fixed_size 0
		.amdhsa_kernarg_size 112
		.amdhsa_user_sgpr_count 6
		.amdhsa_user_sgpr_private_segment_buffer 1
		.amdhsa_user_sgpr_dispatch_ptr 0
		.amdhsa_user_sgpr_queue_ptr 0
		.amdhsa_user_sgpr_kernarg_segment_ptr 1
		.amdhsa_user_sgpr_dispatch_id 0
		.amdhsa_user_sgpr_flat_scratch_init 0
		.amdhsa_user_sgpr_private_segment_size 0
		.amdhsa_uses_dynamic_stack 0
		.amdhsa_system_sgpr_private_segment_wavefront_offset 0
		.amdhsa_system_sgpr_workgroup_id_x 1
		.amdhsa_system_sgpr_workgroup_id_y 0
		.amdhsa_system_sgpr_workgroup_id_z 0
		.amdhsa_system_sgpr_workgroup_info 0
		.amdhsa_system_vgpr_workitem_id 0
		.amdhsa_next_free_vgpr 1
		.amdhsa_next_free_sgpr 0
		.amdhsa_reserve_vcc 0
		.amdhsa_reserve_flat_scratch 0
		.amdhsa_float_round_mode_32 0
		.amdhsa_float_round_mode_16_64 0
		.amdhsa_float_denorm_mode_32 3
		.amdhsa_float_denorm_mode_16_64 3
		.amdhsa_dx10_clamp 1
		.amdhsa_ieee_mode 1
		.amdhsa_fp16_overflow 0
		.amdhsa_exception_fp_ieee_invalid_op 0
		.amdhsa_exception_fp_denorm_src 0
		.amdhsa_exception_fp_ieee_div_zero 0
		.amdhsa_exception_fp_ieee_overflow 0
		.amdhsa_exception_fp_ieee_underflow 0
		.amdhsa_exception_fp_ieee_inexact 0
		.amdhsa_exception_int_div_zero 0
	.end_amdhsa_kernel
	.section	.text._ZN7rocprim17ROCPRIM_400000_NS6detail17trampoline_kernelINS0_14default_configENS1_25partition_config_selectorILNS1_17partition_subalgoE8EtNS0_10empty_typeEbEEZZNS1_14partition_implILS5_8ELb0ES3_jN6thrust23THRUST_200600_302600_NS6detail15normal_iteratorINSA_10device_ptrItEEEEPS6_PKS6_NS0_5tupleIJSF_S6_EEENSJ_IJSG_SG_EEENS0_18inequality_wrapperI22is_equal_div_10_uniqueItEEEPmJS6_EEE10hipError_tPvRmT3_T4_T5_T6_T7_T9_mT8_P12ihipStream_tbDpT10_ENKUlT_T0_E_clISt17integral_constantIbLb1EES19_IbLb0EEEEDaS15_S16_EUlS15_E_NS1_11comp_targetILNS1_3genE8ELNS1_11target_archE1030ELNS1_3gpuE2ELNS1_3repE0EEENS1_30default_config_static_selectorELNS0_4arch9wavefront6targetE1EEEvT1_,"axG",@progbits,_ZN7rocprim17ROCPRIM_400000_NS6detail17trampoline_kernelINS0_14default_configENS1_25partition_config_selectorILNS1_17partition_subalgoE8EtNS0_10empty_typeEbEEZZNS1_14partition_implILS5_8ELb0ES3_jN6thrust23THRUST_200600_302600_NS6detail15normal_iteratorINSA_10device_ptrItEEEEPS6_PKS6_NS0_5tupleIJSF_S6_EEENSJ_IJSG_SG_EEENS0_18inequality_wrapperI22is_equal_div_10_uniqueItEEEPmJS6_EEE10hipError_tPvRmT3_T4_T5_T6_T7_T9_mT8_P12ihipStream_tbDpT10_ENKUlT_T0_E_clISt17integral_constantIbLb1EES19_IbLb0EEEEDaS15_S16_EUlS15_E_NS1_11comp_targetILNS1_3genE8ELNS1_11target_archE1030ELNS1_3gpuE2ELNS1_3repE0EEENS1_30default_config_static_selectorELNS0_4arch9wavefront6targetE1EEEvT1_,comdat
.Lfunc_end330:
	.size	_ZN7rocprim17ROCPRIM_400000_NS6detail17trampoline_kernelINS0_14default_configENS1_25partition_config_selectorILNS1_17partition_subalgoE8EtNS0_10empty_typeEbEEZZNS1_14partition_implILS5_8ELb0ES3_jN6thrust23THRUST_200600_302600_NS6detail15normal_iteratorINSA_10device_ptrItEEEEPS6_PKS6_NS0_5tupleIJSF_S6_EEENSJ_IJSG_SG_EEENS0_18inequality_wrapperI22is_equal_div_10_uniqueItEEEPmJS6_EEE10hipError_tPvRmT3_T4_T5_T6_T7_T9_mT8_P12ihipStream_tbDpT10_ENKUlT_T0_E_clISt17integral_constantIbLb1EES19_IbLb0EEEEDaS15_S16_EUlS15_E_NS1_11comp_targetILNS1_3genE8ELNS1_11target_archE1030ELNS1_3gpuE2ELNS1_3repE0EEENS1_30default_config_static_selectorELNS0_4arch9wavefront6targetE1EEEvT1_, .Lfunc_end330-_ZN7rocprim17ROCPRIM_400000_NS6detail17trampoline_kernelINS0_14default_configENS1_25partition_config_selectorILNS1_17partition_subalgoE8EtNS0_10empty_typeEbEEZZNS1_14partition_implILS5_8ELb0ES3_jN6thrust23THRUST_200600_302600_NS6detail15normal_iteratorINSA_10device_ptrItEEEEPS6_PKS6_NS0_5tupleIJSF_S6_EEENSJ_IJSG_SG_EEENS0_18inequality_wrapperI22is_equal_div_10_uniqueItEEEPmJS6_EEE10hipError_tPvRmT3_T4_T5_T6_T7_T9_mT8_P12ihipStream_tbDpT10_ENKUlT_T0_E_clISt17integral_constantIbLb1EES19_IbLb0EEEEDaS15_S16_EUlS15_E_NS1_11comp_targetILNS1_3genE8ELNS1_11target_archE1030ELNS1_3gpuE2ELNS1_3repE0EEENS1_30default_config_static_selectorELNS0_4arch9wavefront6targetE1EEEvT1_
                                        ; -- End function
	.set _ZN7rocprim17ROCPRIM_400000_NS6detail17trampoline_kernelINS0_14default_configENS1_25partition_config_selectorILNS1_17partition_subalgoE8EtNS0_10empty_typeEbEEZZNS1_14partition_implILS5_8ELb0ES3_jN6thrust23THRUST_200600_302600_NS6detail15normal_iteratorINSA_10device_ptrItEEEEPS6_PKS6_NS0_5tupleIJSF_S6_EEENSJ_IJSG_SG_EEENS0_18inequality_wrapperI22is_equal_div_10_uniqueItEEEPmJS6_EEE10hipError_tPvRmT3_T4_T5_T6_T7_T9_mT8_P12ihipStream_tbDpT10_ENKUlT_T0_E_clISt17integral_constantIbLb1EES19_IbLb0EEEEDaS15_S16_EUlS15_E_NS1_11comp_targetILNS1_3genE8ELNS1_11target_archE1030ELNS1_3gpuE2ELNS1_3repE0EEENS1_30default_config_static_selectorELNS0_4arch9wavefront6targetE1EEEvT1_.num_vgpr, 0
	.set _ZN7rocprim17ROCPRIM_400000_NS6detail17trampoline_kernelINS0_14default_configENS1_25partition_config_selectorILNS1_17partition_subalgoE8EtNS0_10empty_typeEbEEZZNS1_14partition_implILS5_8ELb0ES3_jN6thrust23THRUST_200600_302600_NS6detail15normal_iteratorINSA_10device_ptrItEEEEPS6_PKS6_NS0_5tupleIJSF_S6_EEENSJ_IJSG_SG_EEENS0_18inequality_wrapperI22is_equal_div_10_uniqueItEEEPmJS6_EEE10hipError_tPvRmT3_T4_T5_T6_T7_T9_mT8_P12ihipStream_tbDpT10_ENKUlT_T0_E_clISt17integral_constantIbLb1EES19_IbLb0EEEEDaS15_S16_EUlS15_E_NS1_11comp_targetILNS1_3genE8ELNS1_11target_archE1030ELNS1_3gpuE2ELNS1_3repE0EEENS1_30default_config_static_selectorELNS0_4arch9wavefront6targetE1EEEvT1_.num_agpr, 0
	.set _ZN7rocprim17ROCPRIM_400000_NS6detail17trampoline_kernelINS0_14default_configENS1_25partition_config_selectorILNS1_17partition_subalgoE8EtNS0_10empty_typeEbEEZZNS1_14partition_implILS5_8ELb0ES3_jN6thrust23THRUST_200600_302600_NS6detail15normal_iteratorINSA_10device_ptrItEEEEPS6_PKS6_NS0_5tupleIJSF_S6_EEENSJ_IJSG_SG_EEENS0_18inequality_wrapperI22is_equal_div_10_uniqueItEEEPmJS6_EEE10hipError_tPvRmT3_T4_T5_T6_T7_T9_mT8_P12ihipStream_tbDpT10_ENKUlT_T0_E_clISt17integral_constantIbLb1EES19_IbLb0EEEEDaS15_S16_EUlS15_E_NS1_11comp_targetILNS1_3genE8ELNS1_11target_archE1030ELNS1_3gpuE2ELNS1_3repE0EEENS1_30default_config_static_selectorELNS0_4arch9wavefront6targetE1EEEvT1_.numbered_sgpr, 0
	.set _ZN7rocprim17ROCPRIM_400000_NS6detail17trampoline_kernelINS0_14default_configENS1_25partition_config_selectorILNS1_17partition_subalgoE8EtNS0_10empty_typeEbEEZZNS1_14partition_implILS5_8ELb0ES3_jN6thrust23THRUST_200600_302600_NS6detail15normal_iteratorINSA_10device_ptrItEEEEPS6_PKS6_NS0_5tupleIJSF_S6_EEENSJ_IJSG_SG_EEENS0_18inequality_wrapperI22is_equal_div_10_uniqueItEEEPmJS6_EEE10hipError_tPvRmT3_T4_T5_T6_T7_T9_mT8_P12ihipStream_tbDpT10_ENKUlT_T0_E_clISt17integral_constantIbLb1EES19_IbLb0EEEEDaS15_S16_EUlS15_E_NS1_11comp_targetILNS1_3genE8ELNS1_11target_archE1030ELNS1_3gpuE2ELNS1_3repE0EEENS1_30default_config_static_selectorELNS0_4arch9wavefront6targetE1EEEvT1_.num_named_barrier, 0
	.set _ZN7rocprim17ROCPRIM_400000_NS6detail17trampoline_kernelINS0_14default_configENS1_25partition_config_selectorILNS1_17partition_subalgoE8EtNS0_10empty_typeEbEEZZNS1_14partition_implILS5_8ELb0ES3_jN6thrust23THRUST_200600_302600_NS6detail15normal_iteratorINSA_10device_ptrItEEEEPS6_PKS6_NS0_5tupleIJSF_S6_EEENSJ_IJSG_SG_EEENS0_18inequality_wrapperI22is_equal_div_10_uniqueItEEEPmJS6_EEE10hipError_tPvRmT3_T4_T5_T6_T7_T9_mT8_P12ihipStream_tbDpT10_ENKUlT_T0_E_clISt17integral_constantIbLb1EES19_IbLb0EEEEDaS15_S16_EUlS15_E_NS1_11comp_targetILNS1_3genE8ELNS1_11target_archE1030ELNS1_3gpuE2ELNS1_3repE0EEENS1_30default_config_static_selectorELNS0_4arch9wavefront6targetE1EEEvT1_.private_seg_size, 0
	.set _ZN7rocprim17ROCPRIM_400000_NS6detail17trampoline_kernelINS0_14default_configENS1_25partition_config_selectorILNS1_17partition_subalgoE8EtNS0_10empty_typeEbEEZZNS1_14partition_implILS5_8ELb0ES3_jN6thrust23THRUST_200600_302600_NS6detail15normal_iteratorINSA_10device_ptrItEEEEPS6_PKS6_NS0_5tupleIJSF_S6_EEENSJ_IJSG_SG_EEENS0_18inequality_wrapperI22is_equal_div_10_uniqueItEEEPmJS6_EEE10hipError_tPvRmT3_T4_T5_T6_T7_T9_mT8_P12ihipStream_tbDpT10_ENKUlT_T0_E_clISt17integral_constantIbLb1EES19_IbLb0EEEEDaS15_S16_EUlS15_E_NS1_11comp_targetILNS1_3genE8ELNS1_11target_archE1030ELNS1_3gpuE2ELNS1_3repE0EEENS1_30default_config_static_selectorELNS0_4arch9wavefront6targetE1EEEvT1_.uses_vcc, 0
	.set _ZN7rocprim17ROCPRIM_400000_NS6detail17trampoline_kernelINS0_14default_configENS1_25partition_config_selectorILNS1_17partition_subalgoE8EtNS0_10empty_typeEbEEZZNS1_14partition_implILS5_8ELb0ES3_jN6thrust23THRUST_200600_302600_NS6detail15normal_iteratorINSA_10device_ptrItEEEEPS6_PKS6_NS0_5tupleIJSF_S6_EEENSJ_IJSG_SG_EEENS0_18inequality_wrapperI22is_equal_div_10_uniqueItEEEPmJS6_EEE10hipError_tPvRmT3_T4_T5_T6_T7_T9_mT8_P12ihipStream_tbDpT10_ENKUlT_T0_E_clISt17integral_constantIbLb1EES19_IbLb0EEEEDaS15_S16_EUlS15_E_NS1_11comp_targetILNS1_3genE8ELNS1_11target_archE1030ELNS1_3gpuE2ELNS1_3repE0EEENS1_30default_config_static_selectorELNS0_4arch9wavefront6targetE1EEEvT1_.uses_flat_scratch, 0
	.set _ZN7rocprim17ROCPRIM_400000_NS6detail17trampoline_kernelINS0_14default_configENS1_25partition_config_selectorILNS1_17partition_subalgoE8EtNS0_10empty_typeEbEEZZNS1_14partition_implILS5_8ELb0ES3_jN6thrust23THRUST_200600_302600_NS6detail15normal_iteratorINSA_10device_ptrItEEEEPS6_PKS6_NS0_5tupleIJSF_S6_EEENSJ_IJSG_SG_EEENS0_18inequality_wrapperI22is_equal_div_10_uniqueItEEEPmJS6_EEE10hipError_tPvRmT3_T4_T5_T6_T7_T9_mT8_P12ihipStream_tbDpT10_ENKUlT_T0_E_clISt17integral_constantIbLb1EES19_IbLb0EEEEDaS15_S16_EUlS15_E_NS1_11comp_targetILNS1_3genE8ELNS1_11target_archE1030ELNS1_3gpuE2ELNS1_3repE0EEENS1_30default_config_static_selectorELNS0_4arch9wavefront6targetE1EEEvT1_.has_dyn_sized_stack, 0
	.set _ZN7rocprim17ROCPRIM_400000_NS6detail17trampoline_kernelINS0_14default_configENS1_25partition_config_selectorILNS1_17partition_subalgoE8EtNS0_10empty_typeEbEEZZNS1_14partition_implILS5_8ELb0ES3_jN6thrust23THRUST_200600_302600_NS6detail15normal_iteratorINSA_10device_ptrItEEEEPS6_PKS6_NS0_5tupleIJSF_S6_EEENSJ_IJSG_SG_EEENS0_18inequality_wrapperI22is_equal_div_10_uniqueItEEEPmJS6_EEE10hipError_tPvRmT3_T4_T5_T6_T7_T9_mT8_P12ihipStream_tbDpT10_ENKUlT_T0_E_clISt17integral_constantIbLb1EES19_IbLb0EEEEDaS15_S16_EUlS15_E_NS1_11comp_targetILNS1_3genE8ELNS1_11target_archE1030ELNS1_3gpuE2ELNS1_3repE0EEENS1_30default_config_static_selectorELNS0_4arch9wavefront6targetE1EEEvT1_.has_recursion, 0
	.set _ZN7rocprim17ROCPRIM_400000_NS6detail17trampoline_kernelINS0_14default_configENS1_25partition_config_selectorILNS1_17partition_subalgoE8EtNS0_10empty_typeEbEEZZNS1_14partition_implILS5_8ELb0ES3_jN6thrust23THRUST_200600_302600_NS6detail15normal_iteratorINSA_10device_ptrItEEEEPS6_PKS6_NS0_5tupleIJSF_S6_EEENSJ_IJSG_SG_EEENS0_18inequality_wrapperI22is_equal_div_10_uniqueItEEEPmJS6_EEE10hipError_tPvRmT3_T4_T5_T6_T7_T9_mT8_P12ihipStream_tbDpT10_ENKUlT_T0_E_clISt17integral_constantIbLb1EES19_IbLb0EEEEDaS15_S16_EUlS15_E_NS1_11comp_targetILNS1_3genE8ELNS1_11target_archE1030ELNS1_3gpuE2ELNS1_3repE0EEENS1_30default_config_static_selectorELNS0_4arch9wavefront6targetE1EEEvT1_.has_indirect_call, 0
	.section	.AMDGPU.csdata,"",@progbits
; Kernel info:
; codeLenInByte = 0
; TotalNumSgprs: 4
; NumVgprs: 0
; ScratchSize: 0
; MemoryBound: 0
; FloatMode: 240
; IeeeMode: 1
; LDSByteSize: 0 bytes/workgroup (compile time only)
; SGPRBlocks: 0
; VGPRBlocks: 0
; NumSGPRsForWavesPerEU: 4
; NumVGPRsForWavesPerEU: 1
; Occupancy: 10
; WaveLimiterHint : 0
; COMPUTE_PGM_RSRC2:SCRATCH_EN: 0
; COMPUTE_PGM_RSRC2:USER_SGPR: 6
; COMPUTE_PGM_RSRC2:TRAP_HANDLER: 0
; COMPUTE_PGM_RSRC2:TGID_X_EN: 1
; COMPUTE_PGM_RSRC2:TGID_Y_EN: 0
; COMPUTE_PGM_RSRC2:TGID_Z_EN: 0
; COMPUTE_PGM_RSRC2:TIDIG_COMP_CNT: 0
	.section	.text._ZN7rocprim17ROCPRIM_400000_NS6detail17trampoline_kernelINS0_14default_configENS1_25partition_config_selectorILNS1_17partition_subalgoE8EtNS0_10empty_typeEbEEZZNS1_14partition_implILS5_8ELb0ES3_jN6thrust23THRUST_200600_302600_NS6detail15normal_iteratorINSA_10device_ptrItEEEEPS6_PKS6_NS0_5tupleIJSF_S6_EEENSJ_IJSG_SG_EEENS0_18inequality_wrapperI22is_equal_div_10_uniqueItEEEPmJS6_EEE10hipError_tPvRmT3_T4_T5_T6_T7_T9_mT8_P12ihipStream_tbDpT10_ENKUlT_T0_E_clISt17integral_constantIbLb0EES19_IbLb1EEEEDaS15_S16_EUlS15_E_NS1_11comp_targetILNS1_3genE0ELNS1_11target_archE4294967295ELNS1_3gpuE0ELNS1_3repE0EEENS1_30default_config_static_selectorELNS0_4arch9wavefront6targetE1EEEvT1_,"axG",@progbits,_ZN7rocprim17ROCPRIM_400000_NS6detail17trampoline_kernelINS0_14default_configENS1_25partition_config_selectorILNS1_17partition_subalgoE8EtNS0_10empty_typeEbEEZZNS1_14partition_implILS5_8ELb0ES3_jN6thrust23THRUST_200600_302600_NS6detail15normal_iteratorINSA_10device_ptrItEEEEPS6_PKS6_NS0_5tupleIJSF_S6_EEENSJ_IJSG_SG_EEENS0_18inequality_wrapperI22is_equal_div_10_uniqueItEEEPmJS6_EEE10hipError_tPvRmT3_T4_T5_T6_T7_T9_mT8_P12ihipStream_tbDpT10_ENKUlT_T0_E_clISt17integral_constantIbLb0EES19_IbLb1EEEEDaS15_S16_EUlS15_E_NS1_11comp_targetILNS1_3genE0ELNS1_11target_archE4294967295ELNS1_3gpuE0ELNS1_3repE0EEENS1_30default_config_static_selectorELNS0_4arch9wavefront6targetE1EEEvT1_,comdat
	.protected	_ZN7rocprim17ROCPRIM_400000_NS6detail17trampoline_kernelINS0_14default_configENS1_25partition_config_selectorILNS1_17partition_subalgoE8EtNS0_10empty_typeEbEEZZNS1_14partition_implILS5_8ELb0ES3_jN6thrust23THRUST_200600_302600_NS6detail15normal_iteratorINSA_10device_ptrItEEEEPS6_PKS6_NS0_5tupleIJSF_S6_EEENSJ_IJSG_SG_EEENS0_18inequality_wrapperI22is_equal_div_10_uniqueItEEEPmJS6_EEE10hipError_tPvRmT3_T4_T5_T6_T7_T9_mT8_P12ihipStream_tbDpT10_ENKUlT_T0_E_clISt17integral_constantIbLb0EES19_IbLb1EEEEDaS15_S16_EUlS15_E_NS1_11comp_targetILNS1_3genE0ELNS1_11target_archE4294967295ELNS1_3gpuE0ELNS1_3repE0EEENS1_30default_config_static_selectorELNS0_4arch9wavefront6targetE1EEEvT1_ ; -- Begin function _ZN7rocprim17ROCPRIM_400000_NS6detail17trampoline_kernelINS0_14default_configENS1_25partition_config_selectorILNS1_17partition_subalgoE8EtNS0_10empty_typeEbEEZZNS1_14partition_implILS5_8ELb0ES3_jN6thrust23THRUST_200600_302600_NS6detail15normal_iteratorINSA_10device_ptrItEEEEPS6_PKS6_NS0_5tupleIJSF_S6_EEENSJ_IJSG_SG_EEENS0_18inequality_wrapperI22is_equal_div_10_uniqueItEEEPmJS6_EEE10hipError_tPvRmT3_T4_T5_T6_T7_T9_mT8_P12ihipStream_tbDpT10_ENKUlT_T0_E_clISt17integral_constantIbLb0EES19_IbLb1EEEEDaS15_S16_EUlS15_E_NS1_11comp_targetILNS1_3genE0ELNS1_11target_archE4294967295ELNS1_3gpuE0ELNS1_3repE0EEENS1_30default_config_static_selectorELNS0_4arch9wavefront6targetE1EEEvT1_
	.globl	_ZN7rocprim17ROCPRIM_400000_NS6detail17trampoline_kernelINS0_14default_configENS1_25partition_config_selectorILNS1_17partition_subalgoE8EtNS0_10empty_typeEbEEZZNS1_14partition_implILS5_8ELb0ES3_jN6thrust23THRUST_200600_302600_NS6detail15normal_iteratorINSA_10device_ptrItEEEEPS6_PKS6_NS0_5tupleIJSF_S6_EEENSJ_IJSG_SG_EEENS0_18inequality_wrapperI22is_equal_div_10_uniqueItEEEPmJS6_EEE10hipError_tPvRmT3_T4_T5_T6_T7_T9_mT8_P12ihipStream_tbDpT10_ENKUlT_T0_E_clISt17integral_constantIbLb0EES19_IbLb1EEEEDaS15_S16_EUlS15_E_NS1_11comp_targetILNS1_3genE0ELNS1_11target_archE4294967295ELNS1_3gpuE0ELNS1_3repE0EEENS1_30default_config_static_selectorELNS0_4arch9wavefront6targetE1EEEvT1_
	.p2align	8
	.type	_ZN7rocprim17ROCPRIM_400000_NS6detail17trampoline_kernelINS0_14default_configENS1_25partition_config_selectorILNS1_17partition_subalgoE8EtNS0_10empty_typeEbEEZZNS1_14partition_implILS5_8ELb0ES3_jN6thrust23THRUST_200600_302600_NS6detail15normal_iteratorINSA_10device_ptrItEEEEPS6_PKS6_NS0_5tupleIJSF_S6_EEENSJ_IJSG_SG_EEENS0_18inequality_wrapperI22is_equal_div_10_uniqueItEEEPmJS6_EEE10hipError_tPvRmT3_T4_T5_T6_T7_T9_mT8_P12ihipStream_tbDpT10_ENKUlT_T0_E_clISt17integral_constantIbLb0EES19_IbLb1EEEEDaS15_S16_EUlS15_E_NS1_11comp_targetILNS1_3genE0ELNS1_11target_archE4294967295ELNS1_3gpuE0ELNS1_3repE0EEENS1_30default_config_static_selectorELNS0_4arch9wavefront6targetE1EEEvT1_,@function
_ZN7rocprim17ROCPRIM_400000_NS6detail17trampoline_kernelINS0_14default_configENS1_25partition_config_selectorILNS1_17partition_subalgoE8EtNS0_10empty_typeEbEEZZNS1_14partition_implILS5_8ELb0ES3_jN6thrust23THRUST_200600_302600_NS6detail15normal_iteratorINSA_10device_ptrItEEEEPS6_PKS6_NS0_5tupleIJSF_S6_EEENSJ_IJSG_SG_EEENS0_18inequality_wrapperI22is_equal_div_10_uniqueItEEEPmJS6_EEE10hipError_tPvRmT3_T4_T5_T6_T7_T9_mT8_P12ihipStream_tbDpT10_ENKUlT_T0_E_clISt17integral_constantIbLb0EES19_IbLb1EEEEDaS15_S16_EUlS15_E_NS1_11comp_targetILNS1_3genE0ELNS1_11target_archE4294967295ELNS1_3gpuE0ELNS1_3repE0EEENS1_30default_config_static_selectorELNS0_4arch9wavefront6targetE1EEEvT1_: ; @_ZN7rocprim17ROCPRIM_400000_NS6detail17trampoline_kernelINS0_14default_configENS1_25partition_config_selectorILNS1_17partition_subalgoE8EtNS0_10empty_typeEbEEZZNS1_14partition_implILS5_8ELb0ES3_jN6thrust23THRUST_200600_302600_NS6detail15normal_iteratorINSA_10device_ptrItEEEEPS6_PKS6_NS0_5tupleIJSF_S6_EEENSJ_IJSG_SG_EEENS0_18inequality_wrapperI22is_equal_div_10_uniqueItEEEPmJS6_EEE10hipError_tPvRmT3_T4_T5_T6_T7_T9_mT8_P12ihipStream_tbDpT10_ENKUlT_T0_E_clISt17integral_constantIbLb0EES19_IbLb1EEEEDaS15_S16_EUlS15_E_NS1_11comp_targetILNS1_3genE0ELNS1_11target_archE4294967295ELNS1_3gpuE0ELNS1_3repE0EEENS1_30default_config_static_selectorELNS0_4arch9wavefront6targetE1EEEvT1_
; %bb.0:
	.section	.rodata,"a",@progbits
	.p2align	6, 0x0
	.amdhsa_kernel _ZN7rocprim17ROCPRIM_400000_NS6detail17trampoline_kernelINS0_14default_configENS1_25partition_config_selectorILNS1_17partition_subalgoE8EtNS0_10empty_typeEbEEZZNS1_14partition_implILS5_8ELb0ES3_jN6thrust23THRUST_200600_302600_NS6detail15normal_iteratorINSA_10device_ptrItEEEEPS6_PKS6_NS0_5tupleIJSF_S6_EEENSJ_IJSG_SG_EEENS0_18inequality_wrapperI22is_equal_div_10_uniqueItEEEPmJS6_EEE10hipError_tPvRmT3_T4_T5_T6_T7_T9_mT8_P12ihipStream_tbDpT10_ENKUlT_T0_E_clISt17integral_constantIbLb0EES19_IbLb1EEEEDaS15_S16_EUlS15_E_NS1_11comp_targetILNS1_3genE0ELNS1_11target_archE4294967295ELNS1_3gpuE0ELNS1_3repE0EEENS1_30default_config_static_selectorELNS0_4arch9wavefront6targetE1EEEvT1_
		.amdhsa_group_segment_fixed_size 0
		.amdhsa_private_segment_fixed_size 0
		.amdhsa_kernarg_size 128
		.amdhsa_user_sgpr_count 6
		.amdhsa_user_sgpr_private_segment_buffer 1
		.amdhsa_user_sgpr_dispatch_ptr 0
		.amdhsa_user_sgpr_queue_ptr 0
		.amdhsa_user_sgpr_kernarg_segment_ptr 1
		.amdhsa_user_sgpr_dispatch_id 0
		.amdhsa_user_sgpr_flat_scratch_init 0
		.amdhsa_user_sgpr_private_segment_size 0
		.amdhsa_uses_dynamic_stack 0
		.amdhsa_system_sgpr_private_segment_wavefront_offset 0
		.amdhsa_system_sgpr_workgroup_id_x 1
		.amdhsa_system_sgpr_workgroup_id_y 0
		.amdhsa_system_sgpr_workgroup_id_z 0
		.amdhsa_system_sgpr_workgroup_info 0
		.amdhsa_system_vgpr_workitem_id 0
		.amdhsa_next_free_vgpr 1
		.amdhsa_next_free_sgpr 0
		.amdhsa_reserve_vcc 0
		.amdhsa_reserve_flat_scratch 0
		.amdhsa_float_round_mode_32 0
		.amdhsa_float_round_mode_16_64 0
		.amdhsa_float_denorm_mode_32 3
		.amdhsa_float_denorm_mode_16_64 3
		.amdhsa_dx10_clamp 1
		.amdhsa_ieee_mode 1
		.amdhsa_fp16_overflow 0
		.amdhsa_exception_fp_ieee_invalid_op 0
		.amdhsa_exception_fp_denorm_src 0
		.amdhsa_exception_fp_ieee_div_zero 0
		.amdhsa_exception_fp_ieee_overflow 0
		.amdhsa_exception_fp_ieee_underflow 0
		.amdhsa_exception_fp_ieee_inexact 0
		.amdhsa_exception_int_div_zero 0
	.end_amdhsa_kernel
	.section	.text._ZN7rocprim17ROCPRIM_400000_NS6detail17trampoline_kernelINS0_14default_configENS1_25partition_config_selectorILNS1_17partition_subalgoE8EtNS0_10empty_typeEbEEZZNS1_14partition_implILS5_8ELb0ES3_jN6thrust23THRUST_200600_302600_NS6detail15normal_iteratorINSA_10device_ptrItEEEEPS6_PKS6_NS0_5tupleIJSF_S6_EEENSJ_IJSG_SG_EEENS0_18inequality_wrapperI22is_equal_div_10_uniqueItEEEPmJS6_EEE10hipError_tPvRmT3_T4_T5_T6_T7_T9_mT8_P12ihipStream_tbDpT10_ENKUlT_T0_E_clISt17integral_constantIbLb0EES19_IbLb1EEEEDaS15_S16_EUlS15_E_NS1_11comp_targetILNS1_3genE0ELNS1_11target_archE4294967295ELNS1_3gpuE0ELNS1_3repE0EEENS1_30default_config_static_selectorELNS0_4arch9wavefront6targetE1EEEvT1_,"axG",@progbits,_ZN7rocprim17ROCPRIM_400000_NS6detail17trampoline_kernelINS0_14default_configENS1_25partition_config_selectorILNS1_17partition_subalgoE8EtNS0_10empty_typeEbEEZZNS1_14partition_implILS5_8ELb0ES3_jN6thrust23THRUST_200600_302600_NS6detail15normal_iteratorINSA_10device_ptrItEEEEPS6_PKS6_NS0_5tupleIJSF_S6_EEENSJ_IJSG_SG_EEENS0_18inequality_wrapperI22is_equal_div_10_uniqueItEEEPmJS6_EEE10hipError_tPvRmT3_T4_T5_T6_T7_T9_mT8_P12ihipStream_tbDpT10_ENKUlT_T0_E_clISt17integral_constantIbLb0EES19_IbLb1EEEEDaS15_S16_EUlS15_E_NS1_11comp_targetILNS1_3genE0ELNS1_11target_archE4294967295ELNS1_3gpuE0ELNS1_3repE0EEENS1_30default_config_static_selectorELNS0_4arch9wavefront6targetE1EEEvT1_,comdat
.Lfunc_end331:
	.size	_ZN7rocprim17ROCPRIM_400000_NS6detail17trampoline_kernelINS0_14default_configENS1_25partition_config_selectorILNS1_17partition_subalgoE8EtNS0_10empty_typeEbEEZZNS1_14partition_implILS5_8ELb0ES3_jN6thrust23THRUST_200600_302600_NS6detail15normal_iteratorINSA_10device_ptrItEEEEPS6_PKS6_NS0_5tupleIJSF_S6_EEENSJ_IJSG_SG_EEENS0_18inequality_wrapperI22is_equal_div_10_uniqueItEEEPmJS6_EEE10hipError_tPvRmT3_T4_T5_T6_T7_T9_mT8_P12ihipStream_tbDpT10_ENKUlT_T0_E_clISt17integral_constantIbLb0EES19_IbLb1EEEEDaS15_S16_EUlS15_E_NS1_11comp_targetILNS1_3genE0ELNS1_11target_archE4294967295ELNS1_3gpuE0ELNS1_3repE0EEENS1_30default_config_static_selectorELNS0_4arch9wavefront6targetE1EEEvT1_, .Lfunc_end331-_ZN7rocprim17ROCPRIM_400000_NS6detail17trampoline_kernelINS0_14default_configENS1_25partition_config_selectorILNS1_17partition_subalgoE8EtNS0_10empty_typeEbEEZZNS1_14partition_implILS5_8ELb0ES3_jN6thrust23THRUST_200600_302600_NS6detail15normal_iteratorINSA_10device_ptrItEEEEPS6_PKS6_NS0_5tupleIJSF_S6_EEENSJ_IJSG_SG_EEENS0_18inequality_wrapperI22is_equal_div_10_uniqueItEEEPmJS6_EEE10hipError_tPvRmT3_T4_T5_T6_T7_T9_mT8_P12ihipStream_tbDpT10_ENKUlT_T0_E_clISt17integral_constantIbLb0EES19_IbLb1EEEEDaS15_S16_EUlS15_E_NS1_11comp_targetILNS1_3genE0ELNS1_11target_archE4294967295ELNS1_3gpuE0ELNS1_3repE0EEENS1_30default_config_static_selectorELNS0_4arch9wavefront6targetE1EEEvT1_
                                        ; -- End function
	.set _ZN7rocprim17ROCPRIM_400000_NS6detail17trampoline_kernelINS0_14default_configENS1_25partition_config_selectorILNS1_17partition_subalgoE8EtNS0_10empty_typeEbEEZZNS1_14partition_implILS5_8ELb0ES3_jN6thrust23THRUST_200600_302600_NS6detail15normal_iteratorINSA_10device_ptrItEEEEPS6_PKS6_NS0_5tupleIJSF_S6_EEENSJ_IJSG_SG_EEENS0_18inequality_wrapperI22is_equal_div_10_uniqueItEEEPmJS6_EEE10hipError_tPvRmT3_T4_T5_T6_T7_T9_mT8_P12ihipStream_tbDpT10_ENKUlT_T0_E_clISt17integral_constantIbLb0EES19_IbLb1EEEEDaS15_S16_EUlS15_E_NS1_11comp_targetILNS1_3genE0ELNS1_11target_archE4294967295ELNS1_3gpuE0ELNS1_3repE0EEENS1_30default_config_static_selectorELNS0_4arch9wavefront6targetE1EEEvT1_.num_vgpr, 0
	.set _ZN7rocprim17ROCPRIM_400000_NS6detail17trampoline_kernelINS0_14default_configENS1_25partition_config_selectorILNS1_17partition_subalgoE8EtNS0_10empty_typeEbEEZZNS1_14partition_implILS5_8ELb0ES3_jN6thrust23THRUST_200600_302600_NS6detail15normal_iteratorINSA_10device_ptrItEEEEPS6_PKS6_NS0_5tupleIJSF_S6_EEENSJ_IJSG_SG_EEENS0_18inequality_wrapperI22is_equal_div_10_uniqueItEEEPmJS6_EEE10hipError_tPvRmT3_T4_T5_T6_T7_T9_mT8_P12ihipStream_tbDpT10_ENKUlT_T0_E_clISt17integral_constantIbLb0EES19_IbLb1EEEEDaS15_S16_EUlS15_E_NS1_11comp_targetILNS1_3genE0ELNS1_11target_archE4294967295ELNS1_3gpuE0ELNS1_3repE0EEENS1_30default_config_static_selectorELNS0_4arch9wavefront6targetE1EEEvT1_.num_agpr, 0
	.set _ZN7rocprim17ROCPRIM_400000_NS6detail17trampoline_kernelINS0_14default_configENS1_25partition_config_selectorILNS1_17partition_subalgoE8EtNS0_10empty_typeEbEEZZNS1_14partition_implILS5_8ELb0ES3_jN6thrust23THRUST_200600_302600_NS6detail15normal_iteratorINSA_10device_ptrItEEEEPS6_PKS6_NS0_5tupleIJSF_S6_EEENSJ_IJSG_SG_EEENS0_18inequality_wrapperI22is_equal_div_10_uniqueItEEEPmJS6_EEE10hipError_tPvRmT3_T4_T5_T6_T7_T9_mT8_P12ihipStream_tbDpT10_ENKUlT_T0_E_clISt17integral_constantIbLb0EES19_IbLb1EEEEDaS15_S16_EUlS15_E_NS1_11comp_targetILNS1_3genE0ELNS1_11target_archE4294967295ELNS1_3gpuE0ELNS1_3repE0EEENS1_30default_config_static_selectorELNS0_4arch9wavefront6targetE1EEEvT1_.numbered_sgpr, 0
	.set _ZN7rocprim17ROCPRIM_400000_NS6detail17trampoline_kernelINS0_14default_configENS1_25partition_config_selectorILNS1_17partition_subalgoE8EtNS0_10empty_typeEbEEZZNS1_14partition_implILS5_8ELb0ES3_jN6thrust23THRUST_200600_302600_NS6detail15normal_iteratorINSA_10device_ptrItEEEEPS6_PKS6_NS0_5tupleIJSF_S6_EEENSJ_IJSG_SG_EEENS0_18inequality_wrapperI22is_equal_div_10_uniqueItEEEPmJS6_EEE10hipError_tPvRmT3_T4_T5_T6_T7_T9_mT8_P12ihipStream_tbDpT10_ENKUlT_T0_E_clISt17integral_constantIbLb0EES19_IbLb1EEEEDaS15_S16_EUlS15_E_NS1_11comp_targetILNS1_3genE0ELNS1_11target_archE4294967295ELNS1_3gpuE0ELNS1_3repE0EEENS1_30default_config_static_selectorELNS0_4arch9wavefront6targetE1EEEvT1_.num_named_barrier, 0
	.set _ZN7rocprim17ROCPRIM_400000_NS6detail17trampoline_kernelINS0_14default_configENS1_25partition_config_selectorILNS1_17partition_subalgoE8EtNS0_10empty_typeEbEEZZNS1_14partition_implILS5_8ELb0ES3_jN6thrust23THRUST_200600_302600_NS6detail15normal_iteratorINSA_10device_ptrItEEEEPS6_PKS6_NS0_5tupleIJSF_S6_EEENSJ_IJSG_SG_EEENS0_18inequality_wrapperI22is_equal_div_10_uniqueItEEEPmJS6_EEE10hipError_tPvRmT3_T4_T5_T6_T7_T9_mT8_P12ihipStream_tbDpT10_ENKUlT_T0_E_clISt17integral_constantIbLb0EES19_IbLb1EEEEDaS15_S16_EUlS15_E_NS1_11comp_targetILNS1_3genE0ELNS1_11target_archE4294967295ELNS1_3gpuE0ELNS1_3repE0EEENS1_30default_config_static_selectorELNS0_4arch9wavefront6targetE1EEEvT1_.private_seg_size, 0
	.set _ZN7rocprim17ROCPRIM_400000_NS6detail17trampoline_kernelINS0_14default_configENS1_25partition_config_selectorILNS1_17partition_subalgoE8EtNS0_10empty_typeEbEEZZNS1_14partition_implILS5_8ELb0ES3_jN6thrust23THRUST_200600_302600_NS6detail15normal_iteratorINSA_10device_ptrItEEEEPS6_PKS6_NS0_5tupleIJSF_S6_EEENSJ_IJSG_SG_EEENS0_18inequality_wrapperI22is_equal_div_10_uniqueItEEEPmJS6_EEE10hipError_tPvRmT3_T4_T5_T6_T7_T9_mT8_P12ihipStream_tbDpT10_ENKUlT_T0_E_clISt17integral_constantIbLb0EES19_IbLb1EEEEDaS15_S16_EUlS15_E_NS1_11comp_targetILNS1_3genE0ELNS1_11target_archE4294967295ELNS1_3gpuE0ELNS1_3repE0EEENS1_30default_config_static_selectorELNS0_4arch9wavefront6targetE1EEEvT1_.uses_vcc, 0
	.set _ZN7rocprim17ROCPRIM_400000_NS6detail17trampoline_kernelINS0_14default_configENS1_25partition_config_selectorILNS1_17partition_subalgoE8EtNS0_10empty_typeEbEEZZNS1_14partition_implILS5_8ELb0ES3_jN6thrust23THRUST_200600_302600_NS6detail15normal_iteratorINSA_10device_ptrItEEEEPS6_PKS6_NS0_5tupleIJSF_S6_EEENSJ_IJSG_SG_EEENS0_18inequality_wrapperI22is_equal_div_10_uniqueItEEEPmJS6_EEE10hipError_tPvRmT3_T4_T5_T6_T7_T9_mT8_P12ihipStream_tbDpT10_ENKUlT_T0_E_clISt17integral_constantIbLb0EES19_IbLb1EEEEDaS15_S16_EUlS15_E_NS1_11comp_targetILNS1_3genE0ELNS1_11target_archE4294967295ELNS1_3gpuE0ELNS1_3repE0EEENS1_30default_config_static_selectorELNS0_4arch9wavefront6targetE1EEEvT1_.uses_flat_scratch, 0
	.set _ZN7rocprim17ROCPRIM_400000_NS6detail17trampoline_kernelINS0_14default_configENS1_25partition_config_selectorILNS1_17partition_subalgoE8EtNS0_10empty_typeEbEEZZNS1_14partition_implILS5_8ELb0ES3_jN6thrust23THRUST_200600_302600_NS6detail15normal_iteratorINSA_10device_ptrItEEEEPS6_PKS6_NS0_5tupleIJSF_S6_EEENSJ_IJSG_SG_EEENS0_18inequality_wrapperI22is_equal_div_10_uniqueItEEEPmJS6_EEE10hipError_tPvRmT3_T4_T5_T6_T7_T9_mT8_P12ihipStream_tbDpT10_ENKUlT_T0_E_clISt17integral_constantIbLb0EES19_IbLb1EEEEDaS15_S16_EUlS15_E_NS1_11comp_targetILNS1_3genE0ELNS1_11target_archE4294967295ELNS1_3gpuE0ELNS1_3repE0EEENS1_30default_config_static_selectorELNS0_4arch9wavefront6targetE1EEEvT1_.has_dyn_sized_stack, 0
	.set _ZN7rocprim17ROCPRIM_400000_NS6detail17trampoline_kernelINS0_14default_configENS1_25partition_config_selectorILNS1_17partition_subalgoE8EtNS0_10empty_typeEbEEZZNS1_14partition_implILS5_8ELb0ES3_jN6thrust23THRUST_200600_302600_NS6detail15normal_iteratorINSA_10device_ptrItEEEEPS6_PKS6_NS0_5tupleIJSF_S6_EEENSJ_IJSG_SG_EEENS0_18inequality_wrapperI22is_equal_div_10_uniqueItEEEPmJS6_EEE10hipError_tPvRmT3_T4_T5_T6_T7_T9_mT8_P12ihipStream_tbDpT10_ENKUlT_T0_E_clISt17integral_constantIbLb0EES19_IbLb1EEEEDaS15_S16_EUlS15_E_NS1_11comp_targetILNS1_3genE0ELNS1_11target_archE4294967295ELNS1_3gpuE0ELNS1_3repE0EEENS1_30default_config_static_selectorELNS0_4arch9wavefront6targetE1EEEvT1_.has_recursion, 0
	.set _ZN7rocprim17ROCPRIM_400000_NS6detail17trampoline_kernelINS0_14default_configENS1_25partition_config_selectorILNS1_17partition_subalgoE8EtNS0_10empty_typeEbEEZZNS1_14partition_implILS5_8ELb0ES3_jN6thrust23THRUST_200600_302600_NS6detail15normal_iteratorINSA_10device_ptrItEEEEPS6_PKS6_NS0_5tupleIJSF_S6_EEENSJ_IJSG_SG_EEENS0_18inequality_wrapperI22is_equal_div_10_uniqueItEEEPmJS6_EEE10hipError_tPvRmT3_T4_T5_T6_T7_T9_mT8_P12ihipStream_tbDpT10_ENKUlT_T0_E_clISt17integral_constantIbLb0EES19_IbLb1EEEEDaS15_S16_EUlS15_E_NS1_11comp_targetILNS1_3genE0ELNS1_11target_archE4294967295ELNS1_3gpuE0ELNS1_3repE0EEENS1_30default_config_static_selectorELNS0_4arch9wavefront6targetE1EEEvT1_.has_indirect_call, 0
	.section	.AMDGPU.csdata,"",@progbits
; Kernel info:
; codeLenInByte = 0
; TotalNumSgprs: 4
; NumVgprs: 0
; ScratchSize: 0
; MemoryBound: 0
; FloatMode: 240
; IeeeMode: 1
; LDSByteSize: 0 bytes/workgroup (compile time only)
; SGPRBlocks: 0
; VGPRBlocks: 0
; NumSGPRsForWavesPerEU: 4
; NumVGPRsForWavesPerEU: 1
; Occupancy: 10
; WaveLimiterHint : 0
; COMPUTE_PGM_RSRC2:SCRATCH_EN: 0
; COMPUTE_PGM_RSRC2:USER_SGPR: 6
; COMPUTE_PGM_RSRC2:TRAP_HANDLER: 0
; COMPUTE_PGM_RSRC2:TGID_X_EN: 1
; COMPUTE_PGM_RSRC2:TGID_Y_EN: 0
; COMPUTE_PGM_RSRC2:TGID_Z_EN: 0
; COMPUTE_PGM_RSRC2:TIDIG_COMP_CNT: 0
	.section	.text._ZN7rocprim17ROCPRIM_400000_NS6detail17trampoline_kernelINS0_14default_configENS1_25partition_config_selectorILNS1_17partition_subalgoE8EtNS0_10empty_typeEbEEZZNS1_14partition_implILS5_8ELb0ES3_jN6thrust23THRUST_200600_302600_NS6detail15normal_iteratorINSA_10device_ptrItEEEEPS6_PKS6_NS0_5tupleIJSF_S6_EEENSJ_IJSG_SG_EEENS0_18inequality_wrapperI22is_equal_div_10_uniqueItEEEPmJS6_EEE10hipError_tPvRmT3_T4_T5_T6_T7_T9_mT8_P12ihipStream_tbDpT10_ENKUlT_T0_E_clISt17integral_constantIbLb0EES19_IbLb1EEEEDaS15_S16_EUlS15_E_NS1_11comp_targetILNS1_3genE5ELNS1_11target_archE942ELNS1_3gpuE9ELNS1_3repE0EEENS1_30default_config_static_selectorELNS0_4arch9wavefront6targetE1EEEvT1_,"axG",@progbits,_ZN7rocprim17ROCPRIM_400000_NS6detail17trampoline_kernelINS0_14default_configENS1_25partition_config_selectorILNS1_17partition_subalgoE8EtNS0_10empty_typeEbEEZZNS1_14partition_implILS5_8ELb0ES3_jN6thrust23THRUST_200600_302600_NS6detail15normal_iteratorINSA_10device_ptrItEEEEPS6_PKS6_NS0_5tupleIJSF_S6_EEENSJ_IJSG_SG_EEENS0_18inequality_wrapperI22is_equal_div_10_uniqueItEEEPmJS6_EEE10hipError_tPvRmT3_T4_T5_T6_T7_T9_mT8_P12ihipStream_tbDpT10_ENKUlT_T0_E_clISt17integral_constantIbLb0EES19_IbLb1EEEEDaS15_S16_EUlS15_E_NS1_11comp_targetILNS1_3genE5ELNS1_11target_archE942ELNS1_3gpuE9ELNS1_3repE0EEENS1_30default_config_static_selectorELNS0_4arch9wavefront6targetE1EEEvT1_,comdat
	.protected	_ZN7rocprim17ROCPRIM_400000_NS6detail17trampoline_kernelINS0_14default_configENS1_25partition_config_selectorILNS1_17partition_subalgoE8EtNS0_10empty_typeEbEEZZNS1_14partition_implILS5_8ELb0ES3_jN6thrust23THRUST_200600_302600_NS6detail15normal_iteratorINSA_10device_ptrItEEEEPS6_PKS6_NS0_5tupleIJSF_S6_EEENSJ_IJSG_SG_EEENS0_18inequality_wrapperI22is_equal_div_10_uniqueItEEEPmJS6_EEE10hipError_tPvRmT3_T4_T5_T6_T7_T9_mT8_P12ihipStream_tbDpT10_ENKUlT_T0_E_clISt17integral_constantIbLb0EES19_IbLb1EEEEDaS15_S16_EUlS15_E_NS1_11comp_targetILNS1_3genE5ELNS1_11target_archE942ELNS1_3gpuE9ELNS1_3repE0EEENS1_30default_config_static_selectorELNS0_4arch9wavefront6targetE1EEEvT1_ ; -- Begin function _ZN7rocprim17ROCPRIM_400000_NS6detail17trampoline_kernelINS0_14default_configENS1_25partition_config_selectorILNS1_17partition_subalgoE8EtNS0_10empty_typeEbEEZZNS1_14partition_implILS5_8ELb0ES3_jN6thrust23THRUST_200600_302600_NS6detail15normal_iteratorINSA_10device_ptrItEEEEPS6_PKS6_NS0_5tupleIJSF_S6_EEENSJ_IJSG_SG_EEENS0_18inequality_wrapperI22is_equal_div_10_uniqueItEEEPmJS6_EEE10hipError_tPvRmT3_T4_T5_T6_T7_T9_mT8_P12ihipStream_tbDpT10_ENKUlT_T0_E_clISt17integral_constantIbLb0EES19_IbLb1EEEEDaS15_S16_EUlS15_E_NS1_11comp_targetILNS1_3genE5ELNS1_11target_archE942ELNS1_3gpuE9ELNS1_3repE0EEENS1_30default_config_static_selectorELNS0_4arch9wavefront6targetE1EEEvT1_
	.globl	_ZN7rocprim17ROCPRIM_400000_NS6detail17trampoline_kernelINS0_14default_configENS1_25partition_config_selectorILNS1_17partition_subalgoE8EtNS0_10empty_typeEbEEZZNS1_14partition_implILS5_8ELb0ES3_jN6thrust23THRUST_200600_302600_NS6detail15normal_iteratorINSA_10device_ptrItEEEEPS6_PKS6_NS0_5tupleIJSF_S6_EEENSJ_IJSG_SG_EEENS0_18inequality_wrapperI22is_equal_div_10_uniqueItEEEPmJS6_EEE10hipError_tPvRmT3_T4_T5_T6_T7_T9_mT8_P12ihipStream_tbDpT10_ENKUlT_T0_E_clISt17integral_constantIbLb0EES19_IbLb1EEEEDaS15_S16_EUlS15_E_NS1_11comp_targetILNS1_3genE5ELNS1_11target_archE942ELNS1_3gpuE9ELNS1_3repE0EEENS1_30default_config_static_selectorELNS0_4arch9wavefront6targetE1EEEvT1_
	.p2align	8
	.type	_ZN7rocprim17ROCPRIM_400000_NS6detail17trampoline_kernelINS0_14default_configENS1_25partition_config_selectorILNS1_17partition_subalgoE8EtNS0_10empty_typeEbEEZZNS1_14partition_implILS5_8ELb0ES3_jN6thrust23THRUST_200600_302600_NS6detail15normal_iteratorINSA_10device_ptrItEEEEPS6_PKS6_NS0_5tupleIJSF_S6_EEENSJ_IJSG_SG_EEENS0_18inequality_wrapperI22is_equal_div_10_uniqueItEEEPmJS6_EEE10hipError_tPvRmT3_T4_T5_T6_T7_T9_mT8_P12ihipStream_tbDpT10_ENKUlT_T0_E_clISt17integral_constantIbLb0EES19_IbLb1EEEEDaS15_S16_EUlS15_E_NS1_11comp_targetILNS1_3genE5ELNS1_11target_archE942ELNS1_3gpuE9ELNS1_3repE0EEENS1_30default_config_static_selectorELNS0_4arch9wavefront6targetE1EEEvT1_,@function
_ZN7rocprim17ROCPRIM_400000_NS6detail17trampoline_kernelINS0_14default_configENS1_25partition_config_selectorILNS1_17partition_subalgoE8EtNS0_10empty_typeEbEEZZNS1_14partition_implILS5_8ELb0ES3_jN6thrust23THRUST_200600_302600_NS6detail15normal_iteratorINSA_10device_ptrItEEEEPS6_PKS6_NS0_5tupleIJSF_S6_EEENSJ_IJSG_SG_EEENS0_18inequality_wrapperI22is_equal_div_10_uniqueItEEEPmJS6_EEE10hipError_tPvRmT3_T4_T5_T6_T7_T9_mT8_P12ihipStream_tbDpT10_ENKUlT_T0_E_clISt17integral_constantIbLb0EES19_IbLb1EEEEDaS15_S16_EUlS15_E_NS1_11comp_targetILNS1_3genE5ELNS1_11target_archE942ELNS1_3gpuE9ELNS1_3repE0EEENS1_30default_config_static_selectorELNS0_4arch9wavefront6targetE1EEEvT1_: ; @_ZN7rocprim17ROCPRIM_400000_NS6detail17trampoline_kernelINS0_14default_configENS1_25partition_config_selectorILNS1_17partition_subalgoE8EtNS0_10empty_typeEbEEZZNS1_14partition_implILS5_8ELb0ES3_jN6thrust23THRUST_200600_302600_NS6detail15normal_iteratorINSA_10device_ptrItEEEEPS6_PKS6_NS0_5tupleIJSF_S6_EEENSJ_IJSG_SG_EEENS0_18inequality_wrapperI22is_equal_div_10_uniqueItEEEPmJS6_EEE10hipError_tPvRmT3_T4_T5_T6_T7_T9_mT8_P12ihipStream_tbDpT10_ENKUlT_T0_E_clISt17integral_constantIbLb0EES19_IbLb1EEEEDaS15_S16_EUlS15_E_NS1_11comp_targetILNS1_3genE5ELNS1_11target_archE942ELNS1_3gpuE9ELNS1_3repE0EEENS1_30default_config_static_selectorELNS0_4arch9wavefront6targetE1EEEvT1_
; %bb.0:
	.section	.rodata,"a",@progbits
	.p2align	6, 0x0
	.amdhsa_kernel _ZN7rocprim17ROCPRIM_400000_NS6detail17trampoline_kernelINS0_14default_configENS1_25partition_config_selectorILNS1_17partition_subalgoE8EtNS0_10empty_typeEbEEZZNS1_14partition_implILS5_8ELb0ES3_jN6thrust23THRUST_200600_302600_NS6detail15normal_iteratorINSA_10device_ptrItEEEEPS6_PKS6_NS0_5tupleIJSF_S6_EEENSJ_IJSG_SG_EEENS0_18inequality_wrapperI22is_equal_div_10_uniqueItEEEPmJS6_EEE10hipError_tPvRmT3_T4_T5_T6_T7_T9_mT8_P12ihipStream_tbDpT10_ENKUlT_T0_E_clISt17integral_constantIbLb0EES19_IbLb1EEEEDaS15_S16_EUlS15_E_NS1_11comp_targetILNS1_3genE5ELNS1_11target_archE942ELNS1_3gpuE9ELNS1_3repE0EEENS1_30default_config_static_selectorELNS0_4arch9wavefront6targetE1EEEvT1_
		.amdhsa_group_segment_fixed_size 0
		.amdhsa_private_segment_fixed_size 0
		.amdhsa_kernarg_size 128
		.amdhsa_user_sgpr_count 6
		.amdhsa_user_sgpr_private_segment_buffer 1
		.amdhsa_user_sgpr_dispatch_ptr 0
		.amdhsa_user_sgpr_queue_ptr 0
		.amdhsa_user_sgpr_kernarg_segment_ptr 1
		.amdhsa_user_sgpr_dispatch_id 0
		.amdhsa_user_sgpr_flat_scratch_init 0
		.amdhsa_user_sgpr_private_segment_size 0
		.amdhsa_uses_dynamic_stack 0
		.amdhsa_system_sgpr_private_segment_wavefront_offset 0
		.amdhsa_system_sgpr_workgroup_id_x 1
		.amdhsa_system_sgpr_workgroup_id_y 0
		.amdhsa_system_sgpr_workgroup_id_z 0
		.amdhsa_system_sgpr_workgroup_info 0
		.amdhsa_system_vgpr_workitem_id 0
		.amdhsa_next_free_vgpr 1
		.amdhsa_next_free_sgpr 0
		.amdhsa_reserve_vcc 0
		.amdhsa_reserve_flat_scratch 0
		.amdhsa_float_round_mode_32 0
		.amdhsa_float_round_mode_16_64 0
		.amdhsa_float_denorm_mode_32 3
		.amdhsa_float_denorm_mode_16_64 3
		.amdhsa_dx10_clamp 1
		.amdhsa_ieee_mode 1
		.amdhsa_fp16_overflow 0
		.amdhsa_exception_fp_ieee_invalid_op 0
		.amdhsa_exception_fp_denorm_src 0
		.amdhsa_exception_fp_ieee_div_zero 0
		.amdhsa_exception_fp_ieee_overflow 0
		.amdhsa_exception_fp_ieee_underflow 0
		.amdhsa_exception_fp_ieee_inexact 0
		.amdhsa_exception_int_div_zero 0
	.end_amdhsa_kernel
	.section	.text._ZN7rocprim17ROCPRIM_400000_NS6detail17trampoline_kernelINS0_14default_configENS1_25partition_config_selectorILNS1_17partition_subalgoE8EtNS0_10empty_typeEbEEZZNS1_14partition_implILS5_8ELb0ES3_jN6thrust23THRUST_200600_302600_NS6detail15normal_iteratorINSA_10device_ptrItEEEEPS6_PKS6_NS0_5tupleIJSF_S6_EEENSJ_IJSG_SG_EEENS0_18inequality_wrapperI22is_equal_div_10_uniqueItEEEPmJS6_EEE10hipError_tPvRmT3_T4_T5_T6_T7_T9_mT8_P12ihipStream_tbDpT10_ENKUlT_T0_E_clISt17integral_constantIbLb0EES19_IbLb1EEEEDaS15_S16_EUlS15_E_NS1_11comp_targetILNS1_3genE5ELNS1_11target_archE942ELNS1_3gpuE9ELNS1_3repE0EEENS1_30default_config_static_selectorELNS0_4arch9wavefront6targetE1EEEvT1_,"axG",@progbits,_ZN7rocprim17ROCPRIM_400000_NS6detail17trampoline_kernelINS0_14default_configENS1_25partition_config_selectorILNS1_17partition_subalgoE8EtNS0_10empty_typeEbEEZZNS1_14partition_implILS5_8ELb0ES3_jN6thrust23THRUST_200600_302600_NS6detail15normal_iteratorINSA_10device_ptrItEEEEPS6_PKS6_NS0_5tupleIJSF_S6_EEENSJ_IJSG_SG_EEENS0_18inequality_wrapperI22is_equal_div_10_uniqueItEEEPmJS6_EEE10hipError_tPvRmT3_T4_T5_T6_T7_T9_mT8_P12ihipStream_tbDpT10_ENKUlT_T0_E_clISt17integral_constantIbLb0EES19_IbLb1EEEEDaS15_S16_EUlS15_E_NS1_11comp_targetILNS1_3genE5ELNS1_11target_archE942ELNS1_3gpuE9ELNS1_3repE0EEENS1_30default_config_static_selectorELNS0_4arch9wavefront6targetE1EEEvT1_,comdat
.Lfunc_end332:
	.size	_ZN7rocprim17ROCPRIM_400000_NS6detail17trampoline_kernelINS0_14default_configENS1_25partition_config_selectorILNS1_17partition_subalgoE8EtNS0_10empty_typeEbEEZZNS1_14partition_implILS5_8ELb0ES3_jN6thrust23THRUST_200600_302600_NS6detail15normal_iteratorINSA_10device_ptrItEEEEPS6_PKS6_NS0_5tupleIJSF_S6_EEENSJ_IJSG_SG_EEENS0_18inequality_wrapperI22is_equal_div_10_uniqueItEEEPmJS6_EEE10hipError_tPvRmT3_T4_T5_T6_T7_T9_mT8_P12ihipStream_tbDpT10_ENKUlT_T0_E_clISt17integral_constantIbLb0EES19_IbLb1EEEEDaS15_S16_EUlS15_E_NS1_11comp_targetILNS1_3genE5ELNS1_11target_archE942ELNS1_3gpuE9ELNS1_3repE0EEENS1_30default_config_static_selectorELNS0_4arch9wavefront6targetE1EEEvT1_, .Lfunc_end332-_ZN7rocprim17ROCPRIM_400000_NS6detail17trampoline_kernelINS0_14default_configENS1_25partition_config_selectorILNS1_17partition_subalgoE8EtNS0_10empty_typeEbEEZZNS1_14partition_implILS5_8ELb0ES3_jN6thrust23THRUST_200600_302600_NS6detail15normal_iteratorINSA_10device_ptrItEEEEPS6_PKS6_NS0_5tupleIJSF_S6_EEENSJ_IJSG_SG_EEENS0_18inequality_wrapperI22is_equal_div_10_uniqueItEEEPmJS6_EEE10hipError_tPvRmT3_T4_T5_T6_T7_T9_mT8_P12ihipStream_tbDpT10_ENKUlT_T0_E_clISt17integral_constantIbLb0EES19_IbLb1EEEEDaS15_S16_EUlS15_E_NS1_11comp_targetILNS1_3genE5ELNS1_11target_archE942ELNS1_3gpuE9ELNS1_3repE0EEENS1_30default_config_static_selectorELNS0_4arch9wavefront6targetE1EEEvT1_
                                        ; -- End function
	.set _ZN7rocprim17ROCPRIM_400000_NS6detail17trampoline_kernelINS0_14default_configENS1_25partition_config_selectorILNS1_17partition_subalgoE8EtNS0_10empty_typeEbEEZZNS1_14partition_implILS5_8ELb0ES3_jN6thrust23THRUST_200600_302600_NS6detail15normal_iteratorINSA_10device_ptrItEEEEPS6_PKS6_NS0_5tupleIJSF_S6_EEENSJ_IJSG_SG_EEENS0_18inequality_wrapperI22is_equal_div_10_uniqueItEEEPmJS6_EEE10hipError_tPvRmT3_T4_T5_T6_T7_T9_mT8_P12ihipStream_tbDpT10_ENKUlT_T0_E_clISt17integral_constantIbLb0EES19_IbLb1EEEEDaS15_S16_EUlS15_E_NS1_11comp_targetILNS1_3genE5ELNS1_11target_archE942ELNS1_3gpuE9ELNS1_3repE0EEENS1_30default_config_static_selectorELNS0_4arch9wavefront6targetE1EEEvT1_.num_vgpr, 0
	.set _ZN7rocprim17ROCPRIM_400000_NS6detail17trampoline_kernelINS0_14default_configENS1_25partition_config_selectorILNS1_17partition_subalgoE8EtNS0_10empty_typeEbEEZZNS1_14partition_implILS5_8ELb0ES3_jN6thrust23THRUST_200600_302600_NS6detail15normal_iteratorINSA_10device_ptrItEEEEPS6_PKS6_NS0_5tupleIJSF_S6_EEENSJ_IJSG_SG_EEENS0_18inequality_wrapperI22is_equal_div_10_uniqueItEEEPmJS6_EEE10hipError_tPvRmT3_T4_T5_T6_T7_T9_mT8_P12ihipStream_tbDpT10_ENKUlT_T0_E_clISt17integral_constantIbLb0EES19_IbLb1EEEEDaS15_S16_EUlS15_E_NS1_11comp_targetILNS1_3genE5ELNS1_11target_archE942ELNS1_3gpuE9ELNS1_3repE0EEENS1_30default_config_static_selectorELNS0_4arch9wavefront6targetE1EEEvT1_.num_agpr, 0
	.set _ZN7rocprim17ROCPRIM_400000_NS6detail17trampoline_kernelINS0_14default_configENS1_25partition_config_selectorILNS1_17partition_subalgoE8EtNS0_10empty_typeEbEEZZNS1_14partition_implILS5_8ELb0ES3_jN6thrust23THRUST_200600_302600_NS6detail15normal_iteratorINSA_10device_ptrItEEEEPS6_PKS6_NS0_5tupleIJSF_S6_EEENSJ_IJSG_SG_EEENS0_18inequality_wrapperI22is_equal_div_10_uniqueItEEEPmJS6_EEE10hipError_tPvRmT3_T4_T5_T6_T7_T9_mT8_P12ihipStream_tbDpT10_ENKUlT_T0_E_clISt17integral_constantIbLb0EES19_IbLb1EEEEDaS15_S16_EUlS15_E_NS1_11comp_targetILNS1_3genE5ELNS1_11target_archE942ELNS1_3gpuE9ELNS1_3repE0EEENS1_30default_config_static_selectorELNS0_4arch9wavefront6targetE1EEEvT1_.numbered_sgpr, 0
	.set _ZN7rocprim17ROCPRIM_400000_NS6detail17trampoline_kernelINS0_14default_configENS1_25partition_config_selectorILNS1_17partition_subalgoE8EtNS0_10empty_typeEbEEZZNS1_14partition_implILS5_8ELb0ES3_jN6thrust23THRUST_200600_302600_NS6detail15normal_iteratorINSA_10device_ptrItEEEEPS6_PKS6_NS0_5tupleIJSF_S6_EEENSJ_IJSG_SG_EEENS0_18inequality_wrapperI22is_equal_div_10_uniqueItEEEPmJS6_EEE10hipError_tPvRmT3_T4_T5_T6_T7_T9_mT8_P12ihipStream_tbDpT10_ENKUlT_T0_E_clISt17integral_constantIbLb0EES19_IbLb1EEEEDaS15_S16_EUlS15_E_NS1_11comp_targetILNS1_3genE5ELNS1_11target_archE942ELNS1_3gpuE9ELNS1_3repE0EEENS1_30default_config_static_selectorELNS0_4arch9wavefront6targetE1EEEvT1_.num_named_barrier, 0
	.set _ZN7rocprim17ROCPRIM_400000_NS6detail17trampoline_kernelINS0_14default_configENS1_25partition_config_selectorILNS1_17partition_subalgoE8EtNS0_10empty_typeEbEEZZNS1_14partition_implILS5_8ELb0ES3_jN6thrust23THRUST_200600_302600_NS6detail15normal_iteratorINSA_10device_ptrItEEEEPS6_PKS6_NS0_5tupleIJSF_S6_EEENSJ_IJSG_SG_EEENS0_18inequality_wrapperI22is_equal_div_10_uniqueItEEEPmJS6_EEE10hipError_tPvRmT3_T4_T5_T6_T7_T9_mT8_P12ihipStream_tbDpT10_ENKUlT_T0_E_clISt17integral_constantIbLb0EES19_IbLb1EEEEDaS15_S16_EUlS15_E_NS1_11comp_targetILNS1_3genE5ELNS1_11target_archE942ELNS1_3gpuE9ELNS1_3repE0EEENS1_30default_config_static_selectorELNS0_4arch9wavefront6targetE1EEEvT1_.private_seg_size, 0
	.set _ZN7rocprim17ROCPRIM_400000_NS6detail17trampoline_kernelINS0_14default_configENS1_25partition_config_selectorILNS1_17partition_subalgoE8EtNS0_10empty_typeEbEEZZNS1_14partition_implILS5_8ELb0ES3_jN6thrust23THRUST_200600_302600_NS6detail15normal_iteratorINSA_10device_ptrItEEEEPS6_PKS6_NS0_5tupleIJSF_S6_EEENSJ_IJSG_SG_EEENS0_18inequality_wrapperI22is_equal_div_10_uniqueItEEEPmJS6_EEE10hipError_tPvRmT3_T4_T5_T6_T7_T9_mT8_P12ihipStream_tbDpT10_ENKUlT_T0_E_clISt17integral_constantIbLb0EES19_IbLb1EEEEDaS15_S16_EUlS15_E_NS1_11comp_targetILNS1_3genE5ELNS1_11target_archE942ELNS1_3gpuE9ELNS1_3repE0EEENS1_30default_config_static_selectorELNS0_4arch9wavefront6targetE1EEEvT1_.uses_vcc, 0
	.set _ZN7rocprim17ROCPRIM_400000_NS6detail17trampoline_kernelINS0_14default_configENS1_25partition_config_selectorILNS1_17partition_subalgoE8EtNS0_10empty_typeEbEEZZNS1_14partition_implILS5_8ELb0ES3_jN6thrust23THRUST_200600_302600_NS6detail15normal_iteratorINSA_10device_ptrItEEEEPS6_PKS6_NS0_5tupleIJSF_S6_EEENSJ_IJSG_SG_EEENS0_18inequality_wrapperI22is_equal_div_10_uniqueItEEEPmJS6_EEE10hipError_tPvRmT3_T4_T5_T6_T7_T9_mT8_P12ihipStream_tbDpT10_ENKUlT_T0_E_clISt17integral_constantIbLb0EES19_IbLb1EEEEDaS15_S16_EUlS15_E_NS1_11comp_targetILNS1_3genE5ELNS1_11target_archE942ELNS1_3gpuE9ELNS1_3repE0EEENS1_30default_config_static_selectorELNS0_4arch9wavefront6targetE1EEEvT1_.uses_flat_scratch, 0
	.set _ZN7rocprim17ROCPRIM_400000_NS6detail17trampoline_kernelINS0_14default_configENS1_25partition_config_selectorILNS1_17partition_subalgoE8EtNS0_10empty_typeEbEEZZNS1_14partition_implILS5_8ELb0ES3_jN6thrust23THRUST_200600_302600_NS6detail15normal_iteratorINSA_10device_ptrItEEEEPS6_PKS6_NS0_5tupleIJSF_S6_EEENSJ_IJSG_SG_EEENS0_18inequality_wrapperI22is_equal_div_10_uniqueItEEEPmJS6_EEE10hipError_tPvRmT3_T4_T5_T6_T7_T9_mT8_P12ihipStream_tbDpT10_ENKUlT_T0_E_clISt17integral_constantIbLb0EES19_IbLb1EEEEDaS15_S16_EUlS15_E_NS1_11comp_targetILNS1_3genE5ELNS1_11target_archE942ELNS1_3gpuE9ELNS1_3repE0EEENS1_30default_config_static_selectorELNS0_4arch9wavefront6targetE1EEEvT1_.has_dyn_sized_stack, 0
	.set _ZN7rocprim17ROCPRIM_400000_NS6detail17trampoline_kernelINS0_14default_configENS1_25partition_config_selectorILNS1_17partition_subalgoE8EtNS0_10empty_typeEbEEZZNS1_14partition_implILS5_8ELb0ES3_jN6thrust23THRUST_200600_302600_NS6detail15normal_iteratorINSA_10device_ptrItEEEEPS6_PKS6_NS0_5tupleIJSF_S6_EEENSJ_IJSG_SG_EEENS0_18inequality_wrapperI22is_equal_div_10_uniqueItEEEPmJS6_EEE10hipError_tPvRmT3_T4_T5_T6_T7_T9_mT8_P12ihipStream_tbDpT10_ENKUlT_T0_E_clISt17integral_constantIbLb0EES19_IbLb1EEEEDaS15_S16_EUlS15_E_NS1_11comp_targetILNS1_3genE5ELNS1_11target_archE942ELNS1_3gpuE9ELNS1_3repE0EEENS1_30default_config_static_selectorELNS0_4arch9wavefront6targetE1EEEvT1_.has_recursion, 0
	.set _ZN7rocprim17ROCPRIM_400000_NS6detail17trampoline_kernelINS0_14default_configENS1_25partition_config_selectorILNS1_17partition_subalgoE8EtNS0_10empty_typeEbEEZZNS1_14partition_implILS5_8ELb0ES3_jN6thrust23THRUST_200600_302600_NS6detail15normal_iteratorINSA_10device_ptrItEEEEPS6_PKS6_NS0_5tupleIJSF_S6_EEENSJ_IJSG_SG_EEENS0_18inequality_wrapperI22is_equal_div_10_uniqueItEEEPmJS6_EEE10hipError_tPvRmT3_T4_T5_T6_T7_T9_mT8_P12ihipStream_tbDpT10_ENKUlT_T0_E_clISt17integral_constantIbLb0EES19_IbLb1EEEEDaS15_S16_EUlS15_E_NS1_11comp_targetILNS1_3genE5ELNS1_11target_archE942ELNS1_3gpuE9ELNS1_3repE0EEENS1_30default_config_static_selectorELNS0_4arch9wavefront6targetE1EEEvT1_.has_indirect_call, 0
	.section	.AMDGPU.csdata,"",@progbits
; Kernel info:
; codeLenInByte = 0
; TotalNumSgprs: 4
; NumVgprs: 0
; ScratchSize: 0
; MemoryBound: 0
; FloatMode: 240
; IeeeMode: 1
; LDSByteSize: 0 bytes/workgroup (compile time only)
; SGPRBlocks: 0
; VGPRBlocks: 0
; NumSGPRsForWavesPerEU: 4
; NumVGPRsForWavesPerEU: 1
; Occupancy: 10
; WaveLimiterHint : 0
; COMPUTE_PGM_RSRC2:SCRATCH_EN: 0
; COMPUTE_PGM_RSRC2:USER_SGPR: 6
; COMPUTE_PGM_RSRC2:TRAP_HANDLER: 0
; COMPUTE_PGM_RSRC2:TGID_X_EN: 1
; COMPUTE_PGM_RSRC2:TGID_Y_EN: 0
; COMPUTE_PGM_RSRC2:TGID_Z_EN: 0
; COMPUTE_PGM_RSRC2:TIDIG_COMP_CNT: 0
	.section	.text._ZN7rocprim17ROCPRIM_400000_NS6detail17trampoline_kernelINS0_14default_configENS1_25partition_config_selectorILNS1_17partition_subalgoE8EtNS0_10empty_typeEbEEZZNS1_14partition_implILS5_8ELb0ES3_jN6thrust23THRUST_200600_302600_NS6detail15normal_iteratorINSA_10device_ptrItEEEEPS6_PKS6_NS0_5tupleIJSF_S6_EEENSJ_IJSG_SG_EEENS0_18inequality_wrapperI22is_equal_div_10_uniqueItEEEPmJS6_EEE10hipError_tPvRmT3_T4_T5_T6_T7_T9_mT8_P12ihipStream_tbDpT10_ENKUlT_T0_E_clISt17integral_constantIbLb0EES19_IbLb1EEEEDaS15_S16_EUlS15_E_NS1_11comp_targetILNS1_3genE4ELNS1_11target_archE910ELNS1_3gpuE8ELNS1_3repE0EEENS1_30default_config_static_selectorELNS0_4arch9wavefront6targetE1EEEvT1_,"axG",@progbits,_ZN7rocprim17ROCPRIM_400000_NS6detail17trampoline_kernelINS0_14default_configENS1_25partition_config_selectorILNS1_17partition_subalgoE8EtNS0_10empty_typeEbEEZZNS1_14partition_implILS5_8ELb0ES3_jN6thrust23THRUST_200600_302600_NS6detail15normal_iteratorINSA_10device_ptrItEEEEPS6_PKS6_NS0_5tupleIJSF_S6_EEENSJ_IJSG_SG_EEENS0_18inequality_wrapperI22is_equal_div_10_uniqueItEEEPmJS6_EEE10hipError_tPvRmT3_T4_T5_T6_T7_T9_mT8_P12ihipStream_tbDpT10_ENKUlT_T0_E_clISt17integral_constantIbLb0EES19_IbLb1EEEEDaS15_S16_EUlS15_E_NS1_11comp_targetILNS1_3genE4ELNS1_11target_archE910ELNS1_3gpuE8ELNS1_3repE0EEENS1_30default_config_static_selectorELNS0_4arch9wavefront6targetE1EEEvT1_,comdat
	.protected	_ZN7rocprim17ROCPRIM_400000_NS6detail17trampoline_kernelINS0_14default_configENS1_25partition_config_selectorILNS1_17partition_subalgoE8EtNS0_10empty_typeEbEEZZNS1_14partition_implILS5_8ELb0ES3_jN6thrust23THRUST_200600_302600_NS6detail15normal_iteratorINSA_10device_ptrItEEEEPS6_PKS6_NS0_5tupleIJSF_S6_EEENSJ_IJSG_SG_EEENS0_18inequality_wrapperI22is_equal_div_10_uniqueItEEEPmJS6_EEE10hipError_tPvRmT3_T4_T5_T6_T7_T9_mT8_P12ihipStream_tbDpT10_ENKUlT_T0_E_clISt17integral_constantIbLb0EES19_IbLb1EEEEDaS15_S16_EUlS15_E_NS1_11comp_targetILNS1_3genE4ELNS1_11target_archE910ELNS1_3gpuE8ELNS1_3repE0EEENS1_30default_config_static_selectorELNS0_4arch9wavefront6targetE1EEEvT1_ ; -- Begin function _ZN7rocprim17ROCPRIM_400000_NS6detail17trampoline_kernelINS0_14default_configENS1_25partition_config_selectorILNS1_17partition_subalgoE8EtNS0_10empty_typeEbEEZZNS1_14partition_implILS5_8ELb0ES3_jN6thrust23THRUST_200600_302600_NS6detail15normal_iteratorINSA_10device_ptrItEEEEPS6_PKS6_NS0_5tupleIJSF_S6_EEENSJ_IJSG_SG_EEENS0_18inequality_wrapperI22is_equal_div_10_uniqueItEEEPmJS6_EEE10hipError_tPvRmT3_T4_T5_T6_T7_T9_mT8_P12ihipStream_tbDpT10_ENKUlT_T0_E_clISt17integral_constantIbLb0EES19_IbLb1EEEEDaS15_S16_EUlS15_E_NS1_11comp_targetILNS1_3genE4ELNS1_11target_archE910ELNS1_3gpuE8ELNS1_3repE0EEENS1_30default_config_static_selectorELNS0_4arch9wavefront6targetE1EEEvT1_
	.globl	_ZN7rocprim17ROCPRIM_400000_NS6detail17trampoline_kernelINS0_14default_configENS1_25partition_config_selectorILNS1_17partition_subalgoE8EtNS0_10empty_typeEbEEZZNS1_14partition_implILS5_8ELb0ES3_jN6thrust23THRUST_200600_302600_NS6detail15normal_iteratorINSA_10device_ptrItEEEEPS6_PKS6_NS0_5tupleIJSF_S6_EEENSJ_IJSG_SG_EEENS0_18inequality_wrapperI22is_equal_div_10_uniqueItEEEPmJS6_EEE10hipError_tPvRmT3_T4_T5_T6_T7_T9_mT8_P12ihipStream_tbDpT10_ENKUlT_T0_E_clISt17integral_constantIbLb0EES19_IbLb1EEEEDaS15_S16_EUlS15_E_NS1_11comp_targetILNS1_3genE4ELNS1_11target_archE910ELNS1_3gpuE8ELNS1_3repE0EEENS1_30default_config_static_selectorELNS0_4arch9wavefront6targetE1EEEvT1_
	.p2align	8
	.type	_ZN7rocprim17ROCPRIM_400000_NS6detail17trampoline_kernelINS0_14default_configENS1_25partition_config_selectorILNS1_17partition_subalgoE8EtNS0_10empty_typeEbEEZZNS1_14partition_implILS5_8ELb0ES3_jN6thrust23THRUST_200600_302600_NS6detail15normal_iteratorINSA_10device_ptrItEEEEPS6_PKS6_NS0_5tupleIJSF_S6_EEENSJ_IJSG_SG_EEENS0_18inequality_wrapperI22is_equal_div_10_uniqueItEEEPmJS6_EEE10hipError_tPvRmT3_T4_T5_T6_T7_T9_mT8_P12ihipStream_tbDpT10_ENKUlT_T0_E_clISt17integral_constantIbLb0EES19_IbLb1EEEEDaS15_S16_EUlS15_E_NS1_11comp_targetILNS1_3genE4ELNS1_11target_archE910ELNS1_3gpuE8ELNS1_3repE0EEENS1_30default_config_static_selectorELNS0_4arch9wavefront6targetE1EEEvT1_,@function
_ZN7rocprim17ROCPRIM_400000_NS6detail17trampoline_kernelINS0_14default_configENS1_25partition_config_selectorILNS1_17partition_subalgoE8EtNS0_10empty_typeEbEEZZNS1_14partition_implILS5_8ELb0ES3_jN6thrust23THRUST_200600_302600_NS6detail15normal_iteratorINSA_10device_ptrItEEEEPS6_PKS6_NS0_5tupleIJSF_S6_EEENSJ_IJSG_SG_EEENS0_18inequality_wrapperI22is_equal_div_10_uniqueItEEEPmJS6_EEE10hipError_tPvRmT3_T4_T5_T6_T7_T9_mT8_P12ihipStream_tbDpT10_ENKUlT_T0_E_clISt17integral_constantIbLb0EES19_IbLb1EEEEDaS15_S16_EUlS15_E_NS1_11comp_targetILNS1_3genE4ELNS1_11target_archE910ELNS1_3gpuE8ELNS1_3repE0EEENS1_30default_config_static_selectorELNS0_4arch9wavefront6targetE1EEEvT1_: ; @_ZN7rocprim17ROCPRIM_400000_NS6detail17trampoline_kernelINS0_14default_configENS1_25partition_config_selectorILNS1_17partition_subalgoE8EtNS0_10empty_typeEbEEZZNS1_14partition_implILS5_8ELb0ES3_jN6thrust23THRUST_200600_302600_NS6detail15normal_iteratorINSA_10device_ptrItEEEEPS6_PKS6_NS0_5tupleIJSF_S6_EEENSJ_IJSG_SG_EEENS0_18inequality_wrapperI22is_equal_div_10_uniqueItEEEPmJS6_EEE10hipError_tPvRmT3_T4_T5_T6_T7_T9_mT8_P12ihipStream_tbDpT10_ENKUlT_T0_E_clISt17integral_constantIbLb0EES19_IbLb1EEEEDaS15_S16_EUlS15_E_NS1_11comp_targetILNS1_3genE4ELNS1_11target_archE910ELNS1_3gpuE8ELNS1_3repE0EEENS1_30default_config_static_selectorELNS0_4arch9wavefront6targetE1EEEvT1_
; %bb.0:
	.section	.rodata,"a",@progbits
	.p2align	6, 0x0
	.amdhsa_kernel _ZN7rocprim17ROCPRIM_400000_NS6detail17trampoline_kernelINS0_14default_configENS1_25partition_config_selectorILNS1_17partition_subalgoE8EtNS0_10empty_typeEbEEZZNS1_14partition_implILS5_8ELb0ES3_jN6thrust23THRUST_200600_302600_NS6detail15normal_iteratorINSA_10device_ptrItEEEEPS6_PKS6_NS0_5tupleIJSF_S6_EEENSJ_IJSG_SG_EEENS0_18inequality_wrapperI22is_equal_div_10_uniqueItEEEPmJS6_EEE10hipError_tPvRmT3_T4_T5_T6_T7_T9_mT8_P12ihipStream_tbDpT10_ENKUlT_T0_E_clISt17integral_constantIbLb0EES19_IbLb1EEEEDaS15_S16_EUlS15_E_NS1_11comp_targetILNS1_3genE4ELNS1_11target_archE910ELNS1_3gpuE8ELNS1_3repE0EEENS1_30default_config_static_selectorELNS0_4arch9wavefront6targetE1EEEvT1_
		.amdhsa_group_segment_fixed_size 0
		.amdhsa_private_segment_fixed_size 0
		.amdhsa_kernarg_size 128
		.amdhsa_user_sgpr_count 6
		.amdhsa_user_sgpr_private_segment_buffer 1
		.amdhsa_user_sgpr_dispatch_ptr 0
		.amdhsa_user_sgpr_queue_ptr 0
		.amdhsa_user_sgpr_kernarg_segment_ptr 1
		.amdhsa_user_sgpr_dispatch_id 0
		.amdhsa_user_sgpr_flat_scratch_init 0
		.amdhsa_user_sgpr_private_segment_size 0
		.amdhsa_uses_dynamic_stack 0
		.amdhsa_system_sgpr_private_segment_wavefront_offset 0
		.amdhsa_system_sgpr_workgroup_id_x 1
		.amdhsa_system_sgpr_workgroup_id_y 0
		.amdhsa_system_sgpr_workgroup_id_z 0
		.amdhsa_system_sgpr_workgroup_info 0
		.amdhsa_system_vgpr_workitem_id 0
		.amdhsa_next_free_vgpr 1
		.amdhsa_next_free_sgpr 0
		.amdhsa_reserve_vcc 0
		.amdhsa_reserve_flat_scratch 0
		.amdhsa_float_round_mode_32 0
		.amdhsa_float_round_mode_16_64 0
		.amdhsa_float_denorm_mode_32 3
		.amdhsa_float_denorm_mode_16_64 3
		.amdhsa_dx10_clamp 1
		.amdhsa_ieee_mode 1
		.amdhsa_fp16_overflow 0
		.amdhsa_exception_fp_ieee_invalid_op 0
		.amdhsa_exception_fp_denorm_src 0
		.amdhsa_exception_fp_ieee_div_zero 0
		.amdhsa_exception_fp_ieee_overflow 0
		.amdhsa_exception_fp_ieee_underflow 0
		.amdhsa_exception_fp_ieee_inexact 0
		.amdhsa_exception_int_div_zero 0
	.end_amdhsa_kernel
	.section	.text._ZN7rocprim17ROCPRIM_400000_NS6detail17trampoline_kernelINS0_14default_configENS1_25partition_config_selectorILNS1_17partition_subalgoE8EtNS0_10empty_typeEbEEZZNS1_14partition_implILS5_8ELb0ES3_jN6thrust23THRUST_200600_302600_NS6detail15normal_iteratorINSA_10device_ptrItEEEEPS6_PKS6_NS0_5tupleIJSF_S6_EEENSJ_IJSG_SG_EEENS0_18inequality_wrapperI22is_equal_div_10_uniqueItEEEPmJS6_EEE10hipError_tPvRmT3_T4_T5_T6_T7_T9_mT8_P12ihipStream_tbDpT10_ENKUlT_T0_E_clISt17integral_constantIbLb0EES19_IbLb1EEEEDaS15_S16_EUlS15_E_NS1_11comp_targetILNS1_3genE4ELNS1_11target_archE910ELNS1_3gpuE8ELNS1_3repE0EEENS1_30default_config_static_selectorELNS0_4arch9wavefront6targetE1EEEvT1_,"axG",@progbits,_ZN7rocprim17ROCPRIM_400000_NS6detail17trampoline_kernelINS0_14default_configENS1_25partition_config_selectorILNS1_17partition_subalgoE8EtNS0_10empty_typeEbEEZZNS1_14partition_implILS5_8ELb0ES3_jN6thrust23THRUST_200600_302600_NS6detail15normal_iteratorINSA_10device_ptrItEEEEPS6_PKS6_NS0_5tupleIJSF_S6_EEENSJ_IJSG_SG_EEENS0_18inequality_wrapperI22is_equal_div_10_uniqueItEEEPmJS6_EEE10hipError_tPvRmT3_T4_T5_T6_T7_T9_mT8_P12ihipStream_tbDpT10_ENKUlT_T0_E_clISt17integral_constantIbLb0EES19_IbLb1EEEEDaS15_S16_EUlS15_E_NS1_11comp_targetILNS1_3genE4ELNS1_11target_archE910ELNS1_3gpuE8ELNS1_3repE0EEENS1_30default_config_static_selectorELNS0_4arch9wavefront6targetE1EEEvT1_,comdat
.Lfunc_end333:
	.size	_ZN7rocprim17ROCPRIM_400000_NS6detail17trampoline_kernelINS0_14default_configENS1_25partition_config_selectorILNS1_17partition_subalgoE8EtNS0_10empty_typeEbEEZZNS1_14partition_implILS5_8ELb0ES3_jN6thrust23THRUST_200600_302600_NS6detail15normal_iteratorINSA_10device_ptrItEEEEPS6_PKS6_NS0_5tupleIJSF_S6_EEENSJ_IJSG_SG_EEENS0_18inequality_wrapperI22is_equal_div_10_uniqueItEEEPmJS6_EEE10hipError_tPvRmT3_T4_T5_T6_T7_T9_mT8_P12ihipStream_tbDpT10_ENKUlT_T0_E_clISt17integral_constantIbLb0EES19_IbLb1EEEEDaS15_S16_EUlS15_E_NS1_11comp_targetILNS1_3genE4ELNS1_11target_archE910ELNS1_3gpuE8ELNS1_3repE0EEENS1_30default_config_static_selectorELNS0_4arch9wavefront6targetE1EEEvT1_, .Lfunc_end333-_ZN7rocprim17ROCPRIM_400000_NS6detail17trampoline_kernelINS0_14default_configENS1_25partition_config_selectorILNS1_17partition_subalgoE8EtNS0_10empty_typeEbEEZZNS1_14partition_implILS5_8ELb0ES3_jN6thrust23THRUST_200600_302600_NS6detail15normal_iteratorINSA_10device_ptrItEEEEPS6_PKS6_NS0_5tupleIJSF_S6_EEENSJ_IJSG_SG_EEENS0_18inequality_wrapperI22is_equal_div_10_uniqueItEEEPmJS6_EEE10hipError_tPvRmT3_T4_T5_T6_T7_T9_mT8_P12ihipStream_tbDpT10_ENKUlT_T0_E_clISt17integral_constantIbLb0EES19_IbLb1EEEEDaS15_S16_EUlS15_E_NS1_11comp_targetILNS1_3genE4ELNS1_11target_archE910ELNS1_3gpuE8ELNS1_3repE0EEENS1_30default_config_static_selectorELNS0_4arch9wavefront6targetE1EEEvT1_
                                        ; -- End function
	.set _ZN7rocprim17ROCPRIM_400000_NS6detail17trampoline_kernelINS0_14default_configENS1_25partition_config_selectorILNS1_17partition_subalgoE8EtNS0_10empty_typeEbEEZZNS1_14partition_implILS5_8ELb0ES3_jN6thrust23THRUST_200600_302600_NS6detail15normal_iteratorINSA_10device_ptrItEEEEPS6_PKS6_NS0_5tupleIJSF_S6_EEENSJ_IJSG_SG_EEENS0_18inequality_wrapperI22is_equal_div_10_uniqueItEEEPmJS6_EEE10hipError_tPvRmT3_T4_T5_T6_T7_T9_mT8_P12ihipStream_tbDpT10_ENKUlT_T0_E_clISt17integral_constantIbLb0EES19_IbLb1EEEEDaS15_S16_EUlS15_E_NS1_11comp_targetILNS1_3genE4ELNS1_11target_archE910ELNS1_3gpuE8ELNS1_3repE0EEENS1_30default_config_static_selectorELNS0_4arch9wavefront6targetE1EEEvT1_.num_vgpr, 0
	.set _ZN7rocprim17ROCPRIM_400000_NS6detail17trampoline_kernelINS0_14default_configENS1_25partition_config_selectorILNS1_17partition_subalgoE8EtNS0_10empty_typeEbEEZZNS1_14partition_implILS5_8ELb0ES3_jN6thrust23THRUST_200600_302600_NS6detail15normal_iteratorINSA_10device_ptrItEEEEPS6_PKS6_NS0_5tupleIJSF_S6_EEENSJ_IJSG_SG_EEENS0_18inequality_wrapperI22is_equal_div_10_uniqueItEEEPmJS6_EEE10hipError_tPvRmT3_T4_T5_T6_T7_T9_mT8_P12ihipStream_tbDpT10_ENKUlT_T0_E_clISt17integral_constantIbLb0EES19_IbLb1EEEEDaS15_S16_EUlS15_E_NS1_11comp_targetILNS1_3genE4ELNS1_11target_archE910ELNS1_3gpuE8ELNS1_3repE0EEENS1_30default_config_static_selectorELNS0_4arch9wavefront6targetE1EEEvT1_.num_agpr, 0
	.set _ZN7rocprim17ROCPRIM_400000_NS6detail17trampoline_kernelINS0_14default_configENS1_25partition_config_selectorILNS1_17partition_subalgoE8EtNS0_10empty_typeEbEEZZNS1_14partition_implILS5_8ELb0ES3_jN6thrust23THRUST_200600_302600_NS6detail15normal_iteratorINSA_10device_ptrItEEEEPS6_PKS6_NS0_5tupleIJSF_S6_EEENSJ_IJSG_SG_EEENS0_18inequality_wrapperI22is_equal_div_10_uniqueItEEEPmJS6_EEE10hipError_tPvRmT3_T4_T5_T6_T7_T9_mT8_P12ihipStream_tbDpT10_ENKUlT_T0_E_clISt17integral_constantIbLb0EES19_IbLb1EEEEDaS15_S16_EUlS15_E_NS1_11comp_targetILNS1_3genE4ELNS1_11target_archE910ELNS1_3gpuE8ELNS1_3repE0EEENS1_30default_config_static_selectorELNS0_4arch9wavefront6targetE1EEEvT1_.numbered_sgpr, 0
	.set _ZN7rocprim17ROCPRIM_400000_NS6detail17trampoline_kernelINS0_14default_configENS1_25partition_config_selectorILNS1_17partition_subalgoE8EtNS0_10empty_typeEbEEZZNS1_14partition_implILS5_8ELb0ES3_jN6thrust23THRUST_200600_302600_NS6detail15normal_iteratorINSA_10device_ptrItEEEEPS6_PKS6_NS0_5tupleIJSF_S6_EEENSJ_IJSG_SG_EEENS0_18inequality_wrapperI22is_equal_div_10_uniqueItEEEPmJS6_EEE10hipError_tPvRmT3_T4_T5_T6_T7_T9_mT8_P12ihipStream_tbDpT10_ENKUlT_T0_E_clISt17integral_constantIbLb0EES19_IbLb1EEEEDaS15_S16_EUlS15_E_NS1_11comp_targetILNS1_3genE4ELNS1_11target_archE910ELNS1_3gpuE8ELNS1_3repE0EEENS1_30default_config_static_selectorELNS0_4arch9wavefront6targetE1EEEvT1_.num_named_barrier, 0
	.set _ZN7rocprim17ROCPRIM_400000_NS6detail17trampoline_kernelINS0_14default_configENS1_25partition_config_selectorILNS1_17partition_subalgoE8EtNS0_10empty_typeEbEEZZNS1_14partition_implILS5_8ELb0ES3_jN6thrust23THRUST_200600_302600_NS6detail15normal_iteratorINSA_10device_ptrItEEEEPS6_PKS6_NS0_5tupleIJSF_S6_EEENSJ_IJSG_SG_EEENS0_18inequality_wrapperI22is_equal_div_10_uniqueItEEEPmJS6_EEE10hipError_tPvRmT3_T4_T5_T6_T7_T9_mT8_P12ihipStream_tbDpT10_ENKUlT_T0_E_clISt17integral_constantIbLb0EES19_IbLb1EEEEDaS15_S16_EUlS15_E_NS1_11comp_targetILNS1_3genE4ELNS1_11target_archE910ELNS1_3gpuE8ELNS1_3repE0EEENS1_30default_config_static_selectorELNS0_4arch9wavefront6targetE1EEEvT1_.private_seg_size, 0
	.set _ZN7rocprim17ROCPRIM_400000_NS6detail17trampoline_kernelINS0_14default_configENS1_25partition_config_selectorILNS1_17partition_subalgoE8EtNS0_10empty_typeEbEEZZNS1_14partition_implILS5_8ELb0ES3_jN6thrust23THRUST_200600_302600_NS6detail15normal_iteratorINSA_10device_ptrItEEEEPS6_PKS6_NS0_5tupleIJSF_S6_EEENSJ_IJSG_SG_EEENS0_18inequality_wrapperI22is_equal_div_10_uniqueItEEEPmJS6_EEE10hipError_tPvRmT3_T4_T5_T6_T7_T9_mT8_P12ihipStream_tbDpT10_ENKUlT_T0_E_clISt17integral_constantIbLb0EES19_IbLb1EEEEDaS15_S16_EUlS15_E_NS1_11comp_targetILNS1_3genE4ELNS1_11target_archE910ELNS1_3gpuE8ELNS1_3repE0EEENS1_30default_config_static_selectorELNS0_4arch9wavefront6targetE1EEEvT1_.uses_vcc, 0
	.set _ZN7rocprim17ROCPRIM_400000_NS6detail17trampoline_kernelINS0_14default_configENS1_25partition_config_selectorILNS1_17partition_subalgoE8EtNS0_10empty_typeEbEEZZNS1_14partition_implILS5_8ELb0ES3_jN6thrust23THRUST_200600_302600_NS6detail15normal_iteratorINSA_10device_ptrItEEEEPS6_PKS6_NS0_5tupleIJSF_S6_EEENSJ_IJSG_SG_EEENS0_18inequality_wrapperI22is_equal_div_10_uniqueItEEEPmJS6_EEE10hipError_tPvRmT3_T4_T5_T6_T7_T9_mT8_P12ihipStream_tbDpT10_ENKUlT_T0_E_clISt17integral_constantIbLb0EES19_IbLb1EEEEDaS15_S16_EUlS15_E_NS1_11comp_targetILNS1_3genE4ELNS1_11target_archE910ELNS1_3gpuE8ELNS1_3repE0EEENS1_30default_config_static_selectorELNS0_4arch9wavefront6targetE1EEEvT1_.uses_flat_scratch, 0
	.set _ZN7rocprim17ROCPRIM_400000_NS6detail17trampoline_kernelINS0_14default_configENS1_25partition_config_selectorILNS1_17partition_subalgoE8EtNS0_10empty_typeEbEEZZNS1_14partition_implILS5_8ELb0ES3_jN6thrust23THRUST_200600_302600_NS6detail15normal_iteratorINSA_10device_ptrItEEEEPS6_PKS6_NS0_5tupleIJSF_S6_EEENSJ_IJSG_SG_EEENS0_18inequality_wrapperI22is_equal_div_10_uniqueItEEEPmJS6_EEE10hipError_tPvRmT3_T4_T5_T6_T7_T9_mT8_P12ihipStream_tbDpT10_ENKUlT_T0_E_clISt17integral_constantIbLb0EES19_IbLb1EEEEDaS15_S16_EUlS15_E_NS1_11comp_targetILNS1_3genE4ELNS1_11target_archE910ELNS1_3gpuE8ELNS1_3repE0EEENS1_30default_config_static_selectorELNS0_4arch9wavefront6targetE1EEEvT1_.has_dyn_sized_stack, 0
	.set _ZN7rocprim17ROCPRIM_400000_NS6detail17trampoline_kernelINS0_14default_configENS1_25partition_config_selectorILNS1_17partition_subalgoE8EtNS0_10empty_typeEbEEZZNS1_14partition_implILS5_8ELb0ES3_jN6thrust23THRUST_200600_302600_NS6detail15normal_iteratorINSA_10device_ptrItEEEEPS6_PKS6_NS0_5tupleIJSF_S6_EEENSJ_IJSG_SG_EEENS0_18inequality_wrapperI22is_equal_div_10_uniqueItEEEPmJS6_EEE10hipError_tPvRmT3_T4_T5_T6_T7_T9_mT8_P12ihipStream_tbDpT10_ENKUlT_T0_E_clISt17integral_constantIbLb0EES19_IbLb1EEEEDaS15_S16_EUlS15_E_NS1_11comp_targetILNS1_3genE4ELNS1_11target_archE910ELNS1_3gpuE8ELNS1_3repE0EEENS1_30default_config_static_selectorELNS0_4arch9wavefront6targetE1EEEvT1_.has_recursion, 0
	.set _ZN7rocprim17ROCPRIM_400000_NS6detail17trampoline_kernelINS0_14default_configENS1_25partition_config_selectorILNS1_17partition_subalgoE8EtNS0_10empty_typeEbEEZZNS1_14partition_implILS5_8ELb0ES3_jN6thrust23THRUST_200600_302600_NS6detail15normal_iteratorINSA_10device_ptrItEEEEPS6_PKS6_NS0_5tupleIJSF_S6_EEENSJ_IJSG_SG_EEENS0_18inequality_wrapperI22is_equal_div_10_uniqueItEEEPmJS6_EEE10hipError_tPvRmT3_T4_T5_T6_T7_T9_mT8_P12ihipStream_tbDpT10_ENKUlT_T0_E_clISt17integral_constantIbLb0EES19_IbLb1EEEEDaS15_S16_EUlS15_E_NS1_11comp_targetILNS1_3genE4ELNS1_11target_archE910ELNS1_3gpuE8ELNS1_3repE0EEENS1_30default_config_static_selectorELNS0_4arch9wavefront6targetE1EEEvT1_.has_indirect_call, 0
	.section	.AMDGPU.csdata,"",@progbits
; Kernel info:
; codeLenInByte = 0
; TotalNumSgprs: 4
; NumVgprs: 0
; ScratchSize: 0
; MemoryBound: 0
; FloatMode: 240
; IeeeMode: 1
; LDSByteSize: 0 bytes/workgroup (compile time only)
; SGPRBlocks: 0
; VGPRBlocks: 0
; NumSGPRsForWavesPerEU: 4
; NumVGPRsForWavesPerEU: 1
; Occupancy: 10
; WaveLimiterHint : 0
; COMPUTE_PGM_RSRC2:SCRATCH_EN: 0
; COMPUTE_PGM_RSRC2:USER_SGPR: 6
; COMPUTE_PGM_RSRC2:TRAP_HANDLER: 0
; COMPUTE_PGM_RSRC2:TGID_X_EN: 1
; COMPUTE_PGM_RSRC2:TGID_Y_EN: 0
; COMPUTE_PGM_RSRC2:TGID_Z_EN: 0
; COMPUTE_PGM_RSRC2:TIDIG_COMP_CNT: 0
	.section	.text._ZN7rocprim17ROCPRIM_400000_NS6detail17trampoline_kernelINS0_14default_configENS1_25partition_config_selectorILNS1_17partition_subalgoE8EtNS0_10empty_typeEbEEZZNS1_14partition_implILS5_8ELb0ES3_jN6thrust23THRUST_200600_302600_NS6detail15normal_iteratorINSA_10device_ptrItEEEEPS6_PKS6_NS0_5tupleIJSF_S6_EEENSJ_IJSG_SG_EEENS0_18inequality_wrapperI22is_equal_div_10_uniqueItEEEPmJS6_EEE10hipError_tPvRmT3_T4_T5_T6_T7_T9_mT8_P12ihipStream_tbDpT10_ENKUlT_T0_E_clISt17integral_constantIbLb0EES19_IbLb1EEEEDaS15_S16_EUlS15_E_NS1_11comp_targetILNS1_3genE3ELNS1_11target_archE908ELNS1_3gpuE7ELNS1_3repE0EEENS1_30default_config_static_selectorELNS0_4arch9wavefront6targetE1EEEvT1_,"axG",@progbits,_ZN7rocprim17ROCPRIM_400000_NS6detail17trampoline_kernelINS0_14default_configENS1_25partition_config_selectorILNS1_17partition_subalgoE8EtNS0_10empty_typeEbEEZZNS1_14partition_implILS5_8ELb0ES3_jN6thrust23THRUST_200600_302600_NS6detail15normal_iteratorINSA_10device_ptrItEEEEPS6_PKS6_NS0_5tupleIJSF_S6_EEENSJ_IJSG_SG_EEENS0_18inequality_wrapperI22is_equal_div_10_uniqueItEEEPmJS6_EEE10hipError_tPvRmT3_T4_T5_T6_T7_T9_mT8_P12ihipStream_tbDpT10_ENKUlT_T0_E_clISt17integral_constantIbLb0EES19_IbLb1EEEEDaS15_S16_EUlS15_E_NS1_11comp_targetILNS1_3genE3ELNS1_11target_archE908ELNS1_3gpuE7ELNS1_3repE0EEENS1_30default_config_static_selectorELNS0_4arch9wavefront6targetE1EEEvT1_,comdat
	.protected	_ZN7rocprim17ROCPRIM_400000_NS6detail17trampoline_kernelINS0_14default_configENS1_25partition_config_selectorILNS1_17partition_subalgoE8EtNS0_10empty_typeEbEEZZNS1_14partition_implILS5_8ELb0ES3_jN6thrust23THRUST_200600_302600_NS6detail15normal_iteratorINSA_10device_ptrItEEEEPS6_PKS6_NS0_5tupleIJSF_S6_EEENSJ_IJSG_SG_EEENS0_18inequality_wrapperI22is_equal_div_10_uniqueItEEEPmJS6_EEE10hipError_tPvRmT3_T4_T5_T6_T7_T9_mT8_P12ihipStream_tbDpT10_ENKUlT_T0_E_clISt17integral_constantIbLb0EES19_IbLb1EEEEDaS15_S16_EUlS15_E_NS1_11comp_targetILNS1_3genE3ELNS1_11target_archE908ELNS1_3gpuE7ELNS1_3repE0EEENS1_30default_config_static_selectorELNS0_4arch9wavefront6targetE1EEEvT1_ ; -- Begin function _ZN7rocprim17ROCPRIM_400000_NS6detail17trampoline_kernelINS0_14default_configENS1_25partition_config_selectorILNS1_17partition_subalgoE8EtNS0_10empty_typeEbEEZZNS1_14partition_implILS5_8ELb0ES3_jN6thrust23THRUST_200600_302600_NS6detail15normal_iteratorINSA_10device_ptrItEEEEPS6_PKS6_NS0_5tupleIJSF_S6_EEENSJ_IJSG_SG_EEENS0_18inequality_wrapperI22is_equal_div_10_uniqueItEEEPmJS6_EEE10hipError_tPvRmT3_T4_T5_T6_T7_T9_mT8_P12ihipStream_tbDpT10_ENKUlT_T0_E_clISt17integral_constantIbLb0EES19_IbLb1EEEEDaS15_S16_EUlS15_E_NS1_11comp_targetILNS1_3genE3ELNS1_11target_archE908ELNS1_3gpuE7ELNS1_3repE0EEENS1_30default_config_static_selectorELNS0_4arch9wavefront6targetE1EEEvT1_
	.globl	_ZN7rocprim17ROCPRIM_400000_NS6detail17trampoline_kernelINS0_14default_configENS1_25partition_config_selectorILNS1_17partition_subalgoE8EtNS0_10empty_typeEbEEZZNS1_14partition_implILS5_8ELb0ES3_jN6thrust23THRUST_200600_302600_NS6detail15normal_iteratorINSA_10device_ptrItEEEEPS6_PKS6_NS0_5tupleIJSF_S6_EEENSJ_IJSG_SG_EEENS0_18inequality_wrapperI22is_equal_div_10_uniqueItEEEPmJS6_EEE10hipError_tPvRmT3_T4_T5_T6_T7_T9_mT8_P12ihipStream_tbDpT10_ENKUlT_T0_E_clISt17integral_constantIbLb0EES19_IbLb1EEEEDaS15_S16_EUlS15_E_NS1_11comp_targetILNS1_3genE3ELNS1_11target_archE908ELNS1_3gpuE7ELNS1_3repE0EEENS1_30default_config_static_selectorELNS0_4arch9wavefront6targetE1EEEvT1_
	.p2align	8
	.type	_ZN7rocprim17ROCPRIM_400000_NS6detail17trampoline_kernelINS0_14default_configENS1_25partition_config_selectorILNS1_17partition_subalgoE8EtNS0_10empty_typeEbEEZZNS1_14partition_implILS5_8ELb0ES3_jN6thrust23THRUST_200600_302600_NS6detail15normal_iteratorINSA_10device_ptrItEEEEPS6_PKS6_NS0_5tupleIJSF_S6_EEENSJ_IJSG_SG_EEENS0_18inequality_wrapperI22is_equal_div_10_uniqueItEEEPmJS6_EEE10hipError_tPvRmT3_T4_T5_T6_T7_T9_mT8_P12ihipStream_tbDpT10_ENKUlT_T0_E_clISt17integral_constantIbLb0EES19_IbLb1EEEEDaS15_S16_EUlS15_E_NS1_11comp_targetILNS1_3genE3ELNS1_11target_archE908ELNS1_3gpuE7ELNS1_3repE0EEENS1_30default_config_static_selectorELNS0_4arch9wavefront6targetE1EEEvT1_,@function
_ZN7rocprim17ROCPRIM_400000_NS6detail17trampoline_kernelINS0_14default_configENS1_25partition_config_selectorILNS1_17partition_subalgoE8EtNS0_10empty_typeEbEEZZNS1_14partition_implILS5_8ELb0ES3_jN6thrust23THRUST_200600_302600_NS6detail15normal_iteratorINSA_10device_ptrItEEEEPS6_PKS6_NS0_5tupleIJSF_S6_EEENSJ_IJSG_SG_EEENS0_18inequality_wrapperI22is_equal_div_10_uniqueItEEEPmJS6_EEE10hipError_tPvRmT3_T4_T5_T6_T7_T9_mT8_P12ihipStream_tbDpT10_ENKUlT_T0_E_clISt17integral_constantIbLb0EES19_IbLb1EEEEDaS15_S16_EUlS15_E_NS1_11comp_targetILNS1_3genE3ELNS1_11target_archE908ELNS1_3gpuE7ELNS1_3repE0EEENS1_30default_config_static_selectorELNS0_4arch9wavefront6targetE1EEEvT1_: ; @_ZN7rocprim17ROCPRIM_400000_NS6detail17trampoline_kernelINS0_14default_configENS1_25partition_config_selectorILNS1_17partition_subalgoE8EtNS0_10empty_typeEbEEZZNS1_14partition_implILS5_8ELb0ES3_jN6thrust23THRUST_200600_302600_NS6detail15normal_iteratorINSA_10device_ptrItEEEEPS6_PKS6_NS0_5tupleIJSF_S6_EEENSJ_IJSG_SG_EEENS0_18inequality_wrapperI22is_equal_div_10_uniqueItEEEPmJS6_EEE10hipError_tPvRmT3_T4_T5_T6_T7_T9_mT8_P12ihipStream_tbDpT10_ENKUlT_T0_E_clISt17integral_constantIbLb0EES19_IbLb1EEEEDaS15_S16_EUlS15_E_NS1_11comp_targetILNS1_3genE3ELNS1_11target_archE908ELNS1_3gpuE7ELNS1_3repE0EEENS1_30default_config_static_selectorELNS0_4arch9wavefront6targetE1EEEvT1_
; %bb.0:
	.section	.rodata,"a",@progbits
	.p2align	6, 0x0
	.amdhsa_kernel _ZN7rocprim17ROCPRIM_400000_NS6detail17trampoline_kernelINS0_14default_configENS1_25partition_config_selectorILNS1_17partition_subalgoE8EtNS0_10empty_typeEbEEZZNS1_14partition_implILS5_8ELb0ES3_jN6thrust23THRUST_200600_302600_NS6detail15normal_iteratorINSA_10device_ptrItEEEEPS6_PKS6_NS0_5tupleIJSF_S6_EEENSJ_IJSG_SG_EEENS0_18inequality_wrapperI22is_equal_div_10_uniqueItEEEPmJS6_EEE10hipError_tPvRmT3_T4_T5_T6_T7_T9_mT8_P12ihipStream_tbDpT10_ENKUlT_T0_E_clISt17integral_constantIbLb0EES19_IbLb1EEEEDaS15_S16_EUlS15_E_NS1_11comp_targetILNS1_3genE3ELNS1_11target_archE908ELNS1_3gpuE7ELNS1_3repE0EEENS1_30default_config_static_selectorELNS0_4arch9wavefront6targetE1EEEvT1_
		.amdhsa_group_segment_fixed_size 0
		.amdhsa_private_segment_fixed_size 0
		.amdhsa_kernarg_size 128
		.amdhsa_user_sgpr_count 6
		.amdhsa_user_sgpr_private_segment_buffer 1
		.amdhsa_user_sgpr_dispatch_ptr 0
		.amdhsa_user_sgpr_queue_ptr 0
		.amdhsa_user_sgpr_kernarg_segment_ptr 1
		.amdhsa_user_sgpr_dispatch_id 0
		.amdhsa_user_sgpr_flat_scratch_init 0
		.amdhsa_user_sgpr_private_segment_size 0
		.amdhsa_uses_dynamic_stack 0
		.amdhsa_system_sgpr_private_segment_wavefront_offset 0
		.amdhsa_system_sgpr_workgroup_id_x 1
		.amdhsa_system_sgpr_workgroup_id_y 0
		.amdhsa_system_sgpr_workgroup_id_z 0
		.amdhsa_system_sgpr_workgroup_info 0
		.amdhsa_system_vgpr_workitem_id 0
		.amdhsa_next_free_vgpr 1
		.amdhsa_next_free_sgpr 0
		.amdhsa_reserve_vcc 0
		.amdhsa_reserve_flat_scratch 0
		.amdhsa_float_round_mode_32 0
		.amdhsa_float_round_mode_16_64 0
		.amdhsa_float_denorm_mode_32 3
		.amdhsa_float_denorm_mode_16_64 3
		.amdhsa_dx10_clamp 1
		.amdhsa_ieee_mode 1
		.amdhsa_fp16_overflow 0
		.amdhsa_exception_fp_ieee_invalid_op 0
		.amdhsa_exception_fp_denorm_src 0
		.amdhsa_exception_fp_ieee_div_zero 0
		.amdhsa_exception_fp_ieee_overflow 0
		.amdhsa_exception_fp_ieee_underflow 0
		.amdhsa_exception_fp_ieee_inexact 0
		.amdhsa_exception_int_div_zero 0
	.end_amdhsa_kernel
	.section	.text._ZN7rocprim17ROCPRIM_400000_NS6detail17trampoline_kernelINS0_14default_configENS1_25partition_config_selectorILNS1_17partition_subalgoE8EtNS0_10empty_typeEbEEZZNS1_14partition_implILS5_8ELb0ES3_jN6thrust23THRUST_200600_302600_NS6detail15normal_iteratorINSA_10device_ptrItEEEEPS6_PKS6_NS0_5tupleIJSF_S6_EEENSJ_IJSG_SG_EEENS0_18inequality_wrapperI22is_equal_div_10_uniqueItEEEPmJS6_EEE10hipError_tPvRmT3_T4_T5_T6_T7_T9_mT8_P12ihipStream_tbDpT10_ENKUlT_T0_E_clISt17integral_constantIbLb0EES19_IbLb1EEEEDaS15_S16_EUlS15_E_NS1_11comp_targetILNS1_3genE3ELNS1_11target_archE908ELNS1_3gpuE7ELNS1_3repE0EEENS1_30default_config_static_selectorELNS0_4arch9wavefront6targetE1EEEvT1_,"axG",@progbits,_ZN7rocprim17ROCPRIM_400000_NS6detail17trampoline_kernelINS0_14default_configENS1_25partition_config_selectorILNS1_17partition_subalgoE8EtNS0_10empty_typeEbEEZZNS1_14partition_implILS5_8ELb0ES3_jN6thrust23THRUST_200600_302600_NS6detail15normal_iteratorINSA_10device_ptrItEEEEPS6_PKS6_NS0_5tupleIJSF_S6_EEENSJ_IJSG_SG_EEENS0_18inequality_wrapperI22is_equal_div_10_uniqueItEEEPmJS6_EEE10hipError_tPvRmT3_T4_T5_T6_T7_T9_mT8_P12ihipStream_tbDpT10_ENKUlT_T0_E_clISt17integral_constantIbLb0EES19_IbLb1EEEEDaS15_S16_EUlS15_E_NS1_11comp_targetILNS1_3genE3ELNS1_11target_archE908ELNS1_3gpuE7ELNS1_3repE0EEENS1_30default_config_static_selectorELNS0_4arch9wavefront6targetE1EEEvT1_,comdat
.Lfunc_end334:
	.size	_ZN7rocprim17ROCPRIM_400000_NS6detail17trampoline_kernelINS0_14default_configENS1_25partition_config_selectorILNS1_17partition_subalgoE8EtNS0_10empty_typeEbEEZZNS1_14partition_implILS5_8ELb0ES3_jN6thrust23THRUST_200600_302600_NS6detail15normal_iteratorINSA_10device_ptrItEEEEPS6_PKS6_NS0_5tupleIJSF_S6_EEENSJ_IJSG_SG_EEENS0_18inequality_wrapperI22is_equal_div_10_uniqueItEEEPmJS6_EEE10hipError_tPvRmT3_T4_T5_T6_T7_T9_mT8_P12ihipStream_tbDpT10_ENKUlT_T0_E_clISt17integral_constantIbLb0EES19_IbLb1EEEEDaS15_S16_EUlS15_E_NS1_11comp_targetILNS1_3genE3ELNS1_11target_archE908ELNS1_3gpuE7ELNS1_3repE0EEENS1_30default_config_static_selectorELNS0_4arch9wavefront6targetE1EEEvT1_, .Lfunc_end334-_ZN7rocprim17ROCPRIM_400000_NS6detail17trampoline_kernelINS0_14default_configENS1_25partition_config_selectorILNS1_17partition_subalgoE8EtNS0_10empty_typeEbEEZZNS1_14partition_implILS5_8ELb0ES3_jN6thrust23THRUST_200600_302600_NS6detail15normal_iteratorINSA_10device_ptrItEEEEPS6_PKS6_NS0_5tupleIJSF_S6_EEENSJ_IJSG_SG_EEENS0_18inequality_wrapperI22is_equal_div_10_uniqueItEEEPmJS6_EEE10hipError_tPvRmT3_T4_T5_T6_T7_T9_mT8_P12ihipStream_tbDpT10_ENKUlT_T0_E_clISt17integral_constantIbLb0EES19_IbLb1EEEEDaS15_S16_EUlS15_E_NS1_11comp_targetILNS1_3genE3ELNS1_11target_archE908ELNS1_3gpuE7ELNS1_3repE0EEENS1_30default_config_static_selectorELNS0_4arch9wavefront6targetE1EEEvT1_
                                        ; -- End function
	.set _ZN7rocprim17ROCPRIM_400000_NS6detail17trampoline_kernelINS0_14default_configENS1_25partition_config_selectorILNS1_17partition_subalgoE8EtNS0_10empty_typeEbEEZZNS1_14partition_implILS5_8ELb0ES3_jN6thrust23THRUST_200600_302600_NS6detail15normal_iteratorINSA_10device_ptrItEEEEPS6_PKS6_NS0_5tupleIJSF_S6_EEENSJ_IJSG_SG_EEENS0_18inequality_wrapperI22is_equal_div_10_uniqueItEEEPmJS6_EEE10hipError_tPvRmT3_T4_T5_T6_T7_T9_mT8_P12ihipStream_tbDpT10_ENKUlT_T0_E_clISt17integral_constantIbLb0EES19_IbLb1EEEEDaS15_S16_EUlS15_E_NS1_11comp_targetILNS1_3genE3ELNS1_11target_archE908ELNS1_3gpuE7ELNS1_3repE0EEENS1_30default_config_static_selectorELNS0_4arch9wavefront6targetE1EEEvT1_.num_vgpr, 0
	.set _ZN7rocprim17ROCPRIM_400000_NS6detail17trampoline_kernelINS0_14default_configENS1_25partition_config_selectorILNS1_17partition_subalgoE8EtNS0_10empty_typeEbEEZZNS1_14partition_implILS5_8ELb0ES3_jN6thrust23THRUST_200600_302600_NS6detail15normal_iteratorINSA_10device_ptrItEEEEPS6_PKS6_NS0_5tupleIJSF_S6_EEENSJ_IJSG_SG_EEENS0_18inequality_wrapperI22is_equal_div_10_uniqueItEEEPmJS6_EEE10hipError_tPvRmT3_T4_T5_T6_T7_T9_mT8_P12ihipStream_tbDpT10_ENKUlT_T0_E_clISt17integral_constantIbLb0EES19_IbLb1EEEEDaS15_S16_EUlS15_E_NS1_11comp_targetILNS1_3genE3ELNS1_11target_archE908ELNS1_3gpuE7ELNS1_3repE0EEENS1_30default_config_static_selectorELNS0_4arch9wavefront6targetE1EEEvT1_.num_agpr, 0
	.set _ZN7rocprim17ROCPRIM_400000_NS6detail17trampoline_kernelINS0_14default_configENS1_25partition_config_selectorILNS1_17partition_subalgoE8EtNS0_10empty_typeEbEEZZNS1_14partition_implILS5_8ELb0ES3_jN6thrust23THRUST_200600_302600_NS6detail15normal_iteratorINSA_10device_ptrItEEEEPS6_PKS6_NS0_5tupleIJSF_S6_EEENSJ_IJSG_SG_EEENS0_18inequality_wrapperI22is_equal_div_10_uniqueItEEEPmJS6_EEE10hipError_tPvRmT3_T4_T5_T6_T7_T9_mT8_P12ihipStream_tbDpT10_ENKUlT_T0_E_clISt17integral_constantIbLb0EES19_IbLb1EEEEDaS15_S16_EUlS15_E_NS1_11comp_targetILNS1_3genE3ELNS1_11target_archE908ELNS1_3gpuE7ELNS1_3repE0EEENS1_30default_config_static_selectorELNS0_4arch9wavefront6targetE1EEEvT1_.numbered_sgpr, 0
	.set _ZN7rocprim17ROCPRIM_400000_NS6detail17trampoline_kernelINS0_14default_configENS1_25partition_config_selectorILNS1_17partition_subalgoE8EtNS0_10empty_typeEbEEZZNS1_14partition_implILS5_8ELb0ES3_jN6thrust23THRUST_200600_302600_NS6detail15normal_iteratorINSA_10device_ptrItEEEEPS6_PKS6_NS0_5tupleIJSF_S6_EEENSJ_IJSG_SG_EEENS0_18inequality_wrapperI22is_equal_div_10_uniqueItEEEPmJS6_EEE10hipError_tPvRmT3_T4_T5_T6_T7_T9_mT8_P12ihipStream_tbDpT10_ENKUlT_T0_E_clISt17integral_constantIbLb0EES19_IbLb1EEEEDaS15_S16_EUlS15_E_NS1_11comp_targetILNS1_3genE3ELNS1_11target_archE908ELNS1_3gpuE7ELNS1_3repE0EEENS1_30default_config_static_selectorELNS0_4arch9wavefront6targetE1EEEvT1_.num_named_barrier, 0
	.set _ZN7rocprim17ROCPRIM_400000_NS6detail17trampoline_kernelINS0_14default_configENS1_25partition_config_selectorILNS1_17partition_subalgoE8EtNS0_10empty_typeEbEEZZNS1_14partition_implILS5_8ELb0ES3_jN6thrust23THRUST_200600_302600_NS6detail15normal_iteratorINSA_10device_ptrItEEEEPS6_PKS6_NS0_5tupleIJSF_S6_EEENSJ_IJSG_SG_EEENS0_18inequality_wrapperI22is_equal_div_10_uniqueItEEEPmJS6_EEE10hipError_tPvRmT3_T4_T5_T6_T7_T9_mT8_P12ihipStream_tbDpT10_ENKUlT_T0_E_clISt17integral_constantIbLb0EES19_IbLb1EEEEDaS15_S16_EUlS15_E_NS1_11comp_targetILNS1_3genE3ELNS1_11target_archE908ELNS1_3gpuE7ELNS1_3repE0EEENS1_30default_config_static_selectorELNS0_4arch9wavefront6targetE1EEEvT1_.private_seg_size, 0
	.set _ZN7rocprim17ROCPRIM_400000_NS6detail17trampoline_kernelINS0_14default_configENS1_25partition_config_selectorILNS1_17partition_subalgoE8EtNS0_10empty_typeEbEEZZNS1_14partition_implILS5_8ELb0ES3_jN6thrust23THRUST_200600_302600_NS6detail15normal_iteratorINSA_10device_ptrItEEEEPS6_PKS6_NS0_5tupleIJSF_S6_EEENSJ_IJSG_SG_EEENS0_18inequality_wrapperI22is_equal_div_10_uniqueItEEEPmJS6_EEE10hipError_tPvRmT3_T4_T5_T6_T7_T9_mT8_P12ihipStream_tbDpT10_ENKUlT_T0_E_clISt17integral_constantIbLb0EES19_IbLb1EEEEDaS15_S16_EUlS15_E_NS1_11comp_targetILNS1_3genE3ELNS1_11target_archE908ELNS1_3gpuE7ELNS1_3repE0EEENS1_30default_config_static_selectorELNS0_4arch9wavefront6targetE1EEEvT1_.uses_vcc, 0
	.set _ZN7rocprim17ROCPRIM_400000_NS6detail17trampoline_kernelINS0_14default_configENS1_25partition_config_selectorILNS1_17partition_subalgoE8EtNS0_10empty_typeEbEEZZNS1_14partition_implILS5_8ELb0ES3_jN6thrust23THRUST_200600_302600_NS6detail15normal_iteratorINSA_10device_ptrItEEEEPS6_PKS6_NS0_5tupleIJSF_S6_EEENSJ_IJSG_SG_EEENS0_18inequality_wrapperI22is_equal_div_10_uniqueItEEEPmJS6_EEE10hipError_tPvRmT3_T4_T5_T6_T7_T9_mT8_P12ihipStream_tbDpT10_ENKUlT_T0_E_clISt17integral_constantIbLb0EES19_IbLb1EEEEDaS15_S16_EUlS15_E_NS1_11comp_targetILNS1_3genE3ELNS1_11target_archE908ELNS1_3gpuE7ELNS1_3repE0EEENS1_30default_config_static_selectorELNS0_4arch9wavefront6targetE1EEEvT1_.uses_flat_scratch, 0
	.set _ZN7rocprim17ROCPRIM_400000_NS6detail17trampoline_kernelINS0_14default_configENS1_25partition_config_selectorILNS1_17partition_subalgoE8EtNS0_10empty_typeEbEEZZNS1_14partition_implILS5_8ELb0ES3_jN6thrust23THRUST_200600_302600_NS6detail15normal_iteratorINSA_10device_ptrItEEEEPS6_PKS6_NS0_5tupleIJSF_S6_EEENSJ_IJSG_SG_EEENS0_18inequality_wrapperI22is_equal_div_10_uniqueItEEEPmJS6_EEE10hipError_tPvRmT3_T4_T5_T6_T7_T9_mT8_P12ihipStream_tbDpT10_ENKUlT_T0_E_clISt17integral_constantIbLb0EES19_IbLb1EEEEDaS15_S16_EUlS15_E_NS1_11comp_targetILNS1_3genE3ELNS1_11target_archE908ELNS1_3gpuE7ELNS1_3repE0EEENS1_30default_config_static_selectorELNS0_4arch9wavefront6targetE1EEEvT1_.has_dyn_sized_stack, 0
	.set _ZN7rocprim17ROCPRIM_400000_NS6detail17trampoline_kernelINS0_14default_configENS1_25partition_config_selectorILNS1_17partition_subalgoE8EtNS0_10empty_typeEbEEZZNS1_14partition_implILS5_8ELb0ES3_jN6thrust23THRUST_200600_302600_NS6detail15normal_iteratorINSA_10device_ptrItEEEEPS6_PKS6_NS0_5tupleIJSF_S6_EEENSJ_IJSG_SG_EEENS0_18inequality_wrapperI22is_equal_div_10_uniqueItEEEPmJS6_EEE10hipError_tPvRmT3_T4_T5_T6_T7_T9_mT8_P12ihipStream_tbDpT10_ENKUlT_T0_E_clISt17integral_constantIbLb0EES19_IbLb1EEEEDaS15_S16_EUlS15_E_NS1_11comp_targetILNS1_3genE3ELNS1_11target_archE908ELNS1_3gpuE7ELNS1_3repE0EEENS1_30default_config_static_selectorELNS0_4arch9wavefront6targetE1EEEvT1_.has_recursion, 0
	.set _ZN7rocprim17ROCPRIM_400000_NS6detail17trampoline_kernelINS0_14default_configENS1_25partition_config_selectorILNS1_17partition_subalgoE8EtNS0_10empty_typeEbEEZZNS1_14partition_implILS5_8ELb0ES3_jN6thrust23THRUST_200600_302600_NS6detail15normal_iteratorINSA_10device_ptrItEEEEPS6_PKS6_NS0_5tupleIJSF_S6_EEENSJ_IJSG_SG_EEENS0_18inequality_wrapperI22is_equal_div_10_uniqueItEEEPmJS6_EEE10hipError_tPvRmT3_T4_T5_T6_T7_T9_mT8_P12ihipStream_tbDpT10_ENKUlT_T0_E_clISt17integral_constantIbLb0EES19_IbLb1EEEEDaS15_S16_EUlS15_E_NS1_11comp_targetILNS1_3genE3ELNS1_11target_archE908ELNS1_3gpuE7ELNS1_3repE0EEENS1_30default_config_static_selectorELNS0_4arch9wavefront6targetE1EEEvT1_.has_indirect_call, 0
	.section	.AMDGPU.csdata,"",@progbits
; Kernel info:
; codeLenInByte = 0
; TotalNumSgprs: 4
; NumVgprs: 0
; ScratchSize: 0
; MemoryBound: 0
; FloatMode: 240
; IeeeMode: 1
; LDSByteSize: 0 bytes/workgroup (compile time only)
; SGPRBlocks: 0
; VGPRBlocks: 0
; NumSGPRsForWavesPerEU: 4
; NumVGPRsForWavesPerEU: 1
; Occupancy: 10
; WaveLimiterHint : 0
; COMPUTE_PGM_RSRC2:SCRATCH_EN: 0
; COMPUTE_PGM_RSRC2:USER_SGPR: 6
; COMPUTE_PGM_RSRC2:TRAP_HANDLER: 0
; COMPUTE_PGM_RSRC2:TGID_X_EN: 1
; COMPUTE_PGM_RSRC2:TGID_Y_EN: 0
; COMPUTE_PGM_RSRC2:TGID_Z_EN: 0
; COMPUTE_PGM_RSRC2:TIDIG_COMP_CNT: 0
	.section	.text._ZN7rocprim17ROCPRIM_400000_NS6detail17trampoline_kernelINS0_14default_configENS1_25partition_config_selectorILNS1_17partition_subalgoE8EtNS0_10empty_typeEbEEZZNS1_14partition_implILS5_8ELb0ES3_jN6thrust23THRUST_200600_302600_NS6detail15normal_iteratorINSA_10device_ptrItEEEEPS6_PKS6_NS0_5tupleIJSF_S6_EEENSJ_IJSG_SG_EEENS0_18inequality_wrapperI22is_equal_div_10_uniqueItEEEPmJS6_EEE10hipError_tPvRmT3_T4_T5_T6_T7_T9_mT8_P12ihipStream_tbDpT10_ENKUlT_T0_E_clISt17integral_constantIbLb0EES19_IbLb1EEEEDaS15_S16_EUlS15_E_NS1_11comp_targetILNS1_3genE2ELNS1_11target_archE906ELNS1_3gpuE6ELNS1_3repE0EEENS1_30default_config_static_selectorELNS0_4arch9wavefront6targetE1EEEvT1_,"axG",@progbits,_ZN7rocprim17ROCPRIM_400000_NS6detail17trampoline_kernelINS0_14default_configENS1_25partition_config_selectorILNS1_17partition_subalgoE8EtNS0_10empty_typeEbEEZZNS1_14partition_implILS5_8ELb0ES3_jN6thrust23THRUST_200600_302600_NS6detail15normal_iteratorINSA_10device_ptrItEEEEPS6_PKS6_NS0_5tupleIJSF_S6_EEENSJ_IJSG_SG_EEENS0_18inequality_wrapperI22is_equal_div_10_uniqueItEEEPmJS6_EEE10hipError_tPvRmT3_T4_T5_T6_T7_T9_mT8_P12ihipStream_tbDpT10_ENKUlT_T0_E_clISt17integral_constantIbLb0EES19_IbLb1EEEEDaS15_S16_EUlS15_E_NS1_11comp_targetILNS1_3genE2ELNS1_11target_archE906ELNS1_3gpuE6ELNS1_3repE0EEENS1_30default_config_static_selectorELNS0_4arch9wavefront6targetE1EEEvT1_,comdat
	.protected	_ZN7rocprim17ROCPRIM_400000_NS6detail17trampoline_kernelINS0_14default_configENS1_25partition_config_selectorILNS1_17partition_subalgoE8EtNS0_10empty_typeEbEEZZNS1_14partition_implILS5_8ELb0ES3_jN6thrust23THRUST_200600_302600_NS6detail15normal_iteratorINSA_10device_ptrItEEEEPS6_PKS6_NS0_5tupleIJSF_S6_EEENSJ_IJSG_SG_EEENS0_18inequality_wrapperI22is_equal_div_10_uniqueItEEEPmJS6_EEE10hipError_tPvRmT3_T4_T5_T6_T7_T9_mT8_P12ihipStream_tbDpT10_ENKUlT_T0_E_clISt17integral_constantIbLb0EES19_IbLb1EEEEDaS15_S16_EUlS15_E_NS1_11comp_targetILNS1_3genE2ELNS1_11target_archE906ELNS1_3gpuE6ELNS1_3repE0EEENS1_30default_config_static_selectorELNS0_4arch9wavefront6targetE1EEEvT1_ ; -- Begin function _ZN7rocprim17ROCPRIM_400000_NS6detail17trampoline_kernelINS0_14default_configENS1_25partition_config_selectorILNS1_17partition_subalgoE8EtNS0_10empty_typeEbEEZZNS1_14partition_implILS5_8ELb0ES3_jN6thrust23THRUST_200600_302600_NS6detail15normal_iteratorINSA_10device_ptrItEEEEPS6_PKS6_NS0_5tupleIJSF_S6_EEENSJ_IJSG_SG_EEENS0_18inequality_wrapperI22is_equal_div_10_uniqueItEEEPmJS6_EEE10hipError_tPvRmT3_T4_T5_T6_T7_T9_mT8_P12ihipStream_tbDpT10_ENKUlT_T0_E_clISt17integral_constantIbLb0EES19_IbLb1EEEEDaS15_S16_EUlS15_E_NS1_11comp_targetILNS1_3genE2ELNS1_11target_archE906ELNS1_3gpuE6ELNS1_3repE0EEENS1_30default_config_static_selectorELNS0_4arch9wavefront6targetE1EEEvT1_
	.globl	_ZN7rocprim17ROCPRIM_400000_NS6detail17trampoline_kernelINS0_14default_configENS1_25partition_config_selectorILNS1_17partition_subalgoE8EtNS0_10empty_typeEbEEZZNS1_14partition_implILS5_8ELb0ES3_jN6thrust23THRUST_200600_302600_NS6detail15normal_iteratorINSA_10device_ptrItEEEEPS6_PKS6_NS0_5tupleIJSF_S6_EEENSJ_IJSG_SG_EEENS0_18inequality_wrapperI22is_equal_div_10_uniqueItEEEPmJS6_EEE10hipError_tPvRmT3_T4_T5_T6_T7_T9_mT8_P12ihipStream_tbDpT10_ENKUlT_T0_E_clISt17integral_constantIbLb0EES19_IbLb1EEEEDaS15_S16_EUlS15_E_NS1_11comp_targetILNS1_3genE2ELNS1_11target_archE906ELNS1_3gpuE6ELNS1_3repE0EEENS1_30default_config_static_selectorELNS0_4arch9wavefront6targetE1EEEvT1_
	.p2align	8
	.type	_ZN7rocprim17ROCPRIM_400000_NS6detail17trampoline_kernelINS0_14default_configENS1_25partition_config_selectorILNS1_17partition_subalgoE8EtNS0_10empty_typeEbEEZZNS1_14partition_implILS5_8ELb0ES3_jN6thrust23THRUST_200600_302600_NS6detail15normal_iteratorINSA_10device_ptrItEEEEPS6_PKS6_NS0_5tupleIJSF_S6_EEENSJ_IJSG_SG_EEENS0_18inequality_wrapperI22is_equal_div_10_uniqueItEEEPmJS6_EEE10hipError_tPvRmT3_T4_T5_T6_T7_T9_mT8_P12ihipStream_tbDpT10_ENKUlT_T0_E_clISt17integral_constantIbLb0EES19_IbLb1EEEEDaS15_S16_EUlS15_E_NS1_11comp_targetILNS1_3genE2ELNS1_11target_archE906ELNS1_3gpuE6ELNS1_3repE0EEENS1_30default_config_static_selectorELNS0_4arch9wavefront6targetE1EEEvT1_,@function
_ZN7rocprim17ROCPRIM_400000_NS6detail17trampoline_kernelINS0_14default_configENS1_25partition_config_selectorILNS1_17partition_subalgoE8EtNS0_10empty_typeEbEEZZNS1_14partition_implILS5_8ELb0ES3_jN6thrust23THRUST_200600_302600_NS6detail15normal_iteratorINSA_10device_ptrItEEEEPS6_PKS6_NS0_5tupleIJSF_S6_EEENSJ_IJSG_SG_EEENS0_18inequality_wrapperI22is_equal_div_10_uniqueItEEEPmJS6_EEE10hipError_tPvRmT3_T4_T5_T6_T7_T9_mT8_P12ihipStream_tbDpT10_ENKUlT_T0_E_clISt17integral_constantIbLb0EES19_IbLb1EEEEDaS15_S16_EUlS15_E_NS1_11comp_targetILNS1_3genE2ELNS1_11target_archE906ELNS1_3gpuE6ELNS1_3repE0EEENS1_30default_config_static_selectorELNS0_4arch9wavefront6targetE1EEEvT1_: ; @_ZN7rocprim17ROCPRIM_400000_NS6detail17trampoline_kernelINS0_14default_configENS1_25partition_config_selectorILNS1_17partition_subalgoE8EtNS0_10empty_typeEbEEZZNS1_14partition_implILS5_8ELb0ES3_jN6thrust23THRUST_200600_302600_NS6detail15normal_iteratorINSA_10device_ptrItEEEEPS6_PKS6_NS0_5tupleIJSF_S6_EEENSJ_IJSG_SG_EEENS0_18inequality_wrapperI22is_equal_div_10_uniqueItEEEPmJS6_EEE10hipError_tPvRmT3_T4_T5_T6_T7_T9_mT8_P12ihipStream_tbDpT10_ENKUlT_T0_E_clISt17integral_constantIbLb0EES19_IbLb1EEEEDaS15_S16_EUlS15_E_NS1_11comp_targetILNS1_3genE2ELNS1_11target_archE906ELNS1_3gpuE6ELNS1_3repE0EEENS1_30default_config_static_selectorELNS0_4arch9wavefront6targetE1EEEvT1_
; %bb.0:
	s_load_dwordx2 s[38:39], s[4:5], 0x28
	s_load_dwordx4 s[40:43], s[4:5], 0x40
	s_load_dwordx2 s[6:7], s[4:5], 0x50
	s_load_dwordx2 s[46:47], s[4:5], 0x60
	v_cmp_ne_u32_e64 s[2:3], 0, v0
	v_cmp_eq_u32_e64 s[0:1], 0, v0
	s_and_saveexec_b64 s[8:9], s[0:1]
	s_cbranch_execz .LBB335_4
; %bb.1:
	s_mov_b64 s[12:13], exec
	v_mbcnt_lo_u32_b32 v1, s12, 0
	v_mbcnt_hi_u32_b32 v1, s13, v1
	v_cmp_eq_u32_e32 vcc, 0, v1
                                        ; implicit-def: $vgpr2
	s_and_saveexec_b64 s[10:11], vcc
	s_cbranch_execz .LBB335_3
; %bb.2:
	s_load_dwordx2 s[14:15], s[4:5], 0x70
	s_bcnt1_i32_b64 s12, s[12:13]
	v_mov_b32_e32 v2, 0
	v_mov_b32_e32 v3, s12
	s_waitcnt lgkmcnt(0)
	global_atomic_add v2, v2, v3, s[14:15] glc
.LBB335_3:
	s_or_b64 exec, exec, s[10:11]
	s_waitcnt vmcnt(0)
	v_readfirstlane_b32 s10, v2
	v_add_u32_e32 v1, s10, v1
	v_mov_b32_e32 v2, 0
	ds_write_b32 v2, v1
.LBB335_4:
	s_or_b64 exec, exec, s[8:9]
	v_mov_b32_e32 v2, 0
	s_load_dwordx4 s[8:11], s[4:5], 0x8
	s_load_dword s12, s[4:5], 0x68
	s_waitcnt lgkmcnt(0)
	s_barrier
	ds_read_b32 v1, v2
	s_waitcnt lgkmcnt(0)
	s_barrier
	global_load_dwordx2 v[17:18], v2, s[42:43]
	s_lshl_b64 s[4:5], s[10:11], 1
	s_add_u32 s8, s8, s4
	s_movk_i32 s4, 0xd80
	v_readfirstlane_b32 s33, v1
	v_mul_lo_u32 v1, v1, s4
	s_mul_i32 s4, s12, 0xd80
	s_addc_u32 s9, s9, s5
	s_add_i32 s5, s4, s10
	s_add_i32 s13, s12, -1
	s_sub_i32 s60, s6, s5
	s_add_u32 s4, s10, s4
	s_addc_u32 s5, s11, 0
	v_mov_b32_e32 v3, s4
	v_mov_b32_e32 v4, s5
	v_cmp_le_u64_e32 vcc, s[6:7], v[3:4]
	s_cmp_eq_u32 s33, s13
	v_lshlrev_b64 v[1:2], 1, v[1:2]
	s_cselect_b64 s[42:43], -1, 0
	s_and_b64 s[48:49], vcc, s[42:43]
	v_mov_b32_e32 v3, s9
	v_add_co_u32_e32 v19, vcc, s8, v1
	s_xor_b64 s[44:45], s[48:49], -1
	v_addc_co_u32_e32 v20, vcc, v3, v2, vcc
	s_mov_b64 s[4:5], -1
	s_and_b64 vcc, exec, s[44:45]
	v_lshlrev_b32_e32 v53, 1, v0
	s_cbranch_vccz .LBB335_6
; %bb.5:
	v_lshlrev_b32_e32 v5, 1, v0
	v_add_co_u32_e32 v1, vcc, v19, v5
	v_addc_co_u32_e32 v2, vcc, 0, v20, vcc
	v_add_co_u32_e32 v3, vcc, 0x1000, v1
	flat_load_ushort v6, v[1:2]
	flat_load_ushort v7, v[1:2] offset:384
	flat_load_ushort v8, v[1:2] offset:768
	;; [unrolled: 1-line block ×7, first 2 shown]
	v_addc_co_u32_e32 v4, vcc, 0, v2, vcc
	flat_load_ushort v14, v[1:2] offset:3072
	flat_load_ushort v15, v[1:2] offset:3456
	;; [unrolled: 1-line block ×10, first 2 shown]
	s_mov_b64 s[4:5], 0
	s_waitcnt vmcnt(0) lgkmcnt(0)
	ds_write_b16 v5, v6
	ds_write_b16 v5, v7 offset:384
	ds_write_b16 v5, v8 offset:768
	;; [unrolled: 1-line block ×17, first 2 shown]
	s_waitcnt lgkmcnt(0)
	s_barrier
.LBB335_6:
	s_andn2_b64 vcc, exec, s[4:5]
	s_addk_i32 s60, 0xd80
	s_cbranch_vccnz .LBB335_44
; %bb.7:
	v_mov_b32_e32 v1, 0
	v_cmp_gt_u32_e32 vcc, s60, v0
	v_mov_b32_e32 v2, v1
	v_mov_b32_e32 v3, v1
	;; [unrolled: 1-line block ×8, first 2 shown]
	s_and_saveexec_b64 s[4:5], vcc
	s_cbranch_execz .LBB335_9
; %bb.8:
	v_lshlrev_b32_e32 v2, 1, v0
	v_add_co_u32_e32 v2, vcc, v19, v2
	v_addc_co_u32_e32 v3, vcc, 0, v20, vcc
	flat_load_ushort v10, v[2:3]
	v_mov_b32_e32 v2, v1
	v_mov_b32_e32 v3, v1
	v_mov_b32_e32 v4, v1
	v_mov_b32_e32 v5, v1
	v_mov_b32_e32 v6, v1
	v_mov_b32_e32 v7, v1
	v_mov_b32_e32 v8, v1
	v_mov_b32_e32 v9, v1
	s_waitcnt vmcnt(0) lgkmcnt(0)
	v_and_b32_e32 v1, 0xffff, v10
.LBB335_9:
	s_or_b64 exec, exec, s[4:5]
	v_add_u32_e32 v10, 0xc0, v0
	v_cmp_gt_u32_e32 vcc, s60, v10
	s_and_saveexec_b64 s[4:5], vcc
	s_cbranch_execz .LBB335_11
; %bb.10:
	v_lshlrev_b32_e32 v10, 1, v0
	v_add_co_u32_e32 v10, vcc, v19, v10
	v_addc_co_u32_e32 v11, vcc, 0, v20, vcc
	flat_load_ushort v10, v[10:11] offset:384
	s_mov_b32 s6, 0x5040100
	s_waitcnt vmcnt(0) lgkmcnt(0)
	v_perm_b32 v1, v10, v1, s6
.LBB335_11:
	s_or_b64 exec, exec, s[4:5]
	v_add_u32_e32 v10, 0x180, v0
	v_cmp_gt_u32_e32 vcc, s60, v10
	s_and_saveexec_b64 s[4:5], vcc
	s_cbranch_execz .LBB335_13
; %bb.12:
	v_lshlrev_b32_e32 v10, 1, v0
	v_add_co_u32_e32 v10, vcc, v19, v10
	v_addc_co_u32_e32 v11, vcc, 0, v20, vcc
	flat_load_ushort v10, v[10:11] offset:768
	s_mov_b32 s6, 0xffff
	s_waitcnt vmcnt(0) lgkmcnt(0)
	v_bfi_b32 v2, s6, v10, v2
.LBB335_13:
	s_or_b64 exec, exec, s[4:5]
	v_add_u32_e32 v10, 0x240, v0
	v_cmp_gt_u32_e32 vcc, s60, v10
	s_and_saveexec_b64 s[4:5], vcc
	s_cbranch_execz .LBB335_15
; %bb.14:
	v_lshlrev_b32_e32 v10, 1, v0
	v_add_co_u32_e32 v10, vcc, v19, v10
	v_addc_co_u32_e32 v11, vcc, 0, v20, vcc
	flat_load_ushort v10, v[10:11] offset:1152
	s_mov_b32 s6, 0x5040100
	s_waitcnt vmcnt(0) lgkmcnt(0)
	v_perm_b32 v2, v10, v2, s6
.LBB335_15:
	s_or_b64 exec, exec, s[4:5]
	v_or_b32_e32 v10, 0x300, v0
	v_cmp_gt_u32_e32 vcc, s60, v10
	s_and_saveexec_b64 s[4:5], vcc
	s_cbranch_execz .LBB335_17
; %bb.16:
	v_lshlrev_b32_e32 v10, 1, v0
	v_add_co_u32_e32 v10, vcc, v19, v10
	v_addc_co_u32_e32 v11, vcc, 0, v20, vcc
	flat_load_ushort v10, v[10:11] offset:1536
	s_mov_b32 s6, 0xffff
	s_waitcnt vmcnt(0) lgkmcnt(0)
	v_bfi_b32 v3, s6, v10, v3
.LBB335_17:
	s_or_b64 exec, exec, s[4:5]
	v_add_u32_e32 v10, 0x3c0, v0
	v_cmp_gt_u32_e32 vcc, s60, v10
	s_and_saveexec_b64 s[4:5], vcc
	s_cbranch_execz .LBB335_19
; %bb.18:
	v_lshlrev_b32_e32 v10, 1, v0
	v_add_co_u32_e32 v10, vcc, v19, v10
	v_addc_co_u32_e32 v11, vcc, 0, v20, vcc
	flat_load_ushort v10, v[10:11] offset:1920
	s_mov_b32 s6, 0x5040100
	s_waitcnt vmcnt(0) lgkmcnt(0)
	v_perm_b32 v3, v10, v3, s6
.LBB335_19:
	s_or_b64 exec, exec, s[4:5]
	v_add_u32_e32 v10, 0x480, v0
	v_cmp_gt_u32_e32 vcc, s60, v10
	s_and_saveexec_b64 s[4:5], vcc
	s_cbranch_execz .LBB335_21
; %bb.20:
	v_lshlrev_b32_e32 v10, 1, v0
	v_add_co_u32_e32 v10, vcc, v19, v10
	v_addc_co_u32_e32 v11, vcc, 0, v20, vcc
	flat_load_ushort v10, v[10:11] offset:2304
	s_mov_b32 s6, 0xffff
	s_waitcnt vmcnt(0) lgkmcnt(0)
	v_bfi_b32 v4, s6, v10, v4
.LBB335_21:
	s_or_b64 exec, exec, s[4:5]
	v_add_u32_e32 v10, 0x540, v0
	v_cmp_gt_u32_e32 vcc, s60, v10
	s_and_saveexec_b64 s[4:5], vcc
	s_cbranch_execz .LBB335_23
; %bb.22:
	v_lshlrev_b32_e32 v10, 1, v0
	v_add_co_u32_e32 v10, vcc, v19, v10
	v_addc_co_u32_e32 v11, vcc, 0, v20, vcc
	flat_load_ushort v10, v[10:11] offset:2688
	s_mov_b32 s6, 0x5040100
	s_waitcnt vmcnt(0) lgkmcnt(0)
	v_perm_b32 v4, v10, v4, s6
.LBB335_23:
	s_or_b64 exec, exec, s[4:5]
	v_or_b32_e32 v10, 0x600, v0
	v_cmp_gt_u32_e32 vcc, s60, v10
	s_and_saveexec_b64 s[4:5], vcc
	s_cbranch_execz .LBB335_25
; %bb.24:
	v_lshlrev_b32_e32 v10, 1, v0
	v_add_co_u32_e32 v10, vcc, v19, v10
	v_addc_co_u32_e32 v11, vcc, 0, v20, vcc
	flat_load_ushort v10, v[10:11] offset:3072
	s_mov_b32 s6, 0xffff
	s_waitcnt vmcnt(0) lgkmcnt(0)
	v_bfi_b32 v5, s6, v10, v5
.LBB335_25:
	s_or_b64 exec, exec, s[4:5]
	v_add_u32_e32 v10, 0x6c0, v0
	v_cmp_gt_u32_e32 vcc, s60, v10
	s_and_saveexec_b64 s[4:5], vcc
	s_cbranch_execz .LBB335_27
; %bb.26:
	v_lshlrev_b32_e32 v10, 1, v0
	v_add_co_u32_e32 v10, vcc, v19, v10
	v_addc_co_u32_e32 v11, vcc, 0, v20, vcc
	flat_load_ushort v10, v[10:11] offset:3456
	s_mov_b32 s6, 0x5040100
	s_waitcnt vmcnt(0) lgkmcnt(0)
	v_perm_b32 v5, v10, v5, s6
.LBB335_27:
	s_or_b64 exec, exec, s[4:5]
	v_add_u32_e32 v10, 0x780, v0
	v_cmp_gt_u32_e32 vcc, s60, v10
	s_and_saveexec_b64 s[4:5], vcc
	s_cbranch_execz .LBB335_29
; %bb.28:
	v_lshlrev_b32_e32 v10, 1, v0
	v_add_co_u32_e32 v10, vcc, v19, v10
	v_addc_co_u32_e32 v11, vcc, 0, v20, vcc
	flat_load_ushort v10, v[10:11] offset:3840
	s_mov_b32 s6, 0xffff
	s_waitcnt vmcnt(0) lgkmcnt(0)
	v_bfi_b32 v6, s6, v10, v6
.LBB335_29:
	s_or_b64 exec, exec, s[4:5]
	v_add_u32_e32 v10, 0x840, v0
	v_cmp_gt_u32_e32 vcc, s60, v10
	s_and_saveexec_b64 s[4:5], vcc
	s_cbranch_execz .LBB335_31
; %bb.30:
	v_lshlrev_b32_e32 v10, 1, v10
	v_add_co_u32_e32 v10, vcc, v19, v10
	v_addc_co_u32_e32 v11, vcc, 0, v20, vcc
	flat_load_ushort v10, v[10:11]
	s_mov_b32 s6, 0x5040100
	s_waitcnt vmcnt(0) lgkmcnt(0)
	v_perm_b32 v6, v10, v6, s6
.LBB335_31:
	s_or_b64 exec, exec, s[4:5]
	v_or_b32_e32 v10, 0x900, v0
	v_cmp_gt_u32_e32 vcc, s60, v10
	s_and_saveexec_b64 s[4:5], vcc
	s_cbranch_execz .LBB335_33
; %bb.32:
	v_lshlrev_b32_e32 v10, 1, v10
	v_add_co_u32_e32 v10, vcc, v19, v10
	v_addc_co_u32_e32 v11, vcc, 0, v20, vcc
	flat_load_ushort v10, v[10:11]
	s_mov_b32 s6, 0xffff
	s_waitcnt vmcnt(0) lgkmcnt(0)
	v_bfi_b32 v7, s6, v10, v7
.LBB335_33:
	s_or_b64 exec, exec, s[4:5]
	v_add_u32_e32 v10, 0x9c0, v0
	v_cmp_gt_u32_e32 vcc, s60, v10
	s_and_saveexec_b64 s[4:5], vcc
	s_cbranch_execz .LBB335_35
; %bb.34:
	v_lshlrev_b32_e32 v10, 1, v10
	v_add_co_u32_e32 v10, vcc, v19, v10
	v_addc_co_u32_e32 v11, vcc, 0, v20, vcc
	flat_load_ushort v10, v[10:11]
	s_mov_b32 s6, 0x5040100
	s_waitcnt vmcnt(0) lgkmcnt(0)
	v_perm_b32 v7, v10, v7, s6
.LBB335_35:
	s_or_b64 exec, exec, s[4:5]
	v_add_u32_e32 v10, 0xa80, v0
	v_cmp_gt_u32_e32 vcc, s60, v10
	s_and_saveexec_b64 s[4:5], vcc
	s_cbranch_execz .LBB335_37
; %bb.36:
	v_lshlrev_b32_e32 v10, 1, v10
	v_add_co_u32_e32 v10, vcc, v19, v10
	v_addc_co_u32_e32 v11, vcc, 0, v20, vcc
	flat_load_ushort v10, v[10:11]
	s_mov_b32 s6, 0xffff
	s_waitcnt vmcnt(0) lgkmcnt(0)
	v_bfi_b32 v8, s6, v10, v8
.LBB335_37:
	s_or_b64 exec, exec, s[4:5]
	v_add_u32_e32 v10, 0xb40, v0
	v_cmp_gt_u32_e32 vcc, s60, v10
	s_and_saveexec_b64 s[4:5], vcc
	s_cbranch_execz .LBB335_39
; %bb.38:
	v_lshlrev_b32_e32 v10, 1, v10
	v_add_co_u32_e32 v10, vcc, v19, v10
	v_addc_co_u32_e32 v11, vcc, 0, v20, vcc
	flat_load_ushort v10, v[10:11]
	s_mov_b32 s6, 0x5040100
	s_waitcnt vmcnt(0) lgkmcnt(0)
	v_perm_b32 v8, v10, v8, s6
.LBB335_39:
	s_or_b64 exec, exec, s[4:5]
	v_or_b32_e32 v10, 0xc00, v0
	v_cmp_gt_u32_e32 vcc, s60, v10
	s_and_saveexec_b64 s[4:5], vcc
	s_cbranch_execz .LBB335_41
; %bb.40:
	v_lshlrev_b32_e32 v10, 1, v10
	v_add_co_u32_e32 v10, vcc, v19, v10
	v_addc_co_u32_e32 v11, vcc, 0, v20, vcc
	flat_load_ushort v10, v[10:11]
	s_mov_b32 s6, 0xffff
	s_waitcnt vmcnt(0) lgkmcnt(0)
	v_bfi_b32 v9, s6, v10, v9
.LBB335_41:
	s_or_b64 exec, exec, s[4:5]
	v_add_u32_e32 v10, 0xcc0, v0
	v_cmp_gt_u32_e32 vcc, s60, v10
	s_and_saveexec_b64 s[4:5], vcc
	s_cbranch_execz .LBB335_43
; %bb.42:
	v_lshlrev_b32_e32 v10, 1, v10
	v_add_co_u32_e32 v10, vcc, v19, v10
	v_addc_co_u32_e32 v11, vcc, 0, v20, vcc
	flat_load_ushort v10, v[10:11]
	s_mov_b32 s6, 0x5040100
	s_waitcnt vmcnt(0) lgkmcnt(0)
	v_perm_b32 v9, v10, v9, s6
.LBB335_43:
	s_or_b64 exec, exec, s[4:5]
	v_lshlrev_b32_e32 v10, 1, v0
	ds_write_b16 v10, v1
	ds_write_b16_d16_hi v10, v1 offset:384
	ds_write_b16 v10, v2 offset:768
	ds_write_b16_d16_hi v10, v2 offset:1152
	ds_write_b16 v10, v3 offset:1536
	;; [unrolled: 2-line block ×8, first 2 shown]
	ds_write_b16_d16_hi v10, v9 offset:6528
	s_waitcnt vmcnt(0) lgkmcnt(0)
	s_barrier
.LBB335_44:
	v_mul_u32_u24_e32 v9, 18, v0
	v_lshlrev_b32_e32 v10, 1, v9
	ds_read2_b32 v[7:8], v10 offset1:1
	ds_read2_b32 v[5:6], v10 offset0:2 offset1:3
	ds_read2_b32 v[3:4], v10 offset0:4 offset1:5
	;; [unrolled: 1-line block ×3, first 2 shown]
	ds_read_b32 v55, v10 offset:32
	s_cmp_lg_u32 s33, 0
	s_cselect_b64 s[50:51], -1, 0
	s_cmp_lg_u64 s[10:11], 0
	s_cselect_b64 s[4:5], -1, 0
	s_or_b64 s[4:5], s[4:5], s[50:51]
	s_waitcnt lgkmcnt(4)
	v_lshrrev_b32_e32 v63, 16, v7
	v_lshrrev_b32_e32 v62, 16, v8
	s_waitcnt lgkmcnt(3)
	v_lshrrev_b32_e32 v61, 16, v5
	v_lshrrev_b32_e32 v60, 16, v6
	;; [unrolled: 3-line block ×4, first 2 shown]
	s_waitcnt lgkmcnt(0)
	v_lshrrev_b32_e32 v54, 16, v55
	s_mov_b64 s[52:53], 0
	s_and_b64 vcc, exec, s[4:5]
	s_waitcnt vmcnt(0)
	s_barrier
	s_cbranch_vccz .LBB335_49
; %bb.45:
	v_add_co_u32_e32 v11, vcc, -2, v19
	v_addc_co_u32_e32 v12, vcc, -1, v20, vcc
	flat_load_ushort v11, v[11:12]
	v_lshlrev_b32_e32 v12, 1, v0
	s_and_b64 vcc, exec, s[44:45]
	ds_write_b16 v12, v54
	s_cbranch_vccz .LBB335_50
; %bb.46:
	s_waitcnt vmcnt(0) lgkmcnt(0)
	v_mov_b32_e32 v13, v11
	s_barrier
	s_and_saveexec_b64 s[4:5], s[2:3]
; %bb.47:
	v_add_u32_e32 v13, -2, v12
	ds_read_u16 v13, v13
; %bb.48:
	s_or_b64 exec, exec, s[4:5]
	s_mov_b32 s4, 0xcccd
	v_mul_u32_u24_sdwa v14, v55, s4 dst_sel:DWORD dst_unused:UNUSED_PAD src0_sel:WORD_0 src1_sel:DWORD
	v_mul_u32_u24_sdwa v15, v54, s4 dst_sel:DWORD dst_unused:UNUSED_PAD src0_sel:WORD_0 src1_sel:DWORD
	v_lshrrev_b32_e32 v14, 19, v14
	v_lshrrev_b32_e32 v15, 19, v15
	v_cmp_ne_u16_e32 vcc, v14, v15
	v_mul_u32_u24_sdwa v15, v56, s4 dst_sel:DWORD dst_unused:UNUSED_PAD src0_sel:WORD_0 src1_sel:DWORD
	v_lshrrev_b32_e32 v15, 19, v15
	v_cndmask_b32_e64 v64, 0, 1, vcc
	v_cmp_ne_u16_e32 vcc, v15, v14
	v_mul_u32_u24_sdwa v14, v2, s4 dst_sel:DWORD dst_unused:UNUSED_PAD src0_sel:WORD_0 src1_sel:DWORD
	v_lshrrev_b32_e32 v14, 19, v14
	v_cndmask_b32_e64 v65, 0, 1, vcc
	;; [unrolled: 4-line block ×15, first 2 shown]
	v_cmp_ne_u16_e32 vcc, v15, v14
	v_mul_u32_u24_sdwa v14, v7, s4 dst_sel:DWORD dst_unused:UNUSED_PAD src0_sel:WORD_0 src1_sel:DWORD
	v_lshrrev_b32_e32 v14, 19, v14
	s_waitcnt lgkmcnt(0)
	v_mul_u32_u24_sdwa v13, v13, s4 dst_sel:DWORD dst_unused:UNUSED_PAD src0_sel:WORD_0 src1_sel:DWORD
	v_cndmask_b32_e64 v79, 0, 1, vcc
	v_cmp_ne_u16_e32 vcc, v14, v15
	v_lshrrev_b32_e32 v13, 19, v13
	v_cndmask_b32_e64 v80, 0, 1, vcc
	v_cmp_ne_u16_e64 s[54:55], v13, v14
	s_branch .LBB335_90
.LBB335_49:
                                        ; implicit-def: $sgpr54_sgpr55
                                        ; implicit-def: $vgpr64
                                        ; implicit-def: $vgpr65
                                        ; implicit-def: $vgpr66
                                        ; implicit-def: $vgpr67
                                        ; implicit-def: $vgpr68
                                        ; implicit-def: $vgpr69
                                        ; implicit-def: $vgpr70
                                        ; implicit-def: $vgpr71
                                        ; implicit-def: $vgpr72
                                        ; implicit-def: $vgpr80
                                        ; implicit-def: $vgpr79
                                        ; implicit-def: $vgpr78
                                        ; implicit-def: $vgpr77
                                        ; implicit-def: $vgpr76
                                        ; implicit-def: $vgpr75
                                        ; implicit-def: $vgpr74
                                        ; implicit-def: $vgpr73
	s_branch .LBB335_91
.LBB335_50:
                                        ; implicit-def: $sgpr54_sgpr55
                                        ; implicit-def: $vgpr64
                                        ; implicit-def: $vgpr65
                                        ; implicit-def: $vgpr66
                                        ; implicit-def: $vgpr67
                                        ; implicit-def: $vgpr68
                                        ; implicit-def: $vgpr69
                                        ; implicit-def: $vgpr70
                                        ; implicit-def: $vgpr71
                                        ; implicit-def: $vgpr72
                                        ; implicit-def: $vgpr80
                                        ; implicit-def: $vgpr79
                                        ; implicit-def: $vgpr78
                                        ; implicit-def: $vgpr77
                                        ; implicit-def: $vgpr76
                                        ; implicit-def: $vgpr75
                                        ; implicit-def: $vgpr74
                                        ; implicit-def: $vgpr73
	s_cbranch_execz .LBB335_90
; %bb.51:
	v_add_u32_e32 v13, 17, v9
	v_cmp_gt_u32_e32 vcc, s60, v13
	s_mov_b64 s[6:7], 0
	s_mov_b64 s[4:5], 0
	s_and_saveexec_b64 s[8:9], vcc
; %bb.52:
	s_mov_b32 s4, 0xcccd
	v_mul_u32_u24_sdwa v13, v55, s4 dst_sel:DWORD dst_unused:UNUSED_PAD src0_sel:WORD_0 src1_sel:DWORD
	v_mul_u32_u24_sdwa v14, v54, s4 dst_sel:DWORD dst_unused:UNUSED_PAD src0_sel:WORD_0 src1_sel:DWORD
	v_lshrrev_b32_e32 v13, 19, v13
	v_lshrrev_b32_e32 v14, 19, v14
	v_cmp_ne_u16_e32 vcc, v13, v14
	s_and_b64 s[4:5], vcc, exec
; %bb.53:
	s_or_b64 exec, exec, s[8:9]
	v_add_u32_e32 v13, 16, v9
	v_cmp_gt_u32_e32 vcc, s60, v13
	s_and_saveexec_b64 s[8:9], vcc
; %bb.54:
	s_mov_b32 s6, 0xcccd
	v_mul_u32_u24_sdwa v13, v56, s6 dst_sel:DWORD dst_unused:UNUSED_PAD src0_sel:WORD_0 src1_sel:DWORD
	v_mul_u32_u24_sdwa v14, v55, s6 dst_sel:DWORD dst_unused:UNUSED_PAD src0_sel:WORD_0 src1_sel:DWORD
	v_lshrrev_b32_e32 v13, 19, v13
	v_lshrrev_b32_e32 v14, 19, v14
	v_cmp_ne_u16_e32 vcc, v13, v14
	s_and_b64 s[6:7], vcc, exec
; %bb.55:
	s_or_b64 exec, exec, s[8:9]
	v_add_u32_e32 v13, 15, v9
	v_cmp_gt_u32_e32 vcc, s60, v13
	s_mov_b64 s[10:11], 0
	s_mov_b64 s[8:9], 0
	s_and_saveexec_b64 s[12:13], vcc
; %bb.56:
	s_mov_b32 s8, 0xcccd
	v_mul_u32_u24_sdwa v13, v2, s8 dst_sel:DWORD dst_unused:UNUSED_PAD src0_sel:WORD_0 src1_sel:DWORD
	v_mul_u32_u24_sdwa v14, v56, s8 dst_sel:DWORD dst_unused:UNUSED_PAD src0_sel:WORD_0 src1_sel:DWORD
	v_lshrrev_b32_e32 v13, 19, v13
	v_lshrrev_b32_e32 v14, 19, v14
	v_cmp_ne_u16_e32 vcc, v13, v14
	s_and_b64 s[8:9], vcc, exec
; %bb.57:
	s_or_b64 exec, exec, s[12:13]
	v_add_u32_e32 v13, 14, v9
	v_cmp_gt_u32_e32 vcc, s60, v13
	s_and_saveexec_b64 s[12:13], vcc
; %bb.58:
	s_mov_b32 s10, 0xcccd
	v_mul_u32_u24_sdwa v13, v57, s10 dst_sel:DWORD dst_unused:UNUSED_PAD src0_sel:WORD_0 src1_sel:DWORD
	v_mul_u32_u24_sdwa v14, v2, s10 dst_sel:DWORD dst_unused:UNUSED_PAD src0_sel:WORD_0 src1_sel:DWORD
	v_lshrrev_b32_e32 v13, 19, v13
	v_lshrrev_b32_e32 v14, 19, v14
	v_cmp_ne_u16_e32 vcc, v13, v14
	s_and_b64 s[10:11], vcc, exec
; %bb.59:
	s_or_b64 exec, exec, s[12:13]
	;; [unrolled: 28-line block ×8, first 2 shown]
	v_or_b32_e32 v13, 1, v9
	v_cmp_gt_u32_e32 vcc, s60, v13
	s_mov_b64 s[52:53], 0
	s_and_saveexec_b64 s[54:55], vcc
; %bb.84:
	s_mov_b32 s52, 0xcccd
	v_mul_u32_u24_sdwa v13, v7, s52 dst_sel:DWORD dst_unused:UNUSED_PAD src0_sel:WORD_0 src1_sel:DWORD
	v_mul_u32_u24_sdwa v14, v63, s52 dst_sel:DWORD dst_unused:UNUSED_PAD src0_sel:WORD_0 src1_sel:DWORD
	v_lshrrev_b32_e32 v13, 19, v13
	v_lshrrev_b32_e32 v14, 19, v14
	v_cmp_ne_u16_e32 vcc, v13, v14
	s_and_b64 s[52:53], vcc, exec
; %bb.85:
	s_or_b64 exec, exec, s[54:55]
	s_waitcnt vmcnt(0) lgkmcnt(0)
	s_barrier
	s_and_saveexec_b64 s[54:55], s[2:3]
; %bb.86:
	v_add_u32_e32 v11, -2, v12
	ds_read_u16 v11, v11
; %bb.87:
	s_or_b64 exec, exec, s[54:55]
	v_cmp_gt_u32_e32 vcc, s60, v9
	s_mov_b64 s[54:55], 0
	s_and_saveexec_b64 s[56:57], vcc
	s_cbranch_execz .LBB335_89
; %bb.88:
	s_mov_b32 s54, 0xcccd
	s_waitcnt lgkmcnt(0)
	v_mul_u32_u24_sdwa v11, v11, s54 dst_sel:DWORD dst_unused:UNUSED_PAD src0_sel:WORD_0 src1_sel:DWORD
	v_mul_u32_u24_sdwa v12, v7, s54 dst_sel:DWORD dst_unused:UNUSED_PAD src0_sel:WORD_0 src1_sel:DWORD
	v_lshrrev_b32_e32 v11, 19, v11
	v_lshrrev_b32_e32 v12, 19, v12
	v_cmp_ne_u16_e32 vcc, v11, v12
	s_and_b64 s[54:55], vcc, exec
.LBB335_89:
	s_or_b64 exec, exec, s[56:57]
	v_cndmask_b32_e64 v80, 0, 1, s[52:53]
	v_cndmask_b32_e64 v79, 0, 1, s[36:37]
	;; [unrolled: 1-line block ×17, first 2 shown]
.LBB335_90:
	s_mov_b64 s[52:53], -1
	s_cbranch_execnz .LBB335_135
.LBB335_91:
	s_movk_i32 s4, 0xffde
	v_mad_i32_i24 v10, v0, s4, v10
	s_and_b64 vcc, exec, s[44:45]
	ds_write_b16 v10, v54
	s_cbranch_vccz .LBB335_95
; %bb.92:
	s_mov_b32 s36, 0xcccd
	s_waitcnt vmcnt(0) lgkmcnt(0)
	v_mul_u32_u24_sdwa v11, v55, s36 dst_sel:DWORD dst_unused:UNUSED_PAD src0_sel:WORD_0 src1_sel:DWORD
	v_mul_u32_u24_sdwa v12, v54, s36 dst_sel:DWORD dst_unused:UNUSED_PAD src0_sel:WORD_0 src1_sel:DWORD
	v_lshrrev_b32_e32 v11, 19, v11
	v_lshrrev_b32_e32 v12, 19, v12
	v_cmp_ne_u16_e32 vcc, v11, v12
	v_mul_u32_u24_sdwa v12, v56, s36 dst_sel:DWORD dst_unused:UNUSED_PAD src0_sel:WORD_0 src1_sel:DWORD
	v_lshrrev_b32_e32 v12, 19, v12
	v_cmp_ne_u16_e64 s[4:5], v12, v11
	v_mul_u32_u24_sdwa v11, v2, s36 dst_sel:DWORD dst_unused:UNUSED_PAD src0_sel:WORD_0 src1_sel:DWORD
	v_lshrrev_b32_e32 v11, 19, v11
	v_cmp_ne_u16_e64 s[6:7], v11, v12
	;; [unrolled: 3-line block ×16, first 2 shown]
	s_barrier
                                        ; implicit-def: $sgpr54_sgpr55
	s_and_saveexec_b64 s[56:57], s[2:3]
	s_xor_b64 s[56:57], exec, s[56:57]
	s_cbranch_execz .LBB335_94
; %bb.93:
	v_add_u32_e32 v12, -2, v10
	ds_read_u16 v12, v12
	s_or_b64 s[52:53], s[52:53], exec
	s_waitcnt lgkmcnt(0)
	v_mul_u32_u24_e32 v12, 0xcccd, v12
	v_lshrrev_b32_e32 v12, 19, v12
	v_cmp_ne_u16_e64 s[54:55], v12, v11
.LBB335_94:
	s_or_b64 exec, exec, s[56:57]
	v_cndmask_b32_e64 v64, 0, 1, vcc
	v_cndmask_b32_e64 v65, 0, 1, s[4:5]
	v_cndmask_b32_e64 v66, 0, 1, s[6:7]
	;; [unrolled: 1-line block ×16, first 2 shown]
	s_branch .LBB335_135
.LBB335_95:
                                        ; implicit-def: $sgpr54_sgpr55
                                        ; implicit-def: $vgpr64
                                        ; implicit-def: $vgpr65
                                        ; implicit-def: $vgpr66
                                        ; implicit-def: $vgpr67
                                        ; implicit-def: $vgpr68
                                        ; implicit-def: $vgpr69
                                        ; implicit-def: $vgpr70
                                        ; implicit-def: $vgpr71
                                        ; implicit-def: $vgpr72
                                        ; implicit-def: $vgpr80
                                        ; implicit-def: $vgpr79
                                        ; implicit-def: $vgpr78
                                        ; implicit-def: $vgpr77
                                        ; implicit-def: $vgpr76
                                        ; implicit-def: $vgpr75
                                        ; implicit-def: $vgpr74
                                        ; implicit-def: $vgpr73
	s_cbranch_execz .LBB335_135
; %bb.96:
	s_waitcnt vmcnt(0) lgkmcnt(0)
	v_add_u32_e32 v11, 17, v9
	v_cmp_gt_u32_e32 vcc, s60, v11
	s_mov_b64 s[6:7], 0
	s_mov_b64 s[4:5], 0
	s_and_saveexec_b64 s[8:9], vcc
; %bb.97:
	s_mov_b32 s4, 0xcccd
	v_mul_u32_u24_sdwa v11, v55, s4 dst_sel:DWORD dst_unused:UNUSED_PAD src0_sel:WORD_0 src1_sel:DWORD
	v_mul_u32_u24_sdwa v12, v54, s4 dst_sel:DWORD dst_unused:UNUSED_PAD src0_sel:WORD_0 src1_sel:DWORD
	v_lshrrev_b32_e32 v11, 19, v11
	v_lshrrev_b32_e32 v12, 19, v12
	v_cmp_ne_u16_e32 vcc, v11, v12
	s_and_b64 s[4:5], vcc, exec
; %bb.98:
	s_or_b64 exec, exec, s[8:9]
	v_add_u32_e32 v11, 16, v9
	v_cmp_gt_u32_e32 vcc, s60, v11
	s_and_saveexec_b64 s[8:9], vcc
; %bb.99:
	s_mov_b32 s6, 0xcccd
	v_mul_u32_u24_sdwa v11, v56, s6 dst_sel:DWORD dst_unused:UNUSED_PAD src0_sel:WORD_0 src1_sel:DWORD
	v_mul_u32_u24_sdwa v12, v55, s6 dst_sel:DWORD dst_unused:UNUSED_PAD src0_sel:WORD_0 src1_sel:DWORD
	v_lshrrev_b32_e32 v11, 19, v11
	v_lshrrev_b32_e32 v12, 19, v12
	v_cmp_ne_u16_e32 vcc, v11, v12
	s_and_b64 s[6:7], vcc, exec
; %bb.100:
	s_or_b64 exec, exec, s[8:9]
	v_add_u32_e32 v11, 15, v9
	v_cmp_gt_u32_e32 vcc, s60, v11
	s_mov_b64 s[10:11], 0
	s_mov_b64 s[8:9], 0
	s_and_saveexec_b64 s[12:13], vcc
; %bb.101:
	s_mov_b32 s8, 0xcccd
	v_mul_u32_u24_sdwa v11, v2, s8 dst_sel:DWORD dst_unused:UNUSED_PAD src0_sel:WORD_0 src1_sel:DWORD
	v_mul_u32_u24_sdwa v12, v56, s8 dst_sel:DWORD dst_unused:UNUSED_PAD src0_sel:WORD_0 src1_sel:DWORD
	v_lshrrev_b32_e32 v11, 19, v11
	v_lshrrev_b32_e32 v12, 19, v12
	v_cmp_ne_u16_e32 vcc, v11, v12
	s_and_b64 s[8:9], vcc, exec
; %bb.102:
	s_or_b64 exec, exec, s[12:13]
	v_add_u32_e32 v11, 14, v9
	v_cmp_gt_u32_e32 vcc, s60, v11
	s_and_saveexec_b64 s[12:13], vcc
; %bb.103:
	s_mov_b32 s10, 0xcccd
	v_mul_u32_u24_sdwa v11, v57, s10 dst_sel:DWORD dst_unused:UNUSED_PAD src0_sel:WORD_0 src1_sel:DWORD
	v_mul_u32_u24_sdwa v12, v2, s10 dst_sel:DWORD dst_unused:UNUSED_PAD src0_sel:WORD_0 src1_sel:DWORD
	v_lshrrev_b32_e32 v11, 19, v11
	v_lshrrev_b32_e32 v12, 19, v12
	v_cmp_ne_u16_e32 vcc, v11, v12
	s_and_b64 s[10:11], vcc, exec
; %bb.104:
	s_or_b64 exec, exec, s[12:13]
	;; [unrolled: 28-line block ×8, first 2 shown]
	v_or_b32_e32 v11, 1, v9
	v_cmp_gt_u32_e32 vcc, s60, v11
	s_mov_b64 s[56:57], 0
	s_and_saveexec_b64 s[54:55], vcc
; %bb.129:
	s_mov_b32 s56, 0xcccd
	v_mul_u32_u24_sdwa v11, v7, s56 dst_sel:DWORD dst_unused:UNUSED_PAD src0_sel:WORD_0 src1_sel:DWORD
	v_mul_u32_u24_sdwa v12, v63, s56 dst_sel:DWORD dst_unused:UNUSED_PAD src0_sel:WORD_0 src1_sel:DWORD
	v_lshrrev_b32_e32 v11, 19, v11
	v_lshrrev_b32_e32 v12, 19, v12
	v_cmp_ne_u16_e32 vcc, v11, v12
	s_and_b64 s[56:57], vcc, exec
; %bb.130:
	s_or_b64 exec, exec, s[54:55]
	s_barrier
                                        ; implicit-def: $sgpr54_sgpr55
	s_and_saveexec_b64 s[58:59], s[2:3]
	s_cbranch_execz .LBB335_134
; %bb.131:
	v_cmp_gt_u32_e32 vcc, s60, v9
	s_mov_b64 s[54:55], 0
	s_and_saveexec_b64 s[2:3], vcc
	s_cbranch_execz .LBB335_133
; %bb.132:
	v_add_u32_e32 v10, -2, v10
	ds_read_u16 v10, v10
	s_mov_b32 s54, 0xcccd
	v_mul_u32_u24_sdwa v11, v7, s54 dst_sel:DWORD dst_unused:UNUSED_PAD src0_sel:WORD_0 src1_sel:DWORD
	v_lshrrev_b32_e32 v11, 19, v11
	s_waitcnt lgkmcnt(0)
	v_mul_u32_u24_e32 v10, 0xcccd, v10
	v_lshrrev_b32_e32 v10, 19, v10
	v_cmp_ne_u16_e32 vcc, v10, v11
	s_and_b64 s[54:55], vcc, exec
.LBB335_133:
	s_or_b64 exec, exec, s[2:3]
	s_or_b64 s[52:53], s[52:53], exec
.LBB335_134:
	s_or_b64 exec, exec, s[58:59]
	v_cndmask_b32_e64 v79, 0, 1, s[36:37]
	v_cndmask_b32_e64 v78, 0, 1, s[34:35]
	v_cndmask_b32_e64 v77, 0, 1, s[30:31]
	v_cndmask_b32_e64 v76, 0, 1, s[28:29]
	v_cndmask_b32_e64 v75, 0, 1, s[26:27]
	v_cndmask_b32_e64 v74, 0, 1, s[24:25]
	v_cndmask_b32_e64 v73, 0, 1, s[22:23]
	v_cndmask_b32_e64 v72, 0, 1, s[20:21]
	v_cndmask_b32_e64 v71, 0, 1, s[18:19]
	v_cndmask_b32_e64 v70, 0, 1, s[16:17]
	v_cndmask_b32_e64 v69, 0, 1, s[14:15]
	v_cndmask_b32_e64 v68, 0, 1, s[12:13]
	v_cndmask_b32_e64 v67, 0, 1, s[10:11]
	v_cndmask_b32_e64 v66, 0, 1, s[8:9]
	v_cndmask_b32_e64 v65, 0, 1, s[6:7]
	v_cndmask_b32_e64 v64, 0, 1, s[4:5]
	v_cndmask_b32_e64 v80, 0, 1, s[56:57]
.LBB335_135:
	v_mov_b32_e32 v22, 1
	s_and_saveexec_b64 s[2:3], s[52:53]
; %bb.136:
	v_cndmask_b32_e64 v22, 0, 1, s[54:55]
; %bb.137:
	s_or_b64 exec, exec, s[2:3]
	s_andn2_b64 vcc, exec, s[48:49]
	s_cbranch_vccnz .LBB335_139
; %bb.138:
	v_cmp_gt_u32_e32 vcc, s60, v9
	v_or_b32_e32 v10, 1, v9
	v_cndmask_b32_e32 v22, 0, v22, vcc
	v_cmp_gt_u32_e32 vcc, s60, v10
	v_add_u32_e32 v10, 2, v9
	v_cndmask_b32_e32 v80, 0, v80, vcc
	v_cmp_gt_u32_e32 vcc, s60, v10
	v_add_u32_e32 v10, 3, v9
	;; [unrolled: 3-line block ×16, first 2 shown]
	v_cndmask_b32_e32 v65, 0, v65, vcc
	v_cmp_gt_u32_e32 vcc, s60, v9
	v_cndmask_b32_e32 v64, 0, v64, vcc
.LBB335_139:
	v_and_b32_e32 v35, 0xff, v76
	v_and_b32_e32 v36, 0xff, v75
	v_add_u32_sdwa v10, v74, v73 dst_sel:DWORD dst_unused:UNUSED_PAD src0_sel:BYTE_0 src1_sel:BYTE_0
	v_and_b32_e32 v33, 0xff, v78
	v_and_b32_e32 v34, 0xff, v77
	v_add3_u32 v10, v10, v36, v35
	v_and_b32_e32 v29, 0xff, v80
	v_and_b32_e32 v31, 0xff, v79
	v_add3_u32 v10, v10, v34, v33
	v_and_b32_e32 v27, 0xffff, v22
	v_and_b32_e32 v21, 0xff, v72
	v_add3_u32 v10, v10, v31, v29
	v_and_b32_e32 v23, 0xff, v71
	v_and_b32_e32 v24, 0xff, v70
	v_add3_u32 v10, v10, v27, v21
	v_and_b32_e32 v25, 0xff, v69
	v_and_b32_e32 v26, 0xff, v68
	v_add3_u32 v10, v10, v23, v24
	v_and_b32_e32 v28, 0xff, v67
	v_and_b32_e32 v30, 0xff, v66
	v_add3_u32 v10, v10, v25, v26
	v_and_b32_e32 v32, 0xff, v65
	v_and_b32_e32 v9, 0xff, v64
	v_add3_u32 v10, v10, v28, v30
	v_add3_u32 v39, v10, v32, v9
	v_mbcnt_lo_u32_b32 v9, -1, 0
	v_mbcnt_hi_u32_b32 v37, -1, v9
	v_and_b32_e32 v9, 15, v37
	v_cmp_eq_u32_e64 s[14:15], 0, v9
	v_cmp_lt_u32_e64 s[12:13], 1, v9
	v_cmp_lt_u32_e64 s[10:11], 3, v9
	;; [unrolled: 1-line block ×3, first 2 shown]
	v_and_b32_e32 v9, 16, v37
	v_cmp_eq_u32_e64 s[4:5], 0, v9
	v_and_b32_e32 v9, 0xc0, v0
	v_min_u32_e32 v9, 0x80, v9
	v_or_b32_e32 v9, 63, v9
	v_cmp_lt_u32_e64 s[2:3], 31, v37
	v_lshrrev_b32_e32 v38, 6, v0
	v_cmp_eq_u32_e64 s[6:7], v0, v9
	s_and_b64 vcc, exec, s[50:51]
	s_waitcnt vmcnt(0) lgkmcnt(0)
	s_barrier
	s_cbranch_vccz .LBB335_161
; %bb.140:
	v_mov_b32_dpp v9, v39 row_shr:1 row_mask:0xf bank_mask:0xf
	v_cndmask_b32_e64 v9, v9, 0, s[14:15]
	v_add_u32_e32 v9, v9, v39
	s_nop 1
	v_mov_b32_dpp v10, v9 row_shr:2 row_mask:0xf bank_mask:0xf
	v_cndmask_b32_e64 v10, 0, v10, s[12:13]
	v_add_u32_e32 v9, v9, v10
	s_nop 1
	;; [unrolled: 4-line block ×4, first 2 shown]
	v_mov_b32_dpp v10, v9 row_bcast:15 row_mask:0xf bank_mask:0xf
	v_cndmask_b32_e64 v10, v10, 0, s[4:5]
	v_add_u32_e32 v9, v9, v10
	s_nop 1
	v_mov_b32_dpp v10, v9 row_bcast:31 row_mask:0xf bank_mask:0xf
	v_cndmask_b32_e64 v10, 0, v10, s[2:3]
	v_add_u32_e32 v9, v9, v10
	s_and_saveexec_b64 s[16:17], s[6:7]
; %bb.141:
	v_lshlrev_b32_e32 v10, 2, v38
	ds_write_b32 v10, v9
; %bb.142:
	s_or_b64 exec, exec, s[16:17]
	v_cmp_gt_u32_e32 vcc, 3, v0
	s_waitcnt lgkmcnt(0)
	s_barrier
	s_and_saveexec_b64 s[16:17], vcc
	s_cbranch_execz .LBB335_144
; %bb.143:
	v_lshlrev_b32_e32 v10, 2, v0
	ds_read_b32 v11, v10
	v_and_b32_e32 v12, 3, v37
	v_cmp_ne_u32_e32 vcc, 0, v12
	s_waitcnt lgkmcnt(0)
	v_mov_b32_dpp v13, v11 row_shr:1 row_mask:0xf bank_mask:0xf
	v_cndmask_b32_e32 v13, 0, v13, vcc
	v_add_u32_e32 v11, v13, v11
	v_cmp_lt_u32_e32 vcc, 1, v12
	s_nop 0
	v_mov_b32_dpp v13, v11 row_shr:2 row_mask:0xf bank_mask:0xf
	v_cndmask_b32_e32 v12, 0, v13, vcc
	v_add_u32_e32 v11, v11, v12
	ds_write_b32 v10, v11
.LBB335_144:
	s_or_b64 exec, exec, s[16:17]
	v_cmp_gt_u32_e32 vcc, 64, v0
	v_cmp_lt_u32_e64 s[16:17], 63, v0
	s_waitcnt lgkmcnt(0)
	s_barrier
                                        ; implicit-def: $vgpr40
	s_and_saveexec_b64 s[18:19], s[16:17]
	s_cbranch_execz .LBB335_146
; %bb.145:
	v_lshl_add_u32 v10, v38, 2, -4
	ds_read_b32 v40, v10
	s_waitcnt lgkmcnt(0)
	v_add_u32_e32 v9, v40, v9
.LBB335_146:
	s_or_b64 exec, exec, s[18:19]
	v_subrev_co_u32_e64 v10, s[16:17], 1, v37
	v_and_b32_e32 v11, 64, v37
	v_cmp_lt_i32_e64 s[18:19], v10, v11
	v_cndmask_b32_e64 v10, v10, v37, s[18:19]
	v_lshlrev_b32_e32 v10, 2, v10
	ds_bpermute_b32 v41, v10, v9
	s_and_saveexec_b64 s[18:19], vcc
	s_cbranch_execz .LBB335_166
; %bb.147:
	v_mov_b32_e32 v15, 0
	ds_read_b32 v9, v15 offset:8
	s_and_saveexec_b64 s[20:21], s[16:17]
	s_cbranch_execz .LBB335_149
; %bb.148:
	s_add_i32 s22, s33, 64
	s_mov_b32 s23, 0
	s_lshl_b64 s[22:23], s[22:23], 3
	s_add_u32 s22, s46, s22
	v_mov_b32_e32 v10, 1
	s_addc_u32 s23, s47, s23
	s_waitcnt lgkmcnt(0)
	global_store_dwordx2 v15, v[9:10], s[22:23]
.LBB335_149:
	s_or_b64 exec, exec, s[20:21]
	v_xad_u32 v11, v37, -1, s33
	v_add_u32_e32 v14, 64, v11
	v_lshlrev_b64 v[12:13], 3, v[14:15]
	v_mov_b32_e32 v10, s47
	v_add_co_u32_e32 v19, vcc, s46, v12
	v_addc_co_u32_e32 v20, vcc, v10, v13, vcc
	global_load_dwordx2 v[13:14], v[19:20], off glc
	s_waitcnt vmcnt(0)
	v_cmp_eq_u16_sdwa s[22:23], v14, v15 src0_sel:BYTE_0 src1_sel:DWORD
	s_and_saveexec_b64 s[20:21], s[22:23]
	s_cbranch_execz .LBB335_153
; %bb.150:
	s_mov_b64 s[22:23], 0
	v_mov_b32_e32 v10, 0
.LBB335_151:                            ; =>This Inner Loop Header: Depth=1
	global_load_dwordx2 v[13:14], v[19:20], off glc
	s_waitcnt vmcnt(0)
	v_cmp_ne_u16_sdwa s[24:25], v14, v10 src0_sel:BYTE_0 src1_sel:DWORD
	s_or_b64 s[22:23], s[24:25], s[22:23]
	s_andn2_b64 exec, exec, s[22:23]
	s_cbranch_execnz .LBB335_151
; %bb.152:
	s_or_b64 exec, exec, s[22:23]
.LBB335_153:
	s_or_b64 exec, exec, s[20:21]
	v_and_b32_e32 v43, 63, v37
	v_mov_b32_e32 v42, 2
	v_lshlrev_b64 v[15:16], v37, -1
	v_cmp_ne_u32_e32 vcc, 63, v43
	v_cmp_eq_u16_sdwa s[20:21], v14, v42 src0_sel:BYTE_0 src1_sel:DWORD
	v_addc_co_u32_e32 v19, vcc, 0, v37, vcc
	v_and_b32_e32 v10, s21, v16
	v_lshlrev_b32_e32 v44, 2, v19
	v_or_b32_e32 v10, 0x80000000, v10
	ds_bpermute_b32 v19, v44, v13
	v_and_b32_e32 v12, s20, v15
	v_ffbl_b32_e32 v10, v10
	v_add_u32_e32 v10, 32, v10
	v_ffbl_b32_e32 v12, v12
	v_min_u32_e32 v10, v12, v10
	v_cmp_lt_u32_e32 vcc, v43, v10
	s_waitcnt lgkmcnt(0)
	v_cndmask_b32_e32 v12, 0, v19, vcc
	v_cmp_gt_u32_e32 vcc, 62, v43
	v_add_u32_e32 v12, v12, v13
	v_cndmask_b32_e64 v13, 0, 2, vcc
	v_add_lshl_u32 v45, v13, v37, 2
	ds_bpermute_b32 v13, v45, v12
	v_add_u32_e32 v46, 2, v43
	v_cmp_le_u32_e32 vcc, v46, v10
	v_add_u32_e32 v48, 4, v43
	v_add_u32_e32 v50, 8, v43
	s_waitcnt lgkmcnt(0)
	v_cndmask_b32_e32 v13, 0, v13, vcc
	v_cmp_gt_u32_e32 vcc, 60, v43
	v_add_u32_e32 v12, v12, v13
	v_cndmask_b32_e64 v13, 0, 4, vcc
	v_add_lshl_u32 v47, v13, v37, 2
	ds_bpermute_b32 v13, v47, v12
	v_cmp_le_u32_e32 vcc, v48, v10
	v_add_u32_e32 v52, 16, v43
	v_add_u32_e32 v82, 32, v43
	s_waitcnt lgkmcnt(0)
	v_cndmask_b32_e32 v13, 0, v13, vcc
	v_cmp_gt_u32_e32 vcc, 56, v43
	v_add_u32_e32 v12, v12, v13
	v_cndmask_b32_e64 v13, 0, 8, vcc
	v_add_lshl_u32 v49, v13, v37, 2
	ds_bpermute_b32 v13, v49, v12
	v_cmp_le_u32_e32 vcc, v50, v10
	s_waitcnt lgkmcnt(0)
	v_cndmask_b32_e32 v13, 0, v13, vcc
	v_cmp_gt_u32_e32 vcc, 48, v43
	v_add_u32_e32 v12, v12, v13
	v_cndmask_b32_e64 v13, 0, 16, vcc
	v_add_lshl_u32 v51, v13, v37, 2
	ds_bpermute_b32 v13, v51, v12
	v_cmp_le_u32_e32 vcc, v52, v10
	s_waitcnt lgkmcnt(0)
	v_cndmask_b32_e32 v13, 0, v13, vcc
	v_add_u32_e32 v12, v12, v13
	v_mov_b32_e32 v13, 0x80
	v_lshl_or_b32 v81, v37, 2, v13
	ds_bpermute_b32 v13, v81, v12
	v_cmp_le_u32_e32 vcc, v82, v10
	s_waitcnt lgkmcnt(0)
	v_cndmask_b32_e32 v10, 0, v13, vcc
	v_add_u32_e32 v13, v12, v10
	v_mov_b32_e32 v12, 0
	s_branch .LBB335_156
.LBB335_154:                            ;   in Loop: Header=BB335_156 Depth=1
	s_or_b64 exec, exec, s[20:21]
	v_cmp_eq_u16_sdwa s[20:21], v14, v42 src0_sel:BYTE_0 src1_sel:DWORD
	v_and_b32_e32 v19, s21, v16
	v_or_b32_e32 v19, 0x80000000, v19
	v_and_b32_e32 v20, s20, v15
	v_ffbl_b32_e32 v19, v19
	v_add_u32_e32 v19, 32, v19
	v_ffbl_b32_e32 v20, v20
	v_min_u32_e32 v19, v20, v19
	ds_bpermute_b32 v20, v44, v13
	v_cmp_lt_u32_e32 vcc, v43, v19
	v_subrev_u32_e32 v11, 64, v11
	s_mov_b64 s[20:21], 0
	s_waitcnt lgkmcnt(0)
	v_cndmask_b32_e32 v20, 0, v20, vcc
	v_add_u32_e32 v13, v20, v13
	ds_bpermute_b32 v20, v45, v13
	v_cmp_le_u32_e32 vcc, v46, v19
	s_waitcnt lgkmcnt(0)
	v_cndmask_b32_e32 v20, 0, v20, vcc
	v_add_u32_e32 v13, v13, v20
	ds_bpermute_b32 v20, v47, v13
	v_cmp_le_u32_e32 vcc, v48, v19
	;; [unrolled: 5-line block ×5, first 2 shown]
	s_waitcnt lgkmcnt(0)
	v_cndmask_b32_e32 v19, 0, v20, vcc
	v_add3_u32 v13, v19, v10, v13
.LBB335_155:                            ;   in Loop: Header=BB335_156 Depth=1
	s_and_b64 vcc, exec, s[20:21]
	s_cbranch_vccnz .LBB335_162
.LBB335_156:                            ; =>This Loop Header: Depth=1
                                        ;     Child Loop BB335_159 Depth 2
	v_cmp_ne_u16_sdwa s[20:21], v14, v42 src0_sel:BYTE_0 src1_sel:DWORD
	v_mov_b32_e32 v10, v13
	s_cmp_lg_u64 s[20:21], exec
	s_mov_b64 s[20:21], -1
                                        ; implicit-def: $vgpr13
                                        ; implicit-def: $vgpr14
	s_cbranch_scc1 .LBB335_155
; %bb.157:                              ;   in Loop: Header=BB335_156 Depth=1
	v_lshlrev_b64 v[13:14], 3, v[11:12]
	v_mov_b32_e32 v20, s47
	v_add_co_u32_e32 v19, vcc, s46, v13
	v_addc_co_u32_e32 v20, vcc, v20, v14, vcc
	global_load_dwordx2 v[13:14], v[19:20], off glc
	s_waitcnt vmcnt(0)
	v_cmp_eq_u16_sdwa s[22:23], v14, v12 src0_sel:BYTE_0 src1_sel:DWORD
	s_and_saveexec_b64 s[20:21], s[22:23]
	s_cbranch_execz .LBB335_154
; %bb.158:                              ;   in Loop: Header=BB335_156 Depth=1
	s_mov_b64 s[22:23], 0
.LBB335_159:                            ;   Parent Loop BB335_156 Depth=1
                                        ; =>  This Inner Loop Header: Depth=2
	global_load_dwordx2 v[13:14], v[19:20], off glc
	s_waitcnt vmcnt(0)
	v_cmp_ne_u16_sdwa s[24:25], v14, v12 src0_sel:BYTE_0 src1_sel:DWORD
	s_or_b64 s[22:23], s[24:25], s[22:23]
	s_andn2_b64 exec, exec, s[22:23]
	s_cbranch_execnz .LBB335_159
; %bb.160:                              ;   in Loop: Header=BB335_156 Depth=1
	s_or_b64 exec, exec, s[22:23]
	s_branch .LBB335_154
.LBB335_161:
                                        ; implicit-def: $vgpr10
                                        ; implicit-def: $vgpr9
                                        ; implicit-def: $vgpr45
	s_cbranch_execnz .LBB335_167
	s_branch .LBB335_176
.LBB335_162:
	s_and_saveexec_b64 s[20:21], s[16:17]
	s_cbranch_execz .LBB335_164
; %bb.163:
	s_add_i32 s22, s33, 64
	s_mov_b32 s23, 0
	s_lshl_b64 s[22:23], s[22:23], 3
	s_add_u32 s22, s46, s22
	v_add_u32_e32 v11, v10, v9
	v_mov_b32_e32 v12, 2
	s_addc_u32 s23, s47, s23
	v_mov_b32_e32 v13, 0
	global_store_dwordx2 v13, v[11:12], s[22:23]
	ds_write_b64 v13, v[9:10] offset:6912
.LBB335_164:
	s_or_b64 exec, exec, s[20:21]
	s_and_b64 exec, exec, s[0:1]
; %bb.165:
	v_mov_b32_e32 v9, 0
	ds_write_b32 v9, v10 offset:8
.LBB335_166:
	s_or_b64 exec, exec, s[18:19]
	v_mov_b32_e32 v9, 0
	s_waitcnt vmcnt(0) lgkmcnt(0)
	s_barrier
	ds_read_b32 v11, v9 offset:8
	s_waitcnt lgkmcnt(0)
	s_barrier
	ds_read_b64 v[9:10], v9 offset:6912
	v_cndmask_b32_e64 v12, v41, v40, s[16:17]
	v_cndmask_b32_e64 v12, v12, 0, s[0:1]
	v_add_u32_e32 v45, v11, v12
	s_branch .LBB335_176
.LBB335_167:
	s_waitcnt lgkmcnt(0)
	v_mov_b32_dpp v9, v39 row_shr:1 row_mask:0xf bank_mask:0xf
	v_cndmask_b32_e64 v9, v9, 0, s[14:15]
	v_add_u32_e32 v9, v9, v39
	s_nop 1
	v_mov_b32_dpp v10, v9 row_shr:2 row_mask:0xf bank_mask:0xf
	v_cndmask_b32_e64 v10, 0, v10, s[12:13]
	v_add_u32_e32 v9, v9, v10
	s_nop 1
	;; [unrolled: 4-line block ×4, first 2 shown]
	v_mov_b32_dpp v10, v9 row_bcast:15 row_mask:0xf bank_mask:0xf
	v_cndmask_b32_e64 v10, v10, 0, s[4:5]
	v_add_u32_e32 v9, v9, v10
	s_nop 1
	v_mov_b32_dpp v10, v9 row_bcast:31 row_mask:0xf bank_mask:0xf
	v_cndmask_b32_e64 v10, 0, v10, s[2:3]
	v_add_u32_e32 v9, v9, v10
	s_and_saveexec_b64 s[2:3], s[6:7]
; %bb.168:
	v_lshlrev_b32_e32 v10, 2, v38
	ds_write_b32 v10, v9
; %bb.169:
	s_or_b64 exec, exec, s[2:3]
	v_cmp_gt_u32_e32 vcc, 3, v0
	s_waitcnt lgkmcnt(0)
	s_barrier
	s_and_saveexec_b64 s[2:3], vcc
	s_cbranch_execz .LBB335_171
; %bb.170:
	v_lshlrev_b32_e32 v10, 2, v0
	ds_read_b32 v11, v10
	v_and_b32_e32 v12, 3, v37
	v_cmp_ne_u32_e32 vcc, 0, v12
	s_waitcnt lgkmcnt(0)
	v_mov_b32_dpp v13, v11 row_shr:1 row_mask:0xf bank_mask:0xf
	v_cndmask_b32_e32 v13, 0, v13, vcc
	v_add_u32_e32 v11, v13, v11
	v_cmp_lt_u32_e32 vcc, 1, v12
	s_nop 0
	v_mov_b32_dpp v13, v11 row_shr:2 row_mask:0xf bank_mask:0xf
	v_cndmask_b32_e32 v12, 0, v13, vcc
	v_add_u32_e32 v11, v11, v12
	ds_write_b32 v10, v11
.LBB335_171:
	s_or_b64 exec, exec, s[2:3]
	v_cmp_lt_u32_e32 vcc, 63, v0
	v_mov_b32_e32 v10, 0
	v_mov_b32_e32 v11, 0
	s_waitcnt lgkmcnt(0)
	s_barrier
	s_and_saveexec_b64 s[2:3], vcc
; %bb.172:
	v_lshl_add_u32 v11, v38, 2, -4
	ds_read_b32 v11, v11
; %bb.173:
	s_or_b64 exec, exec, s[2:3]
	v_subrev_co_u32_e32 v12, vcc, 1, v37
	v_and_b32_e32 v13, 64, v37
	v_cmp_lt_i32_e64 s[2:3], v12, v13
	v_cndmask_b32_e64 v12, v12, v37, s[2:3]
	s_waitcnt lgkmcnt(0)
	v_add_u32_e32 v9, v11, v9
	v_lshlrev_b32_e32 v12, 2, v12
	ds_bpermute_b32 v12, v12, v9
	ds_read_b32 v9, v10 offset:8
	s_and_saveexec_b64 s[2:3], s[0:1]
	s_cbranch_execz .LBB335_175
; %bb.174:
	v_mov_b32_e32 v13, 0
	v_mov_b32_e32 v10, 2
	s_waitcnt lgkmcnt(0)
	global_store_dwordx2 v13, v[9:10], s[46:47] offset:512
.LBB335_175:
	s_or_b64 exec, exec, s[2:3]
	s_waitcnt lgkmcnt(1)
	v_cndmask_b32_e32 v10, v12, v11, vcc
	v_cndmask_b32_e64 v45, v10, 0, s[0:1]
	s_waitcnt vmcnt(0) lgkmcnt(0)
	s_barrier
	v_mov_b32_e32 v10, 0
.LBB335_176:
	v_add_u32_e32 v51, v45, v27
	v_add_u32_e32 v49, v51, v29
	;; [unrolled: 1-line block ×7, first 2 shown]
	v_add_u32_sdwa v35, v37, v74 dst_sel:DWORD dst_unused:UNUSED_PAD src0_sel:DWORD src1_sel:BYTE_0
	v_add_u32_sdwa v33, v35, v73 dst_sel:DWORD dst_unused:UNUSED_PAD src0_sel:DWORD src1_sel:BYTE_0
	v_add_u32_e32 v31, v33, v21
	v_add_u32_e32 v29, v31, v23
	;; [unrolled: 1-line block ×6, first 2 shown]
	s_movk_i32 s4, 0xc1
	v_add_u32_e32 v19, v21, v30
	s_waitcnt lgkmcnt(0)
	v_cmp_gt_u32_e32 vcc, s4, v9
	v_lshlrev_b64 v[12:13], 1, v[17:18]
	v_add_u32_e32 v14, v19, v32
	s_mov_b64 s[2:3], -1
	v_and_b32_e32 v11, 1, v22
	s_cbranch_vccnz .LBB335_180
; %bb.177:
	s_and_b64 vcc, exec, s[2:3]
	s_cbranch_vccnz .LBB335_217
.LBB335_178:
	s_and_b64 s[0:1], s[0:1], s[42:43]
	s_and_saveexec_b64 s[2:3], s[0:1]
	s_cbranch_execnz .LBB335_256
.LBB335_179:
	s_endpgm
.LBB335_180:
	v_mov_b32_e32 v20, s39
	v_add_co_u32_e32 v16, vcc, s38, v12
	v_add_u32_e32 v15, v10, v9
	v_addc_co_u32_e32 v81, vcc, v20, v13, vcc
	v_cmp_lt_u32_e32 vcc, v45, v15
	s_or_b64 s[2:3], s[44:45], vcc
	v_cmp_eq_u32_e32 vcc, 1, v11
	s_and_b64 s[4:5], s[2:3], vcc
	s_and_saveexec_b64 s[2:3], s[4:5]
	s_cbranch_execz .LBB335_182
; %bb.181:
	v_mov_b32_e32 v46, 0
	v_lshlrev_b64 v[82:83], 1, v[45:46]
	v_add_co_u32_e32 v82, vcc, v16, v82
	v_addc_co_u32_e32 v83, vcc, v81, v83, vcc
	global_store_short v[82:83], v7, off
.LBB335_182:
	s_or_b64 exec, exec, s[2:3]
	v_cmp_lt_u32_e32 vcc, v51, v15
	v_and_b32_e32 v20, 1, v80
	s_or_b64 s[2:3], s[44:45], vcc
	v_cmp_eq_u32_e32 vcc, 1, v20
	s_and_b64 s[4:5], s[2:3], vcc
	s_and_saveexec_b64 s[2:3], s[4:5]
	s_cbranch_execz .LBB335_184
; %bb.183:
	v_mov_b32_e32 v52, 0
	v_lshlrev_b64 v[82:83], 1, v[51:52]
	v_add_co_u32_e32 v82, vcc, v16, v82
	v_addc_co_u32_e32 v83, vcc, v81, v83, vcc
	global_store_short v[82:83], v63, off
.LBB335_184:
	s_or_b64 exec, exec, s[2:3]
	v_cmp_lt_u32_e32 vcc, v49, v15
	v_and_b32_e32 v20, 1, v79
	;; [unrolled: 15-line block ×17, first 2 shown]
	s_or_b64 s[2:3], s[44:45], vcc
	v_cmp_eq_u32_e32 vcc, 1, v15
	s_and_b64 s[4:5], s[2:3], vcc
	s_and_saveexec_b64 s[2:3], s[4:5]
	s_cbranch_execz .LBB335_216
; %bb.215:
	v_mov_b32_e32 v15, 0
	v_lshlrev_b64 v[82:83], 1, v[14:15]
	v_add_co_u32_e32 v15, vcc, v16, v82
	v_addc_co_u32_e32 v16, vcc, v81, v83, vcc
	global_store_short v[15:16], v54, off
.LBB335_216:
	s_or_b64 exec, exec, s[2:3]
	s_branch .LBB335_178
.LBB335_217:
	v_cmp_eq_u32_e32 vcc, 1, v11
	s_and_saveexec_b64 s[2:3], vcc
; %bb.218:
	v_sub_u32_e32 v11, v45, v10
	v_lshlrev_b32_e32 v11, 1, v11
	ds_write_b16 v11, v7
; %bb.219:
	s_or_b64 exec, exec, s[2:3]
	v_and_b32_e32 v7, 1, v80
	v_cmp_eq_u32_e32 vcc, 1, v7
	s_and_saveexec_b64 s[2:3], vcc
; %bb.220:
	v_sub_u32_e32 v7, v51, v10
	v_lshlrev_b32_e32 v7, 1, v7
	ds_write_b16 v7, v63
; %bb.221:
	s_or_b64 exec, exec, s[2:3]
	v_and_b32_e32 v7, 1, v79
	;; [unrolled: 9-line block ×17, first 2 shown]
	v_cmp_eq_u32_e32 vcc, 1, v1
	s_and_saveexec_b64 s[2:3], vcc
; %bb.252:
	v_sub_u32_e32 v1, v14, v10
	v_lshlrev_b32_e32 v1, 1, v1
	ds_write_b16 v1, v54
; %bb.253:
	s_or_b64 exec, exec, s[2:3]
	v_mov_b32_e32 v1, 0
	v_mov_b32_e32 v11, v1
	;; [unrolled: 1-line block ×3, first 2 shown]
	v_add_co_u32_e32 v4, vcc, s38, v12
	v_addc_co_u32_e32 v5, vcc, v2, v13, vcc
	v_lshlrev_b64 v[2:3], 1, v[10:11]
	s_mov_b64 s[4:5], 0
	v_add_co_u32_e32 v2, vcc, v4, v2
	v_addc_co_u32_e32 v3, vcc, v5, v3, vcc
	s_waitcnt vmcnt(0) lgkmcnt(0)
	s_barrier
.LBB335_254:                            ; =>This Inner Loop Header: Depth=1
	ds_read_u16 v6, v53
	v_lshlrev_b64 v[4:5], 1, v[0:1]
	v_add_u32_e32 v0, 0xc0, v0
	v_cmp_ge_u32_e32 vcc, v0, v9
	v_add_co_u32_e64 v4, s[2:3], v2, v4
	v_add_u32_e32 v53, 0x180, v53
	v_addc_co_u32_e64 v5, s[2:3], v3, v5, s[2:3]
	s_or_b64 s[4:5], vcc, s[4:5]
	s_waitcnt lgkmcnt(0)
	global_store_short v[4:5], v6, off
	s_andn2_b64 exec, exec, s[4:5]
	s_cbranch_execnz .LBB335_254
; %bb.255:
	s_or_b64 exec, exec, s[4:5]
	s_and_b64 s[0:1], s[0:1], s[42:43]
	s_and_saveexec_b64 s[2:3], s[0:1]
	s_cbranch_execz .LBB335_179
.LBB335_256:
	v_add_co_u32_e32 v0, vcc, v17, v9
	v_addc_co_u32_e32 v1, vcc, 0, v18, vcc
	v_add_co_u32_e32 v0, vcc, v0, v10
	v_mov_b32_e32 v2, 0
	v_addc_co_u32_e32 v1, vcc, 0, v1, vcc
	global_store_dwordx2 v2, v[0:1], s[40:41]
	s_endpgm
	.section	.rodata,"a",@progbits
	.p2align	6, 0x0
	.amdhsa_kernel _ZN7rocprim17ROCPRIM_400000_NS6detail17trampoline_kernelINS0_14default_configENS1_25partition_config_selectorILNS1_17partition_subalgoE8EtNS0_10empty_typeEbEEZZNS1_14partition_implILS5_8ELb0ES3_jN6thrust23THRUST_200600_302600_NS6detail15normal_iteratorINSA_10device_ptrItEEEEPS6_PKS6_NS0_5tupleIJSF_S6_EEENSJ_IJSG_SG_EEENS0_18inequality_wrapperI22is_equal_div_10_uniqueItEEEPmJS6_EEE10hipError_tPvRmT3_T4_T5_T6_T7_T9_mT8_P12ihipStream_tbDpT10_ENKUlT_T0_E_clISt17integral_constantIbLb0EES19_IbLb1EEEEDaS15_S16_EUlS15_E_NS1_11comp_targetILNS1_3genE2ELNS1_11target_archE906ELNS1_3gpuE6ELNS1_3repE0EEENS1_30default_config_static_selectorELNS0_4arch9wavefront6targetE1EEEvT1_
		.amdhsa_group_segment_fixed_size 6920
		.amdhsa_private_segment_fixed_size 0
		.amdhsa_kernarg_size 128
		.amdhsa_user_sgpr_count 6
		.amdhsa_user_sgpr_private_segment_buffer 1
		.amdhsa_user_sgpr_dispatch_ptr 0
		.amdhsa_user_sgpr_queue_ptr 0
		.amdhsa_user_sgpr_kernarg_segment_ptr 1
		.amdhsa_user_sgpr_dispatch_id 0
		.amdhsa_user_sgpr_flat_scratch_init 0
		.amdhsa_user_sgpr_private_segment_size 0
		.amdhsa_uses_dynamic_stack 0
		.amdhsa_system_sgpr_private_segment_wavefront_offset 0
		.amdhsa_system_sgpr_workgroup_id_x 1
		.amdhsa_system_sgpr_workgroup_id_y 0
		.amdhsa_system_sgpr_workgroup_id_z 0
		.amdhsa_system_sgpr_workgroup_info 0
		.amdhsa_system_vgpr_workitem_id 0
		.amdhsa_next_free_vgpr 84
		.amdhsa_next_free_sgpr 77
		.amdhsa_reserve_vcc 1
		.amdhsa_reserve_flat_scratch 0
		.amdhsa_float_round_mode_32 0
		.amdhsa_float_round_mode_16_64 0
		.amdhsa_float_denorm_mode_32 3
		.amdhsa_float_denorm_mode_16_64 3
		.amdhsa_dx10_clamp 1
		.amdhsa_ieee_mode 1
		.amdhsa_fp16_overflow 0
		.amdhsa_exception_fp_ieee_invalid_op 0
		.amdhsa_exception_fp_denorm_src 0
		.amdhsa_exception_fp_ieee_div_zero 0
		.amdhsa_exception_fp_ieee_overflow 0
		.amdhsa_exception_fp_ieee_underflow 0
		.amdhsa_exception_fp_ieee_inexact 0
		.amdhsa_exception_int_div_zero 0
	.end_amdhsa_kernel
	.section	.text._ZN7rocprim17ROCPRIM_400000_NS6detail17trampoline_kernelINS0_14default_configENS1_25partition_config_selectorILNS1_17partition_subalgoE8EtNS0_10empty_typeEbEEZZNS1_14partition_implILS5_8ELb0ES3_jN6thrust23THRUST_200600_302600_NS6detail15normal_iteratorINSA_10device_ptrItEEEEPS6_PKS6_NS0_5tupleIJSF_S6_EEENSJ_IJSG_SG_EEENS0_18inequality_wrapperI22is_equal_div_10_uniqueItEEEPmJS6_EEE10hipError_tPvRmT3_T4_T5_T6_T7_T9_mT8_P12ihipStream_tbDpT10_ENKUlT_T0_E_clISt17integral_constantIbLb0EES19_IbLb1EEEEDaS15_S16_EUlS15_E_NS1_11comp_targetILNS1_3genE2ELNS1_11target_archE906ELNS1_3gpuE6ELNS1_3repE0EEENS1_30default_config_static_selectorELNS0_4arch9wavefront6targetE1EEEvT1_,"axG",@progbits,_ZN7rocprim17ROCPRIM_400000_NS6detail17trampoline_kernelINS0_14default_configENS1_25partition_config_selectorILNS1_17partition_subalgoE8EtNS0_10empty_typeEbEEZZNS1_14partition_implILS5_8ELb0ES3_jN6thrust23THRUST_200600_302600_NS6detail15normal_iteratorINSA_10device_ptrItEEEEPS6_PKS6_NS0_5tupleIJSF_S6_EEENSJ_IJSG_SG_EEENS0_18inequality_wrapperI22is_equal_div_10_uniqueItEEEPmJS6_EEE10hipError_tPvRmT3_T4_T5_T6_T7_T9_mT8_P12ihipStream_tbDpT10_ENKUlT_T0_E_clISt17integral_constantIbLb0EES19_IbLb1EEEEDaS15_S16_EUlS15_E_NS1_11comp_targetILNS1_3genE2ELNS1_11target_archE906ELNS1_3gpuE6ELNS1_3repE0EEENS1_30default_config_static_selectorELNS0_4arch9wavefront6targetE1EEEvT1_,comdat
.Lfunc_end335:
	.size	_ZN7rocprim17ROCPRIM_400000_NS6detail17trampoline_kernelINS0_14default_configENS1_25partition_config_selectorILNS1_17partition_subalgoE8EtNS0_10empty_typeEbEEZZNS1_14partition_implILS5_8ELb0ES3_jN6thrust23THRUST_200600_302600_NS6detail15normal_iteratorINSA_10device_ptrItEEEEPS6_PKS6_NS0_5tupleIJSF_S6_EEENSJ_IJSG_SG_EEENS0_18inequality_wrapperI22is_equal_div_10_uniqueItEEEPmJS6_EEE10hipError_tPvRmT3_T4_T5_T6_T7_T9_mT8_P12ihipStream_tbDpT10_ENKUlT_T0_E_clISt17integral_constantIbLb0EES19_IbLb1EEEEDaS15_S16_EUlS15_E_NS1_11comp_targetILNS1_3genE2ELNS1_11target_archE906ELNS1_3gpuE6ELNS1_3repE0EEENS1_30default_config_static_selectorELNS0_4arch9wavefront6targetE1EEEvT1_, .Lfunc_end335-_ZN7rocprim17ROCPRIM_400000_NS6detail17trampoline_kernelINS0_14default_configENS1_25partition_config_selectorILNS1_17partition_subalgoE8EtNS0_10empty_typeEbEEZZNS1_14partition_implILS5_8ELb0ES3_jN6thrust23THRUST_200600_302600_NS6detail15normal_iteratorINSA_10device_ptrItEEEEPS6_PKS6_NS0_5tupleIJSF_S6_EEENSJ_IJSG_SG_EEENS0_18inequality_wrapperI22is_equal_div_10_uniqueItEEEPmJS6_EEE10hipError_tPvRmT3_T4_T5_T6_T7_T9_mT8_P12ihipStream_tbDpT10_ENKUlT_T0_E_clISt17integral_constantIbLb0EES19_IbLb1EEEEDaS15_S16_EUlS15_E_NS1_11comp_targetILNS1_3genE2ELNS1_11target_archE906ELNS1_3gpuE6ELNS1_3repE0EEENS1_30default_config_static_selectorELNS0_4arch9wavefront6targetE1EEEvT1_
                                        ; -- End function
	.set _ZN7rocprim17ROCPRIM_400000_NS6detail17trampoline_kernelINS0_14default_configENS1_25partition_config_selectorILNS1_17partition_subalgoE8EtNS0_10empty_typeEbEEZZNS1_14partition_implILS5_8ELb0ES3_jN6thrust23THRUST_200600_302600_NS6detail15normal_iteratorINSA_10device_ptrItEEEEPS6_PKS6_NS0_5tupleIJSF_S6_EEENSJ_IJSG_SG_EEENS0_18inequality_wrapperI22is_equal_div_10_uniqueItEEEPmJS6_EEE10hipError_tPvRmT3_T4_T5_T6_T7_T9_mT8_P12ihipStream_tbDpT10_ENKUlT_T0_E_clISt17integral_constantIbLb0EES19_IbLb1EEEEDaS15_S16_EUlS15_E_NS1_11comp_targetILNS1_3genE2ELNS1_11target_archE906ELNS1_3gpuE6ELNS1_3repE0EEENS1_30default_config_static_selectorELNS0_4arch9wavefront6targetE1EEEvT1_.num_vgpr, 84
	.set _ZN7rocprim17ROCPRIM_400000_NS6detail17trampoline_kernelINS0_14default_configENS1_25partition_config_selectorILNS1_17partition_subalgoE8EtNS0_10empty_typeEbEEZZNS1_14partition_implILS5_8ELb0ES3_jN6thrust23THRUST_200600_302600_NS6detail15normal_iteratorINSA_10device_ptrItEEEEPS6_PKS6_NS0_5tupleIJSF_S6_EEENSJ_IJSG_SG_EEENS0_18inequality_wrapperI22is_equal_div_10_uniqueItEEEPmJS6_EEE10hipError_tPvRmT3_T4_T5_T6_T7_T9_mT8_P12ihipStream_tbDpT10_ENKUlT_T0_E_clISt17integral_constantIbLb0EES19_IbLb1EEEEDaS15_S16_EUlS15_E_NS1_11comp_targetILNS1_3genE2ELNS1_11target_archE906ELNS1_3gpuE6ELNS1_3repE0EEENS1_30default_config_static_selectorELNS0_4arch9wavefront6targetE1EEEvT1_.num_agpr, 0
	.set _ZN7rocprim17ROCPRIM_400000_NS6detail17trampoline_kernelINS0_14default_configENS1_25partition_config_selectorILNS1_17partition_subalgoE8EtNS0_10empty_typeEbEEZZNS1_14partition_implILS5_8ELb0ES3_jN6thrust23THRUST_200600_302600_NS6detail15normal_iteratorINSA_10device_ptrItEEEEPS6_PKS6_NS0_5tupleIJSF_S6_EEENSJ_IJSG_SG_EEENS0_18inequality_wrapperI22is_equal_div_10_uniqueItEEEPmJS6_EEE10hipError_tPvRmT3_T4_T5_T6_T7_T9_mT8_P12ihipStream_tbDpT10_ENKUlT_T0_E_clISt17integral_constantIbLb0EES19_IbLb1EEEEDaS15_S16_EUlS15_E_NS1_11comp_targetILNS1_3genE2ELNS1_11target_archE906ELNS1_3gpuE6ELNS1_3repE0EEENS1_30default_config_static_selectorELNS0_4arch9wavefront6targetE1EEEvT1_.numbered_sgpr, 61
	.set _ZN7rocprim17ROCPRIM_400000_NS6detail17trampoline_kernelINS0_14default_configENS1_25partition_config_selectorILNS1_17partition_subalgoE8EtNS0_10empty_typeEbEEZZNS1_14partition_implILS5_8ELb0ES3_jN6thrust23THRUST_200600_302600_NS6detail15normal_iteratorINSA_10device_ptrItEEEEPS6_PKS6_NS0_5tupleIJSF_S6_EEENSJ_IJSG_SG_EEENS0_18inequality_wrapperI22is_equal_div_10_uniqueItEEEPmJS6_EEE10hipError_tPvRmT3_T4_T5_T6_T7_T9_mT8_P12ihipStream_tbDpT10_ENKUlT_T0_E_clISt17integral_constantIbLb0EES19_IbLb1EEEEDaS15_S16_EUlS15_E_NS1_11comp_targetILNS1_3genE2ELNS1_11target_archE906ELNS1_3gpuE6ELNS1_3repE0EEENS1_30default_config_static_selectorELNS0_4arch9wavefront6targetE1EEEvT1_.num_named_barrier, 0
	.set _ZN7rocprim17ROCPRIM_400000_NS6detail17trampoline_kernelINS0_14default_configENS1_25partition_config_selectorILNS1_17partition_subalgoE8EtNS0_10empty_typeEbEEZZNS1_14partition_implILS5_8ELb0ES3_jN6thrust23THRUST_200600_302600_NS6detail15normal_iteratorINSA_10device_ptrItEEEEPS6_PKS6_NS0_5tupleIJSF_S6_EEENSJ_IJSG_SG_EEENS0_18inequality_wrapperI22is_equal_div_10_uniqueItEEEPmJS6_EEE10hipError_tPvRmT3_T4_T5_T6_T7_T9_mT8_P12ihipStream_tbDpT10_ENKUlT_T0_E_clISt17integral_constantIbLb0EES19_IbLb1EEEEDaS15_S16_EUlS15_E_NS1_11comp_targetILNS1_3genE2ELNS1_11target_archE906ELNS1_3gpuE6ELNS1_3repE0EEENS1_30default_config_static_selectorELNS0_4arch9wavefront6targetE1EEEvT1_.private_seg_size, 0
	.set _ZN7rocprim17ROCPRIM_400000_NS6detail17trampoline_kernelINS0_14default_configENS1_25partition_config_selectorILNS1_17partition_subalgoE8EtNS0_10empty_typeEbEEZZNS1_14partition_implILS5_8ELb0ES3_jN6thrust23THRUST_200600_302600_NS6detail15normal_iteratorINSA_10device_ptrItEEEEPS6_PKS6_NS0_5tupleIJSF_S6_EEENSJ_IJSG_SG_EEENS0_18inequality_wrapperI22is_equal_div_10_uniqueItEEEPmJS6_EEE10hipError_tPvRmT3_T4_T5_T6_T7_T9_mT8_P12ihipStream_tbDpT10_ENKUlT_T0_E_clISt17integral_constantIbLb0EES19_IbLb1EEEEDaS15_S16_EUlS15_E_NS1_11comp_targetILNS1_3genE2ELNS1_11target_archE906ELNS1_3gpuE6ELNS1_3repE0EEENS1_30default_config_static_selectorELNS0_4arch9wavefront6targetE1EEEvT1_.uses_vcc, 1
	.set _ZN7rocprim17ROCPRIM_400000_NS6detail17trampoline_kernelINS0_14default_configENS1_25partition_config_selectorILNS1_17partition_subalgoE8EtNS0_10empty_typeEbEEZZNS1_14partition_implILS5_8ELb0ES3_jN6thrust23THRUST_200600_302600_NS6detail15normal_iteratorINSA_10device_ptrItEEEEPS6_PKS6_NS0_5tupleIJSF_S6_EEENSJ_IJSG_SG_EEENS0_18inequality_wrapperI22is_equal_div_10_uniqueItEEEPmJS6_EEE10hipError_tPvRmT3_T4_T5_T6_T7_T9_mT8_P12ihipStream_tbDpT10_ENKUlT_T0_E_clISt17integral_constantIbLb0EES19_IbLb1EEEEDaS15_S16_EUlS15_E_NS1_11comp_targetILNS1_3genE2ELNS1_11target_archE906ELNS1_3gpuE6ELNS1_3repE0EEENS1_30default_config_static_selectorELNS0_4arch9wavefront6targetE1EEEvT1_.uses_flat_scratch, 0
	.set _ZN7rocprim17ROCPRIM_400000_NS6detail17trampoline_kernelINS0_14default_configENS1_25partition_config_selectorILNS1_17partition_subalgoE8EtNS0_10empty_typeEbEEZZNS1_14partition_implILS5_8ELb0ES3_jN6thrust23THRUST_200600_302600_NS6detail15normal_iteratorINSA_10device_ptrItEEEEPS6_PKS6_NS0_5tupleIJSF_S6_EEENSJ_IJSG_SG_EEENS0_18inequality_wrapperI22is_equal_div_10_uniqueItEEEPmJS6_EEE10hipError_tPvRmT3_T4_T5_T6_T7_T9_mT8_P12ihipStream_tbDpT10_ENKUlT_T0_E_clISt17integral_constantIbLb0EES19_IbLb1EEEEDaS15_S16_EUlS15_E_NS1_11comp_targetILNS1_3genE2ELNS1_11target_archE906ELNS1_3gpuE6ELNS1_3repE0EEENS1_30default_config_static_selectorELNS0_4arch9wavefront6targetE1EEEvT1_.has_dyn_sized_stack, 0
	.set _ZN7rocprim17ROCPRIM_400000_NS6detail17trampoline_kernelINS0_14default_configENS1_25partition_config_selectorILNS1_17partition_subalgoE8EtNS0_10empty_typeEbEEZZNS1_14partition_implILS5_8ELb0ES3_jN6thrust23THRUST_200600_302600_NS6detail15normal_iteratorINSA_10device_ptrItEEEEPS6_PKS6_NS0_5tupleIJSF_S6_EEENSJ_IJSG_SG_EEENS0_18inequality_wrapperI22is_equal_div_10_uniqueItEEEPmJS6_EEE10hipError_tPvRmT3_T4_T5_T6_T7_T9_mT8_P12ihipStream_tbDpT10_ENKUlT_T0_E_clISt17integral_constantIbLb0EES19_IbLb1EEEEDaS15_S16_EUlS15_E_NS1_11comp_targetILNS1_3genE2ELNS1_11target_archE906ELNS1_3gpuE6ELNS1_3repE0EEENS1_30default_config_static_selectorELNS0_4arch9wavefront6targetE1EEEvT1_.has_recursion, 0
	.set _ZN7rocprim17ROCPRIM_400000_NS6detail17trampoline_kernelINS0_14default_configENS1_25partition_config_selectorILNS1_17partition_subalgoE8EtNS0_10empty_typeEbEEZZNS1_14partition_implILS5_8ELb0ES3_jN6thrust23THRUST_200600_302600_NS6detail15normal_iteratorINSA_10device_ptrItEEEEPS6_PKS6_NS0_5tupleIJSF_S6_EEENSJ_IJSG_SG_EEENS0_18inequality_wrapperI22is_equal_div_10_uniqueItEEEPmJS6_EEE10hipError_tPvRmT3_T4_T5_T6_T7_T9_mT8_P12ihipStream_tbDpT10_ENKUlT_T0_E_clISt17integral_constantIbLb0EES19_IbLb1EEEEDaS15_S16_EUlS15_E_NS1_11comp_targetILNS1_3genE2ELNS1_11target_archE906ELNS1_3gpuE6ELNS1_3repE0EEENS1_30default_config_static_selectorELNS0_4arch9wavefront6targetE1EEEvT1_.has_indirect_call, 0
	.section	.AMDGPU.csdata,"",@progbits
; Kernel info:
; codeLenInByte = 10088
; TotalNumSgprs: 65
; NumVgprs: 84
; ScratchSize: 0
; MemoryBound: 0
; FloatMode: 240
; IeeeMode: 1
; LDSByteSize: 6920 bytes/workgroup (compile time only)
; SGPRBlocks: 10
; VGPRBlocks: 20
; NumSGPRsForWavesPerEU: 81
; NumVGPRsForWavesPerEU: 84
; Occupancy: 3
; WaveLimiterHint : 1
; COMPUTE_PGM_RSRC2:SCRATCH_EN: 0
; COMPUTE_PGM_RSRC2:USER_SGPR: 6
; COMPUTE_PGM_RSRC2:TRAP_HANDLER: 0
; COMPUTE_PGM_RSRC2:TGID_X_EN: 1
; COMPUTE_PGM_RSRC2:TGID_Y_EN: 0
; COMPUTE_PGM_RSRC2:TGID_Z_EN: 0
; COMPUTE_PGM_RSRC2:TIDIG_COMP_CNT: 0
	.section	.text._ZN7rocprim17ROCPRIM_400000_NS6detail17trampoline_kernelINS0_14default_configENS1_25partition_config_selectorILNS1_17partition_subalgoE8EtNS0_10empty_typeEbEEZZNS1_14partition_implILS5_8ELb0ES3_jN6thrust23THRUST_200600_302600_NS6detail15normal_iteratorINSA_10device_ptrItEEEEPS6_PKS6_NS0_5tupleIJSF_S6_EEENSJ_IJSG_SG_EEENS0_18inequality_wrapperI22is_equal_div_10_uniqueItEEEPmJS6_EEE10hipError_tPvRmT3_T4_T5_T6_T7_T9_mT8_P12ihipStream_tbDpT10_ENKUlT_T0_E_clISt17integral_constantIbLb0EES19_IbLb1EEEEDaS15_S16_EUlS15_E_NS1_11comp_targetILNS1_3genE10ELNS1_11target_archE1200ELNS1_3gpuE4ELNS1_3repE0EEENS1_30default_config_static_selectorELNS0_4arch9wavefront6targetE1EEEvT1_,"axG",@progbits,_ZN7rocprim17ROCPRIM_400000_NS6detail17trampoline_kernelINS0_14default_configENS1_25partition_config_selectorILNS1_17partition_subalgoE8EtNS0_10empty_typeEbEEZZNS1_14partition_implILS5_8ELb0ES3_jN6thrust23THRUST_200600_302600_NS6detail15normal_iteratorINSA_10device_ptrItEEEEPS6_PKS6_NS0_5tupleIJSF_S6_EEENSJ_IJSG_SG_EEENS0_18inequality_wrapperI22is_equal_div_10_uniqueItEEEPmJS6_EEE10hipError_tPvRmT3_T4_T5_T6_T7_T9_mT8_P12ihipStream_tbDpT10_ENKUlT_T0_E_clISt17integral_constantIbLb0EES19_IbLb1EEEEDaS15_S16_EUlS15_E_NS1_11comp_targetILNS1_3genE10ELNS1_11target_archE1200ELNS1_3gpuE4ELNS1_3repE0EEENS1_30default_config_static_selectorELNS0_4arch9wavefront6targetE1EEEvT1_,comdat
	.protected	_ZN7rocprim17ROCPRIM_400000_NS6detail17trampoline_kernelINS0_14default_configENS1_25partition_config_selectorILNS1_17partition_subalgoE8EtNS0_10empty_typeEbEEZZNS1_14partition_implILS5_8ELb0ES3_jN6thrust23THRUST_200600_302600_NS6detail15normal_iteratorINSA_10device_ptrItEEEEPS6_PKS6_NS0_5tupleIJSF_S6_EEENSJ_IJSG_SG_EEENS0_18inequality_wrapperI22is_equal_div_10_uniqueItEEEPmJS6_EEE10hipError_tPvRmT3_T4_T5_T6_T7_T9_mT8_P12ihipStream_tbDpT10_ENKUlT_T0_E_clISt17integral_constantIbLb0EES19_IbLb1EEEEDaS15_S16_EUlS15_E_NS1_11comp_targetILNS1_3genE10ELNS1_11target_archE1200ELNS1_3gpuE4ELNS1_3repE0EEENS1_30default_config_static_selectorELNS0_4arch9wavefront6targetE1EEEvT1_ ; -- Begin function _ZN7rocprim17ROCPRIM_400000_NS6detail17trampoline_kernelINS0_14default_configENS1_25partition_config_selectorILNS1_17partition_subalgoE8EtNS0_10empty_typeEbEEZZNS1_14partition_implILS5_8ELb0ES3_jN6thrust23THRUST_200600_302600_NS6detail15normal_iteratorINSA_10device_ptrItEEEEPS6_PKS6_NS0_5tupleIJSF_S6_EEENSJ_IJSG_SG_EEENS0_18inequality_wrapperI22is_equal_div_10_uniqueItEEEPmJS6_EEE10hipError_tPvRmT3_T4_T5_T6_T7_T9_mT8_P12ihipStream_tbDpT10_ENKUlT_T0_E_clISt17integral_constantIbLb0EES19_IbLb1EEEEDaS15_S16_EUlS15_E_NS1_11comp_targetILNS1_3genE10ELNS1_11target_archE1200ELNS1_3gpuE4ELNS1_3repE0EEENS1_30default_config_static_selectorELNS0_4arch9wavefront6targetE1EEEvT1_
	.globl	_ZN7rocprim17ROCPRIM_400000_NS6detail17trampoline_kernelINS0_14default_configENS1_25partition_config_selectorILNS1_17partition_subalgoE8EtNS0_10empty_typeEbEEZZNS1_14partition_implILS5_8ELb0ES3_jN6thrust23THRUST_200600_302600_NS6detail15normal_iteratorINSA_10device_ptrItEEEEPS6_PKS6_NS0_5tupleIJSF_S6_EEENSJ_IJSG_SG_EEENS0_18inequality_wrapperI22is_equal_div_10_uniqueItEEEPmJS6_EEE10hipError_tPvRmT3_T4_T5_T6_T7_T9_mT8_P12ihipStream_tbDpT10_ENKUlT_T0_E_clISt17integral_constantIbLb0EES19_IbLb1EEEEDaS15_S16_EUlS15_E_NS1_11comp_targetILNS1_3genE10ELNS1_11target_archE1200ELNS1_3gpuE4ELNS1_3repE0EEENS1_30default_config_static_selectorELNS0_4arch9wavefront6targetE1EEEvT1_
	.p2align	8
	.type	_ZN7rocprim17ROCPRIM_400000_NS6detail17trampoline_kernelINS0_14default_configENS1_25partition_config_selectorILNS1_17partition_subalgoE8EtNS0_10empty_typeEbEEZZNS1_14partition_implILS5_8ELb0ES3_jN6thrust23THRUST_200600_302600_NS6detail15normal_iteratorINSA_10device_ptrItEEEEPS6_PKS6_NS0_5tupleIJSF_S6_EEENSJ_IJSG_SG_EEENS0_18inequality_wrapperI22is_equal_div_10_uniqueItEEEPmJS6_EEE10hipError_tPvRmT3_T4_T5_T6_T7_T9_mT8_P12ihipStream_tbDpT10_ENKUlT_T0_E_clISt17integral_constantIbLb0EES19_IbLb1EEEEDaS15_S16_EUlS15_E_NS1_11comp_targetILNS1_3genE10ELNS1_11target_archE1200ELNS1_3gpuE4ELNS1_3repE0EEENS1_30default_config_static_selectorELNS0_4arch9wavefront6targetE1EEEvT1_,@function
_ZN7rocprim17ROCPRIM_400000_NS6detail17trampoline_kernelINS0_14default_configENS1_25partition_config_selectorILNS1_17partition_subalgoE8EtNS0_10empty_typeEbEEZZNS1_14partition_implILS5_8ELb0ES3_jN6thrust23THRUST_200600_302600_NS6detail15normal_iteratorINSA_10device_ptrItEEEEPS6_PKS6_NS0_5tupleIJSF_S6_EEENSJ_IJSG_SG_EEENS0_18inequality_wrapperI22is_equal_div_10_uniqueItEEEPmJS6_EEE10hipError_tPvRmT3_T4_T5_T6_T7_T9_mT8_P12ihipStream_tbDpT10_ENKUlT_T0_E_clISt17integral_constantIbLb0EES19_IbLb1EEEEDaS15_S16_EUlS15_E_NS1_11comp_targetILNS1_3genE10ELNS1_11target_archE1200ELNS1_3gpuE4ELNS1_3repE0EEENS1_30default_config_static_selectorELNS0_4arch9wavefront6targetE1EEEvT1_: ; @_ZN7rocprim17ROCPRIM_400000_NS6detail17trampoline_kernelINS0_14default_configENS1_25partition_config_selectorILNS1_17partition_subalgoE8EtNS0_10empty_typeEbEEZZNS1_14partition_implILS5_8ELb0ES3_jN6thrust23THRUST_200600_302600_NS6detail15normal_iteratorINSA_10device_ptrItEEEEPS6_PKS6_NS0_5tupleIJSF_S6_EEENSJ_IJSG_SG_EEENS0_18inequality_wrapperI22is_equal_div_10_uniqueItEEEPmJS6_EEE10hipError_tPvRmT3_T4_T5_T6_T7_T9_mT8_P12ihipStream_tbDpT10_ENKUlT_T0_E_clISt17integral_constantIbLb0EES19_IbLb1EEEEDaS15_S16_EUlS15_E_NS1_11comp_targetILNS1_3genE10ELNS1_11target_archE1200ELNS1_3gpuE4ELNS1_3repE0EEENS1_30default_config_static_selectorELNS0_4arch9wavefront6targetE1EEEvT1_
; %bb.0:
	.section	.rodata,"a",@progbits
	.p2align	6, 0x0
	.amdhsa_kernel _ZN7rocprim17ROCPRIM_400000_NS6detail17trampoline_kernelINS0_14default_configENS1_25partition_config_selectorILNS1_17partition_subalgoE8EtNS0_10empty_typeEbEEZZNS1_14partition_implILS5_8ELb0ES3_jN6thrust23THRUST_200600_302600_NS6detail15normal_iteratorINSA_10device_ptrItEEEEPS6_PKS6_NS0_5tupleIJSF_S6_EEENSJ_IJSG_SG_EEENS0_18inequality_wrapperI22is_equal_div_10_uniqueItEEEPmJS6_EEE10hipError_tPvRmT3_T4_T5_T6_T7_T9_mT8_P12ihipStream_tbDpT10_ENKUlT_T0_E_clISt17integral_constantIbLb0EES19_IbLb1EEEEDaS15_S16_EUlS15_E_NS1_11comp_targetILNS1_3genE10ELNS1_11target_archE1200ELNS1_3gpuE4ELNS1_3repE0EEENS1_30default_config_static_selectorELNS0_4arch9wavefront6targetE1EEEvT1_
		.amdhsa_group_segment_fixed_size 0
		.amdhsa_private_segment_fixed_size 0
		.amdhsa_kernarg_size 128
		.amdhsa_user_sgpr_count 6
		.amdhsa_user_sgpr_private_segment_buffer 1
		.amdhsa_user_sgpr_dispatch_ptr 0
		.amdhsa_user_sgpr_queue_ptr 0
		.amdhsa_user_sgpr_kernarg_segment_ptr 1
		.amdhsa_user_sgpr_dispatch_id 0
		.amdhsa_user_sgpr_flat_scratch_init 0
		.amdhsa_user_sgpr_private_segment_size 0
		.amdhsa_uses_dynamic_stack 0
		.amdhsa_system_sgpr_private_segment_wavefront_offset 0
		.amdhsa_system_sgpr_workgroup_id_x 1
		.amdhsa_system_sgpr_workgroup_id_y 0
		.amdhsa_system_sgpr_workgroup_id_z 0
		.amdhsa_system_sgpr_workgroup_info 0
		.amdhsa_system_vgpr_workitem_id 0
		.amdhsa_next_free_vgpr 1
		.amdhsa_next_free_sgpr 0
		.amdhsa_reserve_vcc 0
		.amdhsa_reserve_flat_scratch 0
		.amdhsa_float_round_mode_32 0
		.amdhsa_float_round_mode_16_64 0
		.amdhsa_float_denorm_mode_32 3
		.amdhsa_float_denorm_mode_16_64 3
		.amdhsa_dx10_clamp 1
		.amdhsa_ieee_mode 1
		.amdhsa_fp16_overflow 0
		.amdhsa_exception_fp_ieee_invalid_op 0
		.amdhsa_exception_fp_denorm_src 0
		.amdhsa_exception_fp_ieee_div_zero 0
		.amdhsa_exception_fp_ieee_overflow 0
		.amdhsa_exception_fp_ieee_underflow 0
		.amdhsa_exception_fp_ieee_inexact 0
		.amdhsa_exception_int_div_zero 0
	.end_amdhsa_kernel
	.section	.text._ZN7rocprim17ROCPRIM_400000_NS6detail17trampoline_kernelINS0_14default_configENS1_25partition_config_selectorILNS1_17partition_subalgoE8EtNS0_10empty_typeEbEEZZNS1_14partition_implILS5_8ELb0ES3_jN6thrust23THRUST_200600_302600_NS6detail15normal_iteratorINSA_10device_ptrItEEEEPS6_PKS6_NS0_5tupleIJSF_S6_EEENSJ_IJSG_SG_EEENS0_18inequality_wrapperI22is_equal_div_10_uniqueItEEEPmJS6_EEE10hipError_tPvRmT3_T4_T5_T6_T7_T9_mT8_P12ihipStream_tbDpT10_ENKUlT_T0_E_clISt17integral_constantIbLb0EES19_IbLb1EEEEDaS15_S16_EUlS15_E_NS1_11comp_targetILNS1_3genE10ELNS1_11target_archE1200ELNS1_3gpuE4ELNS1_3repE0EEENS1_30default_config_static_selectorELNS0_4arch9wavefront6targetE1EEEvT1_,"axG",@progbits,_ZN7rocprim17ROCPRIM_400000_NS6detail17trampoline_kernelINS0_14default_configENS1_25partition_config_selectorILNS1_17partition_subalgoE8EtNS0_10empty_typeEbEEZZNS1_14partition_implILS5_8ELb0ES3_jN6thrust23THRUST_200600_302600_NS6detail15normal_iteratorINSA_10device_ptrItEEEEPS6_PKS6_NS0_5tupleIJSF_S6_EEENSJ_IJSG_SG_EEENS0_18inequality_wrapperI22is_equal_div_10_uniqueItEEEPmJS6_EEE10hipError_tPvRmT3_T4_T5_T6_T7_T9_mT8_P12ihipStream_tbDpT10_ENKUlT_T0_E_clISt17integral_constantIbLb0EES19_IbLb1EEEEDaS15_S16_EUlS15_E_NS1_11comp_targetILNS1_3genE10ELNS1_11target_archE1200ELNS1_3gpuE4ELNS1_3repE0EEENS1_30default_config_static_selectorELNS0_4arch9wavefront6targetE1EEEvT1_,comdat
.Lfunc_end336:
	.size	_ZN7rocprim17ROCPRIM_400000_NS6detail17trampoline_kernelINS0_14default_configENS1_25partition_config_selectorILNS1_17partition_subalgoE8EtNS0_10empty_typeEbEEZZNS1_14partition_implILS5_8ELb0ES3_jN6thrust23THRUST_200600_302600_NS6detail15normal_iteratorINSA_10device_ptrItEEEEPS6_PKS6_NS0_5tupleIJSF_S6_EEENSJ_IJSG_SG_EEENS0_18inequality_wrapperI22is_equal_div_10_uniqueItEEEPmJS6_EEE10hipError_tPvRmT3_T4_T5_T6_T7_T9_mT8_P12ihipStream_tbDpT10_ENKUlT_T0_E_clISt17integral_constantIbLb0EES19_IbLb1EEEEDaS15_S16_EUlS15_E_NS1_11comp_targetILNS1_3genE10ELNS1_11target_archE1200ELNS1_3gpuE4ELNS1_3repE0EEENS1_30default_config_static_selectorELNS0_4arch9wavefront6targetE1EEEvT1_, .Lfunc_end336-_ZN7rocprim17ROCPRIM_400000_NS6detail17trampoline_kernelINS0_14default_configENS1_25partition_config_selectorILNS1_17partition_subalgoE8EtNS0_10empty_typeEbEEZZNS1_14partition_implILS5_8ELb0ES3_jN6thrust23THRUST_200600_302600_NS6detail15normal_iteratorINSA_10device_ptrItEEEEPS6_PKS6_NS0_5tupleIJSF_S6_EEENSJ_IJSG_SG_EEENS0_18inequality_wrapperI22is_equal_div_10_uniqueItEEEPmJS6_EEE10hipError_tPvRmT3_T4_T5_T6_T7_T9_mT8_P12ihipStream_tbDpT10_ENKUlT_T0_E_clISt17integral_constantIbLb0EES19_IbLb1EEEEDaS15_S16_EUlS15_E_NS1_11comp_targetILNS1_3genE10ELNS1_11target_archE1200ELNS1_3gpuE4ELNS1_3repE0EEENS1_30default_config_static_selectorELNS0_4arch9wavefront6targetE1EEEvT1_
                                        ; -- End function
	.set _ZN7rocprim17ROCPRIM_400000_NS6detail17trampoline_kernelINS0_14default_configENS1_25partition_config_selectorILNS1_17partition_subalgoE8EtNS0_10empty_typeEbEEZZNS1_14partition_implILS5_8ELb0ES3_jN6thrust23THRUST_200600_302600_NS6detail15normal_iteratorINSA_10device_ptrItEEEEPS6_PKS6_NS0_5tupleIJSF_S6_EEENSJ_IJSG_SG_EEENS0_18inequality_wrapperI22is_equal_div_10_uniqueItEEEPmJS6_EEE10hipError_tPvRmT3_T4_T5_T6_T7_T9_mT8_P12ihipStream_tbDpT10_ENKUlT_T0_E_clISt17integral_constantIbLb0EES19_IbLb1EEEEDaS15_S16_EUlS15_E_NS1_11comp_targetILNS1_3genE10ELNS1_11target_archE1200ELNS1_3gpuE4ELNS1_3repE0EEENS1_30default_config_static_selectorELNS0_4arch9wavefront6targetE1EEEvT1_.num_vgpr, 0
	.set _ZN7rocprim17ROCPRIM_400000_NS6detail17trampoline_kernelINS0_14default_configENS1_25partition_config_selectorILNS1_17partition_subalgoE8EtNS0_10empty_typeEbEEZZNS1_14partition_implILS5_8ELb0ES3_jN6thrust23THRUST_200600_302600_NS6detail15normal_iteratorINSA_10device_ptrItEEEEPS6_PKS6_NS0_5tupleIJSF_S6_EEENSJ_IJSG_SG_EEENS0_18inequality_wrapperI22is_equal_div_10_uniqueItEEEPmJS6_EEE10hipError_tPvRmT3_T4_T5_T6_T7_T9_mT8_P12ihipStream_tbDpT10_ENKUlT_T0_E_clISt17integral_constantIbLb0EES19_IbLb1EEEEDaS15_S16_EUlS15_E_NS1_11comp_targetILNS1_3genE10ELNS1_11target_archE1200ELNS1_3gpuE4ELNS1_3repE0EEENS1_30default_config_static_selectorELNS0_4arch9wavefront6targetE1EEEvT1_.num_agpr, 0
	.set _ZN7rocprim17ROCPRIM_400000_NS6detail17trampoline_kernelINS0_14default_configENS1_25partition_config_selectorILNS1_17partition_subalgoE8EtNS0_10empty_typeEbEEZZNS1_14partition_implILS5_8ELb0ES3_jN6thrust23THRUST_200600_302600_NS6detail15normal_iteratorINSA_10device_ptrItEEEEPS6_PKS6_NS0_5tupleIJSF_S6_EEENSJ_IJSG_SG_EEENS0_18inequality_wrapperI22is_equal_div_10_uniqueItEEEPmJS6_EEE10hipError_tPvRmT3_T4_T5_T6_T7_T9_mT8_P12ihipStream_tbDpT10_ENKUlT_T0_E_clISt17integral_constantIbLb0EES19_IbLb1EEEEDaS15_S16_EUlS15_E_NS1_11comp_targetILNS1_3genE10ELNS1_11target_archE1200ELNS1_3gpuE4ELNS1_3repE0EEENS1_30default_config_static_selectorELNS0_4arch9wavefront6targetE1EEEvT1_.numbered_sgpr, 0
	.set _ZN7rocprim17ROCPRIM_400000_NS6detail17trampoline_kernelINS0_14default_configENS1_25partition_config_selectorILNS1_17partition_subalgoE8EtNS0_10empty_typeEbEEZZNS1_14partition_implILS5_8ELb0ES3_jN6thrust23THRUST_200600_302600_NS6detail15normal_iteratorINSA_10device_ptrItEEEEPS6_PKS6_NS0_5tupleIJSF_S6_EEENSJ_IJSG_SG_EEENS0_18inequality_wrapperI22is_equal_div_10_uniqueItEEEPmJS6_EEE10hipError_tPvRmT3_T4_T5_T6_T7_T9_mT8_P12ihipStream_tbDpT10_ENKUlT_T0_E_clISt17integral_constantIbLb0EES19_IbLb1EEEEDaS15_S16_EUlS15_E_NS1_11comp_targetILNS1_3genE10ELNS1_11target_archE1200ELNS1_3gpuE4ELNS1_3repE0EEENS1_30default_config_static_selectorELNS0_4arch9wavefront6targetE1EEEvT1_.num_named_barrier, 0
	.set _ZN7rocprim17ROCPRIM_400000_NS6detail17trampoline_kernelINS0_14default_configENS1_25partition_config_selectorILNS1_17partition_subalgoE8EtNS0_10empty_typeEbEEZZNS1_14partition_implILS5_8ELb0ES3_jN6thrust23THRUST_200600_302600_NS6detail15normal_iteratorINSA_10device_ptrItEEEEPS6_PKS6_NS0_5tupleIJSF_S6_EEENSJ_IJSG_SG_EEENS0_18inequality_wrapperI22is_equal_div_10_uniqueItEEEPmJS6_EEE10hipError_tPvRmT3_T4_T5_T6_T7_T9_mT8_P12ihipStream_tbDpT10_ENKUlT_T0_E_clISt17integral_constantIbLb0EES19_IbLb1EEEEDaS15_S16_EUlS15_E_NS1_11comp_targetILNS1_3genE10ELNS1_11target_archE1200ELNS1_3gpuE4ELNS1_3repE0EEENS1_30default_config_static_selectorELNS0_4arch9wavefront6targetE1EEEvT1_.private_seg_size, 0
	.set _ZN7rocprim17ROCPRIM_400000_NS6detail17trampoline_kernelINS0_14default_configENS1_25partition_config_selectorILNS1_17partition_subalgoE8EtNS0_10empty_typeEbEEZZNS1_14partition_implILS5_8ELb0ES3_jN6thrust23THRUST_200600_302600_NS6detail15normal_iteratorINSA_10device_ptrItEEEEPS6_PKS6_NS0_5tupleIJSF_S6_EEENSJ_IJSG_SG_EEENS0_18inequality_wrapperI22is_equal_div_10_uniqueItEEEPmJS6_EEE10hipError_tPvRmT3_T4_T5_T6_T7_T9_mT8_P12ihipStream_tbDpT10_ENKUlT_T0_E_clISt17integral_constantIbLb0EES19_IbLb1EEEEDaS15_S16_EUlS15_E_NS1_11comp_targetILNS1_3genE10ELNS1_11target_archE1200ELNS1_3gpuE4ELNS1_3repE0EEENS1_30default_config_static_selectorELNS0_4arch9wavefront6targetE1EEEvT1_.uses_vcc, 0
	.set _ZN7rocprim17ROCPRIM_400000_NS6detail17trampoline_kernelINS0_14default_configENS1_25partition_config_selectorILNS1_17partition_subalgoE8EtNS0_10empty_typeEbEEZZNS1_14partition_implILS5_8ELb0ES3_jN6thrust23THRUST_200600_302600_NS6detail15normal_iteratorINSA_10device_ptrItEEEEPS6_PKS6_NS0_5tupleIJSF_S6_EEENSJ_IJSG_SG_EEENS0_18inequality_wrapperI22is_equal_div_10_uniqueItEEEPmJS6_EEE10hipError_tPvRmT3_T4_T5_T6_T7_T9_mT8_P12ihipStream_tbDpT10_ENKUlT_T0_E_clISt17integral_constantIbLb0EES19_IbLb1EEEEDaS15_S16_EUlS15_E_NS1_11comp_targetILNS1_3genE10ELNS1_11target_archE1200ELNS1_3gpuE4ELNS1_3repE0EEENS1_30default_config_static_selectorELNS0_4arch9wavefront6targetE1EEEvT1_.uses_flat_scratch, 0
	.set _ZN7rocprim17ROCPRIM_400000_NS6detail17trampoline_kernelINS0_14default_configENS1_25partition_config_selectorILNS1_17partition_subalgoE8EtNS0_10empty_typeEbEEZZNS1_14partition_implILS5_8ELb0ES3_jN6thrust23THRUST_200600_302600_NS6detail15normal_iteratorINSA_10device_ptrItEEEEPS6_PKS6_NS0_5tupleIJSF_S6_EEENSJ_IJSG_SG_EEENS0_18inequality_wrapperI22is_equal_div_10_uniqueItEEEPmJS6_EEE10hipError_tPvRmT3_T4_T5_T6_T7_T9_mT8_P12ihipStream_tbDpT10_ENKUlT_T0_E_clISt17integral_constantIbLb0EES19_IbLb1EEEEDaS15_S16_EUlS15_E_NS1_11comp_targetILNS1_3genE10ELNS1_11target_archE1200ELNS1_3gpuE4ELNS1_3repE0EEENS1_30default_config_static_selectorELNS0_4arch9wavefront6targetE1EEEvT1_.has_dyn_sized_stack, 0
	.set _ZN7rocprim17ROCPRIM_400000_NS6detail17trampoline_kernelINS0_14default_configENS1_25partition_config_selectorILNS1_17partition_subalgoE8EtNS0_10empty_typeEbEEZZNS1_14partition_implILS5_8ELb0ES3_jN6thrust23THRUST_200600_302600_NS6detail15normal_iteratorINSA_10device_ptrItEEEEPS6_PKS6_NS0_5tupleIJSF_S6_EEENSJ_IJSG_SG_EEENS0_18inequality_wrapperI22is_equal_div_10_uniqueItEEEPmJS6_EEE10hipError_tPvRmT3_T4_T5_T6_T7_T9_mT8_P12ihipStream_tbDpT10_ENKUlT_T0_E_clISt17integral_constantIbLb0EES19_IbLb1EEEEDaS15_S16_EUlS15_E_NS1_11comp_targetILNS1_3genE10ELNS1_11target_archE1200ELNS1_3gpuE4ELNS1_3repE0EEENS1_30default_config_static_selectorELNS0_4arch9wavefront6targetE1EEEvT1_.has_recursion, 0
	.set _ZN7rocprim17ROCPRIM_400000_NS6detail17trampoline_kernelINS0_14default_configENS1_25partition_config_selectorILNS1_17partition_subalgoE8EtNS0_10empty_typeEbEEZZNS1_14partition_implILS5_8ELb0ES3_jN6thrust23THRUST_200600_302600_NS6detail15normal_iteratorINSA_10device_ptrItEEEEPS6_PKS6_NS0_5tupleIJSF_S6_EEENSJ_IJSG_SG_EEENS0_18inequality_wrapperI22is_equal_div_10_uniqueItEEEPmJS6_EEE10hipError_tPvRmT3_T4_T5_T6_T7_T9_mT8_P12ihipStream_tbDpT10_ENKUlT_T0_E_clISt17integral_constantIbLb0EES19_IbLb1EEEEDaS15_S16_EUlS15_E_NS1_11comp_targetILNS1_3genE10ELNS1_11target_archE1200ELNS1_3gpuE4ELNS1_3repE0EEENS1_30default_config_static_selectorELNS0_4arch9wavefront6targetE1EEEvT1_.has_indirect_call, 0
	.section	.AMDGPU.csdata,"",@progbits
; Kernel info:
; codeLenInByte = 0
; TotalNumSgprs: 4
; NumVgprs: 0
; ScratchSize: 0
; MemoryBound: 0
; FloatMode: 240
; IeeeMode: 1
; LDSByteSize: 0 bytes/workgroup (compile time only)
; SGPRBlocks: 0
; VGPRBlocks: 0
; NumSGPRsForWavesPerEU: 4
; NumVGPRsForWavesPerEU: 1
; Occupancy: 10
; WaveLimiterHint : 0
; COMPUTE_PGM_RSRC2:SCRATCH_EN: 0
; COMPUTE_PGM_RSRC2:USER_SGPR: 6
; COMPUTE_PGM_RSRC2:TRAP_HANDLER: 0
; COMPUTE_PGM_RSRC2:TGID_X_EN: 1
; COMPUTE_PGM_RSRC2:TGID_Y_EN: 0
; COMPUTE_PGM_RSRC2:TGID_Z_EN: 0
; COMPUTE_PGM_RSRC2:TIDIG_COMP_CNT: 0
	.section	.text._ZN7rocprim17ROCPRIM_400000_NS6detail17trampoline_kernelINS0_14default_configENS1_25partition_config_selectorILNS1_17partition_subalgoE8EtNS0_10empty_typeEbEEZZNS1_14partition_implILS5_8ELb0ES3_jN6thrust23THRUST_200600_302600_NS6detail15normal_iteratorINSA_10device_ptrItEEEEPS6_PKS6_NS0_5tupleIJSF_S6_EEENSJ_IJSG_SG_EEENS0_18inequality_wrapperI22is_equal_div_10_uniqueItEEEPmJS6_EEE10hipError_tPvRmT3_T4_T5_T6_T7_T9_mT8_P12ihipStream_tbDpT10_ENKUlT_T0_E_clISt17integral_constantIbLb0EES19_IbLb1EEEEDaS15_S16_EUlS15_E_NS1_11comp_targetILNS1_3genE9ELNS1_11target_archE1100ELNS1_3gpuE3ELNS1_3repE0EEENS1_30default_config_static_selectorELNS0_4arch9wavefront6targetE1EEEvT1_,"axG",@progbits,_ZN7rocprim17ROCPRIM_400000_NS6detail17trampoline_kernelINS0_14default_configENS1_25partition_config_selectorILNS1_17partition_subalgoE8EtNS0_10empty_typeEbEEZZNS1_14partition_implILS5_8ELb0ES3_jN6thrust23THRUST_200600_302600_NS6detail15normal_iteratorINSA_10device_ptrItEEEEPS6_PKS6_NS0_5tupleIJSF_S6_EEENSJ_IJSG_SG_EEENS0_18inequality_wrapperI22is_equal_div_10_uniqueItEEEPmJS6_EEE10hipError_tPvRmT3_T4_T5_T6_T7_T9_mT8_P12ihipStream_tbDpT10_ENKUlT_T0_E_clISt17integral_constantIbLb0EES19_IbLb1EEEEDaS15_S16_EUlS15_E_NS1_11comp_targetILNS1_3genE9ELNS1_11target_archE1100ELNS1_3gpuE3ELNS1_3repE0EEENS1_30default_config_static_selectorELNS0_4arch9wavefront6targetE1EEEvT1_,comdat
	.protected	_ZN7rocprim17ROCPRIM_400000_NS6detail17trampoline_kernelINS0_14default_configENS1_25partition_config_selectorILNS1_17partition_subalgoE8EtNS0_10empty_typeEbEEZZNS1_14partition_implILS5_8ELb0ES3_jN6thrust23THRUST_200600_302600_NS6detail15normal_iteratorINSA_10device_ptrItEEEEPS6_PKS6_NS0_5tupleIJSF_S6_EEENSJ_IJSG_SG_EEENS0_18inequality_wrapperI22is_equal_div_10_uniqueItEEEPmJS6_EEE10hipError_tPvRmT3_T4_T5_T6_T7_T9_mT8_P12ihipStream_tbDpT10_ENKUlT_T0_E_clISt17integral_constantIbLb0EES19_IbLb1EEEEDaS15_S16_EUlS15_E_NS1_11comp_targetILNS1_3genE9ELNS1_11target_archE1100ELNS1_3gpuE3ELNS1_3repE0EEENS1_30default_config_static_selectorELNS0_4arch9wavefront6targetE1EEEvT1_ ; -- Begin function _ZN7rocprim17ROCPRIM_400000_NS6detail17trampoline_kernelINS0_14default_configENS1_25partition_config_selectorILNS1_17partition_subalgoE8EtNS0_10empty_typeEbEEZZNS1_14partition_implILS5_8ELb0ES3_jN6thrust23THRUST_200600_302600_NS6detail15normal_iteratorINSA_10device_ptrItEEEEPS6_PKS6_NS0_5tupleIJSF_S6_EEENSJ_IJSG_SG_EEENS0_18inequality_wrapperI22is_equal_div_10_uniqueItEEEPmJS6_EEE10hipError_tPvRmT3_T4_T5_T6_T7_T9_mT8_P12ihipStream_tbDpT10_ENKUlT_T0_E_clISt17integral_constantIbLb0EES19_IbLb1EEEEDaS15_S16_EUlS15_E_NS1_11comp_targetILNS1_3genE9ELNS1_11target_archE1100ELNS1_3gpuE3ELNS1_3repE0EEENS1_30default_config_static_selectorELNS0_4arch9wavefront6targetE1EEEvT1_
	.globl	_ZN7rocprim17ROCPRIM_400000_NS6detail17trampoline_kernelINS0_14default_configENS1_25partition_config_selectorILNS1_17partition_subalgoE8EtNS0_10empty_typeEbEEZZNS1_14partition_implILS5_8ELb0ES3_jN6thrust23THRUST_200600_302600_NS6detail15normal_iteratorINSA_10device_ptrItEEEEPS6_PKS6_NS0_5tupleIJSF_S6_EEENSJ_IJSG_SG_EEENS0_18inequality_wrapperI22is_equal_div_10_uniqueItEEEPmJS6_EEE10hipError_tPvRmT3_T4_T5_T6_T7_T9_mT8_P12ihipStream_tbDpT10_ENKUlT_T0_E_clISt17integral_constantIbLb0EES19_IbLb1EEEEDaS15_S16_EUlS15_E_NS1_11comp_targetILNS1_3genE9ELNS1_11target_archE1100ELNS1_3gpuE3ELNS1_3repE0EEENS1_30default_config_static_selectorELNS0_4arch9wavefront6targetE1EEEvT1_
	.p2align	8
	.type	_ZN7rocprim17ROCPRIM_400000_NS6detail17trampoline_kernelINS0_14default_configENS1_25partition_config_selectorILNS1_17partition_subalgoE8EtNS0_10empty_typeEbEEZZNS1_14partition_implILS5_8ELb0ES3_jN6thrust23THRUST_200600_302600_NS6detail15normal_iteratorINSA_10device_ptrItEEEEPS6_PKS6_NS0_5tupleIJSF_S6_EEENSJ_IJSG_SG_EEENS0_18inequality_wrapperI22is_equal_div_10_uniqueItEEEPmJS6_EEE10hipError_tPvRmT3_T4_T5_T6_T7_T9_mT8_P12ihipStream_tbDpT10_ENKUlT_T0_E_clISt17integral_constantIbLb0EES19_IbLb1EEEEDaS15_S16_EUlS15_E_NS1_11comp_targetILNS1_3genE9ELNS1_11target_archE1100ELNS1_3gpuE3ELNS1_3repE0EEENS1_30default_config_static_selectorELNS0_4arch9wavefront6targetE1EEEvT1_,@function
_ZN7rocprim17ROCPRIM_400000_NS6detail17trampoline_kernelINS0_14default_configENS1_25partition_config_selectorILNS1_17partition_subalgoE8EtNS0_10empty_typeEbEEZZNS1_14partition_implILS5_8ELb0ES3_jN6thrust23THRUST_200600_302600_NS6detail15normal_iteratorINSA_10device_ptrItEEEEPS6_PKS6_NS0_5tupleIJSF_S6_EEENSJ_IJSG_SG_EEENS0_18inequality_wrapperI22is_equal_div_10_uniqueItEEEPmJS6_EEE10hipError_tPvRmT3_T4_T5_T6_T7_T9_mT8_P12ihipStream_tbDpT10_ENKUlT_T0_E_clISt17integral_constantIbLb0EES19_IbLb1EEEEDaS15_S16_EUlS15_E_NS1_11comp_targetILNS1_3genE9ELNS1_11target_archE1100ELNS1_3gpuE3ELNS1_3repE0EEENS1_30default_config_static_selectorELNS0_4arch9wavefront6targetE1EEEvT1_: ; @_ZN7rocprim17ROCPRIM_400000_NS6detail17trampoline_kernelINS0_14default_configENS1_25partition_config_selectorILNS1_17partition_subalgoE8EtNS0_10empty_typeEbEEZZNS1_14partition_implILS5_8ELb0ES3_jN6thrust23THRUST_200600_302600_NS6detail15normal_iteratorINSA_10device_ptrItEEEEPS6_PKS6_NS0_5tupleIJSF_S6_EEENSJ_IJSG_SG_EEENS0_18inequality_wrapperI22is_equal_div_10_uniqueItEEEPmJS6_EEE10hipError_tPvRmT3_T4_T5_T6_T7_T9_mT8_P12ihipStream_tbDpT10_ENKUlT_T0_E_clISt17integral_constantIbLb0EES19_IbLb1EEEEDaS15_S16_EUlS15_E_NS1_11comp_targetILNS1_3genE9ELNS1_11target_archE1100ELNS1_3gpuE3ELNS1_3repE0EEENS1_30default_config_static_selectorELNS0_4arch9wavefront6targetE1EEEvT1_
; %bb.0:
	.section	.rodata,"a",@progbits
	.p2align	6, 0x0
	.amdhsa_kernel _ZN7rocprim17ROCPRIM_400000_NS6detail17trampoline_kernelINS0_14default_configENS1_25partition_config_selectorILNS1_17partition_subalgoE8EtNS0_10empty_typeEbEEZZNS1_14partition_implILS5_8ELb0ES3_jN6thrust23THRUST_200600_302600_NS6detail15normal_iteratorINSA_10device_ptrItEEEEPS6_PKS6_NS0_5tupleIJSF_S6_EEENSJ_IJSG_SG_EEENS0_18inequality_wrapperI22is_equal_div_10_uniqueItEEEPmJS6_EEE10hipError_tPvRmT3_T4_T5_T6_T7_T9_mT8_P12ihipStream_tbDpT10_ENKUlT_T0_E_clISt17integral_constantIbLb0EES19_IbLb1EEEEDaS15_S16_EUlS15_E_NS1_11comp_targetILNS1_3genE9ELNS1_11target_archE1100ELNS1_3gpuE3ELNS1_3repE0EEENS1_30default_config_static_selectorELNS0_4arch9wavefront6targetE1EEEvT1_
		.amdhsa_group_segment_fixed_size 0
		.amdhsa_private_segment_fixed_size 0
		.amdhsa_kernarg_size 128
		.amdhsa_user_sgpr_count 6
		.amdhsa_user_sgpr_private_segment_buffer 1
		.amdhsa_user_sgpr_dispatch_ptr 0
		.amdhsa_user_sgpr_queue_ptr 0
		.amdhsa_user_sgpr_kernarg_segment_ptr 1
		.amdhsa_user_sgpr_dispatch_id 0
		.amdhsa_user_sgpr_flat_scratch_init 0
		.amdhsa_user_sgpr_private_segment_size 0
		.amdhsa_uses_dynamic_stack 0
		.amdhsa_system_sgpr_private_segment_wavefront_offset 0
		.amdhsa_system_sgpr_workgroup_id_x 1
		.amdhsa_system_sgpr_workgroup_id_y 0
		.amdhsa_system_sgpr_workgroup_id_z 0
		.amdhsa_system_sgpr_workgroup_info 0
		.amdhsa_system_vgpr_workitem_id 0
		.amdhsa_next_free_vgpr 1
		.amdhsa_next_free_sgpr 0
		.amdhsa_reserve_vcc 0
		.amdhsa_reserve_flat_scratch 0
		.amdhsa_float_round_mode_32 0
		.amdhsa_float_round_mode_16_64 0
		.amdhsa_float_denorm_mode_32 3
		.amdhsa_float_denorm_mode_16_64 3
		.amdhsa_dx10_clamp 1
		.amdhsa_ieee_mode 1
		.amdhsa_fp16_overflow 0
		.amdhsa_exception_fp_ieee_invalid_op 0
		.amdhsa_exception_fp_denorm_src 0
		.amdhsa_exception_fp_ieee_div_zero 0
		.amdhsa_exception_fp_ieee_overflow 0
		.amdhsa_exception_fp_ieee_underflow 0
		.amdhsa_exception_fp_ieee_inexact 0
		.amdhsa_exception_int_div_zero 0
	.end_amdhsa_kernel
	.section	.text._ZN7rocprim17ROCPRIM_400000_NS6detail17trampoline_kernelINS0_14default_configENS1_25partition_config_selectorILNS1_17partition_subalgoE8EtNS0_10empty_typeEbEEZZNS1_14partition_implILS5_8ELb0ES3_jN6thrust23THRUST_200600_302600_NS6detail15normal_iteratorINSA_10device_ptrItEEEEPS6_PKS6_NS0_5tupleIJSF_S6_EEENSJ_IJSG_SG_EEENS0_18inequality_wrapperI22is_equal_div_10_uniqueItEEEPmJS6_EEE10hipError_tPvRmT3_T4_T5_T6_T7_T9_mT8_P12ihipStream_tbDpT10_ENKUlT_T0_E_clISt17integral_constantIbLb0EES19_IbLb1EEEEDaS15_S16_EUlS15_E_NS1_11comp_targetILNS1_3genE9ELNS1_11target_archE1100ELNS1_3gpuE3ELNS1_3repE0EEENS1_30default_config_static_selectorELNS0_4arch9wavefront6targetE1EEEvT1_,"axG",@progbits,_ZN7rocprim17ROCPRIM_400000_NS6detail17trampoline_kernelINS0_14default_configENS1_25partition_config_selectorILNS1_17partition_subalgoE8EtNS0_10empty_typeEbEEZZNS1_14partition_implILS5_8ELb0ES3_jN6thrust23THRUST_200600_302600_NS6detail15normal_iteratorINSA_10device_ptrItEEEEPS6_PKS6_NS0_5tupleIJSF_S6_EEENSJ_IJSG_SG_EEENS0_18inequality_wrapperI22is_equal_div_10_uniqueItEEEPmJS6_EEE10hipError_tPvRmT3_T4_T5_T6_T7_T9_mT8_P12ihipStream_tbDpT10_ENKUlT_T0_E_clISt17integral_constantIbLb0EES19_IbLb1EEEEDaS15_S16_EUlS15_E_NS1_11comp_targetILNS1_3genE9ELNS1_11target_archE1100ELNS1_3gpuE3ELNS1_3repE0EEENS1_30default_config_static_selectorELNS0_4arch9wavefront6targetE1EEEvT1_,comdat
.Lfunc_end337:
	.size	_ZN7rocprim17ROCPRIM_400000_NS6detail17trampoline_kernelINS0_14default_configENS1_25partition_config_selectorILNS1_17partition_subalgoE8EtNS0_10empty_typeEbEEZZNS1_14partition_implILS5_8ELb0ES3_jN6thrust23THRUST_200600_302600_NS6detail15normal_iteratorINSA_10device_ptrItEEEEPS6_PKS6_NS0_5tupleIJSF_S6_EEENSJ_IJSG_SG_EEENS0_18inequality_wrapperI22is_equal_div_10_uniqueItEEEPmJS6_EEE10hipError_tPvRmT3_T4_T5_T6_T7_T9_mT8_P12ihipStream_tbDpT10_ENKUlT_T0_E_clISt17integral_constantIbLb0EES19_IbLb1EEEEDaS15_S16_EUlS15_E_NS1_11comp_targetILNS1_3genE9ELNS1_11target_archE1100ELNS1_3gpuE3ELNS1_3repE0EEENS1_30default_config_static_selectorELNS0_4arch9wavefront6targetE1EEEvT1_, .Lfunc_end337-_ZN7rocprim17ROCPRIM_400000_NS6detail17trampoline_kernelINS0_14default_configENS1_25partition_config_selectorILNS1_17partition_subalgoE8EtNS0_10empty_typeEbEEZZNS1_14partition_implILS5_8ELb0ES3_jN6thrust23THRUST_200600_302600_NS6detail15normal_iteratorINSA_10device_ptrItEEEEPS6_PKS6_NS0_5tupleIJSF_S6_EEENSJ_IJSG_SG_EEENS0_18inequality_wrapperI22is_equal_div_10_uniqueItEEEPmJS6_EEE10hipError_tPvRmT3_T4_T5_T6_T7_T9_mT8_P12ihipStream_tbDpT10_ENKUlT_T0_E_clISt17integral_constantIbLb0EES19_IbLb1EEEEDaS15_S16_EUlS15_E_NS1_11comp_targetILNS1_3genE9ELNS1_11target_archE1100ELNS1_3gpuE3ELNS1_3repE0EEENS1_30default_config_static_selectorELNS0_4arch9wavefront6targetE1EEEvT1_
                                        ; -- End function
	.set _ZN7rocprim17ROCPRIM_400000_NS6detail17trampoline_kernelINS0_14default_configENS1_25partition_config_selectorILNS1_17partition_subalgoE8EtNS0_10empty_typeEbEEZZNS1_14partition_implILS5_8ELb0ES3_jN6thrust23THRUST_200600_302600_NS6detail15normal_iteratorINSA_10device_ptrItEEEEPS6_PKS6_NS0_5tupleIJSF_S6_EEENSJ_IJSG_SG_EEENS0_18inequality_wrapperI22is_equal_div_10_uniqueItEEEPmJS6_EEE10hipError_tPvRmT3_T4_T5_T6_T7_T9_mT8_P12ihipStream_tbDpT10_ENKUlT_T0_E_clISt17integral_constantIbLb0EES19_IbLb1EEEEDaS15_S16_EUlS15_E_NS1_11comp_targetILNS1_3genE9ELNS1_11target_archE1100ELNS1_3gpuE3ELNS1_3repE0EEENS1_30default_config_static_selectorELNS0_4arch9wavefront6targetE1EEEvT1_.num_vgpr, 0
	.set _ZN7rocprim17ROCPRIM_400000_NS6detail17trampoline_kernelINS0_14default_configENS1_25partition_config_selectorILNS1_17partition_subalgoE8EtNS0_10empty_typeEbEEZZNS1_14partition_implILS5_8ELb0ES3_jN6thrust23THRUST_200600_302600_NS6detail15normal_iteratorINSA_10device_ptrItEEEEPS6_PKS6_NS0_5tupleIJSF_S6_EEENSJ_IJSG_SG_EEENS0_18inequality_wrapperI22is_equal_div_10_uniqueItEEEPmJS6_EEE10hipError_tPvRmT3_T4_T5_T6_T7_T9_mT8_P12ihipStream_tbDpT10_ENKUlT_T0_E_clISt17integral_constantIbLb0EES19_IbLb1EEEEDaS15_S16_EUlS15_E_NS1_11comp_targetILNS1_3genE9ELNS1_11target_archE1100ELNS1_3gpuE3ELNS1_3repE0EEENS1_30default_config_static_selectorELNS0_4arch9wavefront6targetE1EEEvT1_.num_agpr, 0
	.set _ZN7rocprim17ROCPRIM_400000_NS6detail17trampoline_kernelINS0_14default_configENS1_25partition_config_selectorILNS1_17partition_subalgoE8EtNS0_10empty_typeEbEEZZNS1_14partition_implILS5_8ELb0ES3_jN6thrust23THRUST_200600_302600_NS6detail15normal_iteratorINSA_10device_ptrItEEEEPS6_PKS6_NS0_5tupleIJSF_S6_EEENSJ_IJSG_SG_EEENS0_18inequality_wrapperI22is_equal_div_10_uniqueItEEEPmJS6_EEE10hipError_tPvRmT3_T4_T5_T6_T7_T9_mT8_P12ihipStream_tbDpT10_ENKUlT_T0_E_clISt17integral_constantIbLb0EES19_IbLb1EEEEDaS15_S16_EUlS15_E_NS1_11comp_targetILNS1_3genE9ELNS1_11target_archE1100ELNS1_3gpuE3ELNS1_3repE0EEENS1_30default_config_static_selectorELNS0_4arch9wavefront6targetE1EEEvT1_.numbered_sgpr, 0
	.set _ZN7rocprim17ROCPRIM_400000_NS6detail17trampoline_kernelINS0_14default_configENS1_25partition_config_selectorILNS1_17partition_subalgoE8EtNS0_10empty_typeEbEEZZNS1_14partition_implILS5_8ELb0ES3_jN6thrust23THRUST_200600_302600_NS6detail15normal_iteratorINSA_10device_ptrItEEEEPS6_PKS6_NS0_5tupleIJSF_S6_EEENSJ_IJSG_SG_EEENS0_18inequality_wrapperI22is_equal_div_10_uniqueItEEEPmJS6_EEE10hipError_tPvRmT3_T4_T5_T6_T7_T9_mT8_P12ihipStream_tbDpT10_ENKUlT_T0_E_clISt17integral_constantIbLb0EES19_IbLb1EEEEDaS15_S16_EUlS15_E_NS1_11comp_targetILNS1_3genE9ELNS1_11target_archE1100ELNS1_3gpuE3ELNS1_3repE0EEENS1_30default_config_static_selectorELNS0_4arch9wavefront6targetE1EEEvT1_.num_named_barrier, 0
	.set _ZN7rocprim17ROCPRIM_400000_NS6detail17trampoline_kernelINS0_14default_configENS1_25partition_config_selectorILNS1_17partition_subalgoE8EtNS0_10empty_typeEbEEZZNS1_14partition_implILS5_8ELb0ES3_jN6thrust23THRUST_200600_302600_NS6detail15normal_iteratorINSA_10device_ptrItEEEEPS6_PKS6_NS0_5tupleIJSF_S6_EEENSJ_IJSG_SG_EEENS0_18inequality_wrapperI22is_equal_div_10_uniqueItEEEPmJS6_EEE10hipError_tPvRmT3_T4_T5_T6_T7_T9_mT8_P12ihipStream_tbDpT10_ENKUlT_T0_E_clISt17integral_constantIbLb0EES19_IbLb1EEEEDaS15_S16_EUlS15_E_NS1_11comp_targetILNS1_3genE9ELNS1_11target_archE1100ELNS1_3gpuE3ELNS1_3repE0EEENS1_30default_config_static_selectorELNS0_4arch9wavefront6targetE1EEEvT1_.private_seg_size, 0
	.set _ZN7rocprim17ROCPRIM_400000_NS6detail17trampoline_kernelINS0_14default_configENS1_25partition_config_selectorILNS1_17partition_subalgoE8EtNS0_10empty_typeEbEEZZNS1_14partition_implILS5_8ELb0ES3_jN6thrust23THRUST_200600_302600_NS6detail15normal_iteratorINSA_10device_ptrItEEEEPS6_PKS6_NS0_5tupleIJSF_S6_EEENSJ_IJSG_SG_EEENS0_18inequality_wrapperI22is_equal_div_10_uniqueItEEEPmJS6_EEE10hipError_tPvRmT3_T4_T5_T6_T7_T9_mT8_P12ihipStream_tbDpT10_ENKUlT_T0_E_clISt17integral_constantIbLb0EES19_IbLb1EEEEDaS15_S16_EUlS15_E_NS1_11comp_targetILNS1_3genE9ELNS1_11target_archE1100ELNS1_3gpuE3ELNS1_3repE0EEENS1_30default_config_static_selectorELNS0_4arch9wavefront6targetE1EEEvT1_.uses_vcc, 0
	.set _ZN7rocprim17ROCPRIM_400000_NS6detail17trampoline_kernelINS0_14default_configENS1_25partition_config_selectorILNS1_17partition_subalgoE8EtNS0_10empty_typeEbEEZZNS1_14partition_implILS5_8ELb0ES3_jN6thrust23THRUST_200600_302600_NS6detail15normal_iteratorINSA_10device_ptrItEEEEPS6_PKS6_NS0_5tupleIJSF_S6_EEENSJ_IJSG_SG_EEENS0_18inequality_wrapperI22is_equal_div_10_uniqueItEEEPmJS6_EEE10hipError_tPvRmT3_T4_T5_T6_T7_T9_mT8_P12ihipStream_tbDpT10_ENKUlT_T0_E_clISt17integral_constantIbLb0EES19_IbLb1EEEEDaS15_S16_EUlS15_E_NS1_11comp_targetILNS1_3genE9ELNS1_11target_archE1100ELNS1_3gpuE3ELNS1_3repE0EEENS1_30default_config_static_selectorELNS0_4arch9wavefront6targetE1EEEvT1_.uses_flat_scratch, 0
	.set _ZN7rocprim17ROCPRIM_400000_NS6detail17trampoline_kernelINS0_14default_configENS1_25partition_config_selectorILNS1_17partition_subalgoE8EtNS0_10empty_typeEbEEZZNS1_14partition_implILS5_8ELb0ES3_jN6thrust23THRUST_200600_302600_NS6detail15normal_iteratorINSA_10device_ptrItEEEEPS6_PKS6_NS0_5tupleIJSF_S6_EEENSJ_IJSG_SG_EEENS0_18inequality_wrapperI22is_equal_div_10_uniqueItEEEPmJS6_EEE10hipError_tPvRmT3_T4_T5_T6_T7_T9_mT8_P12ihipStream_tbDpT10_ENKUlT_T0_E_clISt17integral_constantIbLb0EES19_IbLb1EEEEDaS15_S16_EUlS15_E_NS1_11comp_targetILNS1_3genE9ELNS1_11target_archE1100ELNS1_3gpuE3ELNS1_3repE0EEENS1_30default_config_static_selectorELNS0_4arch9wavefront6targetE1EEEvT1_.has_dyn_sized_stack, 0
	.set _ZN7rocprim17ROCPRIM_400000_NS6detail17trampoline_kernelINS0_14default_configENS1_25partition_config_selectorILNS1_17partition_subalgoE8EtNS0_10empty_typeEbEEZZNS1_14partition_implILS5_8ELb0ES3_jN6thrust23THRUST_200600_302600_NS6detail15normal_iteratorINSA_10device_ptrItEEEEPS6_PKS6_NS0_5tupleIJSF_S6_EEENSJ_IJSG_SG_EEENS0_18inequality_wrapperI22is_equal_div_10_uniqueItEEEPmJS6_EEE10hipError_tPvRmT3_T4_T5_T6_T7_T9_mT8_P12ihipStream_tbDpT10_ENKUlT_T0_E_clISt17integral_constantIbLb0EES19_IbLb1EEEEDaS15_S16_EUlS15_E_NS1_11comp_targetILNS1_3genE9ELNS1_11target_archE1100ELNS1_3gpuE3ELNS1_3repE0EEENS1_30default_config_static_selectorELNS0_4arch9wavefront6targetE1EEEvT1_.has_recursion, 0
	.set _ZN7rocprim17ROCPRIM_400000_NS6detail17trampoline_kernelINS0_14default_configENS1_25partition_config_selectorILNS1_17partition_subalgoE8EtNS0_10empty_typeEbEEZZNS1_14partition_implILS5_8ELb0ES3_jN6thrust23THRUST_200600_302600_NS6detail15normal_iteratorINSA_10device_ptrItEEEEPS6_PKS6_NS0_5tupleIJSF_S6_EEENSJ_IJSG_SG_EEENS0_18inequality_wrapperI22is_equal_div_10_uniqueItEEEPmJS6_EEE10hipError_tPvRmT3_T4_T5_T6_T7_T9_mT8_P12ihipStream_tbDpT10_ENKUlT_T0_E_clISt17integral_constantIbLb0EES19_IbLb1EEEEDaS15_S16_EUlS15_E_NS1_11comp_targetILNS1_3genE9ELNS1_11target_archE1100ELNS1_3gpuE3ELNS1_3repE0EEENS1_30default_config_static_selectorELNS0_4arch9wavefront6targetE1EEEvT1_.has_indirect_call, 0
	.section	.AMDGPU.csdata,"",@progbits
; Kernel info:
; codeLenInByte = 0
; TotalNumSgprs: 4
; NumVgprs: 0
; ScratchSize: 0
; MemoryBound: 0
; FloatMode: 240
; IeeeMode: 1
; LDSByteSize: 0 bytes/workgroup (compile time only)
; SGPRBlocks: 0
; VGPRBlocks: 0
; NumSGPRsForWavesPerEU: 4
; NumVGPRsForWavesPerEU: 1
; Occupancy: 10
; WaveLimiterHint : 0
; COMPUTE_PGM_RSRC2:SCRATCH_EN: 0
; COMPUTE_PGM_RSRC2:USER_SGPR: 6
; COMPUTE_PGM_RSRC2:TRAP_HANDLER: 0
; COMPUTE_PGM_RSRC2:TGID_X_EN: 1
; COMPUTE_PGM_RSRC2:TGID_Y_EN: 0
; COMPUTE_PGM_RSRC2:TGID_Z_EN: 0
; COMPUTE_PGM_RSRC2:TIDIG_COMP_CNT: 0
	.section	.text._ZN7rocprim17ROCPRIM_400000_NS6detail17trampoline_kernelINS0_14default_configENS1_25partition_config_selectorILNS1_17partition_subalgoE8EtNS0_10empty_typeEbEEZZNS1_14partition_implILS5_8ELb0ES3_jN6thrust23THRUST_200600_302600_NS6detail15normal_iteratorINSA_10device_ptrItEEEEPS6_PKS6_NS0_5tupleIJSF_S6_EEENSJ_IJSG_SG_EEENS0_18inequality_wrapperI22is_equal_div_10_uniqueItEEEPmJS6_EEE10hipError_tPvRmT3_T4_T5_T6_T7_T9_mT8_P12ihipStream_tbDpT10_ENKUlT_T0_E_clISt17integral_constantIbLb0EES19_IbLb1EEEEDaS15_S16_EUlS15_E_NS1_11comp_targetILNS1_3genE8ELNS1_11target_archE1030ELNS1_3gpuE2ELNS1_3repE0EEENS1_30default_config_static_selectorELNS0_4arch9wavefront6targetE1EEEvT1_,"axG",@progbits,_ZN7rocprim17ROCPRIM_400000_NS6detail17trampoline_kernelINS0_14default_configENS1_25partition_config_selectorILNS1_17partition_subalgoE8EtNS0_10empty_typeEbEEZZNS1_14partition_implILS5_8ELb0ES3_jN6thrust23THRUST_200600_302600_NS6detail15normal_iteratorINSA_10device_ptrItEEEEPS6_PKS6_NS0_5tupleIJSF_S6_EEENSJ_IJSG_SG_EEENS0_18inequality_wrapperI22is_equal_div_10_uniqueItEEEPmJS6_EEE10hipError_tPvRmT3_T4_T5_T6_T7_T9_mT8_P12ihipStream_tbDpT10_ENKUlT_T0_E_clISt17integral_constantIbLb0EES19_IbLb1EEEEDaS15_S16_EUlS15_E_NS1_11comp_targetILNS1_3genE8ELNS1_11target_archE1030ELNS1_3gpuE2ELNS1_3repE0EEENS1_30default_config_static_selectorELNS0_4arch9wavefront6targetE1EEEvT1_,comdat
	.protected	_ZN7rocprim17ROCPRIM_400000_NS6detail17trampoline_kernelINS0_14default_configENS1_25partition_config_selectorILNS1_17partition_subalgoE8EtNS0_10empty_typeEbEEZZNS1_14partition_implILS5_8ELb0ES3_jN6thrust23THRUST_200600_302600_NS6detail15normal_iteratorINSA_10device_ptrItEEEEPS6_PKS6_NS0_5tupleIJSF_S6_EEENSJ_IJSG_SG_EEENS0_18inequality_wrapperI22is_equal_div_10_uniqueItEEEPmJS6_EEE10hipError_tPvRmT3_T4_T5_T6_T7_T9_mT8_P12ihipStream_tbDpT10_ENKUlT_T0_E_clISt17integral_constantIbLb0EES19_IbLb1EEEEDaS15_S16_EUlS15_E_NS1_11comp_targetILNS1_3genE8ELNS1_11target_archE1030ELNS1_3gpuE2ELNS1_3repE0EEENS1_30default_config_static_selectorELNS0_4arch9wavefront6targetE1EEEvT1_ ; -- Begin function _ZN7rocprim17ROCPRIM_400000_NS6detail17trampoline_kernelINS0_14default_configENS1_25partition_config_selectorILNS1_17partition_subalgoE8EtNS0_10empty_typeEbEEZZNS1_14partition_implILS5_8ELb0ES3_jN6thrust23THRUST_200600_302600_NS6detail15normal_iteratorINSA_10device_ptrItEEEEPS6_PKS6_NS0_5tupleIJSF_S6_EEENSJ_IJSG_SG_EEENS0_18inequality_wrapperI22is_equal_div_10_uniqueItEEEPmJS6_EEE10hipError_tPvRmT3_T4_T5_T6_T7_T9_mT8_P12ihipStream_tbDpT10_ENKUlT_T0_E_clISt17integral_constantIbLb0EES19_IbLb1EEEEDaS15_S16_EUlS15_E_NS1_11comp_targetILNS1_3genE8ELNS1_11target_archE1030ELNS1_3gpuE2ELNS1_3repE0EEENS1_30default_config_static_selectorELNS0_4arch9wavefront6targetE1EEEvT1_
	.globl	_ZN7rocprim17ROCPRIM_400000_NS6detail17trampoline_kernelINS0_14default_configENS1_25partition_config_selectorILNS1_17partition_subalgoE8EtNS0_10empty_typeEbEEZZNS1_14partition_implILS5_8ELb0ES3_jN6thrust23THRUST_200600_302600_NS6detail15normal_iteratorINSA_10device_ptrItEEEEPS6_PKS6_NS0_5tupleIJSF_S6_EEENSJ_IJSG_SG_EEENS0_18inequality_wrapperI22is_equal_div_10_uniqueItEEEPmJS6_EEE10hipError_tPvRmT3_T4_T5_T6_T7_T9_mT8_P12ihipStream_tbDpT10_ENKUlT_T0_E_clISt17integral_constantIbLb0EES19_IbLb1EEEEDaS15_S16_EUlS15_E_NS1_11comp_targetILNS1_3genE8ELNS1_11target_archE1030ELNS1_3gpuE2ELNS1_3repE0EEENS1_30default_config_static_selectorELNS0_4arch9wavefront6targetE1EEEvT1_
	.p2align	8
	.type	_ZN7rocprim17ROCPRIM_400000_NS6detail17trampoline_kernelINS0_14default_configENS1_25partition_config_selectorILNS1_17partition_subalgoE8EtNS0_10empty_typeEbEEZZNS1_14partition_implILS5_8ELb0ES3_jN6thrust23THRUST_200600_302600_NS6detail15normal_iteratorINSA_10device_ptrItEEEEPS6_PKS6_NS0_5tupleIJSF_S6_EEENSJ_IJSG_SG_EEENS0_18inequality_wrapperI22is_equal_div_10_uniqueItEEEPmJS6_EEE10hipError_tPvRmT3_T4_T5_T6_T7_T9_mT8_P12ihipStream_tbDpT10_ENKUlT_T0_E_clISt17integral_constantIbLb0EES19_IbLb1EEEEDaS15_S16_EUlS15_E_NS1_11comp_targetILNS1_3genE8ELNS1_11target_archE1030ELNS1_3gpuE2ELNS1_3repE0EEENS1_30default_config_static_selectorELNS0_4arch9wavefront6targetE1EEEvT1_,@function
_ZN7rocprim17ROCPRIM_400000_NS6detail17trampoline_kernelINS0_14default_configENS1_25partition_config_selectorILNS1_17partition_subalgoE8EtNS0_10empty_typeEbEEZZNS1_14partition_implILS5_8ELb0ES3_jN6thrust23THRUST_200600_302600_NS6detail15normal_iteratorINSA_10device_ptrItEEEEPS6_PKS6_NS0_5tupleIJSF_S6_EEENSJ_IJSG_SG_EEENS0_18inequality_wrapperI22is_equal_div_10_uniqueItEEEPmJS6_EEE10hipError_tPvRmT3_T4_T5_T6_T7_T9_mT8_P12ihipStream_tbDpT10_ENKUlT_T0_E_clISt17integral_constantIbLb0EES19_IbLb1EEEEDaS15_S16_EUlS15_E_NS1_11comp_targetILNS1_3genE8ELNS1_11target_archE1030ELNS1_3gpuE2ELNS1_3repE0EEENS1_30default_config_static_selectorELNS0_4arch9wavefront6targetE1EEEvT1_: ; @_ZN7rocprim17ROCPRIM_400000_NS6detail17trampoline_kernelINS0_14default_configENS1_25partition_config_selectorILNS1_17partition_subalgoE8EtNS0_10empty_typeEbEEZZNS1_14partition_implILS5_8ELb0ES3_jN6thrust23THRUST_200600_302600_NS6detail15normal_iteratorINSA_10device_ptrItEEEEPS6_PKS6_NS0_5tupleIJSF_S6_EEENSJ_IJSG_SG_EEENS0_18inequality_wrapperI22is_equal_div_10_uniqueItEEEPmJS6_EEE10hipError_tPvRmT3_T4_T5_T6_T7_T9_mT8_P12ihipStream_tbDpT10_ENKUlT_T0_E_clISt17integral_constantIbLb0EES19_IbLb1EEEEDaS15_S16_EUlS15_E_NS1_11comp_targetILNS1_3genE8ELNS1_11target_archE1030ELNS1_3gpuE2ELNS1_3repE0EEENS1_30default_config_static_selectorELNS0_4arch9wavefront6targetE1EEEvT1_
; %bb.0:
	.section	.rodata,"a",@progbits
	.p2align	6, 0x0
	.amdhsa_kernel _ZN7rocprim17ROCPRIM_400000_NS6detail17trampoline_kernelINS0_14default_configENS1_25partition_config_selectorILNS1_17partition_subalgoE8EtNS0_10empty_typeEbEEZZNS1_14partition_implILS5_8ELb0ES3_jN6thrust23THRUST_200600_302600_NS6detail15normal_iteratorINSA_10device_ptrItEEEEPS6_PKS6_NS0_5tupleIJSF_S6_EEENSJ_IJSG_SG_EEENS0_18inequality_wrapperI22is_equal_div_10_uniqueItEEEPmJS6_EEE10hipError_tPvRmT3_T4_T5_T6_T7_T9_mT8_P12ihipStream_tbDpT10_ENKUlT_T0_E_clISt17integral_constantIbLb0EES19_IbLb1EEEEDaS15_S16_EUlS15_E_NS1_11comp_targetILNS1_3genE8ELNS1_11target_archE1030ELNS1_3gpuE2ELNS1_3repE0EEENS1_30default_config_static_selectorELNS0_4arch9wavefront6targetE1EEEvT1_
		.amdhsa_group_segment_fixed_size 0
		.amdhsa_private_segment_fixed_size 0
		.amdhsa_kernarg_size 128
		.amdhsa_user_sgpr_count 6
		.amdhsa_user_sgpr_private_segment_buffer 1
		.amdhsa_user_sgpr_dispatch_ptr 0
		.amdhsa_user_sgpr_queue_ptr 0
		.amdhsa_user_sgpr_kernarg_segment_ptr 1
		.amdhsa_user_sgpr_dispatch_id 0
		.amdhsa_user_sgpr_flat_scratch_init 0
		.amdhsa_user_sgpr_private_segment_size 0
		.amdhsa_uses_dynamic_stack 0
		.amdhsa_system_sgpr_private_segment_wavefront_offset 0
		.amdhsa_system_sgpr_workgroup_id_x 1
		.amdhsa_system_sgpr_workgroup_id_y 0
		.amdhsa_system_sgpr_workgroup_id_z 0
		.amdhsa_system_sgpr_workgroup_info 0
		.amdhsa_system_vgpr_workitem_id 0
		.amdhsa_next_free_vgpr 1
		.amdhsa_next_free_sgpr 0
		.amdhsa_reserve_vcc 0
		.amdhsa_reserve_flat_scratch 0
		.amdhsa_float_round_mode_32 0
		.amdhsa_float_round_mode_16_64 0
		.amdhsa_float_denorm_mode_32 3
		.amdhsa_float_denorm_mode_16_64 3
		.amdhsa_dx10_clamp 1
		.amdhsa_ieee_mode 1
		.amdhsa_fp16_overflow 0
		.amdhsa_exception_fp_ieee_invalid_op 0
		.amdhsa_exception_fp_denorm_src 0
		.amdhsa_exception_fp_ieee_div_zero 0
		.amdhsa_exception_fp_ieee_overflow 0
		.amdhsa_exception_fp_ieee_underflow 0
		.amdhsa_exception_fp_ieee_inexact 0
		.amdhsa_exception_int_div_zero 0
	.end_amdhsa_kernel
	.section	.text._ZN7rocprim17ROCPRIM_400000_NS6detail17trampoline_kernelINS0_14default_configENS1_25partition_config_selectorILNS1_17partition_subalgoE8EtNS0_10empty_typeEbEEZZNS1_14partition_implILS5_8ELb0ES3_jN6thrust23THRUST_200600_302600_NS6detail15normal_iteratorINSA_10device_ptrItEEEEPS6_PKS6_NS0_5tupleIJSF_S6_EEENSJ_IJSG_SG_EEENS0_18inequality_wrapperI22is_equal_div_10_uniqueItEEEPmJS6_EEE10hipError_tPvRmT3_T4_T5_T6_T7_T9_mT8_P12ihipStream_tbDpT10_ENKUlT_T0_E_clISt17integral_constantIbLb0EES19_IbLb1EEEEDaS15_S16_EUlS15_E_NS1_11comp_targetILNS1_3genE8ELNS1_11target_archE1030ELNS1_3gpuE2ELNS1_3repE0EEENS1_30default_config_static_selectorELNS0_4arch9wavefront6targetE1EEEvT1_,"axG",@progbits,_ZN7rocprim17ROCPRIM_400000_NS6detail17trampoline_kernelINS0_14default_configENS1_25partition_config_selectorILNS1_17partition_subalgoE8EtNS0_10empty_typeEbEEZZNS1_14partition_implILS5_8ELb0ES3_jN6thrust23THRUST_200600_302600_NS6detail15normal_iteratorINSA_10device_ptrItEEEEPS6_PKS6_NS0_5tupleIJSF_S6_EEENSJ_IJSG_SG_EEENS0_18inequality_wrapperI22is_equal_div_10_uniqueItEEEPmJS6_EEE10hipError_tPvRmT3_T4_T5_T6_T7_T9_mT8_P12ihipStream_tbDpT10_ENKUlT_T0_E_clISt17integral_constantIbLb0EES19_IbLb1EEEEDaS15_S16_EUlS15_E_NS1_11comp_targetILNS1_3genE8ELNS1_11target_archE1030ELNS1_3gpuE2ELNS1_3repE0EEENS1_30default_config_static_selectorELNS0_4arch9wavefront6targetE1EEEvT1_,comdat
.Lfunc_end338:
	.size	_ZN7rocprim17ROCPRIM_400000_NS6detail17trampoline_kernelINS0_14default_configENS1_25partition_config_selectorILNS1_17partition_subalgoE8EtNS0_10empty_typeEbEEZZNS1_14partition_implILS5_8ELb0ES3_jN6thrust23THRUST_200600_302600_NS6detail15normal_iteratorINSA_10device_ptrItEEEEPS6_PKS6_NS0_5tupleIJSF_S6_EEENSJ_IJSG_SG_EEENS0_18inequality_wrapperI22is_equal_div_10_uniqueItEEEPmJS6_EEE10hipError_tPvRmT3_T4_T5_T6_T7_T9_mT8_P12ihipStream_tbDpT10_ENKUlT_T0_E_clISt17integral_constantIbLb0EES19_IbLb1EEEEDaS15_S16_EUlS15_E_NS1_11comp_targetILNS1_3genE8ELNS1_11target_archE1030ELNS1_3gpuE2ELNS1_3repE0EEENS1_30default_config_static_selectorELNS0_4arch9wavefront6targetE1EEEvT1_, .Lfunc_end338-_ZN7rocprim17ROCPRIM_400000_NS6detail17trampoline_kernelINS0_14default_configENS1_25partition_config_selectorILNS1_17partition_subalgoE8EtNS0_10empty_typeEbEEZZNS1_14partition_implILS5_8ELb0ES3_jN6thrust23THRUST_200600_302600_NS6detail15normal_iteratorINSA_10device_ptrItEEEEPS6_PKS6_NS0_5tupleIJSF_S6_EEENSJ_IJSG_SG_EEENS0_18inequality_wrapperI22is_equal_div_10_uniqueItEEEPmJS6_EEE10hipError_tPvRmT3_T4_T5_T6_T7_T9_mT8_P12ihipStream_tbDpT10_ENKUlT_T0_E_clISt17integral_constantIbLb0EES19_IbLb1EEEEDaS15_S16_EUlS15_E_NS1_11comp_targetILNS1_3genE8ELNS1_11target_archE1030ELNS1_3gpuE2ELNS1_3repE0EEENS1_30default_config_static_selectorELNS0_4arch9wavefront6targetE1EEEvT1_
                                        ; -- End function
	.set _ZN7rocprim17ROCPRIM_400000_NS6detail17trampoline_kernelINS0_14default_configENS1_25partition_config_selectorILNS1_17partition_subalgoE8EtNS0_10empty_typeEbEEZZNS1_14partition_implILS5_8ELb0ES3_jN6thrust23THRUST_200600_302600_NS6detail15normal_iteratorINSA_10device_ptrItEEEEPS6_PKS6_NS0_5tupleIJSF_S6_EEENSJ_IJSG_SG_EEENS0_18inequality_wrapperI22is_equal_div_10_uniqueItEEEPmJS6_EEE10hipError_tPvRmT3_T4_T5_T6_T7_T9_mT8_P12ihipStream_tbDpT10_ENKUlT_T0_E_clISt17integral_constantIbLb0EES19_IbLb1EEEEDaS15_S16_EUlS15_E_NS1_11comp_targetILNS1_3genE8ELNS1_11target_archE1030ELNS1_3gpuE2ELNS1_3repE0EEENS1_30default_config_static_selectorELNS0_4arch9wavefront6targetE1EEEvT1_.num_vgpr, 0
	.set _ZN7rocprim17ROCPRIM_400000_NS6detail17trampoline_kernelINS0_14default_configENS1_25partition_config_selectorILNS1_17partition_subalgoE8EtNS0_10empty_typeEbEEZZNS1_14partition_implILS5_8ELb0ES3_jN6thrust23THRUST_200600_302600_NS6detail15normal_iteratorINSA_10device_ptrItEEEEPS6_PKS6_NS0_5tupleIJSF_S6_EEENSJ_IJSG_SG_EEENS0_18inequality_wrapperI22is_equal_div_10_uniqueItEEEPmJS6_EEE10hipError_tPvRmT3_T4_T5_T6_T7_T9_mT8_P12ihipStream_tbDpT10_ENKUlT_T0_E_clISt17integral_constantIbLb0EES19_IbLb1EEEEDaS15_S16_EUlS15_E_NS1_11comp_targetILNS1_3genE8ELNS1_11target_archE1030ELNS1_3gpuE2ELNS1_3repE0EEENS1_30default_config_static_selectorELNS0_4arch9wavefront6targetE1EEEvT1_.num_agpr, 0
	.set _ZN7rocprim17ROCPRIM_400000_NS6detail17trampoline_kernelINS0_14default_configENS1_25partition_config_selectorILNS1_17partition_subalgoE8EtNS0_10empty_typeEbEEZZNS1_14partition_implILS5_8ELb0ES3_jN6thrust23THRUST_200600_302600_NS6detail15normal_iteratorINSA_10device_ptrItEEEEPS6_PKS6_NS0_5tupleIJSF_S6_EEENSJ_IJSG_SG_EEENS0_18inequality_wrapperI22is_equal_div_10_uniqueItEEEPmJS6_EEE10hipError_tPvRmT3_T4_T5_T6_T7_T9_mT8_P12ihipStream_tbDpT10_ENKUlT_T0_E_clISt17integral_constantIbLb0EES19_IbLb1EEEEDaS15_S16_EUlS15_E_NS1_11comp_targetILNS1_3genE8ELNS1_11target_archE1030ELNS1_3gpuE2ELNS1_3repE0EEENS1_30default_config_static_selectorELNS0_4arch9wavefront6targetE1EEEvT1_.numbered_sgpr, 0
	.set _ZN7rocprim17ROCPRIM_400000_NS6detail17trampoline_kernelINS0_14default_configENS1_25partition_config_selectorILNS1_17partition_subalgoE8EtNS0_10empty_typeEbEEZZNS1_14partition_implILS5_8ELb0ES3_jN6thrust23THRUST_200600_302600_NS6detail15normal_iteratorINSA_10device_ptrItEEEEPS6_PKS6_NS0_5tupleIJSF_S6_EEENSJ_IJSG_SG_EEENS0_18inequality_wrapperI22is_equal_div_10_uniqueItEEEPmJS6_EEE10hipError_tPvRmT3_T4_T5_T6_T7_T9_mT8_P12ihipStream_tbDpT10_ENKUlT_T0_E_clISt17integral_constantIbLb0EES19_IbLb1EEEEDaS15_S16_EUlS15_E_NS1_11comp_targetILNS1_3genE8ELNS1_11target_archE1030ELNS1_3gpuE2ELNS1_3repE0EEENS1_30default_config_static_selectorELNS0_4arch9wavefront6targetE1EEEvT1_.num_named_barrier, 0
	.set _ZN7rocprim17ROCPRIM_400000_NS6detail17trampoline_kernelINS0_14default_configENS1_25partition_config_selectorILNS1_17partition_subalgoE8EtNS0_10empty_typeEbEEZZNS1_14partition_implILS5_8ELb0ES3_jN6thrust23THRUST_200600_302600_NS6detail15normal_iteratorINSA_10device_ptrItEEEEPS6_PKS6_NS0_5tupleIJSF_S6_EEENSJ_IJSG_SG_EEENS0_18inequality_wrapperI22is_equal_div_10_uniqueItEEEPmJS6_EEE10hipError_tPvRmT3_T4_T5_T6_T7_T9_mT8_P12ihipStream_tbDpT10_ENKUlT_T0_E_clISt17integral_constantIbLb0EES19_IbLb1EEEEDaS15_S16_EUlS15_E_NS1_11comp_targetILNS1_3genE8ELNS1_11target_archE1030ELNS1_3gpuE2ELNS1_3repE0EEENS1_30default_config_static_selectorELNS0_4arch9wavefront6targetE1EEEvT1_.private_seg_size, 0
	.set _ZN7rocprim17ROCPRIM_400000_NS6detail17trampoline_kernelINS0_14default_configENS1_25partition_config_selectorILNS1_17partition_subalgoE8EtNS0_10empty_typeEbEEZZNS1_14partition_implILS5_8ELb0ES3_jN6thrust23THRUST_200600_302600_NS6detail15normal_iteratorINSA_10device_ptrItEEEEPS6_PKS6_NS0_5tupleIJSF_S6_EEENSJ_IJSG_SG_EEENS0_18inequality_wrapperI22is_equal_div_10_uniqueItEEEPmJS6_EEE10hipError_tPvRmT3_T4_T5_T6_T7_T9_mT8_P12ihipStream_tbDpT10_ENKUlT_T0_E_clISt17integral_constantIbLb0EES19_IbLb1EEEEDaS15_S16_EUlS15_E_NS1_11comp_targetILNS1_3genE8ELNS1_11target_archE1030ELNS1_3gpuE2ELNS1_3repE0EEENS1_30default_config_static_selectorELNS0_4arch9wavefront6targetE1EEEvT1_.uses_vcc, 0
	.set _ZN7rocprim17ROCPRIM_400000_NS6detail17trampoline_kernelINS0_14default_configENS1_25partition_config_selectorILNS1_17partition_subalgoE8EtNS0_10empty_typeEbEEZZNS1_14partition_implILS5_8ELb0ES3_jN6thrust23THRUST_200600_302600_NS6detail15normal_iteratorINSA_10device_ptrItEEEEPS6_PKS6_NS0_5tupleIJSF_S6_EEENSJ_IJSG_SG_EEENS0_18inequality_wrapperI22is_equal_div_10_uniqueItEEEPmJS6_EEE10hipError_tPvRmT3_T4_T5_T6_T7_T9_mT8_P12ihipStream_tbDpT10_ENKUlT_T0_E_clISt17integral_constantIbLb0EES19_IbLb1EEEEDaS15_S16_EUlS15_E_NS1_11comp_targetILNS1_3genE8ELNS1_11target_archE1030ELNS1_3gpuE2ELNS1_3repE0EEENS1_30default_config_static_selectorELNS0_4arch9wavefront6targetE1EEEvT1_.uses_flat_scratch, 0
	.set _ZN7rocprim17ROCPRIM_400000_NS6detail17trampoline_kernelINS0_14default_configENS1_25partition_config_selectorILNS1_17partition_subalgoE8EtNS0_10empty_typeEbEEZZNS1_14partition_implILS5_8ELb0ES3_jN6thrust23THRUST_200600_302600_NS6detail15normal_iteratorINSA_10device_ptrItEEEEPS6_PKS6_NS0_5tupleIJSF_S6_EEENSJ_IJSG_SG_EEENS0_18inequality_wrapperI22is_equal_div_10_uniqueItEEEPmJS6_EEE10hipError_tPvRmT3_T4_T5_T6_T7_T9_mT8_P12ihipStream_tbDpT10_ENKUlT_T0_E_clISt17integral_constantIbLb0EES19_IbLb1EEEEDaS15_S16_EUlS15_E_NS1_11comp_targetILNS1_3genE8ELNS1_11target_archE1030ELNS1_3gpuE2ELNS1_3repE0EEENS1_30default_config_static_selectorELNS0_4arch9wavefront6targetE1EEEvT1_.has_dyn_sized_stack, 0
	.set _ZN7rocprim17ROCPRIM_400000_NS6detail17trampoline_kernelINS0_14default_configENS1_25partition_config_selectorILNS1_17partition_subalgoE8EtNS0_10empty_typeEbEEZZNS1_14partition_implILS5_8ELb0ES3_jN6thrust23THRUST_200600_302600_NS6detail15normal_iteratorINSA_10device_ptrItEEEEPS6_PKS6_NS0_5tupleIJSF_S6_EEENSJ_IJSG_SG_EEENS0_18inequality_wrapperI22is_equal_div_10_uniqueItEEEPmJS6_EEE10hipError_tPvRmT3_T4_T5_T6_T7_T9_mT8_P12ihipStream_tbDpT10_ENKUlT_T0_E_clISt17integral_constantIbLb0EES19_IbLb1EEEEDaS15_S16_EUlS15_E_NS1_11comp_targetILNS1_3genE8ELNS1_11target_archE1030ELNS1_3gpuE2ELNS1_3repE0EEENS1_30default_config_static_selectorELNS0_4arch9wavefront6targetE1EEEvT1_.has_recursion, 0
	.set _ZN7rocprim17ROCPRIM_400000_NS6detail17trampoline_kernelINS0_14default_configENS1_25partition_config_selectorILNS1_17partition_subalgoE8EtNS0_10empty_typeEbEEZZNS1_14partition_implILS5_8ELb0ES3_jN6thrust23THRUST_200600_302600_NS6detail15normal_iteratorINSA_10device_ptrItEEEEPS6_PKS6_NS0_5tupleIJSF_S6_EEENSJ_IJSG_SG_EEENS0_18inequality_wrapperI22is_equal_div_10_uniqueItEEEPmJS6_EEE10hipError_tPvRmT3_T4_T5_T6_T7_T9_mT8_P12ihipStream_tbDpT10_ENKUlT_T0_E_clISt17integral_constantIbLb0EES19_IbLb1EEEEDaS15_S16_EUlS15_E_NS1_11comp_targetILNS1_3genE8ELNS1_11target_archE1030ELNS1_3gpuE2ELNS1_3repE0EEENS1_30default_config_static_selectorELNS0_4arch9wavefront6targetE1EEEvT1_.has_indirect_call, 0
	.section	.AMDGPU.csdata,"",@progbits
; Kernel info:
; codeLenInByte = 0
; TotalNumSgprs: 4
; NumVgprs: 0
; ScratchSize: 0
; MemoryBound: 0
; FloatMode: 240
; IeeeMode: 1
; LDSByteSize: 0 bytes/workgroup (compile time only)
; SGPRBlocks: 0
; VGPRBlocks: 0
; NumSGPRsForWavesPerEU: 4
; NumVGPRsForWavesPerEU: 1
; Occupancy: 10
; WaveLimiterHint : 0
; COMPUTE_PGM_RSRC2:SCRATCH_EN: 0
; COMPUTE_PGM_RSRC2:USER_SGPR: 6
; COMPUTE_PGM_RSRC2:TRAP_HANDLER: 0
; COMPUTE_PGM_RSRC2:TGID_X_EN: 1
; COMPUTE_PGM_RSRC2:TGID_Y_EN: 0
; COMPUTE_PGM_RSRC2:TGID_Z_EN: 0
; COMPUTE_PGM_RSRC2:TIDIG_COMP_CNT: 0
	.section	.text._ZN6thrust23THRUST_200600_302600_NS11hip_rocprim14__parallel_for6kernelILj256ENS1_20__uninitialized_fill7functorINS0_10device_ptrIxEExEEmLj1EEEvT0_T1_SA_,"axG",@progbits,_ZN6thrust23THRUST_200600_302600_NS11hip_rocprim14__parallel_for6kernelILj256ENS1_20__uninitialized_fill7functorINS0_10device_ptrIxEExEEmLj1EEEvT0_T1_SA_,comdat
	.protected	_ZN6thrust23THRUST_200600_302600_NS11hip_rocprim14__parallel_for6kernelILj256ENS1_20__uninitialized_fill7functorINS0_10device_ptrIxEExEEmLj1EEEvT0_T1_SA_ ; -- Begin function _ZN6thrust23THRUST_200600_302600_NS11hip_rocprim14__parallel_for6kernelILj256ENS1_20__uninitialized_fill7functorINS0_10device_ptrIxEExEEmLj1EEEvT0_T1_SA_
	.globl	_ZN6thrust23THRUST_200600_302600_NS11hip_rocprim14__parallel_for6kernelILj256ENS1_20__uninitialized_fill7functorINS0_10device_ptrIxEExEEmLj1EEEvT0_T1_SA_
	.p2align	8
	.type	_ZN6thrust23THRUST_200600_302600_NS11hip_rocprim14__parallel_for6kernelILj256ENS1_20__uninitialized_fill7functorINS0_10device_ptrIxEExEEmLj1EEEvT0_T1_SA_,@function
_ZN6thrust23THRUST_200600_302600_NS11hip_rocprim14__parallel_for6kernelILj256ENS1_20__uninitialized_fill7functorINS0_10device_ptrIxEExEEmLj1EEEvT0_T1_SA_: ; @_ZN6thrust23THRUST_200600_302600_NS11hip_rocprim14__parallel_for6kernelILj256ENS1_20__uninitialized_fill7functorINS0_10device_ptrIxEExEEmLj1EEEvT0_T1_SA_
; %bb.0:
	s_load_dwordx8 s[8:15], s[4:5], 0x0
	s_lshl_b32 s0, s6, 8
	v_mov_b32_e32 v1, 0xff
	v_mov_b32_e32 v2, 0
	s_mov_b64 s[4:5], -1
	s_waitcnt lgkmcnt(0)
	s_add_u32 s0, s14, s0
	s_addc_u32 s1, s15, 0
	s_sub_u32 s2, s12, s0
	s_subb_u32 s3, s13, s1
	v_cmp_gt_u64_e32 vcc, s[2:3], v[1:2]
	s_cbranch_vccz .LBB339_3
; %bb.1:
	s_andn2_b64 vcc, exec, s[4:5]
	s_cbranch_vccz .LBB339_6
.LBB339_2:
	s_endpgm
.LBB339_3:
	v_cmp_gt_u32_e32 vcc, s2, v0
	s_and_saveexec_b64 s[2:3], vcc
	s_cbranch_execz .LBB339_5
; %bb.4:
	s_lshl_b64 s[4:5], s[0:1], 3
	s_add_u32 s4, s8, s4
	s_addc_u32 s5, s9, s5
	v_lshlrev_b32_e32 v1, 3, v0
	v_mov_b32_e32 v2, s5
	v_add_co_u32_e32 v1, vcc, s4, v1
	v_mov_b32_e32 v3, s10
	v_addc_co_u32_e32 v2, vcc, 0, v2, vcc
	v_mov_b32_e32 v4, s11
	flat_store_dwordx2 v[1:2], v[3:4]
.LBB339_5:
	s_or_b64 exec, exec, s[2:3]
	s_cbranch_execnz .LBB339_2
.LBB339_6:
	s_lshl_b64 s[0:1], s[0:1], 3
	s_add_u32 s0, s8, s0
	s_addc_u32 s1, s9, s1
	v_lshlrev_b32_e32 v0, 3, v0
	v_mov_b32_e32 v1, s1
	v_add_co_u32_e32 v0, vcc, s0, v0
	v_mov_b32_e32 v2, s10
	v_addc_co_u32_e32 v1, vcc, 0, v1, vcc
	v_mov_b32_e32 v3, s11
	flat_store_dwordx2 v[0:1], v[2:3]
	s_endpgm
	.section	.rodata,"a",@progbits
	.p2align	6, 0x0
	.amdhsa_kernel _ZN6thrust23THRUST_200600_302600_NS11hip_rocprim14__parallel_for6kernelILj256ENS1_20__uninitialized_fill7functorINS0_10device_ptrIxEExEEmLj1EEEvT0_T1_SA_
		.amdhsa_group_segment_fixed_size 0
		.amdhsa_private_segment_fixed_size 0
		.amdhsa_kernarg_size 32
		.amdhsa_user_sgpr_count 6
		.amdhsa_user_sgpr_private_segment_buffer 1
		.amdhsa_user_sgpr_dispatch_ptr 0
		.amdhsa_user_sgpr_queue_ptr 0
		.amdhsa_user_sgpr_kernarg_segment_ptr 1
		.amdhsa_user_sgpr_dispatch_id 0
		.amdhsa_user_sgpr_flat_scratch_init 0
		.amdhsa_user_sgpr_private_segment_size 0
		.amdhsa_uses_dynamic_stack 0
		.amdhsa_system_sgpr_private_segment_wavefront_offset 0
		.amdhsa_system_sgpr_workgroup_id_x 1
		.amdhsa_system_sgpr_workgroup_id_y 0
		.amdhsa_system_sgpr_workgroup_id_z 0
		.amdhsa_system_sgpr_workgroup_info 0
		.amdhsa_system_vgpr_workitem_id 0
		.amdhsa_next_free_vgpr 5
		.amdhsa_next_free_sgpr 16
		.amdhsa_reserve_vcc 1
		.amdhsa_reserve_flat_scratch 0
		.amdhsa_float_round_mode_32 0
		.amdhsa_float_round_mode_16_64 0
		.amdhsa_float_denorm_mode_32 3
		.amdhsa_float_denorm_mode_16_64 3
		.amdhsa_dx10_clamp 1
		.amdhsa_ieee_mode 1
		.amdhsa_fp16_overflow 0
		.amdhsa_exception_fp_ieee_invalid_op 0
		.amdhsa_exception_fp_denorm_src 0
		.amdhsa_exception_fp_ieee_div_zero 0
		.amdhsa_exception_fp_ieee_overflow 0
		.amdhsa_exception_fp_ieee_underflow 0
		.amdhsa_exception_fp_ieee_inexact 0
		.amdhsa_exception_int_div_zero 0
	.end_amdhsa_kernel
	.section	.text._ZN6thrust23THRUST_200600_302600_NS11hip_rocprim14__parallel_for6kernelILj256ENS1_20__uninitialized_fill7functorINS0_10device_ptrIxEExEEmLj1EEEvT0_T1_SA_,"axG",@progbits,_ZN6thrust23THRUST_200600_302600_NS11hip_rocprim14__parallel_for6kernelILj256ENS1_20__uninitialized_fill7functorINS0_10device_ptrIxEExEEmLj1EEEvT0_T1_SA_,comdat
.Lfunc_end339:
	.size	_ZN6thrust23THRUST_200600_302600_NS11hip_rocprim14__parallel_for6kernelILj256ENS1_20__uninitialized_fill7functorINS0_10device_ptrIxEExEEmLj1EEEvT0_T1_SA_, .Lfunc_end339-_ZN6thrust23THRUST_200600_302600_NS11hip_rocprim14__parallel_for6kernelILj256ENS1_20__uninitialized_fill7functorINS0_10device_ptrIxEExEEmLj1EEEvT0_T1_SA_
                                        ; -- End function
	.set _ZN6thrust23THRUST_200600_302600_NS11hip_rocprim14__parallel_for6kernelILj256ENS1_20__uninitialized_fill7functorINS0_10device_ptrIxEExEEmLj1EEEvT0_T1_SA_.num_vgpr, 5
	.set _ZN6thrust23THRUST_200600_302600_NS11hip_rocprim14__parallel_for6kernelILj256ENS1_20__uninitialized_fill7functorINS0_10device_ptrIxEExEEmLj1EEEvT0_T1_SA_.num_agpr, 0
	.set _ZN6thrust23THRUST_200600_302600_NS11hip_rocprim14__parallel_for6kernelILj256ENS1_20__uninitialized_fill7functorINS0_10device_ptrIxEExEEmLj1EEEvT0_T1_SA_.numbered_sgpr, 16
	.set _ZN6thrust23THRUST_200600_302600_NS11hip_rocprim14__parallel_for6kernelILj256ENS1_20__uninitialized_fill7functorINS0_10device_ptrIxEExEEmLj1EEEvT0_T1_SA_.num_named_barrier, 0
	.set _ZN6thrust23THRUST_200600_302600_NS11hip_rocprim14__parallel_for6kernelILj256ENS1_20__uninitialized_fill7functorINS0_10device_ptrIxEExEEmLj1EEEvT0_T1_SA_.private_seg_size, 0
	.set _ZN6thrust23THRUST_200600_302600_NS11hip_rocprim14__parallel_for6kernelILj256ENS1_20__uninitialized_fill7functorINS0_10device_ptrIxEExEEmLj1EEEvT0_T1_SA_.uses_vcc, 1
	.set _ZN6thrust23THRUST_200600_302600_NS11hip_rocprim14__parallel_for6kernelILj256ENS1_20__uninitialized_fill7functorINS0_10device_ptrIxEExEEmLj1EEEvT0_T1_SA_.uses_flat_scratch, 0
	.set _ZN6thrust23THRUST_200600_302600_NS11hip_rocprim14__parallel_for6kernelILj256ENS1_20__uninitialized_fill7functorINS0_10device_ptrIxEExEEmLj1EEEvT0_T1_SA_.has_dyn_sized_stack, 0
	.set _ZN6thrust23THRUST_200600_302600_NS11hip_rocprim14__parallel_for6kernelILj256ENS1_20__uninitialized_fill7functorINS0_10device_ptrIxEExEEmLj1EEEvT0_T1_SA_.has_recursion, 0
	.set _ZN6thrust23THRUST_200600_302600_NS11hip_rocprim14__parallel_for6kernelILj256ENS1_20__uninitialized_fill7functorINS0_10device_ptrIxEExEEmLj1EEEvT0_T1_SA_.has_indirect_call, 0
	.section	.AMDGPU.csdata,"",@progbits
; Kernel info:
; codeLenInByte = 180
; TotalNumSgprs: 20
; NumVgprs: 5
; ScratchSize: 0
; MemoryBound: 0
; FloatMode: 240
; IeeeMode: 1
; LDSByteSize: 0 bytes/workgroup (compile time only)
; SGPRBlocks: 2
; VGPRBlocks: 1
; NumSGPRsForWavesPerEU: 20
; NumVGPRsForWavesPerEU: 5
; Occupancy: 10
; WaveLimiterHint : 0
; COMPUTE_PGM_RSRC2:SCRATCH_EN: 0
; COMPUTE_PGM_RSRC2:USER_SGPR: 6
; COMPUTE_PGM_RSRC2:TRAP_HANDLER: 0
; COMPUTE_PGM_RSRC2:TGID_X_EN: 1
; COMPUTE_PGM_RSRC2:TGID_Y_EN: 0
; COMPUTE_PGM_RSRC2:TGID_Z_EN: 0
; COMPUTE_PGM_RSRC2:TIDIG_COMP_CNT: 0
	.section	.text._ZN7rocprim17ROCPRIM_400000_NS6detail17trampoline_kernelINS0_14default_configENS1_25partition_config_selectorILNS1_17partition_subalgoE8ExNS0_10empty_typeEbEEZZNS1_14partition_implILS5_8ELb0ES3_jN6thrust23THRUST_200600_302600_NS6detail15normal_iteratorINSA_10device_ptrIxEEEEPS6_PKS6_NS0_5tupleIJSF_S6_EEENSJ_IJSG_SG_EEENS0_18inequality_wrapperINSA_8equal_toIxEEEEPmJS6_EEE10hipError_tPvRmT3_T4_T5_T6_T7_T9_mT8_P12ihipStream_tbDpT10_ENKUlT_T0_E_clISt17integral_constantIbLb0EES1A_EEDaS15_S16_EUlS15_E_NS1_11comp_targetILNS1_3genE0ELNS1_11target_archE4294967295ELNS1_3gpuE0ELNS1_3repE0EEENS1_30default_config_static_selectorELNS0_4arch9wavefront6targetE1EEEvT1_,"axG",@progbits,_ZN7rocprim17ROCPRIM_400000_NS6detail17trampoline_kernelINS0_14default_configENS1_25partition_config_selectorILNS1_17partition_subalgoE8ExNS0_10empty_typeEbEEZZNS1_14partition_implILS5_8ELb0ES3_jN6thrust23THRUST_200600_302600_NS6detail15normal_iteratorINSA_10device_ptrIxEEEEPS6_PKS6_NS0_5tupleIJSF_S6_EEENSJ_IJSG_SG_EEENS0_18inequality_wrapperINSA_8equal_toIxEEEEPmJS6_EEE10hipError_tPvRmT3_T4_T5_T6_T7_T9_mT8_P12ihipStream_tbDpT10_ENKUlT_T0_E_clISt17integral_constantIbLb0EES1A_EEDaS15_S16_EUlS15_E_NS1_11comp_targetILNS1_3genE0ELNS1_11target_archE4294967295ELNS1_3gpuE0ELNS1_3repE0EEENS1_30default_config_static_selectorELNS0_4arch9wavefront6targetE1EEEvT1_,comdat
	.protected	_ZN7rocprim17ROCPRIM_400000_NS6detail17trampoline_kernelINS0_14default_configENS1_25partition_config_selectorILNS1_17partition_subalgoE8ExNS0_10empty_typeEbEEZZNS1_14partition_implILS5_8ELb0ES3_jN6thrust23THRUST_200600_302600_NS6detail15normal_iteratorINSA_10device_ptrIxEEEEPS6_PKS6_NS0_5tupleIJSF_S6_EEENSJ_IJSG_SG_EEENS0_18inequality_wrapperINSA_8equal_toIxEEEEPmJS6_EEE10hipError_tPvRmT3_T4_T5_T6_T7_T9_mT8_P12ihipStream_tbDpT10_ENKUlT_T0_E_clISt17integral_constantIbLb0EES1A_EEDaS15_S16_EUlS15_E_NS1_11comp_targetILNS1_3genE0ELNS1_11target_archE4294967295ELNS1_3gpuE0ELNS1_3repE0EEENS1_30default_config_static_selectorELNS0_4arch9wavefront6targetE1EEEvT1_ ; -- Begin function _ZN7rocprim17ROCPRIM_400000_NS6detail17trampoline_kernelINS0_14default_configENS1_25partition_config_selectorILNS1_17partition_subalgoE8ExNS0_10empty_typeEbEEZZNS1_14partition_implILS5_8ELb0ES3_jN6thrust23THRUST_200600_302600_NS6detail15normal_iteratorINSA_10device_ptrIxEEEEPS6_PKS6_NS0_5tupleIJSF_S6_EEENSJ_IJSG_SG_EEENS0_18inequality_wrapperINSA_8equal_toIxEEEEPmJS6_EEE10hipError_tPvRmT3_T4_T5_T6_T7_T9_mT8_P12ihipStream_tbDpT10_ENKUlT_T0_E_clISt17integral_constantIbLb0EES1A_EEDaS15_S16_EUlS15_E_NS1_11comp_targetILNS1_3genE0ELNS1_11target_archE4294967295ELNS1_3gpuE0ELNS1_3repE0EEENS1_30default_config_static_selectorELNS0_4arch9wavefront6targetE1EEEvT1_
	.globl	_ZN7rocprim17ROCPRIM_400000_NS6detail17trampoline_kernelINS0_14default_configENS1_25partition_config_selectorILNS1_17partition_subalgoE8ExNS0_10empty_typeEbEEZZNS1_14partition_implILS5_8ELb0ES3_jN6thrust23THRUST_200600_302600_NS6detail15normal_iteratorINSA_10device_ptrIxEEEEPS6_PKS6_NS0_5tupleIJSF_S6_EEENSJ_IJSG_SG_EEENS0_18inequality_wrapperINSA_8equal_toIxEEEEPmJS6_EEE10hipError_tPvRmT3_T4_T5_T6_T7_T9_mT8_P12ihipStream_tbDpT10_ENKUlT_T0_E_clISt17integral_constantIbLb0EES1A_EEDaS15_S16_EUlS15_E_NS1_11comp_targetILNS1_3genE0ELNS1_11target_archE4294967295ELNS1_3gpuE0ELNS1_3repE0EEENS1_30default_config_static_selectorELNS0_4arch9wavefront6targetE1EEEvT1_
	.p2align	8
	.type	_ZN7rocprim17ROCPRIM_400000_NS6detail17trampoline_kernelINS0_14default_configENS1_25partition_config_selectorILNS1_17partition_subalgoE8ExNS0_10empty_typeEbEEZZNS1_14partition_implILS5_8ELb0ES3_jN6thrust23THRUST_200600_302600_NS6detail15normal_iteratorINSA_10device_ptrIxEEEEPS6_PKS6_NS0_5tupleIJSF_S6_EEENSJ_IJSG_SG_EEENS0_18inequality_wrapperINSA_8equal_toIxEEEEPmJS6_EEE10hipError_tPvRmT3_T4_T5_T6_T7_T9_mT8_P12ihipStream_tbDpT10_ENKUlT_T0_E_clISt17integral_constantIbLb0EES1A_EEDaS15_S16_EUlS15_E_NS1_11comp_targetILNS1_3genE0ELNS1_11target_archE4294967295ELNS1_3gpuE0ELNS1_3repE0EEENS1_30default_config_static_selectorELNS0_4arch9wavefront6targetE1EEEvT1_,@function
_ZN7rocprim17ROCPRIM_400000_NS6detail17trampoline_kernelINS0_14default_configENS1_25partition_config_selectorILNS1_17partition_subalgoE8ExNS0_10empty_typeEbEEZZNS1_14partition_implILS5_8ELb0ES3_jN6thrust23THRUST_200600_302600_NS6detail15normal_iteratorINSA_10device_ptrIxEEEEPS6_PKS6_NS0_5tupleIJSF_S6_EEENSJ_IJSG_SG_EEENS0_18inequality_wrapperINSA_8equal_toIxEEEEPmJS6_EEE10hipError_tPvRmT3_T4_T5_T6_T7_T9_mT8_P12ihipStream_tbDpT10_ENKUlT_T0_E_clISt17integral_constantIbLb0EES1A_EEDaS15_S16_EUlS15_E_NS1_11comp_targetILNS1_3genE0ELNS1_11target_archE4294967295ELNS1_3gpuE0ELNS1_3repE0EEENS1_30default_config_static_selectorELNS0_4arch9wavefront6targetE1EEEvT1_: ; @_ZN7rocprim17ROCPRIM_400000_NS6detail17trampoline_kernelINS0_14default_configENS1_25partition_config_selectorILNS1_17partition_subalgoE8ExNS0_10empty_typeEbEEZZNS1_14partition_implILS5_8ELb0ES3_jN6thrust23THRUST_200600_302600_NS6detail15normal_iteratorINSA_10device_ptrIxEEEEPS6_PKS6_NS0_5tupleIJSF_S6_EEENSJ_IJSG_SG_EEENS0_18inequality_wrapperINSA_8equal_toIxEEEEPmJS6_EEE10hipError_tPvRmT3_T4_T5_T6_T7_T9_mT8_P12ihipStream_tbDpT10_ENKUlT_T0_E_clISt17integral_constantIbLb0EES1A_EEDaS15_S16_EUlS15_E_NS1_11comp_targetILNS1_3genE0ELNS1_11target_archE4294967295ELNS1_3gpuE0ELNS1_3repE0EEENS1_30default_config_static_selectorELNS0_4arch9wavefront6targetE1EEEvT1_
; %bb.0:
	.section	.rodata,"a",@progbits
	.p2align	6, 0x0
	.amdhsa_kernel _ZN7rocprim17ROCPRIM_400000_NS6detail17trampoline_kernelINS0_14default_configENS1_25partition_config_selectorILNS1_17partition_subalgoE8ExNS0_10empty_typeEbEEZZNS1_14partition_implILS5_8ELb0ES3_jN6thrust23THRUST_200600_302600_NS6detail15normal_iteratorINSA_10device_ptrIxEEEEPS6_PKS6_NS0_5tupleIJSF_S6_EEENSJ_IJSG_SG_EEENS0_18inequality_wrapperINSA_8equal_toIxEEEEPmJS6_EEE10hipError_tPvRmT3_T4_T5_T6_T7_T9_mT8_P12ihipStream_tbDpT10_ENKUlT_T0_E_clISt17integral_constantIbLb0EES1A_EEDaS15_S16_EUlS15_E_NS1_11comp_targetILNS1_3genE0ELNS1_11target_archE4294967295ELNS1_3gpuE0ELNS1_3repE0EEENS1_30default_config_static_selectorELNS0_4arch9wavefront6targetE1EEEvT1_
		.amdhsa_group_segment_fixed_size 0
		.amdhsa_private_segment_fixed_size 0
		.amdhsa_kernarg_size 112
		.amdhsa_user_sgpr_count 6
		.amdhsa_user_sgpr_private_segment_buffer 1
		.amdhsa_user_sgpr_dispatch_ptr 0
		.amdhsa_user_sgpr_queue_ptr 0
		.amdhsa_user_sgpr_kernarg_segment_ptr 1
		.amdhsa_user_sgpr_dispatch_id 0
		.amdhsa_user_sgpr_flat_scratch_init 0
		.amdhsa_user_sgpr_private_segment_size 0
		.amdhsa_uses_dynamic_stack 0
		.amdhsa_system_sgpr_private_segment_wavefront_offset 0
		.amdhsa_system_sgpr_workgroup_id_x 1
		.amdhsa_system_sgpr_workgroup_id_y 0
		.amdhsa_system_sgpr_workgroup_id_z 0
		.amdhsa_system_sgpr_workgroup_info 0
		.amdhsa_system_vgpr_workitem_id 0
		.amdhsa_next_free_vgpr 1
		.amdhsa_next_free_sgpr 0
		.amdhsa_reserve_vcc 0
		.amdhsa_reserve_flat_scratch 0
		.amdhsa_float_round_mode_32 0
		.amdhsa_float_round_mode_16_64 0
		.amdhsa_float_denorm_mode_32 3
		.amdhsa_float_denorm_mode_16_64 3
		.amdhsa_dx10_clamp 1
		.amdhsa_ieee_mode 1
		.amdhsa_fp16_overflow 0
		.amdhsa_exception_fp_ieee_invalid_op 0
		.amdhsa_exception_fp_denorm_src 0
		.amdhsa_exception_fp_ieee_div_zero 0
		.amdhsa_exception_fp_ieee_overflow 0
		.amdhsa_exception_fp_ieee_underflow 0
		.amdhsa_exception_fp_ieee_inexact 0
		.amdhsa_exception_int_div_zero 0
	.end_amdhsa_kernel
	.section	.text._ZN7rocprim17ROCPRIM_400000_NS6detail17trampoline_kernelINS0_14default_configENS1_25partition_config_selectorILNS1_17partition_subalgoE8ExNS0_10empty_typeEbEEZZNS1_14partition_implILS5_8ELb0ES3_jN6thrust23THRUST_200600_302600_NS6detail15normal_iteratorINSA_10device_ptrIxEEEEPS6_PKS6_NS0_5tupleIJSF_S6_EEENSJ_IJSG_SG_EEENS0_18inequality_wrapperINSA_8equal_toIxEEEEPmJS6_EEE10hipError_tPvRmT3_T4_T5_T6_T7_T9_mT8_P12ihipStream_tbDpT10_ENKUlT_T0_E_clISt17integral_constantIbLb0EES1A_EEDaS15_S16_EUlS15_E_NS1_11comp_targetILNS1_3genE0ELNS1_11target_archE4294967295ELNS1_3gpuE0ELNS1_3repE0EEENS1_30default_config_static_selectorELNS0_4arch9wavefront6targetE1EEEvT1_,"axG",@progbits,_ZN7rocprim17ROCPRIM_400000_NS6detail17trampoline_kernelINS0_14default_configENS1_25partition_config_selectorILNS1_17partition_subalgoE8ExNS0_10empty_typeEbEEZZNS1_14partition_implILS5_8ELb0ES3_jN6thrust23THRUST_200600_302600_NS6detail15normal_iteratorINSA_10device_ptrIxEEEEPS6_PKS6_NS0_5tupleIJSF_S6_EEENSJ_IJSG_SG_EEENS0_18inequality_wrapperINSA_8equal_toIxEEEEPmJS6_EEE10hipError_tPvRmT3_T4_T5_T6_T7_T9_mT8_P12ihipStream_tbDpT10_ENKUlT_T0_E_clISt17integral_constantIbLb0EES1A_EEDaS15_S16_EUlS15_E_NS1_11comp_targetILNS1_3genE0ELNS1_11target_archE4294967295ELNS1_3gpuE0ELNS1_3repE0EEENS1_30default_config_static_selectorELNS0_4arch9wavefront6targetE1EEEvT1_,comdat
.Lfunc_end340:
	.size	_ZN7rocprim17ROCPRIM_400000_NS6detail17trampoline_kernelINS0_14default_configENS1_25partition_config_selectorILNS1_17partition_subalgoE8ExNS0_10empty_typeEbEEZZNS1_14partition_implILS5_8ELb0ES3_jN6thrust23THRUST_200600_302600_NS6detail15normal_iteratorINSA_10device_ptrIxEEEEPS6_PKS6_NS0_5tupleIJSF_S6_EEENSJ_IJSG_SG_EEENS0_18inequality_wrapperINSA_8equal_toIxEEEEPmJS6_EEE10hipError_tPvRmT3_T4_T5_T6_T7_T9_mT8_P12ihipStream_tbDpT10_ENKUlT_T0_E_clISt17integral_constantIbLb0EES1A_EEDaS15_S16_EUlS15_E_NS1_11comp_targetILNS1_3genE0ELNS1_11target_archE4294967295ELNS1_3gpuE0ELNS1_3repE0EEENS1_30default_config_static_selectorELNS0_4arch9wavefront6targetE1EEEvT1_, .Lfunc_end340-_ZN7rocprim17ROCPRIM_400000_NS6detail17trampoline_kernelINS0_14default_configENS1_25partition_config_selectorILNS1_17partition_subalgoE8ExNS0_10empty_typeEbEEZZNS1_14partition_implILS5_8ELb0ES3_jN6thrust23THRUST_200600_302600_NS6detail15normal_iteratorINSA_10device_ptrIxEEEEPS6_PKS6_NS0_5tupleIJSF_S6_EEENSJ_IJSG_SG_EEENS0_18inequality_wrapperINSA_8equal_toIxEEEEPmJS6_EEE10hipError_tPvRmT3_T4_T5_T6_T7_T9_mT8_P12ihipStream_tbDpT10_ENKUlT_T0_E_clISt17integral_constantIbLb0EES1A_EEDaS15_S16_EUlS15_E_NS1_11comp_targetILNS1_3genE0ELNS1_11target_archE4294967295ELNS1_3gpuE0ELNS1_3repE0EEENS1_30default_config_static_selectorELNS0_4arch9wavefront6targetE1EEEvT1_
                                        ; -- End function
	.set _ZN7rocprim17ROCPRIM_400000_NS6detail17trampoline_kernelINS0_14default_configENS1_25partition_config_selectorILNS1_17partition_subalgoE8ExNS0_10empty_typeEbEEZZNS1_14partition_implILS5_8ELb0ES3_jN6thrust23THRUST_200600_302600_NS6detail15normal_iteratorINSA_10device_ptrIxEEEEPS6_PKS6_NS0_5tupleIJSF_S6_EEENSJ_IJSG_SG_EEENS0_18inequality_wrapperINSA_8equal_toIxEEEEPmJS6_EEE10hipError_tPvRmT3_T4_T5_T6_T7_T9_mT8_P12ihipStream_tbDpT10_ENKUlT_T0_E_clISt17integral_constantIbLb0EES1A_EEDaS15_S16_EUlS15_E_NS1_11comp_targetILNS1_3genE0ELNS1_11target_archE4294967295ELNS1_3gpuE0ELNS1_3repE0EEENS1_30default_config_static_selectorELNS0_4arch9wavefront6targetE1EEEvT1_.num_vgpr, 0
	.set _ZN7rocprim17ROCPRIM_400000_NS6detail17trampoline_kernelINS0_14default_configENS1_25partition_config_selectorILNS1_17partition_subalgoE8ExNS0_10empty_typeEbEEZZNS1_14partition_implILS5_8ELb0ES3_jN6thrust23THRUST_200600_302600_NS6detail15normal_iteratorINSA_10device_ptrIxEEEEPS6_PKS6_NS0_5tupleIJSF_S6_EEENSJ_IJSG_SG_EEENS0_18inequality_wrapperINSA_8equal_toIxEEEEPmJS6_EEE10hipError_tPvRmT3_T4_T5_T6_T7_T9_mT8_P12ihipStream_tbDpT10_ENKUlT_T0_E_clISt17integral_constantIbLb0EES1A_EEDaS15_S16_EUlS15_E_NS1_11comp_targetILNS1_3genE0ELNS1_11target_archE4294967295ELNS1_3gpuE0ELNS1_3repE0EEENS1_30default_config_static_selectorELNS0_4arch9wavefront6targetE1EEEvT1_.num_agpr, 0
	.set _ZN7rocprim17ROCPRIM_400000_NS6detail17trampoline_kernelINS0_14default_configENS1_25partition_config_selectorILNS1_17partition_subalgoE8ExNS0_10empty_typeEbEEZZNS1_14partition_implILS5_8ELb0ES3_jN6thrust23THRUST_200600_302600_NS6detail15normal_iteratorINSA_10device_ptrIxEEEEPS6_PKS6_NS0_5tupleIJSF_S6_EEENSJ_IJSG_SG_EEENS0_18inequality_wrapperINSA_8equal_toIxEEEEPmJS6_EEE10hipError_tPvRmT3_T4_T5_T6_T7_T9_mT8_P12ihipStream_tbDpT10_ENKUlT_T0_E_clISt17integral_constantIbLb0EES1A_EEDaS15_S16_EUlS15_E_NS1_11comp_targetILNS1_3genE0ELNS1_11target_archE4294967295ELNS1_3gpuE0ELNS1_3repE0EEENS1_30default_config_static_selectorELNS0_4arch9wavefront6targetE1EEEvT1_.numbered_sgpr, 0
	.set _ZN7rocprim17ROCPRIM_400000_NS6detail17trampoline_kernelINS0_14default_configENS1_25partition_config_selectorILNS1_17partition_subalgoE8ExNS0_10empty_typeEbEEZZNS1_14partition_implILS5_8ELb0ES3_jN6thrust23THRUST_200600_302600_NS6detail15normal_iteratorINSA_10device_ptrIxEEEEPS6_PKS6_NS0_5tupleIJSF_S6_EEENSJ_IJSG_SG_EEENS0_18inequality_wrapperINSA_8equal_toIxEEEEPmJS6_EEE10hipError_tPvRmT3_T4_T5_T6_T7_T9_mT8_P12ihipStream_tbDpT10_ENKUlT_T0_E_clISt17integral_constantIbLb0EES1A_EEDaS15_S16_EUlS15_E_NS1_11comp_targetILNS1_3genE0ELNS1_11target_archE4294967295ELNS1_3gpuE0ELNS1_3repE0EEENS1_30default_config_static_selectorELNS0_4arch9wavefront6targetE1EEEvT1_.num_named_barrier, 0
	.set _ZN7rocprim17ROCPRIM_400000_NS6detail17trampoline_kernelINS0_14default_configENS1_25partition_config_selectorILNS1_17partition_subalgoE8ExNS0_10empty_typeEbEEZZNS1_14partition_implILS5_8ELb0ES3_jN6thrust23THRUST_200600_302600_NS6detail15normal_iteratorINSA_10device_ptrIxEEEEPS6_PKS6_NS0_5tupleIJSF_S6_EEENSJ_IJSG_SG_EEENS0_18inequality_wrapperINSA_8equal_toIxEEEEPmJS6_EEE10hipError_tPvRmT3_T4_T5_T6_T7_T9_mT8_P12ihipStream_tbDpT10_ENKUlT_T0_E_clISt17integral_constantIbLb0EES1A_EEDaS15_S16_EUlS15_E_NS1_11comp_targetILNS1_3genE0ELNS1_11target_archE4294967295ELNS1_3gpuE0ELNS1_3repE0EEENS1_30default_config_static_selectorELNS0_4arch9wavefront6targetE1EEEvT1_.private_seg_size, 0
	.set _ZN7rocprim17ROCPRIM_400000_NS6detail17trampoline_kernelINS0_14default_configENS1_25partition_config_selectorILNS1_17partition_subalgoE8ExNS0_10empty_typeEbEEZZNS1_14partition_implILS5_8ELb0ES3_jN6thrust23THRUST_200600_302600_NS6detail15normal_iteratorINSA_10device_ptrIxEEEEPS6_PKS6_NS0_5tupleIJSF_S6_EEENSJ_IJSG_SG_EEENS0_18inequality_wrapperINSA_8equal_toIxEEEEPmJS6_EEE10hipError_tPvRmT3_T4_T5_T6_T7_T9_mT8_P12ihipStream_tbDpT10_ENKUlT_T0_E_clISt17integral_constantIbLb0EES1A_EEDaS15_S16_EUlS15_E_NS1_11comp_targetILNS1_3genE0ELNS1_11target_archE4294967295ELNS1_3gpuE0ELNS1_3repE0EEENS1_30default_config_static_selectorELNS0_4arch9wavefront6targetE1EEEvT1_.uses_vcc, 0
	.set _ZN7rocprim17ROCPRIM_400000_NS6detail17trampoline_kernelINS0_14default_configENS1_25partition_config_selectorILNS1_17partition_subalgoE8ExNS0_10empty_typeEbEEZZNS1_14partition_implILS5_8ELb0ES3_jN6thrust23THRUST_200600_302600_NS6detail15normal_iteratorINSA_10device_ptrIxEEEEPS6_PKS6_NS0_5tupleIJSF_S6_EEENSJ_IJSG_SG_EEENS0_18inequality_wrapperINSA_8equal_toIxEEEEPmJS6_EEE10hipError_tPvRmT3_T4_T5_T6_T7_T9_mT8_P12ihipStream_tbDpT10_ENKUlT_T0_E_clISt17integral_constantIbLb0EES1A_EEDaS15_S16_EUlS15_E_NS1_11comp_targetILNS1_3genE0ELNS1_11target_archE4294967295ELNS1_3gpuE0ELNS1_3repE0EEENS1_30default_config_static_selectorELNS0_4arch9wavefront6targetE1EEEvT1_.uses_flat_scratch, 0
	.set _ZN7rocprim17ROCPRIM_400000_NS6detail17trampoline_kernelINS0_14default_configENS1_25partition_config_selectorILNS1_17partition_subalgoE8ExNS0_10empty_typeEbEEZZNS1_14partition_implILS5_8ELb0ES3_jN6thrust23THRUST_200600_302600_NS6detail15normal_iteratorINSA_10device_ptrIxEEEEPS6_PKS6_NS0_5tupleIJSF_S6_EEENSJ_IJSG_SG_EEENS0_18inequality_wrapperINSA_8equal_toIxEEEEPmJS6_EEE10hipError_tPvRmT3_T4_T5_T6_T7_T9_mT8_P12ihipStream_tbDpT10_ENKUlT_T0_E_clISt17integral_constantIbLb0EES1A_EEDaS15_S16_EUlS15_E_NS1_11comp_targetILNS1_3genE0ELNS1_11target_archE4294967295ELNS1_3gpuE0ELNS1_3repE0EEENS1_30default_config_static_selectorELNS0_4arch9wavefront6targetE1EEEvT1_.has_dyn_sized_stack, 0
	.set _ZN7rocprim17ROCPRIM_400000_NS6detail17trampoline_kernelINS0_14default_configENS1_25partition_config_selectorILNS1_17partition_subalgoE8ExNS0_10empty_typeEbEEZZNS1_14partition_implILS5_8ELb0ES3_jN6thrust23THRUST_200600_302600_NS6detail15normal_iteratorINSA_10device_ptrIxEEEEPS6_PKS6_NS0_5tupleIJSF_S6_EEENSJ_IJSG_SG_EEENS0_18inequality_wrapperINSA_8equal_toIxEEEEPmJS6_EEE10hipError_tPvRmT3_T4_T5_T6_T7_T9_mT8_P12ihipStream_tbDpT10_ENKUlT_T0_E_clISt17integral_constantIbLb0EES1A_EEDaS15_S16_EUlS15_E_NS1_11comp_targetILNS1_3genE0ELNS1_11target_archE4294967295ELNS1_3gpuE0ELNS1_3repE0EEENS1_30default_config_static_selectorELNS0_4arch9wavefront6targetE1EEEvT1_.has_recursion, 0
	.set _ZN7rocprim17ROCPRIM_400000_NS6detail17trampoline_kernelINS0_14default_configENS1_25partition_config_selectorILNS1_17partition_subalgoE8ExNS0_10empty_typeEbEEZZNS1_14partition_implILS5_8ELb0ES3_jN6thrust23THRUST_200600_302600_NS6detail15normal_iteratorINSA_10device_ptrIxEEEEPS6_PKS6_NS0_5tupleIJSF_S6_EEENSJ_IJSG_SG_EEENS0_18inequality_wrapperINSA_8equal_toIxEEEEPmJS6_EEE10hipError_tPvRmT3_T4_T5_T6_T7_T9_mT8_P12ihipStream_tbDpT10_ENKUlT_T0_E_clISt17integral_constantIbLb0EES1A_EEDaS15_S16_EUlS15_E_NS1_11comp_targetILNS1_3genE0ELNS1_11target_archE4294967295ELNS1_3gpuE0ELNS1_3repE0EEENS1_30default_config_static_selectorELNS0_4arch9wavefront6targetE1EEEvT1_.has_indirect_call, 0
	.section	.AMDGPU.csdata,"",@progbits
; Kernel info:
; codeLenInByte = 0
; TotalNumSgprs: 4
; NumVgprs: 0
; ScratchSize: 0
; MemoryBound: 0
; FloatMode: 240
; IeeeMode: 1
; LDSByteSize: 0 bytes/workgroup (compile time only)
; SGPRBlocks: 0
; VGPRBlocks: 0
; NumSGPRsForWavesPerEU: 4
; NumVGPRsForWavesPerEU: 1
; Occupancy: 10
; WaveLimiterHint : 0
; COMPUTE_PGM_RSRC2:SCRATCH_EN: 0
; COMPUTE_PGM_RSRC2:USER_SGPR: 6
; COMPUTE_PGM_RSRC2:TRAP_HANDLER: 0
; COMPUTE_PGM_RSRC2:TGID_X_EN: 1
; COMPUTE_PGM_RSRC2:TGID_Y_EN: 0
; COMPUTE_PGM_RSRC2:TGID_Z_EN: 0
; COMPUTE_PGM_RSRC2:TIDIG_COMP_CNT: 0
	.section	.text._ZN7rocprim17ROCPRIM_400000_NS6detail17trampoline_kernelINS0_14default_configENS1_25partition_config_selectorILNS1_17partition_subalgoE8ExNS0_10empty_typeEbEEZZNS1_14partition_implILS5_8ELb0ES3_jN6thrust23THRUST_200600_302600_NS6detail15normal_iteratorINSA_10device_ptrIxEEEEPS6_PKS6_NS0_5tupleIJSF_S6_EEENSJ_IJSG_SG_EEENS0_18inequality_wrapperINSA_8equal_toIxEEEEPmJS6_EEE10hipError_tPvRmT3_T4_T5_T6_T7_T9_mT8_P12ihipStream_tbDpT10_ENKUlT_T0_E_clISt17integral_constantIbLb0EES1A_EEDaS15_S16_EUlS15_E_NS1_11comp_targetILNS1_3genE5ELNS1_11target_archE942ELNS1_3gpuE9ELNS1_3repE0EEENS1_30default_config_static_selectorELNS0_4arch9wavefront6targetE1EEEvT1_,"axG",@progbits,_ZN7rocprim17ROCPRIM_400000_NS6detail17trampoline_kernelINS0_14default_configENS1_25partition_config_selectorILNS1_17partition_subalgoE8ExNS0_10empty_typeEbEEZZNS1_14partition_implILS5_8ELb0ES3_jN6thrust23THRUST_200600_302600_NS6detail15normal_iteratorINSA_10device_ptrIxEEEEPS6_PKS6_NS0_5tupleIJSF_S6_EEENSJ_IJSG_SG_EEENS0_18inequality_wrapperINSA_8equal_toIxEEEEPmJS6_EEE10hipError_tPvRmT3_T4_T5_T6_T7_T9_mT8_P12ihipStream_tbDpT10_ENKUlT_T0_E_clISt17integral_constantIbLb0EES1A_EEDaS15_S16_EUlS15_E_NS1_11comp_targetILNS1_3genE5ELNS1_11target_archE942ELNS1_3gpuE9ELNS1_3repE0EEENS1_30default_config_static_selectorELNS0_4arch9wavefront6targetE1EEEvT1_,comdat
	.protected	_ZN7rocprim17ROCPRIM_400000_NS6detail17trampoline_kernelINS0_14default_configENS1_25partition_config_selectorILNS1_17partition_subalgoE8ExNS0_10empty_typeEbEEZZNS1_14partition_implILS5_8ELb0ES3_jN6thrust23THRUST_200600_302600_NS6detail15normal_iteratorINSA_10device_ptrIxEEEEPS6_PKS6_NS0_5tupleIJSF_S6_EEENSJ_IJSG_SG_EEENS0_18inequality_wrapperINSA_8equal_toIxEEEEPmJS6_EEE10hipError_tPvRmT3_T4_T5_T6_T7_T9_mT8_P12ihipStream_tbDpT10_ENKUlT_T0_E_clISt17integral_constantIbLb0EES1A_EEDaS15_S16_EUlS15_E_NS1_11comp_targetILNS1_3genE5ELNS1_11target_archE942ELNS1_3gpuE9ELNS1_3repE0EEENS1_30default_config_static_selectorELNS0_4arch9wavefront6targetE1EEEvT1_ ; -- Begin function _ZN7rocprim17ROCPRIM_400000_NS6detail17trampoline_kernelINS0_14default_configENS1_25partition_config_selectorILNS1_17partition_subalgoE8ExNS0_10empty_typeEbEEZZNS1_14partition_implILS5_8ELb0ES3_jN6thrust23THRUST_200600_302600_NS6detail15normal_iteratorINSA_10device_ptrIxEEEEPS6_PKS6_NS0_5tupleIJSF_S6_EEENSJ_IJSG_SG_EEENS0_18inequality_wrapperINSA_8equal_toIxEEEEPmJS6_EEE10hipError_tPvRmT3_T4_T5_T6_T7_T9_mT8_P12ihipStream_tbDpT10_ENKUlT_T0_E_clISt17integral_constantIbLb0EES1A_EEDaS15_S16_EUlS15_E_NS1_11comp_targetILNS1_3genE5ELNS1_11target_archE942ELNS1_3gpuE9ELNS1_3repE0EEENS1_30default_config_static_selectorELNS0_4arch9wavefront6targetE1EEEvT1_
	.globl	_ZN7rocprim17ROCPRIM_400000_NS6detail17trampoline_kernelINS0_14default_configENS1_25partition_config_selectorILNS1_17partition_subalgoE8ExNS0_10empty_typeEbEEZZNS1_14partition_implILS5_8ELb0ES3_jN6thrust23THRUST_200600_302600_NS6detail15normal_iteratorINSA_10device_ptrIxEEEEPS6_PKS6_NS0_5tupleIJSF_S6_EEENSJ_IJSG_SG_EEENS0_18inequality_wrapperINSA_8equal_toIxEEEEPmJS6_EEE10hipError_tPvRmT3_T4_T5_T6_T7_T9_mT8_P12ihipStream_tbDpT10_ENKUlT_T0_E_clISt17integral_constantIbLb0EES1A_EEDaS15_S16_EUlS15_E_NS1_11comp_targetILNS1_3genE5ELNS1_11target_archE942ELNS1_3gpuE9ELNS1_3repE0EEENS1_30default_config_static_selectorELNS0_4arch9wavefront6targetE1EEEvT1_
	.p2align	8
	.type	_ZN7rocprim17ROCPRIM_400000_NS6detail17trampoline_kernelINS0_14default_configENS1_25partition_config_selectorILNS1_17partition_subalgoE8ExNS0_10empty_typeEbEEZZNS1_14partition_implILS5_8ELb0ES3_jN6thrust23THRUST_200600_302600_NS6detail15normal_iteratorINSA_10device_ptrIxEEEEPS6_PKS6_NS0_5tupleIJSF_S6_EEENSJ_IJSG_SG_EEENS0_18inequality_wrapperINSA_8equal_toIxEEEEPmJS6_EEE10hipError_tPvRmT3_T4_T5_T6_T7_T9_mT8_P12ihipStream_tbDpT10_ENKUlT_T0_E_clISt17integral_constantIbLb0EES1A_EEDaS15_S16_EUlS15_E_NS1_11comp_targetILNS1_3genE5ELNS1_11target_archE942ELNS1_3gpuE9ELNS1_3repE0EEENS1_30default_config_static_selectorELNS0_4arch9wavefront6targetE1EEEvT1_,@function
_ZN7rocprim17ROCPRIM_400000_NS6detail17trampoline_kernelINS0_14default_configENS1_25partition_config_selectorILNS1_17partition_subalgoE8ExNS0_10empty_typeEbEEZZNS1_14partition_implILS5_8ELb0ES3_jN6thrust23THRUST_200600_302600_NS6detail15normal_iteratorINSA_10device_ptrIxEEEEPS6_PKS6_NS0_5tupleIJSF_S6_EEENSJ_IJSG_SG_EEENS0_18inequality_wrapperINSA_8equal_toIxEEEEPmJS6_EEE10hipError_tPvRmT3_T4_T5_T6_T7_T9_mT8_P12ihipStream_tbDpT10_ENKUlT_T0_E_clISt17integral_constantIbLb0EES1A_EEDaS15_S16_EUlS15_E_NS1_11comp_targetILNS1_3genE5ELNS1_11target_archE942ELNS1_3gpuE9ELNS1_3repE0EEENS1_30default_config_static_selectorELNS0_4arch9wavefront6targetE1EEEvT1_: ; @_ZN7rocprim17ROCPRIM_400000_NS6detail17trampoline_kernelINS0_14default_configENS1_25partition_config_selectorILNS1_17partition_subalgoE8ExNS0_10empty_typeEbEEZZNS1_14partition_implILS5_8ELb0ES3_jN6thrust23THRUST_200600_302600_NS6detail15normal_iteratorINSA_10device_ptrIxEEEEPS6_PKS6_NS0_5tupleIJSF_S6_EEENSJ_IJSG_SG_EEENS0_18inequality_wrapperINSA_8equal_toIxEEEEPmJS6_EEE10hipError_tPvRmT3_T4_T5_T6_T7_T9_mT8_P12ihipStream_tbDpT10_ENKUlT_T0_E_clISt17integral_constantIbLb0EES1A_EEDaS15_S16_EUlS15_E_NS1_11comp_targetILNS1_3genE5ELNS1_11target_archE942ELNS1_3gpuE9ELNS1_3repE0EEENS1_30default_config_static_selectorELNS0_4arch9wavefront6targetE1EEEvT1_
; %bb.0:
	.section	.rodata,"a",@progbits
	.p2align	6, 0x0
	.amdhsa_kernel _ZN7rocprim17ROCPRIM_400000_NS6detail17trampoline_kernelINS0_14default_configENS1_25partition_config_selectorILNS1_17partition_subalgoE8ExNS0_10empty_typeEbEEZZNS1_14partition_implILS5_8ELb0ES3_jN6thrust23THRUST_200600_302600_NS6detail15normal_iteratorINSA_10device_ptrIxEEEEPS6_PKS6_NS0_5tupleIJSF_S6_EEENSJ_IJSG_SG_EEENS0_18inequality_wrapperINSA_8equal_toIxEEEEPmJS6_EEE10hipError_tPvRmT3_T4_T5_T6_T7_T9_mT8_P12ihipStream_tbDpT10_ENKUlT_T0_E_clISt17integral_constantIbLb0EES1A_EEDaS15_S16_EUlS15_E_NS1_11comp_targetILNS1_3genE5ELNS1_11target_archE942ELNS1_3gpuE9ELNS1_3repE0EEENS1_30default_config_static_selectorELNS0_4arch9wavefront6targetE1EEEvT1_
		.amdhsa_group_segment_fixed_size 0
		.amdhsa_private_segment_fixed_size 0
		.amdhsa_kernarg_size 112
		.amdhsa_user_sgpr_count 6
		.amdhsa_user_sgpr_private_segment_buffer 1
		.amdhsa_user_sgpr_dispatch_ptr 0
		.amdhsa_user_sgpr_queue_ptr 0
		.amdhsa_user_sgpr_kernarg_segment_ptr 1
		.amdhsa_user_sgpr_dispatch_id 0
		.amdhsa_user_sgpr_flat_scratch_init 0
		.amdhsa_user_sgpr_private_segment_size 0
		.amdhsa_uses_dynamic_stack 0
		.amdhsa_system_sgpr_private_segment_wavefront_offset 0
		.amdhsa_system_sgpr_workgroup_id_x 1
		.amdhsa_system_sgpr_workgroup_id_y 0
		.amdhsa_system_sgpr_workgroup_id_z 0
		.amdhsa_system_sgpr_workgroup_info 0
		.amdhsa_system_vgpr_workitem_id 0
		.amdhsa_next_free_vgpr 1
		.amdhsa_next_free_sgpr 0
		.amdhsa_reserve_vcc 0
		.amdhsa_reserve_flat_scratch 0
		.amdhsa_float_round_mode_32 0
		.amdhsa_float_round_mode_16_64 0
		.amdhsa_float_denorm_mode_32 3
		.amdhsa_float_denorm_mode_16_64 3
		.amdhsa_dx10_clamp 1
		.amdhsa_ieee_mode 1
		.amdhsa_fp16_overflow 0
		.amdhsa_exception_fp_ieee_invalid_op 0
		.amdhsa_exception_fp_denorm_src 0
		.amdhsa_exception_fp_ieee_div_zero 0
		.amdhsa_exception_fp_ieee_overflow 0
		.amdhsa_exception_fp_ieee_underflow 0
		.amdhsa_exception_fp_ieee_inexact 0
		.amdhsa_exception_int_div_zero 0
	.end_amdhsa_kernel
	.section	.text._ZN7rocprim17ROCPRIM_400000_NS6detail17trampoline_kernelINS0_14default_configENS1_25partition_config_selectorILNS1_17partition_subalgoE8ExNS0_10empty_typeEbEEZZNS1_14partition_implILS5_8ELb0ES3_jN6thrust23THRUST_200600_302600_NS6detail15normal_iteratorINSA_10device_ptrIxEEEEPS6_PKS6_NS0_5tupleIJSF_S6_EEENSJ_IJSG_SG_EEENS0_18inequality_wrapperINSA_8equal_toIxEEEEPmJS6_EEE10hipError_tPvRmT3_T4_T5_T6_T7_T9_mT8_P12ihipStream_tbDpT10_ENKUlT_T0_E_clISt17integral_constantIbLb0EES1A_EEDaS15_S16_EUlS15_E_NS1_11comp_targetILNS1_3genE5ELNS1_11target_archE942ELNS1_3gpuE9ELNS1_3repE0EEENS1_30default_config_static_selectorELNS0_4arch9wavefront6targetE1EEEvT1_,"axG",@progbits,_ZN7rocprim17ROCPRIM_400000_NS6detail17trampoline_kernelINS0_14default_configENS1_25partition_config_selectorILNS1_17partition_subalgoE8ExNS0_10empty_typeEbEEZZNS1_14partition_implILS5_8ELb0ES3_jN6thrust23THRUST_200600_302600_NS6detail15normal_iteratorINSA_10device_ptrIxEEEEPS6_PKS6_NS0_5tupleIJSF_S6_EEENSJ_IJSG_SG_EEENS0_18inequality_wrapperINSA_8equal_toIxEEEEPmJS6_EEE10hipError_tPvRmT3_T4_T5_T6_T7_T9_mT8_P12ihipStream_tbDpT10_ENKUlT_T0_E_clISt17integral_constantIbLb0EES1A_EEDaS15_S16_EUlS15_E_NS1_11comp_targetILNS1_3genE5ELNS1_11target_archE942ELNS1_3gpuE9ELNS1_3repE0EEENS1_30default_config_static_selectorELNS0_4arch9wavefront6targetE1EEEvT1_,comdat
.Lfunc_end341:
	.size	_ZN7rocprim17ROCPRIM_400000_NS6detail17trampoline_kernelINS0_14default_configENS1_25partition_config_selectorILNS1_17partition_subalgoE8ExNS0_10empty_typeEbEEZZNS1_14partition_implILS5_8ELb0ES3_jN6thrust23THRUST_200600_302600_NS6detail15normal_iteratorINSA_10device_ptrIxEEEEPS6_PKS6_NS0_5tupleIJSF_S6_EEENSJ_IJSG_SG_EEENS0_18inequality_wrapperINSA_8equal_toIxEEEEPmJS6_EEE10hipError_tPvRmT3_T4_T5_T6_T7_T9_mT8_P12ihipStream_tbDpT10_ENKUlT_T0_E_clISt17integral_constantIbLb0EES1A_EEDaS15_S16_EUlS15_E_NS1_11comp_targetILNS1_3genE5ELNS1_11target_archE942ELNS1_3gpuE9ELNS1_3repE0EEENS1_30default_config_static_selectorELNS0_4arch9wavefront6targetE1EEEvT1_, .Lfunc_end341-_ZN7rocprim17ROCPRIM_400000_NS6detail17trampoline_kernelINS0_14default_configENS1_25partition_config_selectorILNS1_17partition_subalgoE8ExNS0_10empty_typeEbEEZZNS1_14partition_implILS5_8ELb0ES3_jN6thrust23THRUST_200600_302600_NS6detail15normal_iteratorINSA_10device_ptrIxEEEEPS6_PKS6_NS0_5tupleIJSF_S6_EEENSJ_IJSG_SG_EEENS0_18inequality_wrapperINSA_8equal_toIxEEEEPmJS6_EEE10hipError_tPvRmT3_T4_T5_T6_T7_T9_mT8_P12ihipStream_tbDpT10_ENKUlT_T0_E_clISt17integral_constantIbLb0EES1A_EEDaS15_S16_EUlS15_E_NS1_11comp_targetILNS1_3genE5ELNS1_11target_archE942ELNS1_3gpuE9ELNS1_3repE0EEENS1_30default_config_static_selectorELNS0_4arch9wavefront6targetE1EEEvT1_
                                        ; -- End function
	.set _ZN7rocprim17ROCPRIM_400000_NS6detail17trampoline_kernelINS0_14default_configENS1_25partition_config_selectorILNS1_17partition_subalgoE8ExNS0_10empty_typeEbEEZZNS1_14partition_implILS5_8ELb0ES3_jN6thrust23THRUST_200600_302600_NS6detail15normal_iteratorINSA_10device_ptrIxEEEEPS6_PKS6_NS0_5tupleIJSF_S6_EEENSJ_IJSG_SG_EEENS0_18inequality_wrapperINSA_8equal_toIxEEEEPmJS6_EEE10hipError_tPvRmT3_T4_T5_T6_T7_T9_mT8_P12ihipStream_tbDpT10_ENKUlT_T0_E_clISt17integral_constantIbLb0EES1A_EEDaS15_S16_EUlS15_E_NS1_11comp_targetILNS1_3genE5ELNS1_11target_archE942ELNS1_3gpuE9ELNS1_3repE0EEENS1_30default_config_static_selectorELNS0_4arch9wavefront6targetE1EEEvT1_.num_vgpr, 0
	.set _ZN7rocprim17ROCPRIM_400000_NS6detail17trampoline_kernelINS0_14default_configENS1_25partition_config_selectorILNS1_17partition_subalgoE8ExNS0_10empty_typeEbEEZZNS1_14partition_implILS5_8ELb0ES3_jN6thrust23THRUST_200600_302600_NS6detail15normal_iteratorINSA_10device_ptrIxEEEEPS6_PKS6_NS0_5tupleIJSF_S6_EEENSJ_IJSG_SG_EEENS0_18inequality_wrapperINSA_8equal_toIxEEEEPmJS6_EEE10hipError_tPvRmT3_T4_T5_T6_T7_T9_mT8_P12ihipStream_tbDpT10_ENKUlT_T0_E_clISt17integral_constantIbLb0EES1A_EEDaS15_S16_EUlS15_E_NS1_11comp_targetILNS1_3genE5ELNS1_11target_archE942ELNS1_3gpuE9ELNS1_3repE0EEENS1_30default_config_static_selectorELNS0_4arch9wavefront6targetE1EEEvT1_.num_agpr, 0
	.set _ZN7rocprim17ROCPRIM_400000_NS6detail17trampoline_kernelINS0_14default_configENS1_25partition_config_selectorILNS1_17partition_subalgoE8ExNS0_10empty_typeEbEEZZNS1_14partition_implILS5_8ELb0ES3_jN6thrust23THRUST_200600_302600_NS6detail15normal_iteratorINSA_10device_ptrIxEEEEPS6_PKS6_NS0_5tupleIJSF_S6_EEENSJ_IJSG_SG_EEENS0_18inequality_wrapperINSA_8equal_toIxEEEEPmJS6_EEE10hipError_tPvRmT3_T4_T5_T6_T7_T9_mT8_P12ihipStream_tbDpT10_ENKUlT_T0_E_clISt17integral_constantIbLb0EES1A_EEDaS15_S16_EUlS15_E_NS1_11comp_targetILNS1_3genE5ELNS1_11target_archE942ELNS1_3gpuE9ELNS1_3repE0EEENS1_30default_config_static_selectorELNS0_4arch9wavefront6targetE1EEEvT1_.numbered_sgpr, 0
	.set _ZN7rocprim17ROCPRIM_400000_NS6detail17trampoline_kernelINS0_14default_configENS1_25partition_config_selectorILNS1_17partition_subalgoE8ExNS0_10empty_typeEbEEZZNS1_14partition_implILS5_8ELb0ES3_jN6thrust23THRUST_200600_302600_NS6detail15normal_iteratorINSA_10device_ptrIxEEEEPS6_PKS6_NS0_5tupleIJSF_S6_EEENSJ_IJSG_SG_EEENS0_18inequality_wrapperINSA_8equal_toIxEEEEPmJS6_EEE10hipError_tPvRmT3_T4_T5_T6_T7_T9_mT8_P12ihipStream_tbDpT10_ENKUlT_T0_E_clISt17integral_constantIbLb0EES1A_EEDaS15_S16_EUlS15_E_NS1_11comp_targetILNS1_3genE5ELNS1_11target_archE942ELNS1_3gpuE9ELNS1_3repE0EEENS1_30default_config_static_selectorELNS0_4arch9wavefront6targetE1EEEvT1_.num_named_barrier, 0
	.set _ZN7rocprim17ROCPRIM_400000_NS6detail17trampoline_kernelINS0_14default_configENS1_25partition_config_selectorILNS1_17partition_subalgoE8ExNS0_10empty_typeEbEEZZNS1_14partition_implILS5_8ELb0ES3_jN6thrust23THRUST_200600_302600_NS6detail15normal_iteratorINSA_10device_ptrIxEEEEPS6_PKS6_NS0_5tupleIJSF_S6_EEENSJ_IJSG_SG_EEENS0_18inequality_wrapperINSA_8equal_toIxEEEEPmJS6_EEE10hipError_tPvRmT3_T4_T5_T6_T7_T9_mT8_P12ihipStream_tbDpT10_ENKUlT_T0_E_clISt17integral_constantIbLb0EES1A_EEDaS15_S16_EUlS15_E_NS1_11comp_targetILNS1_3genE5ELNS1_11target_archE942ELNS1_3gpuE9ELNS1_3repE0EEENS1_30default_config_static_selectorELNS0_4arch9wavefront6targetE1EEEvT1_.private_seg_size, 0
	.set _ZN7rocprim17ROCPRIM_400000_NS6detail17trampoline_kernelINS0_14default_configENS1_25partition_config_selectorILNS1_17partition_subalgoE8ExNS0_10empty_typeEbEEZZNS1_14partition_implILS5_8ELb0ES3_jN6thrust23THRUST_200600_302600_NS6detail15normal_iteratorINSA_10device_ptrIxEEEEPS6_PKS6_NS0_5tupleIJSF_S6_EEENSJ_IJSG_SG_EEENS0_18inequality_wrapperINSA_8equal_toIxEEEEPmJS6_EEE10hipError_tPvRmT3_T4_T5_T6_T7_T9_mT8_P12ihipStream_tbDpT10_ENKUlT_T0_E_clISt17integral_constantIbLb0EES1A_EEDaS15_S16_EUlS15_E_NS1_11comp_targetILNS1_3genE5ELNS1_11target_archE942ELNS1_3gpuE9ELNS1_3repE0EEENS1_30default_config_static_selectorELNS0_4arch9wavefront6targetE1EEEvT1_.uses_vcc, 0
	.set _ZN7rocprim17ROCPRIM_400000_NS6detail17trampoline_kernelINS0_14default_configENS1_25partition_config_selectorILNS1_17partition_subalgoE8ExNS0_10empty_typeEbEEZZNS1_14partition_implILS5_8ELb0ES3_jN6thrust23THRUST_200600_302600_NS6detail15normal_iteratorINSA_10device_ptrIxEEEEPS6_PKS6_NS0_5tupleIJSF_S6_EEENSJ_IJSG_SG_EEENS0_18inequality_wrapperINSA_8equal_toIxEEEEPmJS6_EEE10hipError_tPvRmT3_T4_T5_T6_T7_T9_mT8_P12ihipStream_tbDpT10_ENKUlT_T0_E_clISt17integral_constantIbLb0EES1A_EEDaS15_S16_EUlS15_E_NS1_11comp_targetILNS1_3genE5ELNS1_11target_archE942ELNS1_3gpuE9ELNS1_3repE0EEENS1_30default_config_static_selectorELNS0_4arch9wavefront6targetE1EEEvT1_.uses_flat_scratch, 0
	.set _ZN7rocprim17ROCPRIM_400000_NS6detail17trampoline_kernelINS0_14default_configENS1_25partition_config_selectorILNS1_17partition_subalgoE8ExNS0_10empty_typeEbEEZZNS1_14partition_implILS5_8ELb0ES3_jN6thrust23THRUST_200600_302600_NS6detail15normal_iteratorINSA_10device_ptrIxEEEEPS6_PKS6_NS0_5tupleIJSF_S6_EEENSJ_IJSG_SG_EEENS0_18inequality_wrapperINSA_8equal_toIxEEEEPmJS6_EEE10hipError_tPvRmT3_T4_T5_T6_T7_T9_mT8_P12ihipStream_tbDpT10_ENKUlT_T0_E_clISt17integral_constantIbLb0EES1A_EEDaS15_S16_EUlS15_E_NS1_11comp_targetILNS1_3genE5ELNS1_11target_archE942ELNS1_3gpuE9ELNS1_3repE0EEENS1_30default_config_static_selectorELNS0_4arch9wavefront6targetE1EEEvT1_.has_dyn_sized_stack, 0
	.set _ZN7rocprim17ROCPRIM_400000_NS6detail17trampoline_kernelINS0_14default_configENS1_25partition_config_selectorILNS1_17partition_subalgoE8ExNS0_10empty_typeEbEEZZNS1_14partition_implILS5_8ELb0ES3_jN6thrust23THRUST_200600_302600_NS6detail15normal_iteratorINSA_10device_ptrIxEEEEPS6_PKS6_NS0_5tupleIJSF_S6_EEENSJ_IJSG_SG_EEENS0_18inequality_wrapperINSA_8equal_toIxEEEEPmJS6_EEE10hipError_tPvRmT3_T4_T5_T6_T7_T9_mT8_P12ihipStream_tbDpT10_ENKUlT_T0_E_clISt17integral_constantIbLb0EES1A_EEDaS15_S16_EUlS15_E_NS1_11comp_targetILNS1_3genE5ELNS1_11target_archE942ELNS1_3gpuE9ELNS1_3repE0EEENS1_30default_config_static_selectorELNS0_4arch9wavefront6targetE1EEEvT1_.has_recursion, 0
	.set _ZN7rocprim17ROCPRIM_400000_NS6detail17trampoline_kernelINS0_14default_configENS1_25partition_config_selectorILNS1_17partition_subalgoE8ExNS0_10empty_typeEbEEZZNS1_14partition_implILS5_8ELb0ES3_jN6thrust23THRUST_200600_302600_NS6detail15normal_iteratorINSA_10device_ptrIxEEEEPS6_PKS6_NS0_5tupleIJSF_S6_EEENSJ_IJSG_SG_EEENS0_18inequality_wrapperINSA_8equal_toIxEEEEPmJS6_EEE10hipError_tPvRmT3_T4_T5_T6_T7_T9_mT8_P12ihipStream_tbDpT10_ENKUlT_T0_E_clISt17integral_constantIbLb0EES1A_EEDaS15_S16_EUlS15_E_NS1_11comp_targetILNS1_3genE5ELNS1_11target_archE942ELNS1_3gpuE9ELNS1_3repE0EEENS1_30default_config_static_selectorELNS0_4arch9wavefront6targetE1EEEvT1_.has_indirect_call, 0
	.section	.AMDGPU.csdata,"",@progbits
; Kernel info:
; codeLenInByte = 0
; TotalNumSgprs: 4
; NumVgprs: 0
; ScratchSize: 0
; MemoryBound: 0
; FloatMode: 240
; IeeeMode: 1
; LDSByteSize: 0 bytes/workgroup (compile time only)
; SGPRBlocks: 0
; VGPRBlocks: 0
; NumSGPRsForWavesPerEU: 4
; NumVGPRsForWavesPerEU: 1
; Occupancy: 10
; WaveLimiterHint : 0
; COMPUTE_PGM_RSRC2:SCRATCH_EN: 0
; COMPUTE_PGM_RSRC2:USER_SGPR: 6
; COMPUTE_PGM_RSRC2:TRAP_HANDLER: 0
; COMPUTE_PGM_RSRC2:TGID_X_EN: 1
; COMPUTE_PGM_RSRC2:TGID_Y_EN: 0
; COMPUTE_PGM_RSRC2:TGID_Z_EN: 0
; COMPUTE_PGM_RSRC2:TIDIG_COMP_CNT: 0
	.section	.text._ZN7rocprim17ROCPRIM_400000_NS6detail17trampoline_kernelINS0_14default_configENS1_25partition_config_selectorILNS1_17partition_subalgoE8ExNS0_10empty_typeEbEEZZNS1_14partition_implILS5_8ELb0ES3_jN6thrust23THRUST_200600_302600_NS6detail15normal_iteratorINSA_10device_ptrIxEEEEPS6_PKS6_NS0_5tupleIJSF_S6_EEENSJ_IJSG_SG_EEENS0_18inequality_wrapperINSA_8equal_toIxEEEEPmJS6_EEE10hipError_tPvRmT3_T4_T5_T6_T7_T9_mT8_P12ihipStream_tbDpT10_ENKUlT_T0_E_clISt17integral_constantIbLb0EES1A_EEDaS15_S16_EUlS15_E_NS1_11comp_targetILNS1_3genE4ELNS1_11target_archE910ELNS1_3gpuE8ELNS1_3repE0EEENS1_30default_config_static_selectorELNS0_4arch9wavefront6targetE1EEEvT1_,"axG",@progbits,_ZN7rocprim17ROCPRIM_400000_NS6detail17trampoline_kernelINS0_14default_configENS1_25partition_config_selectorILNS1_17partition_subalgoE8ExNS0_10empty_typeEbEEZZNS1_14partition_implILS5_8ELb0ES3_jN6thrust23THRUST_200600_302600_NS6detail15normal_iteratorINSA_10device_ptrIxEEEEPS6_PKS6_NS0_5tupleIJSF_S6_EEENSJ_IJSG_SG_EEENS0_18inequality_wrapperINSA_8equal_toIxEEEEPmJS6_EEE10hipError_tPvRmT3_T4_T5_T6_T7_T9_mT8_P12ihipStream_tbDpT10_ENKUlT_T0_E_clISt17integral_constantIbLb0EES1A_EEDaS15_S16_EUlS15_E_NS1_11comp_targetILNS1_3genE4ELNS1_11target_archE910ELNS1_3gpuE8ELNS1_3repE0EEENS1_30default_config_static_selectorELNS0_4arch9wavefront6targetE1EEEvT1_,comdat
	.protected	_ZN7rocprim17ROCPRIM_400000_NS6detail17trampoline_kernelINS0_14default_configENS1_25partition_config_selectorILNS1_17partition_subalgoE8ExNS0_10empty_typeEbEEZZNS1_14partition_implILS5_8ELb0ES3_jN6thrust23THRUST_200600_302600_NS6detail15normal_iteratorINSA_10device_ptrIxEEEEPS6_PKS6_NS0_5tupleIJSF_S6_EEENSJ_IJSG_SG_EEENS0_18inequality_wrapperINSA_8equal_toIxEEEEPmJS6_EEE10hipError_tPvRmT3_T4_T5_T6_T7_T9_mT8_P12ihipStream_tbDpT10_ENKUlT_T0_E_clISt17integral_constantIbLb0EES1A_EEDaS15_S16_EUlS15_E_NS1_11comp_targetILNS1_3genE4ELNS1_11target_archE910ELNS1_3gpuE8ELNS1_3repE0EEENS1_30default_config_static_selectorELNS0_4arch9wavefront6targetE1EEEvT1_ ; -- Begin function _ZN7rocprim17ROCPRIM_400000_NS6detail17trampoline_kernelINS0_14default_configENS1_25partition_config_selectorILNS1_17partition_subalgoE8ExNS0_10empty_typeEbEEZZNS1_14partition_implILS5_8ELb0ES3_jN6thrust23THRUST_200600_302600_NS6detail15normal_iteratorINSA_10device_ptrIxEEEEPS6_PKS6_NS0_5tupleIJSF_S6_EEENSJ_IJSG_SG_EEENS0_18inequality_wrapperINSA_8equal_toIxEEEEPmJS6_EEE10hipError_tPvRmT3_T4_T5_T6_T7_T9_mT8_P12ihipStream_tbDpT10_ENKUlT_T0_E_clISt17integral_constantIbLb0EES1A_EEDaS15_S16_EUlS15_E_NS1_11comp_targetILNS1_3genE4ELNS1_11target_archE910ELNS1_3gpuE8ELNS1_3repE0EEENS1_30default_config_static_selectorELNS0_4arch9wavefront6targetE1EEEvT1_
	.globl	_ZN7rocprim17ROCPRIM_400000_NS6detail17trampoline_kernelINS0_14default_configENS1_25partition_config_selectorILNS1_17partition_subalgoE8ExNS0_10empty_typeEbEEZZNS1_14partition_implILS5_8ELb0ES3_jN6thrust23THRUST_200600_302600_NS6detail15normal_iteratorINSA_10device_ptrIxEEEEPS6_PKS6_NS0_5tupleIJSF_S6_EEENSJ_IJSG_SG_EEENS0_18inequality_wrapperINSA_8equal_toIxEEEEPmJS6_EEE10hipError_tPvRmT3_T4_T5_T6_T7_T9_mT8_P12ihipStream_tbDpT10_ENKUlT_T0_E_clISt17integral_constantIbLb0EES1A_EEDaS15_S16_EUlS15_E_NS1_11comp_targetILNS1_3genE4ELNS1_11target_archE910ELNS1_3gpuE8ELNS1_3repE0EEENS1_30default_config_static_selectorELNS0_4arch9wavefront6targetE1EEEvT1_
	.p2align	8
	.type	_ZN7rocprim17ROCPRIM_400000_NS6detail17trampoline_kernelINS0_14default_configENS1_25partition_config_selectorILNS1_17partition_subalgoE8ExNS0_10empty_typeEbEEZZNS1_14partition_implILS5_8ELb0ES3_jN6thrust23THRUST_200600_302600_NS6detail15normal_iteratorINSA_10device_ptrIxEEEEPS6_PKS6_NS0_5tupleIJSF_S6_EEENSJ_IJSG_SG_EEENS0_18inequality_wrapperINSA_8equal_toIxEEEEPmJS6_EEE10hipError_tPvRmT3_T4_T5_T6_T7_T9_mT8_P12ihipStream_tbDpT10_ENKUlT_T0_E_clISt17integral_constantIbLb0EES1A_EEDaS15_S16_EUlS15_E_NS1_11comp_targetILNS1_3genE4ELNS1_11target_archE910ELNS1_3gpuE8ELNS1_3repE0EEENS1_30default_config_static_selectorELNS0_4arch9wavefront6targetE1EEEvT1_,@function
_ZN7rocprim17ROCPRIM_400000_NS6detail17trampoline_kernelINS0_14default_configENS1_25partition_config_selectorILNS1_17partition_subalgoE8ExNS0_10empty_typeEbEEZZNS1_14partition_implILS5_8ELb0ES3_jN6thrust23THRUST_200600_302600_NS6detail15normal_iteratorINSA_10device_ptrIxEEEEPS6_PKS6_NS0_5tupleIJSF_S6_EEENSJ_IJSG_SG_EEENS0_18inequality_wrapperINSA_8equal_toIxEEEEPmJS6_EEE10hipError_tPvRmT3_T4_T5_T6_T7_T9_mT8_P12ihipStream_tbDpT10_ENKUlT_T0_E_clISt17integral_constantIbLb0EES1A_EEDaS15_S16_EUlS15_E_NS1_11comp_targetILNS1_3genE4ELNS1_11target_archE910ELNS1_3gpuE8ELNS1_3repE0EEENS1_30default_config_static_selectorELNS0_4arch9wavefront6targetE1EEEvT1_: ; @_ZN7rocprim17ROCPRIM_400000_NS6detail17trampoline_kernelINS0_14default_configENS1_25partition_config_selectorILNS1_17partition_subalgoE8ExNS0_10empty_typeEbEEZZNS1_14partition_implILS5_8ELb0ES3_jN6thrust23THRUST_200600_302600_NS6detail15normal_iteratorINSA_10device_ptrIxEEEEPS6_PKS6_NS0_5tupleIJSF_S6_EEENSJ_IJSG_SG_EEENS0_18inequality_wrapperINSA_8equal_toIxEEEEPmJS6_EEE10hipError_tPvRmT3_T4_T5_T6_T7_T9_mT8_P12ihipStream_tbDpT10_ENKUlT_T0_E_clISt17integral_constantIbLb0EES1A_EEDaS15_S16_EUlS15_E_NS1_11comp_targetILNS1_3genE4ELNS1_11target_archE910ELNS1_3gpuE8ELNS1_3repE0EEENS1_30default_config_static_selectorELNS0_4arch9wavefront6targetE1EEEvT1_
; %bb.0:
	.section	.rodata,"a",@progbits
	.p2align	6, 0x0
	.amdhsa_kernel _ZN7rocprim17ROCPRIM_400000_NS6detail17trampoline_kernelINS0_14default_configENS1_25partition_config_selectorILNS1_17partition_subalgoE8ExNS0_10empty_typeEbEEZZNS1_14partition_implILS5_8ELb0ES3_jN6thrust23THRUST_200600_302600_NS6detail15normal_iteratorINSA_10device_ptrIxEEEEPS6_PKS6_NS0_5tupleIJSF_S6_EEENSJ_IJSG_SG_EEENS0_18inequality_wrapperINSA_8equal_toIxEEEEPmJS6_EEE10hipError_tPvRmT3_T4_T5_T6_T7_T9_mT8_P12ihipStream_tbDpT10_ENKUlT_T0_E_clISt17integral_constantIbLb0EES1A_EEDaS15_S16_EUlS15_E_NS1_11comp_targetILNS1_3genE4ELNS1_11target_archE910ELNS1_3gpuE8ELNS1_3repE0EEENS1_30default_config_static_selectorELNS0_4arch9wavefront6targetE1EEEvT1_
		.amdhsa_group_segment_fixed_size 0
		.amdhsa_private_segment_fixed_size 0
		.amdhsa_kernarg_size 112
		.amdhsa_user_sgpr_count 6
		.amdhsa_user_sgpr_private_segment_buffer 1
		.amdhsa_user_sgpr_dispatch_ptr 0
		.amdhsa_user_sgpr_queue_ptr 0
		.amdhsa_user_sgpr_kernarg_segment_ptr 1
		.amdhsa_user_sgpr_dispatch_id 0
		.amdhsa_user_sgpr_flat_scratch_init 0
		.amdhsa_user_sgpr_private_segment_size 0
		.amdhsa_uses_dynamic_stack 0
		.amdhsa_system_sgpr_private_segment_wavefront_offset 0
		.amdhsa_system_sgpr_workgroup_id_x 1
		.amdhsa_system_sgpr_workgroup_id_y 0
		.amdhsa_system_sgpr_workgroup_id_z 0
		.amdhsa_system_sgpr_workgroup_info 0
		.amdhsa_system_vgpr_workitem_id 0
		.amdhsa_next_free_vgpr 1
		.amdhsa_next_free_sgpr 0
		.amdhsa_reserve_vcc 0
		.amdhsa_reserve_flat_scratch 0
		.amdhsa_float_round_mode_32 0
		.amdhsa_float_round_mode_16_64 0
		.amdhsa_float_denorm_mode_32 3
		.amdhsa_float_denorm_mode_16_64 3
		.amdhsa_dx10_clamp 1
		.amdhsa_ieee_mode 1
		.amdhsa_fp16_overflow 0
		.amdhsa_exception_fp_ieee_invalid_op 0
		.amdhsa_exception_fp_denorm_src 0
		.amdhsa_exception_fp_ieee_div_zero 0
		.amdhsa_exception_fp_ieee_overflow 0
		.amdhsa_exception_fp_ieee_underflow 0
		.amdhsa_exception_fp_ieee_inexact 0
		.amdhsa_exception_int_div_zero 0
	.end_amdhsa_kernel
	.section	.text._ZN7rocprim17ROCPRIM_400000_NS6detail17trampoline_kernelINS0_14default_configENS1_25partition_config_selectorILNS1_17partition_subalgoE8ExNS0_10empty_typeEbEEZZNS1_14partition_implILS5_8ELb0ES3_jN6thrust23THRUST_200600_302600_NS6detail15normal_iteratorINSA_10device_ptrIxEEEEPS6_PKS6_NS0_5tupleIJSF_S6_EEENSJ_IJSG_SG_EEENS0_18inequality_wrapperINSA_8equal_toIxEEEEPmJS6_EEE10hipError_tPvRmT3_T4_T5_T6_T7_T9_mT8_P12ihipStream_tbDpT10_ENKUlT_T0_E_clISt17integral_constantIbLb0EES1A_EEDaS15_S16_EUlS15_E_NS1_11comp_targetILNS1_3genE4ELNS1_11target_archE910ELNS1_3gpuE8ELNS1_3repE0EEENS1_30default_config_static_selectorELNS0_4arch9wavefront6targetE1EEEvT1_,"axG",@progbits,_ZN7rocprim17ROCPRIM_400000_NS6detail17trampoline_kernelINS0_14default_configENS1_25partition_config_selectorILNS1_17partition_subalgoE8ExNS0_10empty_typeEbEEZZNS1_14partition_implILS5_8ELb0ES3_jN6thrust23THRUST_200600_302600_NS6detail15normal_iteratorINSA_10device_ptrIxEEEEPS6_PKS6_NS0_5tupleIJSF_S6_EEENSJ_IJSG_SG_EEENS0_18inequality_wrapperINSA_8equal_toIxEEEEPmJS6_EEE10hipError_tPvRmT3_T4_T5_T6_T7_T9_mT8_P12ihipStream_tbDpT10_ENKUlT_T0_E_clISt17integral_constantIbLb0EES1A_EEDaS15_S16_EUlS15_E_NS1_11comp_targetILNS1_3genE4ELNS1_11target_archE910ELNS1_3gpuE8ELNS1_3repE0EEENS1_30default_config_static_selectorELNS0_4arch9wavefront6targetE1EEEvT1_,comdat
.Lfunc_end342:
	.size	_ZN7rocprim17ROCPRIM_400000_NS6detail17trampoline_kernelINS0_14default_configENS1_25partition_config_selectorILNS1_17partition_subalgoE8ExNS0_10empty_typeEbEEZZNS1_14partition_implILS5_8ELb0ES3_jN6thrust23THRUST_200600_302600_NS6detail15normal_iteratorINSA_10device_ptrIxEEEEPS6_PKS6_NS0_5tupleIJSF_S6_EEENSJ_IJSG_SG_EEENS0_18inequality_wrapperINSA_8equal_toIxEEEEPmJS6_EEE10hipError_tPvRmT3_T4_T5_T6_T7_T9_mT8_P12ihipStream_tbDpT10_ENKUlT_T0_E_clISt17integral_constantIbLb0EES1A_EEDaS15_S16_EUlS15_E_NS1_11comp_targetILNS1_3genE4ELNS1_11target_archE910ELNS1_3gpuE8ELNS1_3repE0EEENS1_30default_config_static_selectorELNS0_4arch9wavefront6targetE1EEEvT1_, .Lfunc_end342-_ZN7rocprim17ROCPRIM_400000_NS6detail17trampoline_kernelINS0_14default_configENS1_25partition_config_selectorILNS1_17partition_subalgoE8ExNS0_10empty_typeEbEEZZNS1_14partition_implILS5_8ELb0ES3_jN6thrust23THRUST_200600_302600_NS6detail15normal_iteratorINSA_10device_ptrIxEEEEPS6_PKS6_NS0_5tupleIJSF_S6_EEENSJ_IJSG_SG_EEENS0_18inequality_wrapperINSA_8equal_toIxEEEEPmJS6_EEE10hipError_tPvRmT3_T4_T5_T6_T7_T9_mT8_P12ihipStream_tbDpT10_ENKUlT_T0_E_clISt17integral_constantIbLb0EES1A_EEDaS15_S16_EUlS15_E_NS1_11comp_targetILNS1_3genE4ELNS1_11target_archE910ELNS1_3gpuE8ELNS1_3repE0EEENS1_30default_config_static_selectorELNS0_4arch9wavefront6targetE1EEEvT1_
                                        ; -- End function
	.set _ZN7rocprim17ROCPRIM_400000_NS6detail17trampoline_kernelINS0_14default_configENS1_25partition_config_selectorILNS1_17partition_subalgoE8ExNS0_10empty_typeEbEEZZNS1_14partition_implILS5_8ELb0ES3_jN6thrust23THRUST_200600_302600_NS6detail15normal_iteratorINSA_10device_ptrIxEEEEPS6_PKS6_NS0_5tupleIJSF_S6_EEENSJ_IJSG_SG_EEENS0_18inequality_wrapperINSA_8equal_toIxEEEEPmJS6_EEE10hipError_tPvRmT3_T4_T5_T6_T7_T9_mT8_P12ihipStream_tbDpT10_ENKUlT_T0_E_clISt17integral_constantIbLb0EES1A_EEDaS15_S16_EUlS15_E_NS1_11comp_targetILNS1_3genE4ELNS1_11target_archE910ELNS1_3gpuE8ELNS1_3repE0EEENS1_30default_config_static_selectorELNS0_4arch9wavefront6targetE1EEEvT1_.num_vgpr, 0
	.set _ZN7rocprim17ROCPRIM_400000_NS6detail17trampoline_kernelINS0_14default_configENS1_25partition_config_selectorILNS1_17partition_subalgoE8ExNS0_10empty_typeEbEEZZNS1_14partition_implILS5_8ELb0ES3_jN6thrust23THRUST_200600_302600_NS6detail15normal_iteratorINSA_10device_ptrIxEEEEPS6_PKS6_NS0_5tupleIJSF_S6_EEENSJ_IJSG_SG_EEENS0_18inequality_wrapperINSA_8equal_toIxEEEEPmJS6_EEE10hipError_tPvRmT3_T4_T5_T6_T7_T9_mT8_P12ihipStream_tbDpT10_ENKUlT_T0_E_clISt17integral_constantIbLb0EES1A_EEDaS15_S16_EUlS15_E_NS1_11comp_targetILNS1_3genE4ELNS1_11target_archE910ELNS1_3gpuE8ELNS1_3repE0EEENS1_30default_config_static_selectorELNS0_4arch9wavefront6targetE1EEEvT1_.num_agpr, 0
	.set _ZN7rocprim17ROCPRIM_400000_NS6detail17trampoline_kernelINS0_14default_configENS1_25partition_config_selectorILNS1_17partition_subalgoE8ExNS0_10empty_typeEbEEZZNS1_14partition_implILS5_8ELb0ES3_jN6thrust23THRUST_200600_302600_NS6detail15normal_iteratorINSA_10device_ptrIxEEEEPS6_PKS6_NS0_5tupleIJSF_S6_EEENSJ_IJSG_SG_EEENS0_18inequality_wrapperINSA_8equal_toIxEEEEPmJS6_EEE10hipError_tPvRmT3_T4_T5_T6_T7_T9_mT8_P12ihipStream_tbDpT10_ENKUlT_T0_E_clISt17integral_constantIbLb0EES1A_EEDaS15_S16_EUlS15_E_NS1_11comp_targetILNS1_3genE4ELNS1_11target_archE910ELNS1_3gpuE8ELNS1_3repE0EEENS1_30default_config_static_selectorELNS0_4arch9wavefront6targetE1EEEvT1_.numbered_sgpr, 0
	.set _ZN7rocprim17ROCPRIM_400000_NS6detail17trampoline_kernelINS0_14default_configENS1_25partition_config_selectorILNS1_17partition_subalgoE8ExNS0_10empty_typeEbEEZZNS1_14partition_implILS5_8ELb0ES3_jN6thrust23THRUST_200600_302600_NS6detail15normal_iteratorINSA_10device_ptrIxEEEEPS6_PKS6_NS0_5tupleIJSF_S6_EEENSJ_IJSG_SG_EEENS0_18inequality_wrapperINSA_8equal_toIxEEEEPmJS6_EEE10hipError_tPvRmT3_T4_T5_T6_T7_T9_mT8_P12ihipStream_tbDpT10_ENKUlT_T0_E_clISt17integral_constantIbLb0EES1A_EEDaS15_S16_EUlS15_E_NS1_11comp_targetILNS1_3genE4ELNS1_11target_archE910ELNS1_3gpuE8ELNS1_3repE0EEENS1_30default_config_static_selectorELNS0_4arch9wavefront6targetE1EEEvT1_.num_named_barrier, 0
	.set _ZN7rocprim17ROCPRIM_400000_NS6detail17trampoline_kernelINS0_14default_configENS1_25partition_config_selectorILNS1_17partition_subalgoE8ExNS0_10empty_typeEbEEZZNS1_14partition_implILS5_8ELb0ES3_jN6thrust23THRUST_200600_302600_NS6detail15normal_iteratorINSA_10device_ptrIxEEEEPS6_PKS6_NS0_5tupleIJSF_S6_EEENSJ_IJSG_SG_EEENS0_18inequality_wrapperINSA_8equal_toIxEEEEPmJS6_EEE10hipError_tPvRmT3_T4_T5_T6_T7_T9_mT8_P12ihipStream_tbDpT10_ENKUlT_T0_E_clISt17integral_constantIbLb0EES1A_EEDaS15_S16_EUlS15_E_NS1_11comp_targetILNS1_3genE4ELNS1_11target_archE910ELNS1_3gpuE8ELNS1_3repE0EEENS1_30default_config_static_selectorELNS0_4arch9wavefront6targetE1EEEvT1_.private_seg_size, 0
	.set _ZN7rocprim17ROCPRIM_400000_NS6detail17trampoline_kernelINS0_14default_configENS1_25partition_config_selectorILNS1_17partition_subalgoE8ExNS0_10empty_typeEbEEZZNS1_14partition_implILS5_8ELb0ES3_jN6thrust23THRUST_200600_302600_NS6detail15normal_iteratorINSA_10device_ptrIxEEEEPS6_PKS6_NS0_5tupleIJSF_S6_EEENSJ_IJSG_SG_EEENS0_18inequality_wrapperINSA_8equal_toIxEEEEPmJS6_EEE10hipError_tPvRmT3_T4_T5_T6_T7_T9_mT8_P12ihipStream_tbDpT10_ENKUlT_T0_E_clISt17integral_constantIbLb0EES1A_EEDaS15_S16_EUlS15_E_NS1_11comp_targetILNS1_3genE4ELNS1_11target_archE910ELNS1_3gpuE8ELNS1_3repE0EEENS1_30default_config_static_selectorELNS0_4arch9wavefront6targetE1EEEvT1_.uses_vcc, 0
	.set _ZN7rocprim17ROCPRIM_400000_NS6detail17trampoline_kernelINS0_14default_configENS1_25partition_config_selectorILNS1_17partition_subalgoE8ExNS0_10empty_typeEbEEZZNS1_14partition_implILS5_8ELb0ES3_jN6thrust23THRUST_200600_302600_NS6detail15normal_iteratorINSA_10device_ptrIxEEEEPS6_PKS6_NS0_5tupleIJSF_S6_EEENSJ_IJSG_SG_EEENS0_18inequality_wrapperINSA_8equal_toIxEEEEPmJS6_EEE10hipError_tPvRmT3_T4_T5_T6_T7_T9_mT8_P12ihipStream_tbDpT10_ENKUlT_T0_E_clISt17integral_constantIbLb0EES1A_EEDaS15_S16_EUlS15_E_NS1_11comp_targetILNS1_3genE4ELNS1_11target_archE910ELNS1_3gpuE8ELNS1_3repE0EEENS1_30default_config_static_selectorELNS0_4arch9wavefront6targetE1EEEvT1_.uses_flat_scratch, 0
	.set _ZN7rocprim17ROCPRIM_400000_NS6detail17trampoline_kernelINS0_14default_configENS1_25partition_config_selectorILNS1_17partition_subalgoE8ExNS0_10empty_typeEbEEZZNS1_14partition_implILS5_8ELb0ES3_jN6thrust23THRUST_200600_302600_NS6detail15normal_iteratorINSA_10device_ptrIxEEEEPS6_PKS6_NS0_5tupleIJSF_S6_EEENSJ_IJSG_SG_EEENS0_18inequality_wrapperINSA_8equal_toIxEEEEPmJS6_EEE10hipError_tPvRmT3_T4_T5_T6_T7_T9_mT8_P12ihipStream_tbDpT10_ENKUlT_T0_E_clISt17integral_constantIbLb0EES1A_EEDaS15_S16_EUlS15_E_NS1_11comp_targetILNS1_3genE4ELNS1_11target_archE910ELNS1_3gpuE8ELNS1_3repE0EEENS1_30default_config_static_selectorELNS0_4arch9wavefront6targetE1EEEvT1_.has_dyn_sized_stack, 0
	.set _ZN7rocprim17ROCPRIM_400000_NS6detail17trampoline_kernelINS0_14default_configENS1_25partition_config_selectorILNS1_17partition_subalgoE8ExNS0_10empty_typeEbEEZZNS1_14partition_implILS5_8ELb0ES3_jN6thrust23THRUST_200600_302600_NS6detail15normal_iteratorINSA_10device_ptrIxEEEEPS6_PKS6_NS0_5tupleIJSF_S6_EEENSJ_IJSG_SG_EEENS0_18inequality_wrapperINSA_8equal_toIxEEEEPmJS6_EEE10hipError_tPvRmT3_T4_T5_T6_T7_T9_mT8_P12ihipStream_tbDpT10_ENKUlT_T0_E_clISt17integral_constantIbLb0EES1A_EEDaS15_S16_EUlS15_E_NS1_11comp_targetILNS1_3genE4ELNS1_11target_archE910ELNS1_3gpuE8ELNS1_3repE0EEENS1_30default_config_static_selectorELNS0_4arch9wavefront6targetE1EEEvT1_.has_recursion, 0
	.set _ZN7rocprim17ROCPRIM_400000_NS6detail17trampoline_kernelINS0_14default_configENS1_25partition_config_selectorILNS1_17partition_subalgoE8ExNS0_10empty_typeEbEEZZNS1_14partition_implILS5_8ELb0ES3_jN6thrust23THRUST_200600_302600_NS6detail15normal_iteratorINSA_10device_ptrIxEEEEPS6_PKS6_NS0_5tupleIJSF_S6_EEENSJ_IJSG_SG_EEENS0_18inequality_wrapperINSA_8equal_toIxEEEEPmJS6_EEE10hipError_tPvRmT3_T4_T5_T6_T7_T9_mT8_P12ihipStream_tbDpT10_ENKUlT_T0_E_clISt17integral_constantIbLb0EES1A_EEDaS15_S16_EUlS15_E_NS1_11comp_targetILNS1_3genE4ELNS1_11target_archE910ELNS1_3gpuE8ELNS1_3repE0EEENS1_30default_config_static_selectorELNS0_4arch9wavefront6targetE1EEEvT1_.has_indirect_call, 0
	.section	.AMDGPU.csdata,"",@progbits
; Kernel info:
; codeLenInByte = 0
; TotalNumSgprs: 4
; NumVgprs: 0
; ScratchSize: 0
; MemoryBound: 0
; FloatMode: 240
; IeeeMode: 1
; LDSByteSize: 0 bytes/workgroup (compile time only)
; SGPRBlocks: 0
; VGPRBlocks: 0
; NumSGPRsForWavesPerEU: 4
; NumVGPRsForWavesPerEU: 1
; Occupancy: 10
; WaveLimiterHint : 0
; COMPUTE_PGM_RSRC2:SCRATCH_EN: 0
; COMPUTE_PGM_RSRC2:USER_SGPR: 6
; COMPUTE_PGM_RSRC2:TRAP_HANDLER: 0
; COMPUTE_PGM_RSRC2:TGID_X_EN: 1
; COMPUTE_PGM_RSRC2:TGID_Y_EN: 0
; COMPUTE_PGM_RSRC2:TGID_Z_EN: 0
; COMPUTE_PGM_RSRC2:TIDIG_COMP_CNT: 0
	.section	.text._ZN7rocprim17ROCPRIM_400000_NS6detail17trampoline_kernelINS0_14default_configENS1_25partition_config_selectorILNS1_17partition_subalgoE8ExNS0_10empty_typeEbEEZZNS1_14partition_implILS5_8ELb0ES3_jN6thrust23THRUST_200600_302600_NS6detail15normal_iteratorINSA_10device_ptrIxEEEEPS6_PKS6_NS0_5tupleIJSF_S6_EEENSJ_IJSG_SG_EEENS0_18inequality_wrapperINSA_8equal_toIxEEEEPmJS6_EEE10hipError_tPvRmT3_T4_T5_T6_T7_T9_mT8_P12ihipStream_tbDpT10_ENKUlT_T0_E_clISt17integral_constantIbLb0EES1A_EEDaS15_S16_EUlS15_E_NS1_11comp_targetILNS1_3genE3ELNS1_11target_archE908ELNS1_3gpuE7ELNS1_3repE0EEENS1_30default_config_static_selectorELNS0_4arch9wavefront6targetE1EEEvT1_,"axG",@progbits,_ZN7rocprim17ROCPRIM_400000_NS6detail17trampoline_kernelINS0_14default_configENS1_25partition_config_selectorILNS1_17partition_subalgoE8ExNS0_10empty_typeEbEEZZNS1_14partition_implILS5_8ELb0ES3_jN6thrust23THRUST_200600_302600_NS6detail15normal_iteratorINSA_10device_ptrIxEEEEPS6_PKS6_NS0_5tupleIJSF_S6_EEENSJ_IJSG_SG_EEENS0_18inequality_wrapperINSA_8equal_toIxEEEEPmJS6_EEE10hipError_tPvRmT3_T4_T5_T6_T7_T9_mT8_P12ihipStream_tbDpT10_ENKUlT_T0_E_clISt17integral_constantIbLb0EES1A_EEDaS15_S16_EUlS15_E_NS1_11comp_targetILNS1_3genE3ELNS1_11target_archE908ELNS1_3gpuE7ELNS1_3repE0EEENS1_30default_config_static_selectorELNS0_4arch9wavefront6targetE1EEEvT1_,comdat
	.protected	_ZN7rocprim17ROCPRIM_400000_NS6detail17trampoline_kernelINS0_14default_configENS1_25partition_config_selectorILNS1_17partition_subalgoE8ExNS0_10empty_typeEbEEZZNS1_14partition_implILS5_8ELb0ES3_jN6thrust23THRUST_200600_302600_NS6detail15normal_iteratorINSA_10device_ptrIxEEEEPS6_PKS6_NS0_5tupleIJSF_S6_EEENSJ_IJSG_SG_EEENS0_18inequality_wrapperINSA_8equal_toIxEEEEPmJS6_EEE10hipError_tPvRmT3_T4_T5_T6_T7_T9_mT8_P12ihipStream_tbDpT10_ENKUlT_T0_E_clISt17integral_constantIbLb0EES1A_EEDaS15_S16_EUlS15_E_NS1_11comp_targetILNS1_3genE3ELNS1_11target_archE908ELNS1_3gpuE7ELNS1_3repE0EEENS1_30default_config_static_selectorELNS0_4arch9wavefront6targetE1EEEvT1_ ; -- Begin function _ZN7rocprim17ROCPRIM_400000_NS6detail17trampoline_kernelINS0_14default_configENS1_25partition_config_selectorILNS1_17partition_subalgoE8ExNS0_10empty_typeEbEEZZNS1_14partition_implILS5_8ELb0ES3_jN6thrust23THRUST_200600_302600_NS6detail15normal_iteratorINSA_10device_ptrIxEEEEPS6_PKS6_NS0_5tupleIJSF_S6_EEENSJ_IJSG_SG_EEENS0_18inequality_wrapperINSA_8equal_toIxEEEEPmJS6_EEE10hipError_tPvRmT3_T4_T5_T6_T7_T9_mT8_P12ihipStream_tbDpT10_ENKUlT_T0_E_clISt17integral_constantIbLb0EES1A_EEDaS15_S16_EUlS15_E_NS1_11comp_targetILNS1_3genE3ELNS1_11target_archE908ELNS1_3gpuE7ELNS1_3repE0EEENS1_30default_config_static_selectorELNS0_4arch9wavefront6targetE1EEEvT1_
	.globl	_ZN7rocprim17ROCPRIM_400000_NS6detail17trampoline_kernelINS0_14default_configENS1_25partition_config_selectorILNS1_17partition_subalgoE8ExNS0_10empty_typeEbEEZZNS1_14partition_implILS5_8ELb0ES3_jN6thrust23THRUST_200600_302600_NS6detail15normal_iteratorINSA_10device_ptrIxEEEEPS6_PKS6_NS0_5tupleIJSF_S6_EEENSJ_IJSG_SG_EEENS0_18inequality_wrapperINSA_8equal_toIxEEEEPmJS6_EEE10hipError_tPvRmT3_T4_T5_T6_T7_T9_mT8_P12ihipStream_tbDpT10_ENKUlT_T0_E_clISt17integral_constantIbLb0EES1A_EEDaS15_S16_EUlS15_E_NS1_11comp_targetILNS1_3genE3ELNS1_11target_archE908ELNS1_3gpuE7ELNS1_3repE0EEENS1_30default_config_static_selectorELNS0_4arch9wavefront6targetE1EEEvT1_
	.p2align	8
	.type	_ZN7rocprim17ROCPRIM_400000_NS6detail17trampoline_kernelINS0_14default_configENS1_25partition_config_selectorILNS1_17partition_subalgoE8ExNS0_10empty_typeEbEEZZNS1_14partition_implILS5_8ELb0ES3_jN6thrust23THRUST_200600_302600_NS6detail15normal_iteratorINSA_10device_ptrIxEEEEPS6_PKS6_NS0_5tupleIJSF_S6_EEENSJ_IJSG_SG_EEENS0_18inequality_wrapperINSA_8equal_toIxEEEEPmJS6_EEE10hipError_tPvRmT3_T4_T5_T6_T7_T9_mT8_P12ihipStream_tbDpT10_ENKUlT_T0_E_clISt17integral_constantIbLb0EES1A_EEDaS15_S16_EUlS15_E_NS1_11comp_targetILNS1_3genE3ELNS1_11target_archE908ELNS1_3gpuE7ELNS1_3repE0EEENS1_30default_config_static_selectorELNS0_4arch9wavefront6targetE1EEEvT1_,@function
_ZN7rocprim17ROCPRIM_400000_NS6detail17trampoline_kernelINS0_14default_configENS1_25partition_config_selectorILNS1_17partition_subalgoE8ExNS0_10empty_typeEbEEZZNS1_14partition_implILS5_8ELb0ES3_jN6thrust23THRUST_200600_302600_NS6detail15normal_iteratorINSA_10device_ptrIxEEEEPS6_PKS6_NS0_5tupleIJSF_S6_EEENSJ_IJSG_SG_EEENS0_18inequality_wrapperINSA_8equal_toIxEEEEPmJS6_EEE10hipError_tPvRmT3_T4_T5_T6_T7_T9_mT8_P12ihipStream_tbDpT10_ENKUlT_T0_E_clISt17integral_constantIbLb0EES1A_EEDaS15_S16_EUlS15_E_NS1_11comp_targetILNS1_3genE3ELNS1_11target_archE908ELNS1_3gpuE7ELNS1_3repE0EEENS1_30default_config_static_selectorELNS0_4arch9wavefront6targetE1EEEvT1_: ; @_ZN7rocprim17ROCPRIM_400000_NS6detail17trampoline_kernelINS0_14default_configENS1_25partition_config_selectorILNS1_17partition_subalgoE8ExNS0_10empty_typeEbEEZZNS1_14partition_implILS5_8ELb0ES3_jN6thrust23THRUST_200600_302600_NS6detail15normal_iteratorINSA_10device_ptrIxEEEEPS6_PKS6_NS0_5tupleIJSF_S6_EEENSJ_IJSG_SG_EEENS0_18inequality_wrapperINSA_8equal_toIxEEEEPmJS6_EEE10hipError_tPvRmT3_T4_T5_T6_T7_T9_mT8_P12ihipStream_tbDpT10_ENKUlT_T0_E_clISt17integral_constantIbLb0EES1A_EEDaS15_S16_EUlS15_E_NS1_11comp_targetILNS1_3genE3ELNS1_11target_archE908ELNS1_3gpuE7ELNS1_3repE0EEENS1_30default_config_static_selectorELNS0_4arch9wavefront6targetE1EEEvT1_
; %bb.0:
	.section	.rodata,"a",@progbits
	.p2align	6, 0x0
	.amdhsa_kernel _ZN7rocprim17ROCPRIM_400000_NS6detail17trampoline_kernelINS0_14default_configENS1_25partition_config_selectorILNS1_17partition_subalgoE8ExNS0_10empty_typeEbEEZZNS1_14partition_implILS5_8ELb0ES3_jN6thrust23THRUST_200600_302600_NS6detail15normal_iteratorINSA_10device_ptrIxEEEEPS6_PKS6_NS0_5tupleIJSF_S6_EEENSJ_IJSG_SG_EEENS0_18inequality_wrapperINSA_8equal_toIxEEEEPmJS6_EEE10hipError_tPvRmT3_T4_T5_T6_T7_T9_mT8_P12ihipStream_tbDpT10_ENKUlT_T0_E_clISt17integral_constantIbLb0EES1A_EEDaS15_S16_EUlS15_E_NS1_11comp_targetILNS1_3genE3ELNS1_11target_archE908ELNS1_3gpuE7ELNS1_3repE0EEENS1_30default_config_static_selectorELNS0_4arch9wavefront6targetE1EEEvT1_
		.amdhsa_group_segment_fixed_size 0
		.amdhsa_private_segment_fixed_size 0
		.amdhsa_kernarg_size 112
		.amdhsa_user_sgpr_count 6
		.amdhsa_user_sgpr_private_segment_buffer 1
		.amdhsa_user_sgpr_dispatch_ptr 0
		.amdhsa_user_sgpr_queue_ptr 0
		.amdhsa_user_sgpr_kernarg_segment_ptr 1
		.amdhsa_user_sgpr_dispatch_id 0
		.amdhsa_user_sgpr_flat_scratch_init 0
		.amdhsa_user_sgpr_private_segment_size 0
		.amdhsa_uses_dynamic_stack 0
		.amdhsa_system_sgpr_private_segment_wavefront_offset 0
		.amdhsa_system_sgpr_workgroup_id_x 1
		.amdhsa_system_sgpr_workgroup_id_y 0
		.amdhsa_system_sgpr_workgroup_id_z 0
		.amdhsa_system_sgpr_workgroup_info 0
		.amdhsa_system_vgpr_workitem_id 0
		.amdhsa_next_free_vgpr 1
		.amdhsa_next_free_sgpr 0
		.amdhsa_reserve_vcc 0
		.amdhsa_reserve_flat_scratch 0
		.amdhsa_float_round_mode_32 0
		.amdhsa_float_round_mode_16_64 0
		.amdhsa_float_denorm_mode_32 3
		.amdhsa_float_denorm_mode_16_64 3
		.amdhsa_dx10_clamp 1
		.amdhsa_ieee_mode 1
		.amdhsa_fp16_overflow 0
		.amdhsa_exception_fp_ieee_invalid_op 0
		.amdhsa_exception_fp_denorm_src 0
		.amdhsa_exception_fp_ieee_div_zero 0
		.amdhsa_exception_fp_ieee_overflow 0
		.amdhsa_exception_fp_ieee_underflow 0
		.amdhsa_exception_fp_ieee_inexact 0
		.amdhsa_exception_int_div_zero 0
	.end_amdhsa_kernel
	.section	.text._ZN7rocprim17ROCPRIM_400000_NS6detail17trampoline_kernelINS0_14default_configENS1_25partition_config_selectorILNS1_17partition_subalgoE8ExNS0_10empty_typeEbEEZZNS1_14partition_implILS5_8ELb0ES3_jN6thrust23THRUST_200600_302600_NS6detail15normal_iteratorINSA_10device_ptrIxEEEEPS6_PKS6_NS0_5tupleIJSF_S6_EEENSJ_IJSG_SG_EEENS0_18inequality_wrapperINSA_8equal_toIxEEEEPmJS6_EEE10hipError_tPvRmT3_T4_T5_T6_T7_T9_mT8_P12ihipStream_tbDpT10_ENKUlT_T0_E_clISt17integral_constantIbLb0EES1A_EEDaS15_S16_EUlS15_E_NS1_11comp_targetILNS1_3genE3ELNS1_11target_archE908ELNS1_3gpuE7ELNS1_3repE0EEENS1_30default_config_static_selectorELNS0_4arch9wavefront6targetE1EEEvT1_,"axG",@progbits,_ZN7rocprim17ROCPRIM_400000_NS6detail17trampoline_kernelINS0_14default_configENS1_25partition_config_selectorILNS1_17partition_subalgoE8ExNS0_10empty_typeEbEEZZNS1_14partition_implILS5_8ELb0ES3_jN6thrust23THRUST_200600_302600_NS6detail15normal_iteratorINSA_10device_ptrIxEEEEPS6_PKS6_NS0_5tupleIJSF_S6_EEENSJ_IJSG_SG_EEENS0_18inequality_wrapperINSA_8equal_toIxEEEEPmJS6_EEE10hipError_tPvRmT3_T4_T5_T6_T7_T9_mT8_P12ihipStream_tbDpT10_ENKUlT_T0_E_clISt17integral_constantIbLb0EES1A_EEDaS15_S16_EUlS15_E_NS1_11comp_targetILNS1_3genE3ELNS1_11target_archE908ELNS1_3gpuE7ELNS1_3repE0EEENS1_30default_config_static_selectorELNS0_4arch9wavefront6targetE1EEEvT1_,comdat
.Lfunc_end343:
	.size	_ZN7rocprim17ROCPRIM_400000_NS6detail17trampoline_kernelINS0_14default_configENS1_25partition_config_selectorILNS1_17partition_subalgoE8ExNS0_10empty_typeEbEEZZNS1_14partition_implILS5_8ELb0ES3_jN6thrust23THRUST_200600_302600_NS6detail15normal_iteratorINSA_10device_ptrIxEEEEPS6_PKS6_NS0_5tupleIJSF_S6_EEENSJ_IJSG_SG_EEENS0_18inequality_wrapperINSA_8equal_toIxEEEEPmJS6_EEE10hipError_tPvRmT3_T4_T5_T6_T7_T9_mT8_P12ihipStream_tbDpT10_ENKUlT_T0_E_clISt17integral_constantIbLb0EES1A_EEDaS15_S16_EUlS15_E_NS1_11comp_targetILNS1_3genE3ELNS1_11target_archE908ELNS1_3gpuE7ELNS1_3repE0EEENS1_30default_config_static_selectorELNS0_4arch9wavefront6targetE1EEEvT1_, .Lfunc_end343-_ZN7rocprim17ROCPRIM_400000_NS6detail17trampoline_kernelINS0_14default_configENS1_25partition_config_selectorILNS1_17partition_subalgoE8ExNS0_10empty_typeEbEEZZNS1_14partition_implILS5_8ELb0ES3_jN6thrust23THRUST_200600_302600_NS6detail15normal_iteratorINSA_10device_ptrIxEEEEPS6_PKS6_NS0_5tupleIJSF_S6_EEENSJ_IJSG_SG_EEENS0_18inequality_wrapperINSA_8equal_toIxEEEEPmJS6_EEE10hipError_tPvRmT3_T4_T5_T6_T7_T9_mT8_P12ihipStream_tbDpT10_ENKUlT_T0_E_clISt17integral_constantIbLb0EES1A_EEDaS15_S16_EUlS15_E_NS1_11comp_targetILNS1_3genE3ELNS1_11target_archE908ELNS1_3gpuE7ELNS1_3repE0EEENS1_30default_config_static_selectorELNS0_4arch9wavefront6targetE1EEEvT1_
                                        ; -- End function
	.set _ZN7rocprim17ROCPRIM_400000_NS6detail17trampoline_kernelINS0_14default_configENS1_25partition_config_selectorILNS1_17partition_subalgoE8ExNS0_10empty_typeEbEEZZNS1_14partition_implILS5_8ELb0ES3_jN6thrust23THRUST_200600_302600_NS6detail15normal_iteratorINSA_10device_ptrIxEEEEPS6_PKS6_NS0_5tupleIJSF_S6_EEENSJ_IJSG_SG_EEENS0_18inequality_wrapperINSA_8equal_toIxEEEEPmJS6_EEE10hipError_tPvRmT3_T4_T5_T6_T7_T9_mT8_P12ihipStream_tbDpT10_ENKUlT_T0_E_clISt17integral_constantIbLb0EES1A_EEDaS15_S16_EUlS15_E_NS1_11comp_targetILNS1_3genE3ELNS1_11target_archE908ELNS1_3gpuE7ELNS1_3repE0EEENS1_30default_config_static_selectorELNS0_4arch9wavefront6targetE1EEEvT1_.num_vgpr, 0
	.set _ZN7rocprim17ROCPRIM_400000_NS6detail17trampoline_kernelINS0_14default_configENS1_25partition_config_selectorILNS1_17partition_subalgoE8ExNS0_10empty_typeEbEEZZNS1_14partition_implILS5_8ELb0ES3_jN6thrust23THRUST_200600_302600_NS6detail15normal_iteratorINSA_10device_ptrIxEEEEPS6_PKS6_NS0_5tupleIJSF_S6_EEENSJ_IJSG_SG_EEENS0_18inequality_wrapperINSA_8equal_toIxEEEEPmJS6_EEE10hipError_tPvRmT3_T4_T5_T6_T7_T9_mT8_P12ihipStream_tbDpT10_ENKUlT_T0_E_clISt17integral_constantIbLb0EES1A_EEDaS15_S16_EUlS15_E_NS1_11comp_targetILNS1_3genE3ELNS1_11target_archE908ELNS1_3gpuE7ELNS1_3repE0EEENS1_30default_config_static_selectorELNS0_4arch9wavefront6targetE1EEEvT1_.num_agpr, 0
	.set _ZN7rocprim17ROCPRIM_400000_NS6detail17trampoline_kernelINS0_14default_configENS1_25partition_config_selectorILNS1_17partition_subalgoE8ExNS0_10empty_typeEbEEZZNS1_14partition_implILS5_8ELb0ES3_jN6thrust23THRUST_200600_302600_NS6detail15normal_iteratorINSA_10device_ptrIxEEEEPS6_PKS6_NS0_5tupleIJSF_S6_EEENSJ_IJSG_SG_EEENS0_18inequality_wrapperINSA_8equal_toIxEEEEPmJS6_EEE10hipError_tPvRmT3_T4_T5_T6_T7_T9_mT8_P12ihipStream_tbDpT10_ENKUlT_T0_E_clISt17integral_constantIbLb0EES1A_EEDaS15_S16_EUlS15_E_NS1_11comp_targetILNS1_3genE3ELNS1_11target_archE908ELNS1_3gpuE7ELNS1_3repE0EEENS1_30default_config_static_selectorELNS0_4arch9wavefront6targetE1EEEvT1_.numbered_sgpr, 0
	.set _ZN7rocprim17ROCPRIM_400000_NS6detail17trampoline_kernelINS0_14default_configENS1_25partition_config_selectorILNS1_17partition_subalgoE8ExNS0_10empty_typeEbEEZZNS1_14partition_implILS5_8ELb0ES3_jN6thrust23THRUST_200600_302600_NS6detail15normal_iteratorINSA_10device_ptrIxEEEEPS6_PKS6_NS0_5tupleIJSF_S6_EEENSJ_IJSG_SG_EEENS0_18inequality_wrapperINSA_8equal_toIxEEEEPmJS6_EEE10hipError_tPvRmT3_T4_T5_T6_T7_T9_mT8_P12ihipStream_tbDpT10_ENKUlT_T0_E_clISt17integral_constantIbLb0EES1A_EEDaS15_S16_EUlS15_E_NS1_11comp_targetILNS1_3genE3ELNS1_11target_archE908ELNS1_3gpuE7ELNS1_3repE0EEENS1_30default_config_static_selectorELNS0_4arch9wavefront6targetE1EEEvT1_.num_named_barrier, 0
	.set _ZN7rocprim17ROCPRIM_400000_NS6detail17trampoline_kernelINS0_14default_configENS1_25partition_config_selectorILNS1_17partition_subalgoE8ExNS0_10empty_typeEbEEZZNS1_14partition_implILS5_8ELb0ES3_jN6thrust23THRUST_200600_302600_NS6detail15normal_iteratorINSA_10device_ptrIxEEEEPS6_PKS6_NS0_5tupleIJSF_S6_EEENSJ_IJSG_SG_EEENS0_18inequality_wrapperINSA_8equal_toIxEEEEPmJS6_EEE10hipError_tPvRmT3_T4_T5_T6_T7_T9_mT8_P12ihipStream_tbDpT10_ENKUlT_T0_E_clISt17integral_constantIbLb0EES1A_EEDaS15_S16_EUlS15_E_NS1_11comp_targetILNS1_3genE3ELNS1_11target_archE908ELNS1_3gpuE7ELNS1_3repE0EEENS1_30default_config_static_selectorELNS0_4arch9wavefront6targetE1EEEvT1_.private_seg_size, 0
	.set _ZN7rocprim17ROCPRIM_400000_NS6detail17trampoline_kernelINS0_14default_configENS1_25partition_config_selectorILNS1_17partition_subalgoE8ExNS0_10empty_typeEbEEZZNS1_14partition_implILS5_8ELb0ES3_jN6thrust23THRUST_200600_302600_NS6detail15normal_iteratorINSA_10device_ptrIxEEEEPS6_PKS6_NS0_5tupleIJSF_S6_EEENSJ_IJSG_SG_EEENS0_18inequality_wrapperINSA_8equal_toIxEEEEPmJS6_EEE10hipError_tPvRmT3_T4_T5_T6_T7_T9_mT8_P12ihipStream_tbDpT10_ENKUlT_T0_E_clISt17integral_constantIbLb0EES1A_EEDaS15_S16_EUlS15_E_NS1_11comp_targetILNS1_3genE3ELNS1_11target_archE908ELNS1_3gpuE7ELNS1_3repE0EEENS1_30default_config_static_selectorELNS0_4arch9wavefront6targetE1EEEvT1_.uses_vcc, 0
	.set _ZN7rocprim17ROCPRIM_400000_NS6detail17trampoline_kernelINS0_14default_configENS1_25partition_config_selectorILNS1_17partition_subalgoE8ExNS0_10empty_typeEbEEZZNS1_14partition_implILS5_8ELb0ES3_jN6thrust23THRUST_200600_302600_NS6detail15normal_iteratorINSA_10device_ptrIxEEEEPS6_PKS6_NS0_5tupleIJSF_S6_EEENSJ_IJSG_SG_EEENS0_18inequality_wrapperINSA_8equal_toIxEEEEPmJS6_EEE10hipError_tPvRmT3_T4_T5_T6_T7_T9_mT8_P12ihipStream_tbDpT10_ENKUlT_T0_E_clISt17integral_constantIbLb0EES1A_EEDaS15_S16_EUlS15_E_NS1_11comp_targetILNS1_3genE3ELNS1_11target_archE908ELNS1_3gpuE7ELNS1_3repE0EEENS1_30default_config_static_selectorELNS0_4arch9wavefront6targetE1EEEvT1_.uses_flat_scratch, 0
	.set _ZN7rocprim17ROCPRIM_400000_NS6detail17trampoline_kernelINS0_14default_configENS1_25partition_config_selectorILNS1_17partition_subalgoE8ExNS0_10empty_typeEbEEZZNS1_14partition_implILS5_8ELb0ES3_jN6thrust23THRUST_200600_302600_NS6detail15normal_iteratorINSA_10device_ptrIxEEEEPS6_PKS6_NS0_5tupleIJSF_S6_EEENSJ_IJSG_SG_EEENS0_18inequality_wrapperINSA_8equal_toIxEEEEPmJS6_EEE10hipError_tPvRmT3_T4_T5_T6_T7_T9_mT8_P12ihipStream_tbDpT10_ENKUlT_T0_E_clISt17integral_constantIbLb0EES1A_EEDaS15_S16_EUlS15_E_NS1_11comp_targetILNS1_3genE3ELNS1_11target_archE908ELNS1_3gpuE7ELNS1_3repE0EEENS1_30default_config_static_selectorELNS0_4arch9wavefront6targetE1EEEvT1_.has_dyn_sized_stack, 0
	.set _ZN7rocprim17ROCPRIM_400000_NS6detail17trampoline_kernelINS0_14default_configENS1_25partition_config_selectorILNS1_17partition_subalgoE8ExNS0_10empty_typeEbEEZZNS1_14partition_implILS5_8ELb0ES3_jN6thrust23THRUST_200600_302600_NS6detail15normal_iteratorINSA_10device_ptrIxEEEEPS6_PKS6_NS0_5tupleIJSF_S6_EEENSJ_IJSG_SG_EEENS0_18inequality_wrapperINSA_8equal_toIxEEEEPmJS6_EEE10hipError_tPvRmT3_T4_T5_T6_T7_T9_mT8_P12ihipStream_tbDpT10_ENKUlT_T0_E_clISt17integral_constantIbLb0EES1A_EEDaS15_S16_EUlS15_E_NS1_11comp_targetILNS1_3genE3ELNS1_11target_archE908ELNS1_3gpuE7ELNS1_3repE0EEENS1_30default_config_static_selectorELNS0_4arch9wavefront6targetE1EEEvT1_.has_recursion, 0
	.set _ZN7rocprim17ROCPRIM_400000_NS6detail17trampoline_kernelINS0_14default_configENS1_25partition_config_selectorILNS1_17partition_subalgoE8ExNS0_10empty_typeEbEEZZNS1_14partition_implILS5_8ELb0ES3_jN6thrust23THRUST_200600_302600_NS6detail15normal_iteratorINSA_10device_ptrIxEEEEPS6_PKS6_NS0_5tupleIJSF_S6_EEENSJ_IJSG_SG_EEENS0_18inequality_wrapperINSA_8equal_toIxEEEEPmJS6_EEE10hipError_tPvRmT3_T4_T5_T6_T7_T9_mT8_P12ihipStream_tbDpT10_ENKUlT_T0_E_clISt17integral_constantIbLb0EES1A_EEDaS15_S16_EUlS15_E_NS1_11comp_targetILNS1_3genE3ELNS1_11target_archE908ELNS1_3gpuE7ELNS1_3repE0EEENS1_30default_config_static_selectorELNS0_4arch9wavefront6targetE1EEEvT1_.has_indirect_call, 0
	.section	.AMDGPU.csdata,"",@progbits
; Kernel info:
; codeLenInByte = 0
; TotalNumSgprs: 4
; NumVgprs: 0
; ScratchSize: 0
; MemoryBound: 0
; FloatMode: 240
; IeeeMode: 1
; LDSByteSize: 0 bytes/workgroup (compile time only)
; SGPRBlocks: 0
; VGPRBlocks: 0
; NumSGPRsForWavesPerEU: 4
; NumVGPRsForWavesPerEU: 1
; Occupancy: 10
; WaveLimiterHint : 0
; COMPUTE_PGM_RSRC2:SCRATCH_EN: 0
; COMPUTE_PGM_RSRC2:USER_SGPR: 6
; COMPUTE_PGM_RSRC2:TRAP_HANDLER: 0
; COMPUTE_PGM_RSRC2:TGID_X_EN: 1
; COMPUTE_PGM_RSRC2:TGID_Y_EN: 0
; COMPUTE_PGM_RSRC2:TGID_Z_EN: 0
; COMPUTE_PGM_RSRC2:TIDIG_COMP_CNT: 0
	.section	.text._ZN7rocprim17ROCPRIM_400000_NS6detail17trampoline_kernelINS0_14default_configENS1_25partition_config_selectorILNS1_17partition_subalgoE8ExNS0_10empty_typeEbEEZZNS1_14partition_implILS5_8ELb0ES3_jN6thrust23THRUST_200600_302600_NS6detail15normal_iteratorINSA_10device_ptrIxEEEEPS6_PKS6_NS0_5tupleIJSF_S6_EEENSJ_IJSG_SG_EEENS0_18inequality_wrapperINSA_8equal_toIxEEEEPmJS6_EEE10hipError_tPvRmT3_T4_T5_T6_T7_T9_mT8_P12ihipStream_tbDpT10_ENKUlT_T0_E_clISt17integral_constantIbLb0EES1A_EEDaS15_S16_EUlS15_E_NS1_11comp_targetILNS1_3genE2ELNS1_11target_archE906ELNS1_3gpuE6ELNS1_3repE0EEENS1_30default_config_static_selectorELNS0_4arch9wavefront6targetE1EEEvT1_,"axG",@progbits,_ZN7rocprim17ROCPRIM_400000_NS6detail17trampoline_kernelINS0_14default_configENS1_25partition_config_selectorILNS1_17partition_subalgoE8ExNS0_10empty_typeEbEEZZNS1_14partition_implILS5_8ELb0ES3_jN6thrust23THRUST_200600_302600_NS6detail15normal_iteratorINSA_10device_ptrIxEEEEPS6_PKS6_NS0_5tupleIJSF_S6_EEENSJ_IJSG_SG_EEENS0_18inequality_wrapperINSA_8equal_toIxEEEEPmJS6_EEE10hipError_tPvRmT3_T4_T5_T6_T7_T9_mT8_P12ihipStream_tbDpT10_ENKUlT_T0_E_clISt17integral_constantIbLb0EES1A_EEDaS15_S16_EUlS15_E_NS1_11comp_targetILNS1_3genE2ELNS1_11target_archE906ELNS1_3gpuE6ELNS1_3repE0EEENS1_30default_config_static_selectorELNS0_4arch9wavefront6targetE1EEEvT1_,comdat
	.protected	_ZN7rocprim17ROCPRIM_400000_NS6detail17trampoline_kernelINS0_14default_configENS1_25partition_config_selectorILNS1_17partition_subalgoE8ExNS0_10empty_typeEbEEZZNS1_14partition_implILS5_8ELb0ES3_jN6thrust23THRUST_200600_302600_NS6detail15normal_iteratorINSA_10device_ptrIxEEEEPS6_PKS6_NS0_5tupleIJSF_S6_EEENSJ_IJSG_SG_EEENS0_18inequality_wrapperINSA_8equal_toIxEEEEPmJS6_EEE10hipError_tPvRmT3_T4_T5_T6_T7_T9_mT8_P12ihipStream_tbDpT10_ENKUlT_T0_E_clISt17integral_constantIbLb0EES1A_EEDaS15_S16_EUlS15_E_NS1_11comp_targetILNS1_3genE2ELNS1_11target_archE906ELNS1_3gpuE6ELNS1_3repE0EEENS1_30default_config_static_selectorELNS0_4arch9wavefront6targetE1EEEvT1_ ; -- Begin function _ZN7rocprim17ROCPRIM_400000_NS6detail17trampoline_kernelINS0_14default_configENS1_25partition_config_selectorILNS1_17partition_subalgoE8ExNS0_10empty_typeEbEEZZNS1_14partition_implILS5_8ELb0ES3_jN6thrust23THRUST_200600_302600_NS6detail15normal_iteratorINSA_10device_ptrIxEEEEPS6_PKS6_NS0_5tupleIJSF_S6_EEENSJ_IJSG_SG_EEENS0_18inequality_wrapperINSA_8equal_toIxEEEEPmJS6_EEE10hipError_tPvRmT3_T4_T5_T6_T7_T9_mT8_P12ihipStream_tbDpT10_ENKUlT_T0_E_clISt17integral_constantIbLb0EES1A_EEDaS15_S16_EUlS15_E_NS1_11comp_targetILNS1_3genE2ELNS1_11target_archE906ELNS1_3gpuE6ELNS1_3repE0EEENS1_30default_config_static_selectorELNS0_4arch9wavefront6targetE1EEEvT1_
	.globl	_ZN7rocprim17ROCPRIM_400000_NS6detail17trampoline_kernelINS0_14default_configENS1_25partition_config_selectorILNS1_17partition_subalgoE8ExNS0_10empty_typeEbEEZZNS1_14partition_implILS5_8ELb0ES3_jN6thrust23THRUST_200600_302600_NS6detail15normal_iteratorINSA_10device_ptrIxEEEEPS6_PKS6_NS0_5tupleIJSF_S6_EEENSJ_IJSG_SG_EEENS0_18inequality_wrapperINSA_8equal_toIxEEEEPmJS6_EEE10hipError_tPvRmT3_T4_T5_T6_T7_T9_mT8_P12ihipStream_tbDpT10_ENKUlT_T0_E_clISt17integral_constantIbLb0EES1A_EEDaS15_S16_EUlS15_E_NS1_11comp_targetILNS1_3genE2ELNS1_11target_archE906ELNS1_3gpuE6ELNS1_3repE0EEENS1_30default_config_static_selectorELNS0_4arch9wavefront6targetE1EEEvT1_
	.p2align	8
	.type	_ZN7rocprim17ROCPRIM_400000_NS6detail17trampoline_kernelINS0_14default_configENS1_25partition_config_selectorILNS1_17partition_subalgoE8ExNS0_10empty_typeEbEEZZNS1_14partition_implILS5_8ELb0ES3_jN6thrust23THRUST_200600_302600_NS6detail15normal_iteratorINSA_10device_ptrIxEEEEPS6_PKS6_NS0_5tupleIJSF_S6_EEENSJ_IJSG_SG_EEENS0_18inequality_wrapperINSA_8equal_toIxEEEEPmJS6_EEE10hipError_tPvRmT3_T4_T5_T6_T7_T9_mT8_P12ihipStream_tbDpT10_ENKUlT_T0_E_clISt17integral_constantIbLb0EES1A_EEDaS15_S16_EUlS15_E_NS1_11comp_targetILNS1_3genE2ELNS1_11target_archE906ELNS1_3gpuE6ELNS1_3repE0EEENS1_30default_config_static_selectorELNS0_4arch9wavefront6targetE1EEEvT1_,@function
_ZN7rocprim17ROCPRIM_400000_NS6detail17trampoline_kernelINS0_14default_configENS1_25partition_config_selectorILNS1_17partition_subalgoE8ExNS0_10empty_typeEbEEZZNS1_14partition_implILS5_8ELb0ES3_jN6thrust23THRUST_200600_302600_NS6detail15normal_iteratorINSA_10device_ptrIxEEEEPS6_PKS6_NS0_5tupleIJSF_S6_EEENSJ_IJSG_SG_EEENS0_18inequality_wrapperINSA_8equal_toIxEEEEPmJS6_EEE10hipError_tPvRmT3_T4_T5_T6_T7_T9_mT8_P12ihipStream_tbDpT10_ENKUlT_T0_E_clISt17integral_constantIbLb0EES1A_EEDaS15_S16_EUlS15_E_NS1_11comp_targetILNS1_3genE2ELNS1_11target_archE906ELNS1_3gpuE6ELNS1_3repE0EEENS1_30default_config_static_selectorELNS0_4arch9wavefront6targetE1EEEvT1_: ; @_ZN7rocprim17ROCPRIM_400000_NS6detail17trampoline_kernelINS0_14default_configENS1_25partition_config_selectorILNS1_17partition_subalgoE8ExNS0_10empty_typeEbEEZZNS1_14partition_implILS5_8ELb0ES3_jN6thrust23THRUST_200600_302600_NS6detail15normal_iteratorINSA_10device_ptrIxEEEEPS6_PKS6_NS0_5tupleIJSF_S6_EEENSJ_IJSG_SG_EEENS0_18inequality_wrapperINSA_8equal_toIxEEEEPmJS6_EEE10hipError_tPvRmT3_T4_T5_T6_T7_T9_mT8_P12ihipStream_tbDpT10_ENKUlT_T0_E_clISt17integral_constantIbLb0EES1A_EEDaS15_S16_EUlS15_E_NS1_11comp_targetILNS1_3genE2ELNS1_11target_archE906ELNS1_3gpuE6ELNS1_3repE0EEENS1_30default_config_static_selectorELNS0_4arch9wavefront6targetE1EEEvT1_
; %bb.0:
	s_load_dwordx4 s[0:3], s[4:5], 0x8
	s_load_dwordx4 s[24:27], s[4:5], 0x40
	s_load_dwordx2 s[8:9], s[4:5], 0x50
	s_load_dword s7, s[4:5], 0x68
	v_lshlrev_b32_e32 v31, 3, v0
	s_waitcnt lgkmcnt(0)
	s_lshl_b64 s[10:11], s[2:3], 3
	s_add_u32 s12, s0, s10
	s_addc_u32 s13, s1, s11
	s_mul_i32 s0, s7, 0x700
	s_add_i32 s1, s0, s2
	s_add_i32 s14, s7, -1
	s_sub_i32 s7, s8, s1
	s_add_u32 s0, s2, s0
	s_addc_u32 s1, s3, 0
	v_mov_b32_e32 v2, s1
	v_mov_b32_e32 v1, s0
	v_cmp_le_u64_e32 vcc, s[8:9], v[1:2]
	s_cmp_eq_u32 s6, s14
	s_load_dwordx2 s[22:23], s[26:27], 0x0
	s_cselect_b64 s[26:27], -1, 0
	s_mul_i32 s10, s6, 0x700
	s_mov_b32 s11, 0
	s_and_b64 s[16:17], s[26:27], vcc
	s_xor_b64 s[28:29], s[16:17], -1
	s_lshl_b64 s[8:9], s[10:11], 3
	s_add_u32 s8, s12, s8
	s_mov_b64 s[0:1], -1
	s_addc_u32 s9, s13, s9
	s_and_b64 vcc, exec, s[28:29]
	s_cbranch_vccz .LBB344_2
; %bb.1:
	v_lshlrev_b32_e32 v19, 3, v0
	v_mov_b32_e32 v2, s9
	v_add_co_u32_e32 v1, vcc, s8, v19
	v_addc_co_u32_e32 v2, vcc, 0, v2, vcc
	v_add_co_u32_e32 v3, vcc, 0x1000, v1
	v_addc_co_u32_e32 v4, vcc, 0, v2, vcc
	flat_load_dwordx2 v[5:6], v[1:2]
	flat_load_dwordx2 v[7:8], v[1:2] offset:2048
	flat_load_dwordx2 v[9:10], v[3:4]
	flat_load_dwordx2 v[11:12], v[3:4] offset:2048
	v_add_co_u32_e32 v3, vcc, 0x2000, v1
	v_addc_co_u32_e32 v4, vcc, 0, v2, vcc
	v_add_co_u32_e32 v1, vcc, 0x3000, v1
	v_addc_co_u32_e32 v2, vcc, 0, v2, vcc
	flat_load_dwordx2 v[13:14], v[3:4]
	flat_load_dwordx2 v[15:16], v[3:4] offset:2048
	flat_load_dwordx2 v[17:18], v[1:2]
	s_mov_b64 s[0:1], 0
	s_waitcnt vmcnt(0) lgkmcnt(0)
	ds_write2st64_b64 v19, v[5:6], v[7:8] offset1:4
	ds_write2st64_b64 v19, v[9:10], v[11:12] offset0:8 offset1:12
	ds_write2st64_b64 v19, v[13:14], v[15:16] offset0:16 offset1:20
	ds_write_b64 v19, v[17:18] offset:12288
	s_waitcnt lgkmcnt(0)
	s_barrier
.LBB344_2:
	s_andn2_b64 vcc, exec, s[0:1]
	s_addk_i32 s7, 0x700
	s_cbranch_vccnz .LBB344_18
; %bb.3:
	v_mov_b32_e32 v1, 0
	v_cmp_gt_u32_e32 vcc, s7, v0
	v_mov_b32_e32 v2, v1
	v_mov_b32_e32 v3, v1
	;; [unrolled: 1-line block ×13, first 2 shown]
	s_and_saveexec_b64 s[0:1], vcc
	s_cbranch_execz .LBB344_5
; %bb.4:
	v_lshlrev_b32_e32 v2, 3, v0
	v_mov_b32_e32 v3, s9
	v_add_co_u32_e32 v2, vcc, s8, v2
	v_addc_co_u32_e32 v3, vcc, 0, v3, vcc
	flat_load_dwordx2 v[2:3], v[2:3]
	v_mov_b32_e32 v4, v1
	v_mov_b32_e32 v5, v1
	;; [unrolled: 1-line block ×12, first 2 shown]
	s_waitcnt vmcnt(0) lgkmcnt(0)
	v_mov_b32_e32 v1, v2
	v_mov_b32_e32 v2, v3
	;; [unrolled: 1-line block ×16, first 2 shown]
.LBB344_5:
	s_or_b64 exec, exec, s[0:1]
	v_or_b32_e32 v15, 0x100, v0
	v_cmp_gt_u32_e32 vcc, s7, v15
	s_and_saveexec_b64 s[0:1], vcc
	s_cbranch_execz .LBB344_7
; %bb.6:
	v_lshlrev_b32_e32 v3, 3, v0
	v_mov_b32_e32 v4, s9
	v_add_co_u32_e32 v3, vcc, s8, v3
	v_addc_co_u32_e32 v4, vcc, 0, v4, vcc
	flat_load_dwordx2 v[3:4], v[3:4] offset:2048
.LBB344_7:
	s_or_b64 exec, exec, s[0:1]
	v_or_b32_e32 v15, 0x200, v0
	v_cmp_gt_u32_e32 vcc, s7, v15
	s_and_saveexec_b64 s[0:1], vcc
	s_cbranch_execz .LBB344_9
; %bb.8:
	v_lshlrev_b32_e32 v5, 3, v15
	v_mov_b32_e32 v6, s9
	v_add_co_u32_e32 v5, vcc, s8, v5
	v_addc_co_u32_e32 v6, vcc, 0, v6, vcc
	flat_load_dwordx2 v[5:6], v[5:6]
.LBB344_9:
	s_or_b64 exec, exec, s[0:1]
	v_or_b32_e32 v15, 0x300, v0
	v_cmp_gt_u32_e32 vcc, s7, v15
	s_and_saveexec_b64 s[0:1], vcc
	s_cbranch_execz .LBB344_11
; %bb.10:
	v_lshlrev_b32_e32 v7, 3, v15
	v_mov_b32_e32 v8, s9
	v_add_co_u32_e32 v7, vcc, s8, v7
	v_addc_co_u32_e32 v8, vcc, 0, v8, vcc
	flat_load_dwordx2 v[7:8], v[7:8]
.LBB344_11:
	s_or_b64 exec, exec, s[0:1]
	v_or_b32_e32 v15, 0x400, v0
	v_cmp_gt_u32_e32 vcc, s7, v15
	s_and_saveexec_b64 s[0:1], vcc
	s_cbranch_execz .LBB344_13
; %bb.12:
	v_lshlrev_b32_e32 v9, 3, v15
	v_mov_b32_e32 v10, s9
	v_add_co_u32_e32 v9, vcc, s8, v9
	v_addc_co_u32_e32 v10, vcc, 0, v10, vcc
	flat_load_dwordx2 v[9:10], v[9:10]
.LBB344_13:
	s_or_b64 exec, exec, s[0:1]
	v_or_b32_e32 v15, 0x500, v0
	v_cmp_gt_u32_e32 vcc, s7, v15
	s_and_saveexec_b64 s[0:1], vcc
	s_cbranch_execz .LBB344_15
; %bb.14:
	v_lshlrev_b32_e32 v11, 3, v15
	v_mov_b32_e32 v12, s9
	v_add_co_u32_e32 v11, vcc, s8, v11
	v_addc_co_u32_e32 v12, vcc, 0, v12, vcc
	flat_load_dwordx2 v[11:12], v[11:12]
.LBB344_15:
	s_or_b64 exec, exec, s[0:1]
	v_or_b32_e32 v15, 0x600, v0
	v_cmp_gt_u32_e32 vcc, s7, v15
	s_and_saveexec_b64 s[0:1], vcc
	s_cbranch_execz .LBB344_17
; %bb.16:
	v_lshlrev_b32_e32 v13, 3, v15
	v_mov_b32_e32 v14, s9
	v_add_co_u32_e32 v13, vcc, s8, v13
	v_addc_co_u32_e32 v14, vcc, 0, v14, vcc
	flat_load_dwordx2 v[13:14], v[13:14]
.LBB344_17:
	s_or_b64 exec, exec, s[0:1]
	v_lshlrev_b32_e32 v15, 3, v0
	s_waitcnt vmcnt(0) lgkmcnt(0)
	ds_write2st64_b64 v15, v[1:2], v[3:4] offset1:4
	ds_write2st64_b64 v15, v[5:6], v[7:8] offset0:8 offset1:12
	ds_write2st64_b64 v15, v[9:10], v[11:12] offset0:16 offset1:20
	ds_write_b64 v15, v[13:14] offset:12288
	s_waitcnt lgkmcnt(0)
	s_barrier
.LBB344_18:
	v_mul_u32_u24_e32 v19, 7, v0
	v_lshlrev_b32_e32 v20, 3, v19
	s_waitcnt lgkmcnt(0)
	ds_read2_b64 v[9:12], v20 offset1:1
	ds_read2_b64 v[5:8], v20 offset0:2 offset1:3
	ds_read2_b64 v[1:4], v20 offset0:4 offset1:5
	ds_read_b64 v[13:14], v20 offset:48
	s_cmp_lg_u32 s6, 0
	s_cselect_b64 s[20:21], -1, 0
	s_cmp_lg_u64 s[2:3], 0
	s_cselect_b64 s[0:1], -1, 0
	s_or_b64 s[0:1], s[20:21], s[0:1]
	s_mov_b64 s[18:19], 0
	s_and_b64 vcc, exec, s[0:1]
	s_waitcnt lgkmcnt(0)
	s_barrier
	s_cbranch_vccz .LBB344_23
; %bb.19:
	v_mov_b32_e32 v16, s9
	v_add_co_u32_e64 v15, vcc, -8, s8
	v_addc_co_u32_e32 v16, vcc, -1, v16, vcc
	flat_load_dwordx2 v[15:16], v[15:16]
	v_lshlrev_b32_e32 v21, 3, v0
	s_and_b64 vcc, exec, s[28:29]
	ds_write_b64 v21, v[13:14]
	s_cbranch_vccz .LBB344_24
; %bb.20:
	s_waitcnt vmcnt(0) lgkmcnt(0)
	v_mov_b32_e32 v18, v16
	v_cmp_ne_u32_e32 vcc, 0, v0
	v_mov_b32_e32 v17, v15
	s_barrier
	s_and_saveexec_b64 s[0:1], vcc
; %bb.21:
	v_add_u32_e32 v17, -8, v21
	ds_read_b64 v[17:18], v17
; %bb.22:
	s_or_b64 exec, exec, s[0:1]
	v_cmp_ne_u64_e32 vcc, v[3:4], v[13:14]
	s_waitcnt lgkmcnt(0)
	v_cmp_ne_u64_e64 s[30:31], v[17:18], v[9:10]
	v_cndmask_b32_e64 v32, 0, 1, vcc
	v_cmp_ne_u64_e32 vcc, v[1:2], v[3:4]
	v_cndmask_b32_e64 v33, 0, 1, vcc
	v_cmp_ne_u64_e32 vcc, v[7:8], v[1:2]
	;; [unrolled: 2-line block ×5, first 2 shown]
	v_cndmask_b32_e64 v37, 0, 1, vcc
	s_branch .LBB344_28
.LBB344_23:
                                        ; implicit-def: $sgpr30_sgpr31
                                        ; implicit-def: $vgpr32
                                        ; implicit-def: $vgpr33
                                        ; implicit-def: $vgpr34
                                        ; implicit-def: $vgpr35
                                        ; implicit-def: $vgpr36
                                        ; implicit-def: $vgpr37
	s_branch .LBB344_29
.LBB344_24:
                                        ; implicit-def: $sgpr30_sgpr31
                                        ; implicit-def: $vgpr32
                                        ; implicit-def: $vgpr33
                                        ; implicit-def: $vgpr34
                                        ; implicit-def: $vgpr35
                                        ; implicit-def: $vgpr36
                                        ; implicit-def: $vgpr37
	s_cbranch_execz .LBB344_28
; %bb.25:
	v_cmp_ne_u32_e32 vcc, 0, v0
	s_waitcnt vmcnt(0) lgkmcnt(0)
	s_barrier
	s_and_saveexec_b64 s[0:1], vcc
; %bb.26:
	v_add_u32_e32 v15, -8, v21
	ds_read_b64 v[15:16], v15
; %bb.27:
	s_or_b64 exec, exec, s[0:1]
	v_add_u32_e32 v17, 6, v19
	v_cmp_ne_u64_e32 vcc, v[3:4], v[13:14]
	v_cmp_gt_u32_e64 s[0:1], s7, v17
	s_and_b64 s[0:1], s[0:1], vcc
	v_add_u32_e32 v17, 5, v19
	v_cmp_ne_u64_e32 vcc, v[1:2], v[3:4]
	v_cndmask_b32_e64 v32, 0, 1, s[0:1]
	v_cmp_gt_u32_e64 s[0:1], s7, v17
	s_and_b64 s[0:1], s[0:1], vcc
	v_add_u32_e32 v17, 4, v19
	v_cmp_ne_u64_e32 vcc, v[7:8], v[1:2]
	v_cndmask_b32_e64 v33, 0, 1, s[0:1]
	;; [unrolled: 5-line block ×5, first 2 shown]
	v_cmp_gt_u32_e64 s[0:1], s7, v17
	s_and_b64 s[0:1], s[0:1], vcc
	s_waitcnt lgkmcnt(0)
	v_cmp_ne_u64_e32 vcc, v[15:16], v[9:10]
	v_cndmask_b32_e64 v37, 0, 1, s[0:1]
	v_cmp_gt_u32_e64 s[0:1], s7, v19
	s_and_b64 s[30:31], s[0:1], vcc
.LBB344_28:
	s_mov_b64 s[18:19], -1
	s_cbranch_execnz .LBB344_37
.LBB344_29:
	s_movk_i32 s0, 0xffd0
	s_waitcnt vmcnt(0) lgkmcnt(0)
	v_mad_i32_i24 v15, v0, s0, v20
	v_cmp_ne_u64_e64 s[0:1], v[3:4], v[13:14]
	v_cmp_ne_u64_e64 s[2:3], v[1:2], v[3:4]
	;; [unrolled: 1-line block ×6, first 2 shown]
	s_and_b64 vcc, exec, s[28:29]
	ds_write_b64 v15, v[13:14]
	s_cbranch_vccz .LBB344_33
; %bb.30:
	v_cmp_ne_u32_e32 vcc, 0, v0
	s_waitcnt lgkmcnt(0)
	s_barrier
                                        ; implicit-def: $sgpr30_sgpr31
	s_and_saveexec_b64 s[34:35], vcc
	s_xor_b64 s[34:35], exec, s[34:35]
	s_cbranch_execz .LBB344_32
; %bb.31:
	v_add_u32_e32 v16, -8, v15
	ds_read_b64 v[16:17], v16
	s_or_b64 s[18:19], s[18:19], exec
	s_waitcnt lgkmcnt(0)
	v_cmp_ne_u64_e64 s[30:31], v[16:17], v[9:10]
.LBB344_32:
	s_or_b64 exec, exec, s[34:35]
	v_cndmask_b32_e64 v32, 0, 1, s[0:1]
	v_cndmask_b32_e64 v33, 0, 1, s[2:3]
	;; [unrolled: 1-line block ×6, first 2 shown]
	s_branch .LBB344_37
.LBB344_33:
                                        ; implicit-def: $sgpr30_sgpr31
                                        ; implicit-def: $vgpr32
                                        ; implicit-def: $vgpr33
                                        ; implicit-def: $vgpr34
                                        ; implicit-def: $vgpr35
                                        ; implicit-def: $vgpr36
                                        ; implicit-def: $vgpr37
	s_cbranch_execz .LBB344_37
; %bb.34:
	v_add_u32_e32 v16, 6, v19
	v_cmp_ne_u64_e32 vcc, v[3:4], v[13:14]
	v_cmp_gt_u32_e64 s[0:1], s7, v16
	s_and_b64 s[2:3], s[0:1], vcc
	v_add_u32_e32 v16, 5, v19
	v_cmp_ne_u64_e32 vcc, v[1:2], v[3:4]
	v_cmp_gt_u32_e64 s[0:1], s7, v16
	s_and_b64 s[8:9], s[0:1], vcc
	v_add_u32_e32 v16, 4, v19
	v_cmp_ne_u64_e32 vcc, v[7:8], v[1:2]
	v_cmp_gt_u32_e64 s[0:1], s7, v16
	s_and_b64 s[10:11], s[0:1], vcc
	v_add_u32_e32 v16, 3, v19
	v_cmp_ne_u64_e32 vcc, v[5:6], v[7:8]
	v_cmp_gt_u32_e64 s[0:1], s7, v16
	s_and_b64 s[12:13], s[0:1], vcc
	v_add_u32_e32 v16, 2, v19
	v_cmp_ne_u64_e32 vcc, v[11:12], v[5:6]
	v_cmp_gt_u32_e64 s[0:1], s7, v16
	s_and_b64 s[14:15], s[0:1], vcc
	v_add_u32_e32 v16, 1, v19
	v_cmp_ne_u64_e32 vcc, v[9:10], v[11:12]
	v_cmp_gt_u32_e64 s[0:1], s7, v16
	s_and_b64 s[34:35], s[0:1], vcc
	v_cmp_ne_u32_e32 vcc, 0, v0
	s_waitcnt lgkmcnt(0)
	s_barrier
                                        ; implicit-def: $sgpr30_sgpr31
	s_and_saveexec_b64 s[36:37], vcc
	s_cbranch_execz .LBB344_36
; %bb.35:
	v_add_u32_e32 v15, -8, v15
	ds_read_b64 v[15:16], v15
	v_cmp_gt_u32_e64 s[0:1], s7, v19
	s_or_b64 s[18:19], s[18:19], exec
	s_waitcnt lgkmcnt(0)
	v_cmp_ne_u64_e32 vcc, v[15:16], v[9:10]
	s_and_b64 s[30:31], s[0:1], vcc
.LBB344_36:
	s_or_b64 exec, exec, s[36:37]
	v_cndmask_b32_e64 v32, 0, 1, s[2:3]
	v_cndmask_b32_e64 v33, 0, 1, s[8:9]
	;; [unrolled: 1-line block ×6, first 2 shown]
.LBB344_37:
	v_mov_b32_e32 v26, 1
	s_and_saveexec_b64 s[0:1], s[18:19]
; %bb.38:
	v_cndmask_b32_e64 v26, 0, 1, s[30:31]
; %bb.39:
	s_or_b64 exec, exec, s[0:1]
	s_load_dwordx2 s[30:31], s[4:5], 0x60
	s_andn2_b64 vcc, exec, s[16:17]
	s_cbranch_vccnz .LBB344_41
; %bb.40:
	v_cmp_gt_u32_e32 vcc, s7, v19
	s_waitcnt vmcnt(0) lgkmcnt(0)
	v_add_u32_e32 v15, 1, v19
	v_cndmask_b32_e32 v26, 0, v26, vcc
	v_cmp_gt_u32_e32 vcc, s7, v15
	v_add_u32_e32 v15, 2, v19
	v_cndmask_b32_e32 v37, 0, v37, vcc
	v_cmp_gt_u32_e32 vcc, s7, v15
	;; [unrolled: 3-line block ×6, first 2 shown]
	v_cndmask_b32_e32 v32, 0, v32, vcc
.LBB344_41:
	v_and_b32_e32 v25, 0xffff, v26
	v_and_b32_e32 v27, 0xff, v37
	;; [unrolled: 1-line block ×5, first 2 shown]
	s_waitcnt vmcnt(0) lgkmcnt(0)
	v_add3_u32 v16, v27, v25, v28
	v_and_b32_e32 v39, 0xff, v33
	v_and_b32_e32 v15, 0xff, v32
	v_add3_u32 v16, v16, v30, v38
	v_add3_u32 v41, v16, v39, v15
	v_mbcnt_lo_u32_b32 v15, -1, 0
	v_mbcnt_hi_u32_b32 v29, -1, v15
	v_and_b32_e32 v15, 15, v29
	v_cmp_eq_u32_e64 s[14:15], 0, v15
	v_cmp_lt_u32_e64 s[12:13], 1, v15
	v_cmp_lt_u32_e64 s[10:11], 3, v15
	;; [unrolled: 1-line block ×3, first 2 shown]
	v_and_b32_e32 v15, 16, v29
	v_cmp_eq_u32_e64 s[18:19], 0, v15
	v_or_b32_e32 v15, 63, v0
	v_cmp_lt_u32_e64 s[0:1], 31, v29
	v_lshrrev_b32_e32 v40, 6, v0
	v_cmp_eq_u32_e64 s[2:3], v0, v15
	s_and_b64 vcc, exec, s[20:21]
	s_barrier
	s_cbranch_vccz .LBB344_63
; %bb.42:
	v_mov_b32_dpp v15, v41 row_shr:1 row_mask:0xf bank_mask:0xf
	v_cndmask_b32_e64 v15, v15, 0, s[14:15]
	v_add_u32_e32 v15, v15, v41
	s_nop 1
	v_mov_b32_dpp v16, v15 row_shr:2 row_mask:0xf bank_mask:0xf
	v_cndmask_b32_e64 v16, 0, v16, s[12:13]
	v_add_u32_e32 v15, v15, v16
	s_nop 1
	;; [unrolled: 4-line block ×4, first 2 shown]
	v_mov_b32_dpp v16, v15 row_bcast:15 row_mask:0xf bank_mask:0xf
	v_cndmask_b32_e64 v16, v16, 0, s[18:19]
	v_add_u32_e32 v15, v15, v16
	s_nop 1
	v_mov_b32_dpp v16, v15 row_bcast:31 row_mask:0xf bank_mask:0xf
	v_cndmask_b32_e64 v16, 0, v16, s[0:1]
	v_add_u32_e32 v15, v15, v16
	s_and_saveexec_b64 s[16:17], s[2:3]
; %bb.43:
	v_lshlrev_b32_e32 v16, 2, v40
	ds_write_b32 v16, v15
; %bb.44:
	s_or_b64 exec, exec, s[16:17]
	v_cmp_gt_u32_e32 vcc, 4, v0
	s_waitcnt lgkmcnt(0)
	s_barrier
	s_and_saveexec_b64 s[16:17], vcc
	s_cbranch_execz .LBB344_46
; %bb.45:
	v_lshlrev_b32_e32 v16, 2, v0
	ds_read_b32 v17, v16
	v_and_b32_e32 v18, 3, v29
	v_cmp_ne_u32_e32 vcc, 0, v18
	s_waitcnt lgkmcnt(0)
	v_mov_b32_dpp v19, v17 row_shr:1 row_mask:0xf bank_mask:0xf
	v_cndmask_b32_e32 v19, 0, v19, vcc
	v_add_u32_e32 v17, v19, v17
	v_cmp_lt_u32_e32 vcc, 1, v18
	s_nop 0
	v_mov_b32_dpp v19, v17 row_shr:2 row_mask:0xf bank_mask:0xf
	v_cndmask_b32_e32 v18, 0, v19, vcc
	v_add_u32_e32 v17, v17, v18
	ds_write_b32 v16, v17
.LBB344_46:
	s_or_b64 exec, exec, s[16:17]
	v_cmp_gt_u32_e32 vcc, 64, v0
	v_cmp_lt_u32_e64 s[16:17], 63, v0
	s_waitcnt lgkmcnt(0)
	s_barrier
                                        ; implicit-def: $vgpr42
	s_and_saveexec_b64 s[20:21], s[16:17]
	s_cbranch_execz .LBB344_48
; %bb.47:
	v_lshl_add_u32 v16, v40, 2, -4
	ds_read_b32 v42, v16
	s_waitcnt lgkmcnt(0)
	v_add_u32_e32 v15, v42, v15
.LBB344_48:
	s_or_b64 exec, exec, s[20:21]
	v_subrev_co_u32_e64 v16, s[16:17], 1, v29
	v_and_b32_e32 v17, 64, v29
	v_cmp_lt_i32_e64 s[20:21], v16, v17
	v_cndmask_b32_e64 v16, v16, v29, s[20:21]
	v_lshlrev_b32_e32 v16, 2, v16
	ds_bpermute_b32 v43, v16, v15
	s_and_saveexec_b64 s[20:21], vcc
	s_cbranch_execz .LBB344_68
; %bb.49:
	v_mov_b32_e32 v21, 0
	ds_read_b32 v15, v21 offset:12
	s_and_saveexec_b64 s[34:35], s[16:17]
	s_cbranch_execz .LBB344_51
; %bb.50:
	s_add_i32 s36, s6, 64
	s_mov_b32 s37, 0
	s_lshl_b64 s[36:37], s[36:37], 3
	s_add_u32 s36, s30, s36
	v_mov_b32_e32 v16, 1
	s_addc_u32 s37, s31, s37
	s_waitcnt lgkmcnt(0)
	global_store_dwordx2 v21, v[15:16], s[36:37]
.LBB344_51:
	s_or_b64 exec, exec, s[34:35]
	v_xad_u32 v17, v29, -1, s6
	v_add_u32_e32 v20, 64, v17
	v_lshlrev_b64 v[18:19], 3, v[20:21]
	v_mov_b32_e32 v16, s31
	v_add_co_u32_e32 v22, vcc, s30, v18
	v_addc_co_u32_e32 v23, vcc, v16, v19, vcc
	global_load_dwordx2 v[19:20], v[22:23], off glc
	s_waitcnt vmcnt(0)
	v_cmp_eq_u16_sdwa s[36:37], v20, v21 src0_sel:BYTE_0 src1_sel:DWORD
	s_and_saveexec_b64 s[34:35], s[36:37]
	s_cbranch_execz .LBB344_55
; %bb.52:
	s_mov_b64 s[36:37], 0
	v_mov_b32_e32 v16, 0
.LBB344_53:                             ; =>This Inner Loop Header: Depth=1
	global_load_dwordx2 v[19:20], v[22:23], off glc
	s_waitcnt vmcnt(0)
	v_cmp_ne_u16_sdwa s[38:39], v20, v16 src0_sel:BYTE_0 src1_sel:DWORD
	s_or_b64 s[36:37], s[38:39], s[36:37]
	s_andn2_b64 exec, exec, s[36:37]
	s_cbranch_execnz .LBB344_53
; %bb.54:
	s_or_b64 exec, exec, s[36:37]
.LBB344_55:
	s_or_b64 exec, exec, s[34:35]
	v_and_b32_e32 v45, 63, v29
	v_mov_b32_e32 v44, 2
	v_lshlrev_b64 v[21:22], v29, -1
	v_cmp_ne_u32_e32 vcc, 63, v45
	v_cmp_eq_u16_sdwa s[34:35], v20, v44 src0_sel:BYTE_0 src1_sel:DWORD
	v_addc_co_u32_e32 v23, vcc, 0, v29, vcc
	v_and_b32_e32 v16, s35, v22
	v_lshlrev_b32_e32 v46, 2, v23
	v_or_b32_e32 v16, 0x80000000, v16
	ds_bpermute_b32 v23, v46, v19
	v_and_b32_e32 v18, s34, v21
	v_ffbl_b32_e32 v16, v16
	v_add_u32_e32 v16, 32, v16
	v_ffbl_b32_e32 v18, v18
	v_min_u32_e32 v16, v18, v16
	v_cmp_lt_u32_e32 vcc, v45, v16
	s_waitcnt lgkmcnt(0)
	v_cndmask_b32_e32 v18, 0, v23, vcc
	v_cmp_gt_u32_e32 vcc, 62, v45
	v_add_u32_e32 v18, v18, v19
	v_cndmask_b32_e64 v19, 0, 2, vcc
	v_add_lshl_u32 v47, v19, v29, 2
	ds_bpermute_b32 v19, v47, v18
	v_add_u32_e32 v48, 2, v45
	v_cmp_le_u32_e32 vcc, v48, v16
	v_add_u32_e32 v50, 4, v45
	v_add_u32_e32 v52, 8, v45
	s_waitcnt lgkmcnt(0)
	v_cndmask_b32_e32 v19, 0, v19, vcc
	v_cmp_gt_u32_e32 vcc, 60, v45
	v_add_u32_e32 v18, v18, v19
	v_cndmask_b32_e64 v19, 0, 4, vcc
	v_add_lshl_u32 v49, v19, v29, 2
	ds_bpermute_b32 v19, v49, v18
	v_cmp_le_u32_e32 vcc, v50, v16
	v_add_u32_e32 v54, 16, v45
	v_add_u32_e32 v56, 32, v45
	s_waitcnt lgkmcnt(0)
	v_cndmask_b32_e32 v19, 0, v19, vcc
	v_cmp_gt_u32_e32 vcc, 56, v45
	v_add_u32_e32 v18, v18, v19
	v_cndmask_b32_e64 v19, 0, 8, vcc
	v_add_lshl_u32 v51, v19, v29, 2
	ds_bpermute_b32 v19, v51, v18
	v_cmp_le_u32_e32 vcc, v52, v16
	s_waitcnt lgkmcnt(0)
	v_cndmask_b32_e32 v19, 0, v19, vcc
	v_cmp_gt_u32_e32 vcc, 48, v45
	v_add_u32_e32 v18, v18, v19
	v_cndmask_b32_e64 v19, 0, 16, vcc
	v_add_lshl_u32 v53, v19, v29, 2
	ds_bpermute_b32 v19, v53, v18
	v_cmp_le_u32_e32 vcc, v54, v16
	s_waitcnt lgkmcnt(0)
	v_cndmask_b32_e32 v19, 0, v19, vcc
	v_add_u32_e32 v18, v18, v19
	v_mov_b32_e32 v19, 0x80
	v_lshl_or_b32 v55, v29, 2, v19
	ds_bpermute_b32 v19, v55, v18
	v_cmp_le_u32_e32 vcc, v56, v16
	s_waitcnt lgkmcnt(0)
	v_cndmask_b32_e32 v16, 0, v19, vcc
	v_add_u32_e32 v19, v18, v16
	v_mov_b32_e32 v18, 0
	s_branch .LBB344_58
.LBB344_56:                             ;   in Loop: Header=BB344_58 Depth=1
	s_or_b64 exec, exec, s[34:35]
	v_cmp_eq_u16_sdwa s[34:35], v20, v44 src0_sel:BYTE_0 src1_sel:DWORD
	v_and_b32_e32 v23, s35, v22
	v_or_b32_e32 v23, 0x80000000, v23
	ds_bpermute_b32 v57, v46, v19
	v_and_b32_e32 v24, s34, v21
	v_ffbl_b32_e32 v23, v23
	v_add_u32_e32 v23, 32, v23
	v_ffbl_b32_e32 v24, v24
	v_min_u32_e32 v23, v24, v23
	v_cmp_lt_u32_e32 vcc, v45, v23
	s_waitcnt lgkmcnt(0)
	v_cndmask_b32_e32 v24, 0, v57, vcc
	v_add_u32_e32 v19, v24, v19
	ds_bpermute_b32 v24, v47, v19
	v_cmp_le_u32_e32 vcc, v48, v23
	v_subrev_u32_e32 v17, 64, v17
	s_mov_b64 s[34:35], 0
	s_waitcnt lgkmcnt(0)
	v_cndmask_b32_e32 v24, 0, v24, vcc
	v_add_u32_e32 v19, v19, v24
	ds_bpermute_b32 v24, v49, v19
	v_cmp_le_u32_e32 vcc, v50, v23
	s_waitcnt lgkmcnt(0)
	v_cndmask_b32_e32 v24, 0, v24, vcc
	v_add_u32_e32 v19, v19, v24
	ds_bpermute_b32 v24, v51, v19
	v_cmp_le_u32_e32 vcc, v52, v23
	;; [unrolled: 5-line block ×4, first 2 shown]
	s_waitcnt lgkmcnt(0)
	v_cndmask_b32_e32 v23, 0, v24, vcc
	v_add3_u32 v19, v23, v16, v19
.LBB344_57:                             ;   in Loop: Header=BB344_58 Depth=1
	s_and_b64 vcc, exec, s[34:35]
	s_cbranch_vccnz .LBB344_64
.LBB344_58:                             ; =>This Loop Header: Depth=1
                                        ;     Child Loop BB344_61 Depth 2
	v_cmp_ne_u16_sdwa s[34:35], v20, v44 src0_sel:BYTE_0 src1_sel:DWORD
	v_mov_b32_e32 v16, v19
	s_cmp_lg_u64 s[34:35], exec
	s_mov_b64 s[34:35], -1
                                        ; implicit-def: $vgpr19
                                        ; implicit-def: $vgpr20
	s_cbranch_scc1 .LBB344_57
; %bb.59:                               ;   in Loop: Header=BB344_58 Depth=1
	v_lshlrev_b64 v[19:20], 3, v[17:18]
	v_mov_b32_e32 v24, s31
	v_add_co_u32_e32 v23, vcc, s30, v19
	v_addc_co_u32_e32 v24, vcc, v24, v20, vcc
	global_load_dwordx2 v[19:20], v[23:24], off glc
	s_waitcnt vmcnt(0)
	v_cmp_eq_u16_sdwa s[36:37], v20, v18 src0_sel:BYTE_0 src1_sel:DWORD
	s_and_saveexec_b64 s[34:35], s[36:37]
	s_cbranch_execz .LBB344_56
; %bb.60:                               ;   in Loop: Header=BB344_58 Depth=1
	s_mov_b64 s[36:37], 0
.LBB344_61:                             ;   Parent Loop BB344_58 Depth=1
                                        ; =>  This Inner Loop Header: Depth=2
	global_load_dwordx2 v[19:20], v[23:24], off glc
	s_waitcnt vmcnt(0)
	v_cmp_ne_u16_sdwa s[38:39], v20, v18 src0_sel:BYTE_0 src1_sel:DWORD
	s_or_b64 s[36:37], s[38:39], s[36:37]
	s_andn2_b64 exec, exec, s[36:37]
	s_cbranch_execnz .LBB344_61
; %bb.62:                               ;   in Loop: Header=BB344_58 Depth=1
	s_or_b64 exec, exec, s[36:37]
	s_branch .LBB344_56
.LBB344_63:
                                        ; implicit-def: $vgpr16
                                        ; implicit-def: $vgpr15
                                        ; implicit-def: $vgpr23
	s_load_dwordx2 s[4:5], s[4:5], 0x28
	s_cbranch_execnz .LBB344_69
	s_branch .LBB344_78
.LBB344_64:
	s_and_saveexec_b64 s[34:35], s[16:17]
	s_cbranch_execz .LBB344_66
; %bb.65:
	s_add_i32 s6, s6, 64
	s_mov_b32 s7, 0
	s_lshl_b64 s[6:7], s[6:7], 3
	s_add_u32 s6, s30, s6
	v_add_u32_e32 v17, v16, v15
	v_mov_b32_e32 v18, 2
	s_addc_u32 s7, s31, s7
	v_mov_b32_e32 v19, 0
	global_store_dwordx2 v19, v[17:18], s[6:7]
	ds_write_b64 v19, v[15:16] offset:14336
.LBB344_66:
	s_or_b64 exec, exec, s[34:35]
	v_cmp_eq_u32_e32 vcc, 0, v0
	s_and_b64 exec, exec, vcc
; %bb.67:
	v_mov_b32_e32 v15, 0
	ds_write_b32 v15, v16 offset:12
.LBB344_68:
	s_or_b64 exec, exec, s[20:21]
	v_mov_b32_e32 v15, 0
	s_waitcnt vmcnt(0) lgkmcnt(0)
	s_barrier
	ds_read_b32 v18, v15 offset:12
	s_waitcnt lgkmcnt(0)
	s_barrier
	ds_read_b64 v[15:16], v15 offset:14336
	v_cndmask_b32_e64 v17, v43, v42, s[16:17]
	v_cmp_ne_u32_e32 vcc, 0, v0
	v_cndmask_b32_e32 v17, 0, v17, vcc
	v_add_u32_e32 v23, v18, v17
	s_load_dwordx2 s[4:5], s[4:5], 0x28
	s_branch .LBB344_78
.LBB344_69:
	s_waitcnt lgkmcnt(0)
	v_mov_b32_dpp v15, v41 row_shr:1 row_mask:0xf bank_mask:0xf
	v_cndmask_b32_e64 v15, v15, 0, s[14:15]
	v_add_u32_e32 v15, v15, v41
	s_nop 1
	v_mov_b32_dpp v16, v15 row_shr:2 row_mask:0xf bank_mask:0xf
	v_cndmask_b32_e64 v16, 0, v16, s[12:13]
	v_add_u32_e32 v15, v15, v16
	s_nop 1
	;; [unrolled: 4-line block ×4, first 2 shown]
	v_mov_b32_dpp v16, v15 row_bcast:15 row_mask:0xf bank_mask:0xf
	v_cndmask_b32_e64 v16, v16, 0, s[18:19]
	v_add_u32_e32 v15, v15, v16
	s_nop 1
	v_mov_b32_dpp v16, v15 row_bcast:31 row_mask:0xf bank_mask:0xf
	v_cndmask_b32_e64 v16, 0, v16, s[0:1]
	v_add_u32_e32 v15, v15, v16
	s_and_saveexec_b64 s[0:1], s[2:3]
; %bb.70:
	v_lshlrev_b32_e32 v16, 2, v40
	ds_write_b32 v16, v15
; %bb.71:
	s_or_b64 exec, exec, s[0:1]
	v_cmp_gt_u32_e32 vcc, 4, v0
	s_waitcnt lgkmcnt(0)
	s_barrier
	s_and_saveexec_b64 s[0:1], vcc
	s_cbranch_execz .LBB344_73
; %bb.72:
	v_lshlrev_b32_e32 v16, 2, v0
	ds_read_b32 v17, v16
	v_and_b32_e32 v18, 3, v29
	v_cmp_ne_u32_e32 vcc, 0, v18
	s_waitcnt lgkmcnt(0)
	v_mov_b32_dpp v19, v17 row_shr:1 row_mask:0xf bank_mask:0xf
	v_cndmask_b32_e32 v19, 0, v19, vcc
	v_add_u32_e32 v17, v19, v17
	v_cmp_lt_u32_e32 vcc, 1, v18
	s_nop 0
	v_mov_b32_dpp v19, v17 row_shr:2 row_mask:0xf bank_mask:0xf
	v_cndmask_b32_e32 v18, 0, v19, vcc
	v_add_u32_e32 v17, v17, v18
	ds_write_b32 v16, v17
.LBB344_73:
	s_or_b64 exec, exec, s[0:1]
	v_cmp_lt_u32_e32 vcc, 63, v0
	v_mov_b32_e32 v16, 0
	v_mov_b32_e32 v17, 0
	s_waitcnt lgkmcnt(0)
	s_barrier
	s_and_saveexec_b64 s[0:1], vcc
; %bb.74:
	v_lshl_add_u32 v17, v40, 2, -4
	ds_read_b32 v17, v17
; %bb.75:
	s_or_b64 exec, exec, s[0:1]
	v_subrev_co_u32_e32 v18, vcc, 1, v29
	v_and_b32_e32 v19, 64, v29
	v_cmp_lt_i32_e64 s[0:1], v18, v19
	v_cndmask_b32_e64 v18, v18, v29, s[0:1]
	s_waitcnt lgkmcnt(0)
	v_add_u32_e32 v15, v17, v15
	v_lshlrev_b32_e32 v18, 2, v18
	ds_bpermute_b32 v18, v18, v15
	ds_read_b32 v15, v16 offset:12
	v_cmp_eq_u32_e64 s[0:1], 0, v0
	s_and_saveexec_b64 s[2:3], s[0:1]
	s_cbranch_execz .LBB344_77
; %bb.76:
	v_mov_b32_e32 v19, 0
	v_mov_b32_e32 v16, 2
	s_waitcnt lgkmcnt(0)
	global_store_dwordx2 v19, v[15:16], s[30:31] offset:512
.LBB344_77:
	s_or_b64 exec, exec, s[2:3]
	s_waitcnt lgkmcnt(1)
	v_cndmask_b32_e32 v16, v18, v17, vcc
	v_cndmask_b32_e64 v23, v16, 0, s[0:1]
	s_waitcnt vmcnt(0) lgkmcnt(0)
	s_barrier
	v_mov_b32_e32 v16, 0
.LBB344_78:
	v_add_u32_e32 v29, v23, v25
	v_add_u32_e32 v27, v29, v27
	;; [unrolled: 1-line block ×4, first 2 shown]
	s_movk_i32 s2, 0x101
	v_add_u32_e32 v19, v21, v38
	s_waitcnt lgkmcnt(0)
	v_cmp_gt_u32_e32 vcc, s2, v15
	v_add_u32_e32 v17, v19, v39
	s_mov_b64 s[0:1], -1
	v_and_b32_e32 v38, 1, v26
	s_cbranch_vccnz .LBB344_82
; %bb.79:
	s_and_b64 vcc, exec, s[0:1]
	s_cbranch_vccnz .LBB344_97
.LBB344_80:
	v_cmp_eq_u32_e32 vcc, 0, v0
	s_and_b64 s[0:1], vcc, s[26:27]
	s_and_saveexec_b64 s[2:3], s[0:1]
	s_cbranch_execnz .LBB344_114
.LBB344_81:
	s_endpgm
.LBB344_82:
	v_add_u32_e32 v18, v16, v15
	s_lshl_b64 s[0:1], s[22:23], 3
	s_add_u32 s2, s4, s0
	v_cmp_lt_u32_e32 vcc, v23, v18
	s_addc_u32 s3, s5, s1
	s_or_b64 s[0:1], s[28:29], vcc
	v_cmp_eq_u32_e32 vcc, 1, v38
	s_and_b64 s[6:7], s[0:1], vcc
	s_and_saveexec_b64 s[0:1], s[6:7]
	s_cbranch_execz .LBB344_84
; %bb.83:
	v_mov_b32_e32 v24, 0
	v_lshlrev_b64 v[39:40], 3, v[23:24]
	v_mov_b32_e32 v20, s3
	v_add_co_u32_e32 v39, vcc, s2, v39
	v_addc_co_u32_e32 v40, vcc, v20, v40, vcc
	global_store_dwordx2 v[39:40], v[9:10], off
.LBB344_84:
	s_or_b64 exec, exec, s[0:1]
	v_cmp_lt_u32_e32 vcc, v29, v18
	v_and_b32_e32 v20, 1, v37
	s_or_b64 s[0:1], s[28:29], vcc
	v_cmp_eq_u32_e32 vcc, 1, v20
	s_and_b64 s[6:7], s[0:1], vcc
	s_and_saveexec_b64 s[0:1], s[6:7]
	s_cbranch_execz .LBB344_86
; %bb.85:
	v_mov_b32_e32 v30, 0
	v_lshlrev_b64 v[39:40], 3, v[29:30]
	v_mov_b32_e32 v20, s3
	v_add_co_u32_e32 v39, vcc, s2, v39
	v_addc_co_u32_e32 v40, vcc, v20, v40, vcc
	global_store_dwordx2 v[39:40], v[11:12], off
.LBB344_86:
	s_or_b64 exec, exec, s[0:1]
	v_cmp_lt_u32_e32 vcc, v27, v18
	v_and_b32_e32 v20, 1, v36
	;; [unrolled: 16-line block ×6, first 2 shown]
	s_or_b64 s[0:1], s[28:29], vcc
	v_cmp_eq_u32_e32 vcc, 1, v18
	s_and_b64 s[6:7], s[0:1], vcc
	s_and_saveexec_b64 s[0:1], s[6:7]
	s_cbranch_execz .LBB344_96
; %bb.95:
	v_mov_b32_e32 v18, 0
	v_lshlrev_b64 v[39:40], 3, v[17:18]
	v_mov_b32_e32 v18, s3
	v_add_co_u32_e32 v39, vcc, s2, v39
	v_addc_co_u32_e32 v40, vcc, v18, v40, vcc
	global_store_dwordx2 v[39:40], v[13:14], off
.LBB344_96:
	s_or_b64 exec, exec, s[0:1]
	s_branch .LBB344_80
.LBB344_97:
	v_cmp_eq_u32_e32 vcc, 1, v38
	s_and_saveexec_b64 s[0:1], vcc
; %bb.98:
	v_sub_u32_e32 v18, v23, v16
	v_lshlrev_b32_e32 v18, 3, v18
	ds_write_b64 v18, v[9:10]
; %bb.99:
	s_or_b64 exec, exec, s[0:1]
	v_and_b32_e32 v9, 1, v37
	v_cmp_eq_u32_e32 vcc, 1, v9
	s_and_saveexec_b64 s[0:1], vcc
; %bb.100:
	v_sub_u32_e32 v9, v29, v16
	v_lshlrev_b32_e32 v9, 3, v9
	ds_write_b64 v9, v[11:12]
; %bb.101:
	s_or_b64 exec, exec, s[0:1]
	v_and_b32_e32 v9, 1, v36
	;; [unrolled: 9-line block ×6, first 2 shown]
	v_cmp_eq_u32_e32 vcc, 1, v1
	s_and_saveexec_b64 s[0:1], vcc
; %bb.110:
	v_sub_u32_e32 v1, v17, v16
	v_lshlrev_b32_e32 v1, 3, v1
	ds_write_b64 v1, v[13:14]
; %bb.111:
	s_or_b64 exec, exec, s[0:1]
	v_mov_b32_e32 v2, 0
	v_mov_b32_e32 v17, v2
	s_lshl_b64 s[0:1], s[22:23], 3
	s_add_u32 s0, s4, s0
	v_lshlrev_b64 v[3:4], 3, v[16:17]
	s_addc_u32 s1, s5, s1
	v_mov_b32_e32 v1, s1
	v_add_co_u32_e32 v3, vcc, s0, v3
	v_addc_co_u32_e32 v4, vcc, v1, v4, vcc
	s_mov_b64 s[2:3], 0
	v_mov_b32_e32 v1, v0
	s_waitcnt vmcnt(0) lgkmcnt(0)
	s_barrier
.LBB344_112:                            ; =>This Inner Loop Header: Depth=1
	ds_read_b64 v[7:8], v31
	v_lshlrev_b64 v[5:6], 3, v[1:2]
	v_add_u32_e32 v1, 0x100, v1
	v_cmp_ge_u32_e32 vcc, v1, v15
	v_add_co_u32_e64 v5, s[0:1], v3, v5
	v_add_u32_e32 v31, 0x800, v31
	v_addc_co_u32_e64 v6, s[0:1], v4, v6, s[0:1]
	s_or_b64 s[2:3], vcc, s[2:3]
	s_waitcnt lgkmcnt(0)
	global_store_dwordx2 v[5:6], v[7:8], off
	s_andn2_b64 exec, exec, s[2:3]
	s_cbranch_execnz .LBB344_112
; %bb.113:
	s_or_b64 exec, exec, s[2:3]
	v_cmp_eq_u32_e32 vcc, 0, v0
	s_and_b64 s[0:1], vcc, s[26:27]
	s_and_saveexec_b64 s[2:3], s[0:1]
	s_cbranch_execz .LBB344_81
.LBB344_114:
	v_mov_b32_e32 v0, s23
	v_add_co_u32_e32 v1, vcc, s22, v15
	v_addc_co_u32_e32 v3, vcc, 0, v0, vcc
	v_add_co_u32_e32 v0, vcc, v1, v16
	v_mov_b32_e32 v2, 0
	v_addc_co_u32_e32 v1, vcc, 0, v3, vcc
	global_store_dwordx2 v2, v[0:1], s[24:25]
	s_endpgm
	.section	.rodata,"a",@progbits
	.p2align	6, 0x0
	.amdhsa_kernel _ZN7rocprim17ROCPRIM_400000_NS6detail17trampoline_kernelINS0_14default_configENS1_25partition_config_selectorILNS1_17partition_subalgoE8ExNS0_10empty_typeEbEEZZNS1_14partition_implILS5_8ELb0ES3_jN6thrust23THRUST_200600_302600_NS6detail15normal_iteratorINSA_10device_ptrIxEEEEPS6_PKS6_NS0_5tupleIJSF_S6_EEENSJ_IJSG_SG_EEENS0_18inequality_wrapperINSA_8equal_toIxEEEEPmJS6_EEE10hipError_tPvRmT3_T4_T5_T6_T7_T9_mT8_P12ihipStream_tbDpT10_ENKUlT_T0_E_clISt17integral_constantIbLb0EES1A_EEDaS15_S16_EUlS15_E_NS1_11comp_targetILNS1_3genE2ELNS1_11target_archE906ELNS1_3gpuE6ELNS1_3repE0EEENS1_30default_config_static_selectorELNS0_4arch9wavefront6targetE1EEEvT1_
		.amdhsa_group_segment_fixed_size 14344
		.amdhsa_private_segment_fixed_size 0
		.amdhsa_kernarg_size 112
		.amdhsa_user_sgpr_count 6
		.amdhsa_user_sgpr_private_segment_buffer 1
		.amdhsa_user_sgpr_dispatch_ptr 0
		.amdhsa_user_sgpr_queue_ptr 0
		.amdhsa_user_sgpr_kernarg_segment_ptr 1
		.amdhsa_user_sgpr_dispatch_id 0
		.amdhsa_user_sgpr_flat_scratch_init 0
		.amdhsa_user_sgpr_private_segment_size 0
		.amdhsa_uses_dynamic_stack 0
		.amdhsa_system_sgpr_private_segment_wavefront_offset 0
		.amdhsa_system_sgpr_workgroup_id_x 1
		.amdhsa_system_sgpr_workgroup_id_y 0
		.amdhsa_system_sgpr_workgroup_id_z 0
		.amdhsa_system_sgpr_workgroup_info 0
		.amdhsa_system_vgpr_workitem_id 0
		.amdhsa_next_free_vgpr 58
		.amdhsa_next_free_sgpr 98
		.amdhsa_reserve_vcc 1
		.amdhsa_reserve_flat_scratch 0
		.amdhsa_float_round_mode_32 0
		.amdhsa_float_round_mode_16_64 0
		.amdhsa_float_denorm_mode_32 3
		.amdhsa_float_denorm_mode_16_64 3
		.amdhsa_dx10_clamp 1
		.amdhsa_ieee_mode 1
		.amdhsa_fp16_overflow 0
		.amdhsa_exception_fp_ieee_invalid_op 0
		.amdhsa_exception_fp_denorm_src 0
		.amdhsa_exception_fp_ieee_div_zero 0
		.amdhsa_exception_fp_ieee_overflow 0
		.amdhsa_exception_fp_ieee_underflow 0
		.amdhsa_exception_fp_ieee_inexact 0
		.amdhsa_exception_int_div_zero 0
	.end_amdhsa_kernel
	.section	.text._ZN7rocprim17ROCPRIM_400000_NS6detail17trampoline_kernelINS0_14default_configENS1_25partition_config_selectorILNS1_17partition_subalgoE8ExNS0_10empty_typeEbEEZZNS1_14partition_implILS5_8ELb0ES3_jN6thrust23THRUST_200600_302600_NS6detail15normal_iteratorINSA_10device_ptrIxEEEEPS6_PKS6_NS0_5tupleIJSF_S6_EEENSJ_IJSG_SG_EEENS0_18inequality_wrapperINSA_8equal_toIxEEEEPmJS6_EEE10hipError_tPvRmT3_T4_T5_T6_T7_T9_mT8_P12ihipStream_tbDpT10_ENKUlT_T0_E_clISt17integral_constantIbLb0EES1A_EEDaS15_S16_EUlS15_E_NS1_11comp_targetILNS1_3genE2ELNS1_11target_archE906ELNS1_3gpuE6ELNS1_3repE0EEENS1_30default_config_static_selectorELNS0_4arch9wavefront6targetE1EEEvT1_,"axG",@progbits,_ZN7rocprim17ROCPRIM_400000_NS6detail17trampoline_kernelINS0_14default_configENS1_25partition_config_selectorILNS1_17partition_subalgoE8ExNS0_10empty_typeEbEEZZNS1_14partition_implILS5_8ELb0ES3_jN6thrust23THRUST_200600_302600_NS6detail15normal_iteratorINSA_10device_ptrIxEEEEPS6_PKS6_NS0_5tupleIJSF_S6_EEENSJ_IJSG_SG_EEENS0_18inequality_wrapperINSA_8equal_toIxEEEEPmJS6_EEE10hipError_tPvRmT3_T4_T5_T6_T7_T9_mT8_P12ihipStream_tbDpT10_ENKUlT_T0_E_clISt17integral_constantIbLb0EES1A_EEDaS15_S16_EUlS15_E_NS1_11comp_targetILNS1_3genE2ELNS1_11target_archE906ELNS1_3gpuE6ELNS1_3repE0EEENS1_30default_config_static_selectorELNS0_4arch9wavefront6targetE1EEEvT1_,comdat
.Lfunc_end344:
	.size	_ZN7rocprim17ROCPRIM_400000_NS6detail17trampoline_kernelINS0_14default_configENS1_25partition_config_selectorILNS1_17partition_subalgoE8ExNS0_10empty_typeEbEEZZNS1_14partition_implILS5_8ELb0ES3_jN6thrust23THRUST_200600_302600_NS6detail15normal_iteratorINSA_10device_ptrIxEEEEPS6_PKS6_NS0_5tupleIJSF_S6_EEENSJ_IJSG_SG_EEENS0_18inequality_wrapperINSA_8equal_toIxEEEEPmJS6_EEE10hipError_tPvRmT3_T4_T5_T6_T7_T9_mT8_P12ihipStream_tbDpT10_ENKUlT_T0_E_clISt17integral_constantIbLb0EES1A_EEDaS15_S16_EUlS15_E_NS1_11comp_targetILNS1_3genE2ELNS1_11target_archE906ELNS1_3gpuE6ELNS1_3repE0EEENS1_30default_config_static_selectorELNS0_4arch9wavefront6targetE1EEEvT1_, .Lfunc_end344-_ZN7rocprim17ROCPRIM_400000_NS6detail17trampoline_kernelINS0_14default_configENS1_25partition_config_selectorILNS1_17partition_subalgoE8ExNS0_10empty_typeEbEEZZNS1_14partition_implILS5_8ELb0ES3_jN6thrust23THRUST_200600_302600_NS6detail15normal_iteratorINSA_10device_ptrIxEEEEPS6_PKS6_NS0_5tupleIJSF_S6_EEENSJ_IJSG_SG_EEENS0_18inequality_wrapperINSA_8equal_toIxEEEEPmJS6_EEE10hipError_tPvRmT3_T4_T5_T6_T7_T9_mT8_P12ihipStream_tbDpT10_ENKUlT_T0_E_clISt17integral_constantIbLb0EES1A_EEDaS15_S16_EUlS15_E_NS1_11comp_targetILNS1_3genE2ELNS1_11target_archE906ELNS1_3gpuE6ELNS1_3repE0EEENS1_30default_config_static_selectorELNS0_4arch9wavefront6targetE1EEEvT1_
                                        ; -- End function
	.set _ZN7rocprim17ROCPRIM_400000_NS6detail17trampoline_kernelINS0_14default_configENS1_25partition_config_selectorILNS1_17partition_subalgoE8ExNS0_10empty_typeEbEEZZNS1_14partition_implILS5_8ELb0ES3_jN6thrust23THRUST_200600_302600_NS6detail15normal_iteratorINSA_10device_ptrIxEEEEPS6_PKS6_NS0_5tupleIJSF_S6_EEENSJ_IJSG_SG_EEENS0_18inequality_wrapperINSA_8equal_toIxEEEEPmJS6_EEE10hipError_tPvRmT3_T4_T5_T6_T7_T9_mT8_P12ihipStream_tbDpT10_ENKUlT_T0_E_clISt17integral_constantIbLb0EES1A_EEDaS15_S16_EUlS15_E_NS1_11comp_targetILNS1_3genE2ELNS1_11target_archE906ELNS1_3gpuE6ELNS1_3repE0EEENS1_30default_config_static_selectorELNS0_4arch9wavefront6targetE1EEEvT1_.num_vgpr, 58
	.set _ZN7rocprim17ROCPRIM_400000_NS6detail17trampoline_kernelINS0_14default_configENS1_25partition_config_selectorILNS1_17partition_subalgoE8ExNS0_10empty_typeEbEEZZNS1_14partition_implILS5_8ELb0ES3_jN6thrust23THRUST_200600_302600_NS6detail15normal_iteratorINSA_10device_ptrIxEEEEPS6_PKS6_NS0_5tupleIJSF_S6_EEENSJ_IJSG_SG_EEENS0_18inequality_wrapperINSA_8equal_toIxEEEEPmJS6_EEE10hipError_tPvRmT3_T4_T5_T6_T7_T9_mT8_P12ihipStream_tbDpT10_ENKUlT_T0_E_clISt17integral_constantIbLb0EES1A_EEDaS15_S16_EUlS15_E_NS1_11comp_targetILNS1_3genE2ELNS1_11target_archE906ELNS1_3gpuE6ELNS1_3repE0EEENS1_30default_config_static_selectorELNS0_4arch9wavefront6targetE1EEEvT1_.num_agpr, 0
	.set _ZN7rocprim17ROCPRIM_400000_NS6detail17trampoline_kernelINS0_14default_configENS1_25partition_config_selectorILNS1_17partition_subalgoE8ExNS0_10empty_typeEbEEZZNS1_14partition_implILS5_8ELb0ES3_jN6thrust23THRUST_200600_302600_NS6detail15normal_iteratorINSA_10device_ptrIxEEEEPS6_PKS6_NS0_5tupleIJSF_S6_EEENSJ_IJSG_SG_EEENS0_18inequality_wrapperINSA_8equal_toIxEEEEPmJS6_EEE10hipError_tPvRmT3_T4_T5_T6_T7_T9_mT8_P12ihipStream_tbDpT10_ENKUlT_T0_E_clISt17integral_constantIbLb0EES1A_EEDaS15_S16_EUlS15_E_NS1_11comp_targetILNS1_3genE2ELNS1_11target_archE906ELNS1_3gpuE6ELNS1_3repE0EEENS1_30default_config_static_selectorELNS0_4arch9wavefront6targetE1EEEvT1_.numbered_sgpr, 40
	.set _ZN7rocprim17ROCPRIM_400000_NS6detail17trampoline_kernelINS0_14default_configENS1_25partition_config_selectorILNS1_17partition_subalgoE8ExNS0_10empty_typeEbEEZZNS1_14partition_implILS5_8ELb0ES3_jN6thrust23THRUST_200600_302600_NS6detail15normal_iteratorINSA_10device_ptrIxEEEEPS6_PKS6_NS0_5tupleIJSF_S6_EEENSJ_IJSG_SG_EEENS0_18inequality_wrapperINSA_8equal_toIxEEEEPmJS6_EEE10hipError_tPvRmT3_T4_T5_T6_T7_T9_mT8_P12ihipStream_tbDpT10_ENKUlT_T0_E_clISt17integral_constantIbLb0EES1A_EEDaS15_S16_EUlS15_E_NS1_11comp_targetILNS1_3genE2ELNS1_11target_archE906ELNS1_3gpuE6ELNS1_3repE0EEENS1_30default_config_static_selectorELNS0_4arch9wavefront6targetE1EEEvT1_.num_named_barrier, 0
	.set _ZN7rocprim17ROCPRIM_400000_NS6detail17trampoline_kernelINS0_14default_configENS1_25partition_config_selectorILNS1_17partition_subalgoE8ExNS0_10empty_typeEbEEZZNS1_14partition_implILS5_8ELb0ES3_jN6thrust23THRUST_200600_302600_NS6detail15normal_iteratorINSA_10device_ptrIxEEEEPS6_PKS6_NS0_5tupleIJSF_S6_EEENSJ_IJSG_SG_EEENS0_18inequality_wrapperINSA_8equal_toIxEEEEPmJS6_EEE10hipError_tPvRmT3_T4_T5_T6_T7_T9_mT8_P12ihipStream_tbDpT10_ENKUlT_T0_E_clISt17integral_constantIbLb0EES1A_EEDaS15_S16_EUlS15_E_NS1_11comp_targetILNS1_3genE2ELNS1_11target_archE906ELNS1_3gpuE6ELNS1_3repE0EEENS1_30default_config_static_selectorELNS0_4arch9wavefront6targetE1EEEvT1_.private_seg_size, 0
	.set _ZN7rocprim17ROCPRIM_400000_NS6detail17trampoline_kernelINS0_14default_configENS1_25partition_config_selectorILNS1_17partition_subalgoE8ExNS0_10empty_typeEbEEZZNS1_14partition_implILS5_8ELb0ES3_jN6thrust23THRUST_200600_302600_NS6detail15normal_iteratorINSA_10device_ptrIxEEEEPS6_PKS6_NS0_5tupleIJSF_S6_EEENSJ_IJSG_SG_EEENS0_18inequality_wrapperINSA_8equal_toIxEEEEPmJS6_EEE10hipError_tPvRmT3_T4_T5_T6_T7_T9_mT8_P12ihipStream_tbDpT10_ENKUlT_T0_E_clISt17integral_constantIbLb0EES1A_EEDaS15_S16_EUlS15_E_NS1_11comp_targetILNS1_3genE2ELNS1_11target_archE906ELNS1_3gpuE6ELNS1_3repE0EEENS1_30default_config_static_selectorELNS0_4arch9wavefront6targetE1EEEvT1_.uses_vcc, 1
	.set _ZN7rocprim17ROCPRIM_400000_NS6detail17trampoline_kernelINS0_14default_configENS1_25partition_config_selectorILNS1_17partition_subalgoE8ExNS0_10empty_typeEbEEZZNS1_14partition_implILS5_8ELb0ES3_jN6thrust23THRUST_200600_302600_NS6detail15normal_iteratorINSA_10device_ptrIxEEEEPS6_PKS6_NS0_5tupleIJSF_S6_EEENSJ_IJSG_SG_EEENS0_18inequality_wrapperINSA_8equal_toIxEEEEPmJS6_EEE10hipError_tPvRmT3_T4_T5_T6_T7_T9_mT8_P12ihipStream_tbDpT10_ENKUlT_T0_E_clISt17integral_constantIbLb0EES1A_EEDaS15_S16_EUlS15_E_NS1_11comp_targetILNS1_3genE2ELNS1_11target_archE906ELNS1_3gpuE6ELNS1_3repE0EEENS1_30default_config_static_selectorELNS0_4arch9wavefront6targetE1EEEvT1_.uses_flat_scratch, 0
	.set _ZN7rocprim17ROCPRIM_400000_NS6detail17trampoline_kernelINS0_14default_configENS1_25partition_config_selectorILNS1_17partition_subalgoE8ExNS0_10empty_typeEbEEZZNS1_14partition_implILS5_8ELb0ES3_jN6thrust23THRUST_200600_302600_NS6detail15normal_iteratorINSA_10device_ptrIxEEEEPS6_PKS6_NS0_5tupleIJSF_S6_EEENSJ_IJSG_SG_EEENS0_18inequality_wrapperINSA_8equal_toIxEEEEPmJS6_EEE10hipError_tPvRmT3_T4_T5_T6_T7_T9_mT8_P12ihipStream_tbDpT10_ENKUlT_T0_E_clISt17integral_constantIbLb0EES1A_EEDaS15_S16_EUlS15_E_NS1_11comp_targetILNS1_3genE2ELNS1_11target_archE906ELNS1_3gpuE6ELNS1_3repE0EEENS1_30default_config_static_selectorELNS0_4arch9wavefront6targetE1EEEvT1_.has_dyn_sized_stack, 0
	.set _ZN7rocprim17ROCPRIM_400000_NS6detail17trampoline_kernelINS0_14default_configENS1_25partition_config_selectorILNS1_17partition_subalgoE8ExNS0_10empty_typeEbEEZZNS1_14partition_implILS5_8ELb0ES3_jN6thrust23THRUST_200600_302600_NS6detail15normal_iteratorINSA_10device_ptrIxEEEEPS6_PKS6_NS0_5tupleIJSF_S6_EEENSJ_IJSG_SG_EEENS0_18inequality_wrapperINSA_8equal_toIxEEEEPmJS6_EEE10hipError_tPvRmT3_T4_T5_T6_T7_T9_mT8_P12ihipStream_tbDpT10_ENKUlT_T0_E_clISt17integral_constantIbLb0EES1A_EEDaS15_S16_EUlS15_E_NS1_11comp_targetILNS1_3genE2ELNS1_11target_archE906ELNS1_3gpuE6ELNS1_3repE0EEENS1_30default_config_static_selectorELNS0_4arch9wavefront6targetE1EEEvT1_.has_recursion, 0
	.set _ZN7rocprim17ROCPRIM_400000_NS6detail17trampoline_kernelINS0_14default_configENS1_25partition_config_selectorILNS1_17partition_subalgoE8ExNS0_10empty_typeEbEEZZNS1_14partition_implILS5_8ELb0ES3_jN6thrust23THRUST_200600_302600_NS6detail15normal_iteratorINSA_10device_ptrIxEEEEPS6_PKS6_NS0_5tupleIJSF_S6_EEENSJ_IJSG_SG_EEENS0_18inequality_wrapperINSA_8equal_toIxEEEEPmJS6_EEE10hipError_tPvRmT3_T4_T5_T6_T7_T9_mT8_P12ihipStream_tbDpT10_ENKUlT_T0_E_clISt17integral_constantIbLb0EES1A_EEDaS15_S16_EUlS15_E_NS1_11comp_targetILNS1_3genE2ELNS1_11target_archE906ELNS1_3gpuE6ELNS1_3repE0EEENS1_30default_config_static_selectorELNS0_4arch9wavefront6targetE1EEEvT1_.has_indirect_call, 0
	.section	.AMDGPU.csdata,"",@progbits
; Kernel info:
; codeLenInByte = 4812
; TotalNumSgprs: 44
; NumVgprs: 58
; ScratchSize: 0
; MemoryBound: 0
; FloatMode: 240
; IeeeMode: 1
; LDSByteSize: 14344 bytes/workgroup (compile time only)
; SGPRBlocks: 12
; VGPRBlocks: 14
; NumSGPRsForWavesPerEU: 102
; NumVGPRsForWavesPerEU: 58
; Occupancy: 4
; WaveLimiterHint : 1
; COMPUTE_PGM_RSRC2:SCRATCH_EN: 0
; COMPUTE_PGM_RSRC2:USER_SGPR: 6
; COMPUTE_PGM_RSRC2:TRAP_HANDLER: 0
; COMPUTE_PGM_RSRC2:TGID_X_EN: 1
; COMPUTE_PGM_RSRC2:TGID_Y_EN: 0
; COMPUTE_PGM_RSRC2:TGID_Z_EN: 0
; COMPUTE_PGM_RSRC2:TIDIG_COMP_CNT: 0
	.section	.text._ZN7rocprim17ROCPRIM_400000_NS6detail17trampoline_kernelINS0_14default_configENS1_25partition_config_selectorILNS1_17partition_subalgoE8ExNS0_10empty_typeEbEEZZNS1_14partition_implILS5_8ELb0ES3_jN6thrust23THRUST_200600_302600_NS6detail15normal_iteratorINSA_10device_ptrIxEEEEPS6_PKS6_NS0_5tupleIJSF_S6_EEENSJ_IJSG_SG_EEENS0_18inequality_wrapperINSA_8equal_toIxEEEEPmJS6_EEE10hipError_tPvRmT3_T4_T5_T6_T7_T9_mT8_P12ihipStream_tbDpT10_ENKUlT_T0_E_clISt17integral_constantIbLb0EES1A_EEDaS15_S16_EUlS15_E_NS1_11comp_targetILNS1_3genE10ELNS1_11target_archE1200ELNS1_3gpuE4ELNS1_3repE0EEENS1_30default_config_static_selectorELNS0_4arch9wavefront6targetE1EEEvT1_,"axG",@progbits,_ZN7rocprim17ROCPRIM_400000_NS6detail17trampoline_kernelINS0_14default_configENS1_25partition_config_selectorILNS1_17partition_subalgoE8ExNS0_10empty_typeEbEEZZNS1_14partition_implILS5_8ELb0ES3_jN6thrust23THRUST_200600_302600_NS6detail15normal_iteratorINSA_10device_ptrIxEEEEPS6_PKS6_NS0_5tupleIJSF_S6_EEENSJ_IJSG_SG_EEENS0_18inequality_wrapperINSA_8equal_toIxEEEEPmJS6_EEE10hipError_tPvRmT3_T4_T5_T6_T7_T9_mT8_P12ihipStream_tbDpT10_ENKUlT_T0_E_clISt17integral_constantIbLb0EES1A_EEDaS15_S16_EUlS15_E_NS1_11comp_targetILNS1_3genE10ELNS1_11target_archE1200ELNS1_3gpuE4ELNS1_3repE0EEENS1_30default_config_static_selectorELNS0_4arch9wavefront6targetE1EEEvT1_,comdat
	.protected	_ZN7rocprim17ROCPRIM_400000_NS6detail17trampoline_kernelINS0_14default_configENS1_25partition_config_selectorILNS1_17partition_subalgoE8ExNS0_10empty_typeEbEEZZNS1_14partition_implILS5_8ELb0ES3_jN6thrust23THRUST_200600_302600_NS6detail15normal_iteratorINSA_10device_ptrIxEEEEPS6_PKS6_NS0_5tupleIJSF_S6_EEENSJ_IJSG_SG_EEENS0_18inequality_wrapperINSA_8equal_toIxEEEEPmJS6_EEE10hipError_tPvRmT3_T4_T5_T6_T7_T9_mT8_P12ihipStream_tbDpT10_ENKUlT_T0_E_clISt17integral_constantIbLb0EES1A_EEDaS15_S16_EUlS15_E_NS1_11comp_targetILNS1_3genE10ELNS1_11target_archE1200ELNS1_3gpuE4ELNS1_3repE0EEENS1_30default_config_static_selectorELNS0_4arch9wavefront6targetE1EEEvT1_ ; -- Begin function _ZN7rocprim17ROCPRIM_400000_NS6detail17trampoline_kernelINS0_14default_configENS1_25partition_config_selectorILNS1_17partition_subalgoE8ExNS0_10empty_typeEbEEZZNS1_14partition_implILS5_8ELb0ES3_jN6thrust23THRUST_200600_302600_NS6detail15normal_iteratorINSA_10device_ptrIxEEEEPS6_PKS6_NS0_5tupleIJSF_S6_EEENSJ_IJSG_SG_EEENS0_18inequality_wrapperINSA_8equal_toIxEEEEPmJS6_EEE10hipError_tPvRmT3_T4_T5_T6_T7_T9_mT8_P12ihipStream_tbDpT10_ENKUlT_T0_E_clISt17integral_constantIbLb0EES1A_EEDaS15_S16_EUlS15_E_NS1_11comp_targetILNS1_3genE10ELNS1_11target_archE1200ELNS1_3gpuE4ELNS1_3repE0EEENS1_30default_config_static_selectorELNS0_4arch9wavefront6targetE1EEEvT1_
	.globl	_ZN7rocprim17ROCPRIM_400000_NS6detail17trampoline_kernelINS0_14default_configENS1_25partition_config_selectorILNS1_17partition_subalgoE8ExNS0_10empty_typeEbEEZZNS1_14partition_implILS5_8ELb0ES3_jN6thrust23THRUST_200600_302600_NS6detail15normal_iteratorINSA_10device_ptrIxEEEEPS6_PKS6_NS0_5tupleIJSF_S6_EEENSJ_IJSG_SG_EEENS0_18inequality_wrapperINSA_8equal_toIxEEEEPmJS6_EEE10hipError_tPvRmT3_T4_T5_T6_T7_T9_mT8_P12ihipStream_tbDpT10_ENKUlT_T0_E_clISt17integral_constantIbLb0EES1A_EEDaS15_S16_EUlS15_E_NS1_11comp_targetILNS1_3genE10ELNS1_11target_archE1200ELNS1_3gpuE4ELNS1_3repE0EEENS1_30default_config_static_selectorELNS0_4arch9wavefront6targetE1EEEvT1_
	.p2align	8
	.type	_ZN7rocprim17ROCPRIM_400000_NS6detail17trampoline_kernelINS0_14default_configENS1_25partition_config_selectorILNS1_17partition_subalgoE8ExNS0_10empty_typeEbEEZZNS1_14partition_implILS5_8ELb0ES3_jN6thrust23THRUST_200600_302600_NS6detail15normal_iteratorINSA_10device_ptrIxEEEEPS6_PKS6_NS0_5tupleIJSF_S6_EEENSJ_IJSG_SG_EEENS0_18inequality_wrapperINSA_8equal_toIxEEEEPmJS6_EEE10hipError_tPvRmT3_T4_T5_T6_T7_T9_mT8_P12ihipStream_tbDpT10_ENKUlT_T0_E_clISt17integral_constantIbLb0EES1A_EEDaS15_S16_EUlS15_E_NS1_11comp_targetILNS1_3genE10ELNS1_11target_archE1200ELNS1_3gpuE4ELNS1_3repE0EEENS1_30default_config_static_selectorELNS0_4arch9wavefront6targetE1EEEvT1_,@function
_ZN7rocprim17ROCPRIM_400000_NS6detail17trampoline_kernelINS0_14default_configENS1_25partition_config_selectorILNS1_17partition_subalgoE8ExNS0_10empty_typeEbEEZZNS1_14partition_implILS5_8ELb0ES3_jN6thrust23THRUST_200600_302600_NS6detail15normal_iteratorINSA_10device_ptrIxEEEEPS6_PKS6_NS0_5tupleIJSF_S6_EEENSJ_IJSG_SG_EEENS0_18inequality_wrapperINSA_8equal_toIxEEEEPmJS6_EEE10hipError_tPvRmT3_T4_T5_T6_T7_T9_mT8_P12ihipStream_tbDpT10_ENKUlT_T0_E_clISt17integral_constantIbLb0EES1A_EEDaS15_S16_EUlS15_E_NS1_11comp_targetILNS1_3genE10ELNS1_11target_archE1200ELNS1_3gpuE4ELNS1_3repE0EEENS1_30default_config_static_selectorELNS0_4arch9wavefront6targetE1EEEvT1_: ; @_ZN7rocprim17ROCPRIM_400000_NS6detail17trampoline_kernelINS0_14default_configENS1_25partition_config_selectorILNS1_17partition_subalgoE8ExNS0_10empty_typeEbEEZZNS1_14partition_implILS5_8ELb0ES3_jN6thrust23THRUST_200600_302600_NS6detail15normal_iteratorINSA_10device_ptrIxEEEEPS6_PKS6_NS0_5tupleIJSF_S6_EEENSJ_IJSG_SG_EEENS0_18inequality_wrapperINSA_8equal_toIxEEEEPmJS6_EEE10hipError_tPvRmT3_T4_T5_T6_T7_T9_mT8_P12ihipStream_tbDpT10_ENKUlT_T0_E_clISt17integral_constantIbLb0EES1A_EEDaS15_S16_EUlS15_E_NS1_11comp_targetILNS1_3genE10ELNS1_11target_archE1200ELNS1_3gpuE4ELNS1_3repE0EEENS1_30default_config_static_selectorELNS0_4arch9wavefront6targetE1EEEvT1_
; %bb.0:
	.section	.rodata,"a",@progbits
	.p2align	6, 0x0
	.amdhsa_kernel _ZN7rocprim17ROCPRIM_400000_NS6detail17trampoline_kernelINS0_14default_configENS1_25partition_config_selectorILNS1_17partition_subalgoE8ExNS0_10empty_typeEbEEZZNS1_14partition_implILS5_8ELb0ES3_jN6thrust23THRUST_200600_302600_NS6detail15normal_iteratorINSA_10device_ptrIxEEEEPS6_PKS6_NS0_5tupleIJSF_S6_EEENSJ_IJSG_SG_EEENS0_18inequality_wrapperINSA_8equal_toIxEEEEPmJS6_EEE10hipError_tPvRmT3_T4_T5_T6_T7_T9_mT8_P12ihipStream_tbDpT10_ENKUlT_T0_E_clISt17integral_constantIbLb0EES1A_EEDaS15_S16_EUlS15_E_NS1_11comp_targetILNS1_3genE10ELNS1_11target_archE1200ELNS1_3gpuE4ELNS1_3repE0EEENS1_30default_config_static_selectorELNS0_4arch9wavefront6targetE1EEEvT1_
		.amdhsa_group_segment_fixed_size 0
		.amdhsa_private_segment_fixed_size 0
		.amdhsa_kernarg_size 112
		.amdhsa_user_sgpr_count 6
		.amdhsa_user_sgpr_private_segment_buffer 1
		.amdhsa_user_sgpr_dispatch_ptr 0
		.amdhsa_user_sgpr_queue_ptr 0
		.amdhsa_user_sgpr_kernarg_segment_ptr 1
		.amdhsa_user_sgpr_dispatch_id 0
		.amdhsa_user_sgpr_flat_scratch_init 0
		.amdhsa_user_sgpr_private_segment_size 0
		.amdhsa_uses_dynamic_stack 0
		.amdhsa_system_sgpr_private_segment_wavefront_offset 0
		.amdhsa_system_sgpr_workgroup_id_x 1
		.amdhsa_system_sgpr_workgroup_id_y 0
		.amdhsa_system_sgpr_workgroup_id_z 0
		.amdhsa_system_sgpr_workgroup_info 0
		.amdhsa_system_vgpr_workitem_id 0
		.amdhsa_next_free_vgpr 1
		.amdhsa_next_free_sgpr 0
		.amdhsa_reserve_vcc 0
		.amdhsa_reserve_flat_scratch 0
		.amdhsa_float_round_mode_32 0
		.amdhsa_float_round_mode_16_64 0
		.amdhsa_float_denorm_mode_32 3
		.amdhsa_float_denorm_mode_16_64 3
		.amdhsa_dx10_clamp 1
		.amdhsa_ieee_mode 1
		.amdhsa_fp16_overflow 0
		.amdhsa_exception_fp_ieee_invalid_op 0
		.amdhsa_exception_fp_denorm_src 0
		.amdhsa_exception_fp_ieee_div_zero 0
		.amdhsa_exception_fp_ieee_overflow 0
		.amdhsa_exception_fp_ieee_underflow 0
		.amdhsa_exception_fp_ieee_inexact 0
		.amdhsa_exception_int_div_zero 0
	.end_amdhsa_kernel
	.section	.text._ZN7rocprim17ROCPRIM_400000_NS6detail17trampoline_kernelINS0_14default_configENS1_25partition_config_selectorILNS1_17partition_subalgoE8ExNS0_10empty_typeEbEEZZNS1_14partition_implILS5_8ELb0ES3_jN6thrust23THRUST_200600_302600_NS6detail15normal_iteratorINSA_10device_ptrIxEEEEPS6_PKS6_NS0_5tupleIJSF_S6_EEENSJ_IJSG_SG_EEENS0_18inequality_wrapperINSA_8equal_toIxEEEEPmJS6_EEE10hipError_tPvRmT3_T4_T5_T6_T7_T9_mT8_P12ihipStream_tbDpT10_ENKUlT_T0_E_clISt17integral_constantIbLb0EES1A_EEDaS15_S16_EUlS15_E_NS1_11comp_targetILNS1_3genE10ELNS1_11target_archE1200ELNS1_3gpuE4ELNS1_3repE0EEENS1_30default_config_static_selectorELNS0_4arch9wavefront6targetE1EEEvT1_,"axG",@progbits,_ZN7rocprim17ROCPRIM_400000_NS6detail17trampoline_kernelINS0_14default_configENS1_25partition_config_selectorILNS1_17partition_subalgoE8ExNS0_10empty_typeEbEEZZNS1_14partition_implILS5_8ELb0ES3_jN6thrust23THRUST_200600_302600_NS6detail15normal_iteratorINSA_10device_ptrIxEEEEPS6_PKS6_NS0_5tupleIJSF_S6_EEENSJ_IJSG_SG_EEENS0_18inequality_wrapperINSA_8equal_toIxEEEEPmJS6_EEE10hipError_tPvRmT3_T4_T5_T6_T7_T9_mT8_P12ihipStream_tbDpT10_ENKUlT_T0_E_clISt17integral_constantIbLb0EES1A_EEDaS15_S16_EUlS15_E_NS1_11comp_targetILNS1_3genE10ELNS1_11target_archE1200ELNS1_3gpuE4ELNS1_3repE0EEENS1_30default_config_static_selectorELNS0_4arch9wavefront6targetE1EEEvT1_,comdat
.Lfunc_end345:
	.size	_ZN7rocprim17ROCPRIM_400000_NS6detail17trampoline_kernelINS0_14default_configENS1_25partition_config_selectorILNS1_17partition_subalgoE8ExNS0_10empty_typeEbEEZZNS1_14partition_implILS5_8ELb0ES3_jN6thrust23THRUST_200600_302600_NS6detail15normal_iteratorINSA_10device_ptrIxEEEEPS6_PKS6_NS0_5tupleIJSF_S6_EEENSJ_IJSG_SG_EEENS0_18inequality_wrapperINSA_8equal_toIxEEEEPmJS6_EEE10hipError_tPvRmT3_T4_T5_T6_T7_T9_mT8_P12ihipStream_tbDpT10_ENKUlT_T0_E_clISt17integral_constantIbLb0EES1A_EEDaS15_S16_EUlS15_E_NS1_11comp_targetILNS1_3genE10ELNS1_11target_archE1200ELNS1_3gpuE4ELNS1_3repE0EEENS1_30default_config_static_selectorELNS0_4arch9wavefront6targetE1EEEvT1_, .Lfunc_end345-_ZN7rocprim17ROCPRIM_400000_NS6detail17trampoline_kernelINS0_14default_configENS1_25partition_config_selectorILNS1_17partition_subalgoE8ExNS0_10empty_typeEbEEZZNS1_14partition_implILS5_8ELb0ES3_jN6thrust23THRUST_200600_302600_NS6detail15normal_iteratorINSA_10device_ptrIxEEEEPS6_PKS6_NS0_5tupleIJSF_S6_EEENSJ_IJSG_SG_EEENS0_18inequality_wrapperINSA_8equal_toIxEEEEPmJS6_EEE10hipError_tPvRmT3_T4_T5_T6_T7_T9_mT8_P12ihipStream_tbDpT10_ENKUlT_T0_E_clISt17integral_constantIbLb0EES1A_EEDaS15_S16_EUlS15_E_NS1_11comp_targetILNS1_3genE10ELNS1_11target_archE1200ELNS1_3gpuE4ELNS1_3repE0EEENS1_30default_config_static_selectorELNS0_4arch9wavefront6targetE1EEEvT1_
                                        ; -- End function
	.set _ZN7rocprim17ROCPRIM_400000_NS6detail17trampoline_kernelINS0_14default_configENS1_25partition_config_selectorILNS1_17partition_subalgoE8ExNS0_10empty_typeEbEEZZNS1_14partition_implILS5_8ELb0ES3_jN6thrust23THRUST_200600_302600_NS6detail15normal_iteratorINSA_10device_ptrIxEEEEPS6_PKS6_NS0_5tupleIJSF_S6_EEENSJ_IJSG_SG_EEENS0_18inequality_wrapperINSA_8equal_toIxEEEEPmJS6_EEE10hipError_tPvRmT3_T4_T5_T6_T7_T9_mT8_P12ihipStream_tbDpT10_ENKUlT_T0_E_clISt17integral_constantIbLb0EES1A_EEDaS15_S16_EUlS15_E_NS1_11comp_targetILNS1_3genE10ELNS1_11target_archE1200ELNS1_3gpuE4ELNS1_3repE0EEENS1_30default_config_static_selectorELNS0_4arch9wavefront6targetE1EEEvT1_.num_vgpr, 0
	.set _ZN7rocprim17ROCPRIM_400000_NS6detail17trampoline_kernelINS0_14default_configENS1_25partition_config_selectorILNS1_17partition_subalgoE8ExNS0_10empty_typeEbEEZZNS1_14partition_implILS5_8ELb0ES3_jN6thrust23THRUST_200600_302600_NS6detail15normal_iteratorINSA_10device_ptrIxEEEEPS6_PKS6_NS0_5tupleIJSF_S6_EEENSJ_IJSG_SG_EEENS0_18inequality_wrapperINSA_8equal_toIxEEEEPmJS6_EEE10hipError_tPvRmT3_T4_T5_T6_T7_T9_mT8_P12ihipStream_tbDpT10_ENKUlT_T0_E_clISt17integral_constantIbLb0EES1A_EEDaS15_S16_EUlS15_E_NS1_11comp_targetILNS1_3genE10ELNS1_11target_archE1200ELNS1_3gpuE4ELNS1_3repE0EEENS1_30default_config_static_selectorELNS0_4arch9wavefront6targetE1EEEvT1_.num_agpr, 0
	.set _ZN7rocprim17ROCPRIM_400000_NS6detail17trampoline_kernelINS0_14default_configENS1_25partition_config_selectorILNS1_17partition_subalgoE8ExNS0_10empty_typeEbEEZZNS1_14partition_implILS5_8ELb0ES3_jN6thrust23THRUST_200600_302600_NS6detail15normal_iteratorINSA_10device_ptrIxEEEEPS6_PKS6_NS0_5tupleIJSF_S6_EEENSJ_IJSG_SG_EEENS0_18inequality_wrapperINSA_8equal_toIxEEEEPmJS6_EEE10hipError_tPvRmT3_T4_T5_T6_T7_T9_mT8_P12ihipStream_tbDpT10_ENKUlT_T0_E_clISt17integral_constantIbLb0EES1A_EEDaS15_S16_EUlS15_E_NS1_11comp_targetILNS1_3genE10ELNS1_11target_archE1200ELNS1_3gpuE4ELNS1_3repE0EEENS1_30default_config_static_selectorELNS0_4arch9wavefront6targetE1EEEvT1_.numbered_sgpr, 0
	.set _ZN7rocprim17ROCPRIM_400000_NS6detail17trampoline_kernelINS0_14default_configENS1_25partition_config_selectorILNS1_17partition_subalgoE8ExNS0_10empty_typeEbEEZZNS1_14partition_implILS5_8ELb0ES3_jN6thrust23THRUST_200600_302600_NS6detail15normal_iteratorINSA_10device_ptrIxEEEEPS6_PKS6_NS0_5tupleIJSF_S6_EEENSJ_IJSG_SG_EEENS0_18inequality_wrapperINSA_8equal_toIxEEEEPmJS6_EEE10hipError_tPvRmT3_T4_T5_T6_T7_T9_mT8_P12ihipStream_tbDpT10_ENKUlT_T0_E_clISt17integral_constantIbLb0EES1A_EEDaS15_S16_EUlS15_E_NS1_11comp_targetILNS1_3genE10ELNS1_11target_archE1200ELNS1_3gpuE4ELNS1_3repE0EEENS1_30default_config_static_selectorELNS0_4arch9wavefront6targetE1EEEvT1_.num_named_barrier, 0
	.set _ZN7rocprim17ROCPRIM_400000_NS6detail17trampoline_kernelINS0_14default_configENS1_25partition_config_selectorILNS1_17partition_subalgoE8ExNS0_10empty_typeEbEEZZNS1_14partition_implILS5_8ELb0ES3_jN6thrust23THRUST_200600_302600_NS6detail15normal_iteratorINSA_10device_ptrIxEEEEPS6_PKS6_NS0_5tupleIJSF_S6_EEENSJ_IJSG_SG_EEENS0_18inequality_wrapperINSA_8equal_toIxEEEEPmJS6_EEE10hipError_tPvRmT3_T4_T5_T6_T7_T9_mT8_P12ihipStream_tbDpT10_ENKUlT_T0_E_clISt17integral_constantIbLb0EES1A_EEDaS15_S16_EUlS15_E_NS1_11comp_targetILNS1_3genE10ELNS1_11target_archE1200ELNS1_3gpuE4ELNS1_3repE0EEENS1_30default_config_static_selectorELNS0_4arch9wavefront6targetE1EEEvT1_.private_seg_size, 0
	.set _ZN7rocprim17ROCPRIM_400000_NS6detail17trampoline_kernelINS0_14default_configENS1_25partition_config_selectorILNS1_17partition_subalgoE8ExNS0_10empty_typeEbEEZZNS1_14partition_implILS5_8ELb0ES3_jN6thrust23THRUST_200600_302600_NS6detail15normal_iteratorINSA_10device_ptrIxEEEEPS6_PKS6_NS0_5tupleIJSF_S6_EEENSJ_IJSG_SG_EEENS0_18inequality_wrapperINSA_8equal_toIxEEEEPmJS6_EEE10hipError_tPvRmT3_T4_T5_T6_T7_T9_mT8_P12ihipStream_tbDpT10_ENKUlT_T0_E_clISt17integral_constantIbLb0EES1A_EEDaS15_S16_EUlS15_E_NS1_11comp_targetILNS1_3genE10ELNS1_11target_archE1200ELNS1_3gpuE4ELNS1_3repE0EEENS1_30default_config_static_selectorELNS0_4arch9wavefront6targetE1EEEvT1_.uses_vcc, 0
	.set _ZN7rocprim17ROCPRIM_400000_NS6detail17trampoline_kernelINS0_14default_configENS1_25partition_config_selectorILNS1_17partition_subalgoE8ExNS0_10empty_typeEbEEZZNS1_14partition_implILS5_8ELb0ES3_jN6thrust23THRUST_200600_302600_NS6detail15normal_iteratorINSA_10device_ptrIxEEEEPS6_PKS6_NS0_5tupleIJSF_S6_EEENSJ_IJSG_SG_EEENS0_18inequality_wrapperINSA_8equal_toIxEEEEPmJS6_EEE10hipError_tPvRmT3_T4_T5_T6_T7_T9_mT8_P12ihipStream_tbDpT10_ENKUlT_T0_E_clISt17integral_constantIbLb0EES1A_EEDaS15_S16_EUlS15_E_NS1_11comp_targetILNS1_3genE10ELNS1_11target_archE1200ELNS1_3gpuE4ELNS1_3repE0EEENS1_30default_config_static_selectorELNS0_4arch9wavefront6targetE1EEEvT1_.uses_flat_scratch, 0
	.set _ZN7rocprim17ROCPRIM_400000_NS6detail17trampoline_kernelINS0_14default_configENS1_25partition_config_selectorILNS1_17partition_subalgoE8ExNS0_10empty_typeEbEEZZNS1_14partition_implILS5_8ELb0ES3_jN6thrust23THRUST_200600_302600_NS6detail15normal_iteratorINSA_10device_ptrIxEEEEPS6_PKS6_NS0_5tupleIJSF_S6_EEENSJ_IJSG_SG_EEENS0_18inequality_wrapperINSA_8equal_toIxEEEEPmJS6_EEE10hipError_tPvRmT3_T4_T5_T6_T7_T9_mT8_P12ihipStream_tbDpT10_ENKUlT_T0_E_clISt17integral_constantIbLb0EES1A_EEDaS15_S16_EUlS15_E_NS1_11comp_targetILNS1_3genE10ELNS1_11target_archE1200ELNS1_3gpuE4ELNS1_3repE0EEENS1_30default_config_static_selectorELNS0_4arch9wavefront6targetE1EEEvT1_.has_dyn_sized_stack, 0
	.set _ZN7rocprim17ROCPRIM_400000_NS6detail17trampoline_kernelINS0_14default_configENS1_25partition_config_selectorILNS1_17partition_subalgoE8ExNS0_10empty_typeEbEEZZNS1_14partition_implILS5_8ELb0ES3_jN6thrust23THRUST_200600_302600_NS6detail15normal_iteratorINSA_10device_ptrIxEEEEPS6_PKS6_NS0_5tupleIJSF_S6_EEENSJ_IJSG_SG_EEENS0_18inequality_wrapperINSA_8equal_toIxEEEEPmJS6_EEE10hipError_tPvRmT3_T4_T5_T6_T7_T9_mT8_P12ihipStream_tbDpT10_ENKUlT_T0_E_clISt17integral_constantIbLb0EES1A_EEDaS15_S16_EUlS15_E_NS1_11comp_targetILNS1_3genE10ELNS1_11target_archE1200ELNS1_3gpuE4ELNS1_3repE0EEENS1_30default_config_static_selectorELNS0_4arch9wavefront6targetE1EEEvT1_.has_recursion, 0
	.set _ZN7rocprim17ROCPRIM_400000_NS6detail17trampoline_kernelINS0_14default_configENS1_25partition_config_selectorILNS1_17partition_subalgoE8ExNS0_10empty_typeEbEEZZNS1_14partition_implILS5_8ELb0ES3_jN6thrust23THRUST_200600_302600_NS6detail15normal_iteratorINSA_10device_ptrIxEEEEPS6_PKS6_NS0_5tupleIJSF_S6_EEENSJ_IJSG_SG_EEENS0_18inequality_wrapperINSA_8equal_toIxEEEEPmJS6_EEE10hipError_tPvRmT3_T4_T5_T6_T7_T9_mT8_P12ihipStream_tbDpT10_ENKUlT_T0_E_clISt17integral_constantIbLb0EES1A_EEDaS15_S16_EUlS15_E_NS1_11comp_targetILNS1_3genE10ELNS1_11target_archE1200ELNS1_3gpuE4ELNS1_3repE0EEENS1_30default_config_static_selectorELNS0_4arch9wavefront6targetE1EEEvT1_.has_indirect_call, 0
	.section	.AMDGPU.csdata,"",@progbits
; Kernel info:
; codeLenInByte = 0
; TotalNumSgprs: 4
; NumVgprs: 0
; ScratchSize: 0
; MemoryBound: 0
; FloatMode: 240
; IeeeMode: 1
; LDSByteSize: 0 bytes/workgroup (compile time only)
; SGPRBlocks: 0
; VGPRBlocks: 0
; NumSGPRsForWavesPerEU: 4
; NumVGPRsForWavesPerEU: 1
; Occupancy: 10
; WaveLimiterHint : 0
; COMPUTE_PGM_RSRC2:SCRATCH_EN: 0
; COMPUTE_PGM_RSRC2:USER_SGPR: 6
; COMPUTE_PGM_RSRC2:TRAP_HANDLER: 0
; COMPUTE_PGM_RSRC2:TGID_X_EN: 1
; COMPUTE_PGM_RSRC2:TGID_Y_EN: 0
; COMPUTE_PGM_RSRC2:TGID_Z_EN: 0
; COMPUTE_PGM_RSRC2:TIDIG_COMP_CNT: 0
	.section	.text._ZN7rocprim17ROCPRIM_400000_NS6detail17trampoline_kernelINS0_14default_configENS1_25partition_config_selectorILNS1_17partition_subalgoE8ExNS0_10empty_typeEbEEZZNS1_14partition_implILS5_8ELb0ES3_jN6thrust23THRUST_200600_302600_NS6detail15normal_iteratorINSA_10device_ptrIxEEEEPS6_PKS6_NS0_5tupleIJSF_S6_EEENSJ_IJSG_SG_EEENS0_18inequality_wrapperINSA_8equal_toIxEEEEPmJS6_EEE10hipError_tPvRmT3_T4_T5_T6_T7_T9_mT8_P12ihipStream_tbDpT10_ENKUlT_T0_E_clISt17integral_constantIbLb0EES1A_EEDaS15_S16_EUlS15_E_NS1_11comp_targetILNS1_3genE9ELNS1_11target_archE1100ELNS1_3gpuE3ELNS1_3repE0EEENS1_30default_config_static_selectorELNS0_4arch9wavefront6targetE1EEEvT1_,"axG",@progbits,_ZN7rocprim17ROCPRIM_400000_NS6detail17trampoline_kernelINS0_14default_configENS1_25partition_config_selectorILNS1_17partition_subalgoE8ExNS0_10empty_typeEbEEZZNS1_14partition_implILS5_8ELb0ES3_jN6thrust23THRUST_200600_302600_NS6detail15normal_iteratorINSA_10device_ptrIxEEEEPS6_PKS6_NS0_5tupleIJSF_S6_EEENSJ_IJSG_SG_EEENS0_18inequality_wrapperINSA_8equal_toIxEEEEPmJS6_EEE10hipError_tPvRmT3_T4_T5_T6_T7_T9_mT8_P12ihipStream_tbDpT10_ENKUlT_T0_E_clISt17integral_constantIbLb0EES1A_EEDaS15_S16_EUlS15_E_NS1_11comp_targetILNS1_3genE9ELNS1_11target_archE1100ELNS1_3gpuE3ELNS1_3repE0EEENS1_30default_config_static_selectorELNS0_4arch9wavefront6targetE1EEEvT1_,comdat
	.protected	_ZN7rocprim17ROCPRIM_400000_NS6detail17trampoline_kernelINS0_14default_configENS1_25partition_config_selectorILNS1_17partition_subalgoE8ExNS0_10empty_typeEbEEZZNS1_14partition_implILS5_8ELb0ES3_jN6thrust23THRUST_200600_302600_NS6detail15normal_iteratorINSA_10device_ptrIxEEEEPS6_PKS6_NS0_5tupleIJSF_S6_EEENSJ_IJSG_SG_EEENS0_18inequality_wrapperINSA_8equal_toIxEEEEPmJS6_EEE10hipError_tPvRmT3_T4_T5_T6_T7_T9_mT8_P12ihipStream_tbDpT10_ENKUlT_T0_E_clISt17integral_constantIbLb0EES1A_EEDaS15_S16_EUlS15_E_NS1_11comp_targetILNS1_3genE9ELNS1_11target_archE1100ELNS1_3gpuE3ELNS1_3repE0EEENS1_30default_config_static_selectorELNS0_4arch9wavefront6targetE1EEEvT1_ ; -- Begin function _ZN7rocprim17ROCPRIM_400000_NS6detail17trampoline_kernelINS0_14default_configENS1_25partition_config_selectorILNS1_17partition_subalgoE8ExNS0_10empty_typeEbEEZZNS1_14partition_implILS5_8ELb0ES3_jN6thrust23THRUST_200600_302600_NS6detail15normal_iteratorINSA_10device_ptrIxEEEEPS6_PKS6_NS0_5tupleIJSF_S6_EEENSJ_IJSG_SG_EEENS0_18inequality_wrapperINSA_8equal_toIxEEEEPmJS6_EEE10hipError_tPvRmT3_T4_T5_T6_T7_T9_mT8_P12ihipStream_tbDpT10_ENKUlT_T0_E_clISt17integral_constantIbLb0EES1A_EEDaS15_S16_EUlS15_E_NS1_11comp_targetILNS1_3genE9ELNS1_11target_archE1100ELNS1_3gpuE3ELNS1_3repE0EEENS1_30default_config_static_selectorELNS0_4arch9wavefront6targetE1EEEvT1_
	.globl	_ZN7rocprim17ROCPRIM_400000_NS6detail17trampoline_kernelINS0_14default_configENS1_25partition_config_selectorILNS1_17partition_subalgoE8ExNS0_10empty_typeEbEEZZNS1_14partition_implILS5_8ELb0ES3_jN6thrust23THRUST_200600_302600_NS6detail15normal_iteratorINSA_10device_ptrIxEEEEPS6_PKS6_NS0_5tupleIJSF_S6_EEENSJ_IJSG_SG_EEENS0_18inequality_wrapperINSA_8equal_toIxEEEEPmJS6_EEE10hipError_tPvRmT3_T4_T5_T6_T7_T9_mT8_P12ihipStream_tbDpT10_ENKUlT_T0_E_clISt17integral_constantIbLb0EES1A_EEDaS15_S16_EUlS15_E_NS1_11comp_targetILNS1_3genE9ELNS1_11target_archE1100ELNS1_3gpuE3ELNS1_3repE0EEENS1_30default_config_static_selectorELNS0_4arch9wavefront6targetE1EEEvT1_
	.p2align	8
	.type	_ZN7rocprim17ROCPRIM_400000_NS6detail17trampoline_kernelINS0_14default_configENS1_25partition_config_selectorILNS1_17partition_subalgoE8ExNS0_10empty_typeEbEEZZNS1_14partition_implILS5_8ELb0ES3_jN6thrust23THRUST_200600_302600_NS6detail15normal_iteratorINSA_10device_ptrIxEEEEPS6_PKS6_NS0_5tupleIJSF_S6_EEENSJ_IJSG_SG_EEENS0_18inequality_wrapperINSA_8equal_toIxEEEEPmJS6_EEE10hipError_tPvRmT3_T4_T5_T6_T7_T9_mT8_P12ihipStream_tbDpT10_ENKUlT_T0_E_clISt17integral_constantIbLb0EES1A_EEDaS15_S16_EUlS15_E_NS1_11comp_targetILNS1_3genE9ELNS1_11target_archE1100ELNS1_3gpuE3ELNS1_3repE0EEENS1_30default_config_static_selectorELNS0_4arch9wavefront6targetE1EEEvT1_,@function
_ZN7rocprim17ROCPRIM_400000_NS6detail17trampoline_kernelINS0_14default_configENS1_25partition_config_selectorILNS1_17partition_subalgoE8ExNS0_10empty_typeEbEEZZNS1_14partition_implILS5_8ELb0ES3_jN6thrust23THRUST_200600_302600_NS6detail15normal_iteratorINSA_10device_ptrIxEEEEPS6_PKS6_NS0_5tupleIJSF_S6_EEENSJ_IJSG_SG_EEENS0_18inequality_wrapperINSA_8equal_toIxEEEEPmJS6_EEE10hipError_tPvRmT3_T4_T5_T6_T7_T9_mT8_P12ihipStream_tbDpT10_ENKUlT_T0_E_clISt17integral_constantIbLb0EES1A_EEDaS15_S16_EUlS15_E_NS1_11comp_targetILNS1_3genE9ELNS1_11target_archE1100ELNS1_3gpuE3ELNS1_3repE0EEENS1_30default_config_static_selectorELNS0_4arch9wavefront6targetE1EEEvT1_: ; @_ZN7rocprim17ROCPRIM_400000_NS6detail17trampoline_kernelINS0_14default_configENS1_25partition_config_selectorILNS1_17partition_subalgoE8ExNS0_10empty_typeEbEEZZNS1_14partition_implILS5_8ELb0ES3_jN6thrust23THRUST_200600_302600_NS6detail15normal_iteratorINSA_10device_ptrIxEEEEPS6_PKS6_NS0_5tupleIJSF_S6_EEENSJ_IJSG_SG_EEENS0_18inequality_wrapperINSA_8equal_toIxEEEEPmJS6_EEE10hipError_tPvRmT3_T4_T5_T6_T7_T9_mT8_P12ihipStream_tbDpT10_ENKUlT_T0_E_clISt17integral_constantIbLb0EES1A_EEDaS15_S16_EUlS15_E_NS1_11comp_targetILNS1_3genE9ELNS1_11target_archE1100ELNS1_3gpuE3ELNS1_3repE0EEENS1_30default_config_static_selectorELNS0_4arch9wavefront6targetE1EEEvT1_
; %bb.0:
	.section	.rodata,"a",@progbits
	.p2align	6, 0x0
	.amdhsa_kernel _ZN7rocprim17ROCPRIM_400000_NS6detail17trampoline_kernelINS0_14default_configENS1_25partition_config_selectorILNS1_17partition_subalgoE8ExNS0_10empty_typeEbEEZZNS1_14partition_implILS5_8ELb0ES3_jN6thrust23THRUST_200600_302600_NS6detail15normal_iteratorINSA_10device_ptrIxEEEEPS6_PKS6_NS0_5tupleIJSF_S6_EEENSJ_IJSG_SG_EEENS0_18inequality_wrapperINSA_8equal_toIxEEEEPmJS6_EEE10hipError_tPvRmT3_T4_T5_T6_T7_T9_mT8_P12ihipStream_tbDpT10_ENKUlT_T0_E_clISt17integral_constantIbLb0EES1A_EEDaS15_S16_EUlS15_E_NS1_11comp_targetILNS1_3genE9ELNS1_11target_archE1100ELNS1_3gpuE3ELNS1_3repE0EEENS1_30default_config_static_selectorELNS0_4arch9wavefront6targetE1EEEvT1_
		.amdhsa_group_segment_fixed_size 0
		.amdhsa_private_segment_fixed_size 0
		.amdhsa_kernarg_size 112
		.amdhsa_user_sgpr_count 6
		.amdhsa_user_sgpr_private_segment_buffer 1
		.amdhsa_user_sgpr_dispatch_ptr 0
		.amdhsa_user_sgpr_queue_ptr 0
		.amdhsa_user_sgpr_kernarg_segment_ptr 1
		.amdhsa_user_sgpr_dispatch_id 0
		.amdhsa_user_sgpr_flat_scratch_init 0
		.amdhsa_user_sgpr_private_segment_size 0
		.amdhsa_uses_dynamic_stack 0
		.amdhsa_system_sgpr_private_segment_wavefront_offset 0
		.amdhsa_system_sgpr_workgroup_id_x 1
		.amdhsa_system_sgpr_workgroup_id_y 0
		.amdhsa_system_sgpr_workgroup_id_z 0
		.amdhsa_system_sgpr_workgroup_info 0
		.amdhsa_system_vgpr_workitem_id 0
		.amdhsa_next_free_vgpr 1
		.amdhsa_next_free_sgpr 0
		.amdhsa_reserve_vcc 0
		.amdhsa_reserve_flat_scratch 0
		.amdhsa_float_round_mode_32 0
		.amdhsa_float_round_mode_16_64 0
		.amdhsa_float_denorm_mode_32 3
		.amdhsa_float_denorm_mode_16_64 3
		.amdhsa_dx10_clamp 1
		.amdhsa_ieee_mode 1
		.amdhsa_fp16_overflow 0
		.amdhsa_exception_fp_ieee_invalid_op 0
		.amdhsa_exception_fp_denorm_src 0
		.amdhsa_exception_fp_ieee_div_zero 0
		.amdhsa_exception_fp_ieee_overflow 0
		.amdhsa_exception_fp_ieee_underflow 0
		.amdhsa_exception_fp_ieee_inexact 0
		.amdhsa_exception_int_div_zero 0
	.end_amdhsa_kernel
	.section	.text._ZN7rocprim17ROCPRIM_400000_NS6detail17trampoline_kernelINS0_14default_configENS1_25partition_config_selectorILNS1_17partition_subalgoE8ExNS0_10empty_typeEbEEZZNS1_14partition_implILS5_8ELb0ES3_jN6thrust23THRUST_200600_302600_NS6detail15normal_iteratorINSA_10device_ptrIxEEEEPS6_PKS6_NS0_5tupleIJSF_S6_EEENSJ_IJSG_SG_EEENS0_18inequality_wrapperINSA_8equal_toIxEEEEPmJS6_EEE10hipError_tPvRmT3_T4_T5_T6_T7_T9_mT8_P12ihipStream_tbDpT10_ENKUlT_T0_E_clISt17integral_constantIbLb0EES1A_EEDaS15_S16_EUlS15_E_NS1_11comp_targetILNS1_3genE9ELNS1_11target_archE1100ELNS1_3gpuE3ELNS1_3repE0EEENS1_30default_config_static_selectorELNS0_4arch9wavefront6targetE1EEEvT1_,"axG",@progbits,_ZN7rocprim17ROCPRIM_400000_NS6detail17trampoline_kernelINS0_14default_configENS1_25partition_config_selectorILNS1_17partition_subalgoE8ExNS0_10empty_typeEbEEZZNS1_14partition_implILS5_8ELb0ES3_jN6thrust23THRUST_200600_302600_NS6detail15normal_iteratorINSA_10device_ptrIxEEEEPS6_PKS6_NS0_5tupleIJSF_S6_EEENSJ_IJSG_SG_EEENS0_18inequality_wrapperINSA_8equal_toIxEEEEPmJS6_EEE10hipError_tPvRmT3_T4_T5_T6_T7_T9_mT8_P12ihipStream_tbDpT10_ENKUlT_T0_E_clISt17integral_constantIbLb0EES1A_EEDaS15_S16_EUlS15_E_NS1_11comp_targetILNS1_3genE9ELNS1_11target_archE1100ELNS1_3gpuE3ELNS1_3repE0EEENS1_30default_config_static_selectorELNS0_4arch9wavefront6targetE1EEEvT1_,comdat
.Lfunc_end346:
	.size	_ZN7rocprim17ROCPRIM_400000_NS6detail17trampoline_kernelINS0_14default_configENS1_25partition_config_selectorILNS1_17partition_subalgoE8ExNS0_10empty_typeEbEEZZNS1_14partition_implILS5_8ELb0ES3_jN6thrust23THRUST_200600_302600_NS6detail15normal_iteratorINSA_10device_ptrIxEEEEPS6_PKS6_NS0_5tupleIJSF_S6_EEENSJ_IJSG_SG_EEENS0_18inequality_wrapperINSA_8equal_toIxEEEEPmJS6_EEE10hipError_tPvRmT3_T4_T5_T6_T7_T9_mT8_P12ihipStream_tbDpT10_ENKUlT_T0_E_clISt17integral_constantIbLb0EES1A_EEDaS15_S16_EUlS15_E_NS1_11comp_targetILNS1_3genE9ELNS1_11target_archE1100ELNS1_3gpuE3ELNS1_3repE0EEENS1_30default_config_static_selectorELNS0_4arch9wavefront6targetE1EEEvT1_, .Lfunc_end346-_ZN7rocprim17ROCPRIM_400000_NS6detail17trampoline_kernelINS0_14default_configENS1_25partition_config_selectorILNS1_17partition_subalgoE8ExNS0_10empty_typeEbEEZZNS1_14partition_implILS5_8ELb0ES3_jN6thrust23THRUST_200600_302600_NS6detail15normal_iteratorINSA_10device_ptrIxEEEEPS6_PKS6_NS0_5tupleIJSF_S6_EEENSJ_IJSG_SG_EEENS0_18inequality_wrapperINSA_8equal_toIxEEEEPmJS6_EEE10hipError_tPvRmT3_T4_T5_T6_T7_T9_mT8_P12ihipStream_tbDpT10_ENKUlT_T0_E_clISt17integral_constantIbLb0EES1A_EEDaS15_S16_EUlS15_E_NS1_11comp_targetILNS1_3genE9ELNS1_11target_archE1100ELNS1_3gpuE3ELNS1_3repE0EEENS1_30default_config_static_selectorELNS0_4arch9wavefront6targetE1EEEvT1_
                                        ; -- End function
	.set _ZN7rocprim17ROCPRIM_400000_NS6detail17trampoline_kernelINS0_14default_configENS1_25partition_config_selectorILNS1_17partition_subalgoE8ExNS0_10empty_typeEbEEZZNS1_14partition_implILS5_8ELb0ES3_jN6thrust23THRUST_200600_302600_NS6detail15normal_iteratorINSA_10device_ptrIxEEEEPS6_PKS6_NS0_5tupleIJSF_S6_EEENSJ_IJSG_SG_EEENS0_18inequality_wrapperINSA_8equal_toIxEEEEPmJS6_EEE10hipError_tPvRmT3_T4_T5_T6_T7_T9_mT8_P12ihipStream_tbDpT10_ENKUlT_T0_E_clISt17integral_constantIbLb0EES1A_EEDaS15_S16_EUlS15_E_NS1_11comp_targetILNS1_3genE9ELNS1_11target_archE1100ELNS1_3gpuE3ELNS1_3repE0EEENS1_30default_config_static_selectorELNS0_4arch9wavefront6targetE1EEEvT1_.num_vgpr, 0
	.set _ZN7rocprim17ROCPRIM_400000_NS6detail17trampoline_kernelINS0_14default_configENS1_25partition_config_selectorILNS1_17partition_subalgoE8ExNS0_10empty_typeEbEEZZNS1_14partition_implILS5_8ELb0ES3_jN6thrust23THRUST_200600_302600_NS6detail15normal_iteratorINSA_10device_ptrIxEEEEPS6_PKS6_NS0_5tupleIJSF_S6_EEENSJ_IJSG_SG_EEENS0_18inequality_wrapperINSA_8equal_toIxEEEEPmJS6_EEE10hipError_tPvRmT3_T4_T5_T6_T7_T9_mT8_P12ihipStream_tbDpT10_ENKUlT_T0_E_clISt17integral_constantIbLb0EES1A_EEDaS15_S16_EUlS15_E_NS1_11comp_targetILNS1_3genE9ELNS1_11target_archE1100ELNS1_3gpuE3ELNS1_3repE0EEENS1_30default_config_static_selectorELNS0_4arch9wavefront6targetE1EEEvT1_.num_agpr, 0
	.set _ZN7rocprim17ROCPRIM_400000_NS6detail17trampoline_kernelINS0_14default_configENS1_25partition_config_selectorILNS1_17partition_subalgoE8ExNS0_10empty_typeEbEEZZNS1_14partition_implILS5_8ELb0ES3_jN6thrust23THRUST_200600_302600_NS6detail15normal_iteratorINSA_10device_ptrIxEEEEPS6_PKS6_NS0_5tupleIJSF_S6_EEENSJ_IJSG_SG_EEENS0_18inequality_wrapperINSA_8equal_toIxEEEEPmJS6_EEE10hipError_tPvRmT3_T4_T5_T6_T7_T9_mT8_P12ihipStream_tbDpT10_ENKUlT_T0_E_clISt17integral_constantIbLb0EES1A_EEDaS15_S16_EUlS15_E_NS1_11comp_targetILNS1_3genE9ELNS1_11target_archE1100ELNS1_3gpuE3ELNS1_3repE0EEENS1_30default_config_static_selectorELNS0_4arch9wavefront6targetE1EEEvT1_.numbered_sgpr, 0
	.set _ZN7rocprim17ROCPRIM_400000_NS6detail17trampoline_kernelINS0_14default_configENS1_25partition_config_selectorILNS1_17partition_subalgoE8ExNS0_10empty_typeEbEEZZNS1_14partition_implILS5_8ELb0ES3_jN6thrust23THRUST_200600_302600_NS6detail15normal_iteratorINSA_10device_ptrIxEEEEPS6_PKS6_NS0_5tupleIJSF_S6_EEENSJ_IJSG_SG_EEENS0_18inequality_wrapperINSA_8equal_toIxEEEEPmJS6_EEE10hipError_tPvRmT3_T4_T5_T6_T7_T9_mT8_P12ihipStream_tbDpT10_ENKUlT_T0_E_clISt17integral_constantIbLb0EES1A_EEDaS15_S16_EUlS15_E_NS1_11comp_targetILNS1_3genE9ELNS1_11target_archE1100ELNS1_3gpuE3ELNS1_3repE0EEENS1_30default_config_static_selectorELNS0_4arch9wavefront6targetE1EEEvT1_.num_named_barrier, 0
	.set _ZN7rocprim17ROCPRIM_400000_NS6detail17trampoline_kernelINS0_14default_configENS1_25partition_config_selectorILNS1_17partition_subalgoE8ExNS0_10empty_typeEbEEZZNS1_14partition_implILS5_8ELb0ES3_jN6thrust23THRUST_200600_302600_NS6detail15normal_iteratorINSA_10device_ptrIxEEEEPS6_PKS6_NS0_5tupleIJSF_S6_EEENSJ_IJSG_SG_EEENS0_18inequality_wrapperINSA_8equal_toIxEEEEPmJS6_EEE10hipError_tPvRmT3_T4_T5_T6_T7_T9_mT8_P12ihipStream_tbDpT10_ENKUlT_T0_E_clISt17integral_constantIbLb0EES1A_EEDaS15_S16_EUlS15_E_NS1_11comp_targetILNS1_3genE9ELNS1_11target_archE1100ELNS1_3gpuE3ELNS1_3repE0EEENS1_30default_config_static_selectorELNS0_4arch9wavefront6targetE1EEEvT1_.private_seg_size, 0
	.set _ZN7rocprim17ROCPRIM_400000_NS6detail17trampoline_kernelINS0_14default_configENS1_25partition_config_selectorILNS1_17partition_subalgoE8ExNS0_10empty_typeEbEEZZNS1_14partition_implILS5_8ELb0ES3_jN6thrust23THRUST_200600_302600_NS6detail15normal_iteratorINSA_10device_ptrIxEEEEPS6_PKS6_NS0_5tupleIJSF_S6_EEENSJ_IJSG_SG_EEENS0_18inequality_wrapperINSA_8equal_toIxEEEEPmJS6_EEE10hipError_tPvRmT3_T4_T5_T6_T7_T9_mT8_P12ihipStream_tbDpT10_ENKUlT_T0_E_clISt17integral_constantIbLb0EES1A_EEDaS15_S16_EUlS15_E_NS1_11comp_targetILNS1_3genE9ELNS1_11target_archE1100ELNS1_3gpuE3ELNS1_3repE0EEENS1_30default_config_static_selectorELNS0_4arch9wavefront6targetE1EEEvT1_.uses_vcc, 0
	.set _ZN7rocprim17ROCPRIM_400000_NS6detail17trampoline_kernelINS0_14default_configENS1_25partition_config_selectorILNS1_17partition_subalgoE8ExNS0_10empty_typeEbEEZZNS1_14partition_implILS5_8ELb0ES3_jN6thrust23THRUST_200600_302600_NS6detail15normal_iteratorINSA_10device_ptrIxEEEEPS6_PKS6_NS0_5tupleIJSF_S6_EEENSJ_IJSG_SG_EEENS0_18inequality_wrapperINSA_8equal_toIxEEEEPmJS6_EEE10hipError_tPvRmT3_T4_T5_T6_T7_T9_mT8_P12ihipStream_tbDpT10_ENKUlT_T0_E_clISt17integral_constantIbLb0EES1A_EEDaS15_S16_EUlS15_E_NS1_11comp_targetILNS1_3genE9ELNS1_11target_archE1100ELNS1_3gpuE3ELNS1_3repE0EEENS1_30default_config_static_selectorELNS0_4arch9wavefront6targetE1EEEvT1_.uses_flat_scratch, 0
	.set _ZN7rocprim17ROCPRIM_400000_NS6detail17trampoline_kernelINS0_14default_configENS1_25partition_config_selectorILNS1_17partition_subalgoE8ExNS0_10empty_typeEbEEZZNS1_14partition_implILS5_8ELb0ES3_jN6thrust23THRUST_200600_302600_NS6detail15normal_iteratorINSA_10device_ptrIxEEEEPS6_PKS6_NS0_5tupleIJSF_S6_EEENSJ_IJSG_SG_EEENS0_18inequality_wrapperINSA_8equal_toIxEEEEPmJS6_EEE10hipError_tPvRmT3_T4_T5_T6_T7_T9_mT8_P12ihipStream_tbDpT10_ENKUlT_T0_E_clISt17integral_constantIbLb0EES1A_EEDaS15_S16_EUlS15_E_NS1_11comp_targetILNS1_3genE9ELNS1_11target_archE1100ELNS1_3gpuE3ELNS1_3repE0EEENS1_30default_config_static_selectorELNS0_4arch9wavefront6targetE1EEEvT1_.has_dyn_sized_stack, 0
	.set _ZN7rocprim17ROCPRIM_400000_NS6detail17trampoline_kernelINS0_14default_configENS1_25partition_config_selectorILNS1_17partition_subalgoE8ExNS0_10empty_typeEbEEZZNS1_14partition_implILS5_8ELb0ES3_jN6thrust23THRUST_200600_302600_NS6detail15normal_iteratorINSA_10device_ptrIxEEEEPS6_PKS6_NS0_5tupleIJSF_S6_EEENSJ_IJSG_SG_EEENS0_18inequality_wrapperINSA_8equal_toIxEEEEPmJS6_EEE10hipError_tPvRmT3_T4_T5_T6_T7_T9_mT8_P12ihipStream_tbDpT10_ENKUlT_T0_E_clISt17integral_constantIbLb0EES1A_EEDaS15_S16_EUlS15_E_NS1_11comp_targetILNS1_3genE9ELNS1_11target_archE1100ELNS1_3gpuE3ELNS1_3repE0EEENS1_30default_config_static_selectorELNS0_4arch9wavefront6targetE1EEEvT1_.has_recursion, 0
	.set _ZN7rocprim17ROCPRIM_400000_NS6detail17trampoline_kernelINS0_14default_configENS1_25partition_config_selectorILNS1_17partition_subalgoE8ExNS0_10empty_typeEbEEZZNS1_14partition_implILS5_8ELb0ES3_jN6thrust23THRUST_200600_302600_NS6detail15normal_iteratorINSA_10device_ptrIxEEEEPS6_PKS6_NS0_5tupleIJSF_S6_EEENSJ_IJSG_SG_EEENS0_18inequality_wrapperINSA_8equal_toIxEEEEPmJS6_EEE10hipError_tPvRmT3_T4_T5_T6_T7_T9_mT8_P12ihipStream_tbDpT10_ENKUlT_T0_E_clISt17integral_constantIbLb0EES1A_EEDaS15_S16_EUlS15_E_NS1_11comp_targetILNS1_3genE9ELNS1_11target_archE1100ELNS1_3gpuE3ELNS1_3repE0EEENS1_30default_config_static_selectorELNS0_4arch9wavefront6targetE1EEEvT1_.has_indirect_call, 0
	.section	.AMDGPU.csdata,"",@progbits
; Kernel info:
; codeLenInByte = 0
; TotalNumSgprs: 4
; NumVgprs: 0
; ScratchSize: 0
; MemoryBound: 0
; FloatMode: 240
; IeeeMode: 1
; LDSByteSize: 0 bytes/workgroup (compile time only)
; SGPRBlocks: 0
; VGPRBlocks: 0
; NumSGPRsForWavesPerEU: 4
; NumVGPRsForWavesPerEU: 1
; Occupancy: 10
; WaveLimiterHint : 0
; COMPUTE_PGM_RSRC2:SCRATCH_EN: 0
; COMPUTE_PGM_RSRC2:USER_SGPR: 6
; COMPUTE_PGM_RSRC2:TRAP_HANDLER: 0
; COMPUTE_PGM_RSRC2:TGID_X_EN: 1
; COMPUTE_PGM_RSRC2:TGID_Y_EN: 0
; COMPUTE_PGM_RSRC2:TGID_Z_EN: 0
; COMPUTE_PGM_RSRC2:TIDIG_COMP_CNT: 0
	.section	.text._ZN7rocprim17ROCPRIM_400000_NS6detail17trampoline_kernelINS0_14default_configENS1_25partition_config_selectorILNS1_17partition_subalgoE8ExNS0_10empty_typeEbEEZZNS1_14partition_implILS5_8ELb0ES3_jN6thrust23THRUST_200600_302600_NS6detail15normal_iteratorINSA_10device_ptrIxEEEEPS6_PKS6_NS0_5tupleIJSF_S6_EEENSJ_IJSG_SG_EEENS0_18inequality_wrapperINSA_8equal_toIxEEEEPmJS6_EEE10hipError_tPvRmT3_T4_T5_T6_T7_T9_mT8_P12ihipStream_tbDpT10_ENKUlT_T0_E_clISt17integral_constantIbLb0EES1A_EEDaS15_S16_EUlS15_E_NS1_11comp_targetILNS1_3genE8ELNS1_11target_archE1030ELNS1_3gpuE2ELNS1_3repE0EEENS1_30default_config_static_selectorELNS0_4arch9wavefront6targetE1EEEvT1_,"axG",@progbits,_ZN7rocprim17ROCPRIM_400000_NS6detail17trampoline_kernelINS0_14default_configENS1_25partition_config_selectorILNS1_17partition_subalgoE8ExNS0_10empty_typeEbEEZZNS1_14partition_implILS5_8ELb0ES3_jN6thrust23THRUST_200600_302600_NS6detail15normal_iteratorINSA_10device_ptrIxEEEEPS6_PKS6_NS0_5tupleIJSF_S6_EEENSJ_IJSG_SG_EEENS0_18inequality_wrapperINSA_8equal_toIxEEEEPmJS6_EEE10hipError_tPvRmT3_T4_T5_T6_T7_T9_mT8_P12ihipStream_tbDpT10_ENKUlT_T0_E_clISt17integral_constantIbLb0EES1A_EEDaS15_S16_EUlS15_E_NS1_11comp_targetILNS1_3genE8ELNS1_11target_archE1030ELNS1_3gpuE2ELNS1_3repE0EEENS1_30default_config_static_selectorELNS0_4arch9wavefront6targetE1EEEvT1_,comdat
	.protected	_ZN7rocprim17ROCPRIM_400000_NS6detail17trampoline_kernelINS0_14default_configENS1_25partition_config_selectorILNS1_17partition_subalgoE8ExNS0_10empty_typeEbEEZZNS1_14partition_implILS5_8ELb0ES3_jN6thrust23THRUST_200600_302600_NS6detail15normal_iteratorINSA_10device_ptrIxEEEEPS6_PKS6_NS0_5tupleIJSF_S6_EEENSJ_IJSG_SG_EEENS0_18inequality_wrapperINSA_8equal_toIxEEEEPmJS6_EEE10hipError_tPvRmT3_T4_T5_T6_T7_T9_mT8_P12ihipStream_tbDpT10_ENKUlT_T0_E_clISt17integral_constantIbLb0EES1A_EEDaS15_S16_EUlS15_E_NS1_11comp_targetILNS1_3genE8ELNS1_11target_archE1030ELNS1_3gpuE2ELNS1_3repE0EEENS1_30default_config_static_selectorELNS0_4arch9wavefront6targetE1EEEvT1_ ; -- Begin function _ZN7rocprim17ROCPRIM_400000_NS6detail17trampoline_kernelINS0_14default_configENS1_25partition_config_selectorILNS1_17partition_subalgoE8ExNS0_10empty_typeEbEEZZNS1_14partition_implILS5_8ELb0ES3_jN6thrust23THRUST_200600_302600_NS6detail15normal_iteratorINSA_10device_ptrIxEEEEPS6_PKS6_NS0_5tupleIJSF_S6_EEENSJ_IJSG_SG_EEENS0_18inequality_wrapperINSA_8equal_toIxEEEEPmJS6_EEE10hipError_tPvRmT3_T4_T5_T6_T7_T9_mT8_P12ihipStream_tbDpT10_ENKUlT_T0_E_clISt17integral_constantIbLb0EES1A_EEDaS15_S16_EUlS15_E_NS1_11comp_targetILNS1_3genE8ELNS1_11target_archE1030ELNS1_3gpuE2ELNS1_3repE0EEENS1_30default_config_static_selectorELNS0_4arch9wavefront6targetE1EEEvT1_
	.globl	_ZN7rocprim17ROCPRIM_400000_NS6detail17trampoline_kernelINS0_14default_configENS1_25partition_config_selectorILNS1_17partition_subalgoE8ExNS0_10empty_typeEbEEZZNS1_14partition_implILS5_8ELb0ES3_jN6thrust23THRUST_200600_302600_NS6detail15normal_iteratorINSA_10device_ptrIxEEEEPS6_PKS6_NS0_5tupleIJSF_S6_EEENSJ_IJSG_SG_EEENS0_18inequality_wrapperINSA_8equal_toIxEEEEPmJS6_EEE10hipError_tPvRmT3_T4_T5_T6_T7_T9_mT8_P12ihipStream_tbDpT10_ENKUlT_T0_E_clISt17integral_constantIbLb0EES1A_EEDaS15_S16_EUlS15_E_NS1_11comp_targetILNS1_3genE8ELNS1_11target_archE1030ELNS1_3gpuE2ELNS1_3repE0EEENS1_30default_config_static_selectorELNS0_4arch9wavefront6targetE1EEEvT1_
	.p2align	8
	.type	_ZN7rocprim17ROCPRIM_400000_NS6detail17trampoline_kernelINS0_14default_configENS1_25partition_config_selectorILNS1_17partition_subalgoE8ExNS0_10empty_typeEbEEZZNS1_14partition_implILS5_8ELb0ES3_jN6thrust23THRUST_200600_302600_NS6detail15normal_iteratorINSA_10device_ptrIxEEEEPS6_PKS6_NS0_5tupleIJSF_S6_EEENSJ_IJSG_SG_EEENS0_18inequality_wrapperINSA_8equal_toIxEEEEPmJS6_EEE10hipError_tPvRmT3_T4_T5_T6_T7_T9_mT8_P12ihipStream_tbDpT10_ENKUlT_T0_E_clISt17integral_constantIbLb0EES1A_EEDaS15_S16_EUlS15_E_NS1_11comp_targetILNS1_3genE8ELNS1_11target_archE1030ELNS1_3gpuE2ELNS1_3repE0EEENS1_30default_config_static_selectorELNS0_4arch9wavefront6targetE1EEEvT1_,@function
_ZN7rocprim17ROCPRIM_400000_NS6detail17trampoline_kernelINS0_14default_configENS1_25partition_config_selectorILNS1_17partition_subalgoE8ExNS0_10empty_typeEbEEZZNS1_14partition_implILS5_8ELb0ES3_jN6thrust23THRUST_200600_302600_NS6detail15normal_iteratorINSA_10device_ptrIxEEEEPS6_PKS6_NS0_5tupleIJSF_S6_EEENSJ_IJSG_SG_EEENS0_18inequality_wrapperINSA_8equal_toIxEEEEPmJS6_EEE10hipError_tPvRmT3_T4_T5_T6_T7_T9_mT8_P12ihipStream_tbDpT10_ENKUlT_T0_E_clISt17integral_constantIbLb0EES1A_EEDaS15_S16_EUlS15_E_NS1_11comp_targetILNS1_3genE8ELNS1_11target_archE1030ELNS1_3gpuE2ELNS1_3repE0EEENS1_30default_config_static_selectorELNS0_4arch9wavefront6targetE1EEEvT1_: ; @_ZN7rocprim17ROCPRIM_400000_NS6detail17trampoline_kernelINS0_14default_configENS1_25partition_config_selectorILNS1_17partition_subalgoE8ExNS0_10empty_typeEbEEZZNS1_14partition_implILS5_8ELb0ES3_jN6thrust23THRUST_200600_302600_NS6detail15normal_iteratorINSA_10device_ptrIxEEEEPS6_PKS6_NS0_5tupleIJSF_S6_EEENSJ_IJSG_SG_EEENS0_18inequality_wrapperINSA_8equal_toIxEEEEPmJS6_EEE10hipError_tPvRmT3_T4_T5_T6_T7_T9_mT8_P12ihipStream_tbDpT10_ENKUlT_T0_E_clISt17integral_constantIbLb0EES1A_EEDaS15_S16_EUlS15_E_NS1_11comp_targetILNS1_3genE8ELNS1_11target_archE1030ELNS1_3gpuE2ELNS1_3repE0EEENS1_30default_config_static_selectorELNS0_4arch9wavefront6targetE1EEEvT1_
; %bb.0:
	.section	.rodata,"a",@progbits
	.p2align	6, 0x0
	.amdhsa_kernel _ZN7rocprim17ROCPRIM_400000_NS6detail17trampoline_kernelINS0_14default_configENS1_25partition_config_selectorILNS1_17partition_subalgoE8ExNS0_10empty_typeEbEEZZNS1_14partition_implILS5_8ELb0ES3_jN6thrust23THRUST_200600_302600_NS6detail15normal_iteratorINSA_10device_ptrIxEEEEPS6_PKS6_NS0_5tupleIJSF_S6_EEENSJ_IJSG_SG_EEENS0_18inequality_wrapperINSA_8equal_toIxEEEEPmJS6_EEE10hipError_tPvRmT3_T4_T5_T6_T7_T9_mT8_P12ihipStream_tbDpT10_ENKUlT_T0_E_clISt17integral_constantIbLb0EES1A_EEDaS15_S16_EUlS15_E_NS1_11comp_targetILNS1_3genE8ELNS1_11target_archE1030ELNS1_3gpuE2ELNS1_3repE0EEENS1_30default_config_static_selectorELNS0_4arch9wavefront6targetE1EEEvT1_
		.amdhsa_group_segment_fixed_size 0
		.amdhsa_private_segment_fixed_size 0
		.amdhsa_kernarg_size 112
		.amdhsa_user_sgpr_count 6
		.amdhsa_user_sgpr_private_segment_buffer 1
		.amdhsa_user_sgpr_dispatch_ptr 0
		.amdhsa_user_sgpr_queue_ptr 0
		.amdhsa_user_sgpr_kernarg_segment_ptr 1
		.amdhsa_user_sgpr_dispatch_id 0
		.amdhsa_user_sgpr_flat_scratch_init 0
		.amdhsa_user_sgpr_private_segment_size 0
		.amdhsa_uses_dynamic_stack 0
		.amdhsa_system_sgpr_private_segment_wavefront_offset 0
		.amdhsa_system_sgpr_workgroup_id_x 1
		.amdhsa_system_sgpr_workgroup_id_y 0
		.amdhsa_system_sgpr_workgroup_id_z 0
		.amdhsa_system_sgpr_workgroup_info 0
		.amdhsa_system_vgpr_workitem_id 0
		.amdhsa_next_free_vgpr 1
		.amdhsa_next_free_sgpr 0
		.amdhsa_reserve_vcc 0
		.amdhsa_reserve_flat_scratch 0
		.amdhsa_float_round_mode_32 0
		.amdhsa_float_round_mode_16_64 0
		.amdhsa_float_denorm_mode_32 3
		.amdhsa_float_denorm_mode_16_64 3
		.amdhsa_dx10_clamp 1
		.amdhsa_ieee_mode 1
		.amdhsa_fp16_overflow 0
		.amdhsa_exception_fp_ieee_invalid_op 0
		.amdhsa_exception_fp_denorm_src 0
		.amdhsa_exception_fp_ieee_div_zero 0
		.amdhsa_exception_fp_ieee_overflow 0
		.amdhsa_exception_fp_ieee_underflow 0
		.amdhsa_exception_fp_ieee_inexact 0
		.amdhsa_exception_int_div_zero 0
	.end_amdhsa_kernel
	.section	.text._ZN7rocprim17ROCPRIM_400000_NS6detail17trampoline_kernelINS0_14default_configENS1_25partition_config_selectorILNS1_17partition_subalgoE8ExNS0_10empty_typeEbEEZZNS1_14partition_implILS5_8ELb0ES3_jN6thrust23THRUST_200600_302600_NS6detail15normal_iteratorINSA_10device_ptrIxEEEEPS6_PKS6_NS0_5tupleIJSF_S6_EEENSJ_IJSG_SG_EEENS0_18inequality_wrapperINSA_8equal_toIxEEEEPmJS6_EEE10hipError_tPvRmT3_T4_T5_T6_T7_T9_mT8_P12ihipStream_tbDpT10_ENKUlT_T0_E_clISt17integral_constantIbLb0EES1A_EEDaS15_S16_EUlS15_E_NS1_11comp_targetILNS1_3genE8ELNS1_11target_archE1030ELNS1_3gpuE2ELNS1_3repE0EEENS1_30default_config_static_selectorELNS0_4arch9wavefront6targetE1EEEvT1_,"axG",@progbits,_ZN7rocprim17ROCPRIM_400000_NS6detail17trampoline_kernelINS0_14default_configENS1_25partition_config_selectorILNS1_17partition_subalgoE8ExNS0_10empty_typeEbEEZZNS1_14partition_implILS5_8ELb0ES3_jN6thrust23THRUST_200600_302600_NS6detail15normal_iteratorINSA_10device_ptrIxEEEEPS6_PKS6_NS0_5tupleIJSF_S6_EEENSJ_IJSG_SG_EEENS0_18inequality_wrapperINSA_8equal_toIxEEEEPmJS6_EEE10hipError_tPvRmT3_T4_T5_T6_T7_T9_mT8_P12ihipStream_tbDpT10_ENKUlT_T0_E_clISt17integral_constantIbLb0EES1A_EEDaS15_S16_EUlS15_E_NS1_11comp_targetILNS1_3genE8ELNS1_11target_archE1030ELNS1_3gpuE2ELNS1_3repE0EEENS1_30default_config_static_selectorELNS0_4arch9wavefront6targetE1EEEvT1_,comdat
.Lfunc_end347:
	.size	_ZN7rocprim17ROCPRIM_400000_NS6detail17trampoline_kernelINS0_14default_configENS1_25partition_config_selectorILNS1_17partition_subalgoE8ExNS0_10empty_typeEbEEZZNS1_14partition_implILS5_8ELb0ES3_jN6thrust23THRUST_200600_302600_NS6detail15normal_iteratorINSA_10device_ptrIxEEEEPS6_PKS6_NS0_5tupleIJSF_S6_EEENSJ_IJSG_SG_EEENS0_18inequality_wrapperINSA_8equal_toIxEEEEPmJS6_EEE10hipError_tPvRmT3_T4_T5_T6_T7_T9_mT8_P12ihipStream_tbDpT10_ENKUlT_T0_E_clISt17integral_constantIbLb0EES1A_EEDaS15_S16_EUlS15_E_NS1_11comp_targetILNS1_3genE8ELNS1_11target_archE1030ELNS1_3gpuE2ELNS1_3repE0EEENS1_30default_config_static_selectorELNS0_4arch9wavefront6targetE1EEEvT1_, .Lfunc_end347-_ZN7rocprim17ROCPRIM_400000_NS6detail17trampoline_kernelINS0_14default_configENS1_25partition_config_selectorILNS1_17partition_subalgoE8ExNS0_10empty_typeEbEEZZNS1_14partition_implILS5_8ELb0ES3_jN6thrust23THRUST_200600_302600_NS6detail15normal_iteratorINSA_10device_ptrIxEEEEPS6_PKS6_NS0_5tupleIJSF_S6_EEENSJ_IJSG_SG_EEENS0_18inequality_wrapperINSA_8equal_toIxEEEEPmJS6_EEE10hipError_tPvRmT3_T4_T5_T6_T7_T9_mT8_P12ihipStream_tbDpT10_ENKUlT_T0_E_clISt17integral_constantIbLb0EES1A_EEDaS15_S16_EUlS15_E_NS1_11comp_targetILNS1_3genE8ELNS1_11target_archE1030ELNS1_3gpuE2ELNS1_3repE0EEENS1_30default_config_static_selectorELNS0_4arch9wavefront6targetE1EEEvT1_
                                        ; -- End function
	.set _ZN7rocprim17ROCPRIM_400000_NS6detail17trampoline_kernelINS0_14default_configENS1_25partition_config_selectorILNS1_17partition_subalgoE8ExNS0_10empty_typeEbEEZZNS1_14partition_implILS5_8ELb0ES3_jN6thrust23THRUST_200600_302600_NS6detail15normal_iteratorINSA_10device_ptrIxEEEEPS6_PKS6_NS0_5tupleIJSF_S6_EEENSJ_IJSG_SG_EEENS0_18inequality_wrapperINSA_8equal_toIxEEEEPmJS6_EEE10hipError_tPvRmT3_T4_T5_T6_T7_T9_mT8_P12ihipStream_tbDpT10_ENKUlT_T0_E_clISt17integral_constantIbLb0EES1A_EEDaS15_S16_EUlS15_E_NS1_11comp_targetILNS1_3genE8ELNS1_11target_archE1030ELNS1_3gpuE2ELNS1_3repE0EEENS1_30default_config_static_selectorELNS0_4arch9wavefront6targetE1EEEvT1_.num_vgpr, 0
	.set _ZN7rocprim17ROCPRIM_400000_NS6detail17trampoline_kernelINS0_14default_configENS1_25partition_config_selectorILNS1_17partition_subalgoE8ExNS0_10empty_typeEbEEZZNS1_14partition_implILS5_8ELb0ES3_jN6thrust23THRUST_200600_302600_NS6detail15normal_iteratorINSA_10device_ptrIxEEEEPS6_PKS6_NS0_5tupleIJSF_S6_EEENSJ_IJSG_SG_EEENS0_18inequality_wrapperINSA_8equal_toIxEEEEPmJS6_EEE10hipError_tPvRmT3_T4_T5_T6_T7_T9_mT8_P12ihipStream_tbDpT10_ENKUlT_T0_E_clISt17integral_constantIbLb0EES1A_EEDaS15_S16_EUlS15_E_NS1_11comp_targetILNS1_3genE8ELNS1_11target_archE1030ELNS1_3gpuE2ELNS1_3repE0EEENS1_30default_config_static_selectorELNS0_4arch9wavefront6targetE1EEEvT1_.num_agpr, 0
	.set _ZN7rocprim17ROCPRIM_400000_NS6detail17trampoline_kernelINS0_14default_configENS1_25partition_config_selectorILNS1_17partition_subalgoE8ExNS0_10empty_typeEbEEZZNS1_14partition_implILS5_8ELb0ES3_jN6thrust23THRUST_200600_302600_NS6detail15normal_iteratorINSA_10device_ptrIxEEEEPS6_PKS6_NS0_5tupleIJSF_S6_EEENSJ_IJSG_SG_EEENS0_18inequality_wrapperINSA_8equal_toIxEEEEPmJS6_EEE10hipError_tPvRmT3_T4_T5_T6_T7_T9_mT8_P12ihipStream_tbDpT10_ENKUlT_T0_E_clISt17integral_constantIbLb0EES1A_EEDaS15_S16_EUlS15_E_NS1_11comp_targetILNS1_3genE8ELNS1_11target_archE1030ELNS1_3gpuE2ELNS1_3repE0EEENS1_30default_config_static_selectorELNS0_4arch9wavefront6targetE1EEEvT1_.numbered_sgpr, 0
	.set _ZN7rocprim17ROCPRIM_400000_NS6detail17trampoline_kernelINS0_14default_configENS1_25partition_config_selectorILNS1_17partition_subalgoE8ExNS0_10empty_typeEbEEZZNS1_14partition_implILS5_8ELb0ES3_jN6thrust23THRUST_200600_302600_NS6detail15normal_iteratorINSA_10device_ptrIxEEEEPS6_PKS6_NS0_5tupleIJSF_S6_EEENSJ_IJSG_SG_EEENS0_18inequality_wrapperINSA_8equal_toIxEEEEPmJS6_EEE10hipError_tPvRmT3_T4_T5_T6_T7_T9_mT8_P12ihipStream_tbDpT10_ENKUlT_T0_E_clISt17integral_constantIbLb0EES1A_EEDaS15_S16_EUlS15_E_NS1_11comp_targetILNS1_3genE8ELNS1_11target_archE1030ELNS1_3gpuE2ELNS1_3repE0EEENS1_30default_config_static_selectorELNS0_4arch9wavefront6targetE1EEEvT1_.num_named_barrier, 0
	.set _ZN7rocprim17ROCPRIM_400000_NS6detail17trampoline_kernelINS0_14default_configENS1_25partition_config_selectorILNS1_17partition_subalgoE8ExNS0_10empty_typeEbEEZZNS1_14partition_implILS5_8ELb0ES3_jN6thrust23THRUST_200600_302600_NS6detail15normal_iteratorINSA_10device_ptrIxEEEEPS6_PKS6_NS0_5tupleIJSF_S6_EEENSJ_IJSG_SG_EEENS0_18inequality_wrapperINSA_8equal_toIxEEEEPmJS6_EEE10hipError_tPvRmT3_T4_T5_T6_T7_T9_mT8_P12ihipStream_tbDpT10_ENKUlT_T0_E_clISt17integral_constantIbLb0EES1A_EEDaS15_S16_EUlS15_E_NS1_11comp_targetILNS1_3genE8ELNS1_11target_archE1030ELNS1_3gpuE2ELNS1_3repE0EEENS1_30default_config_static_selectorELNS0_4arch9wavefront6targetE1EEEvT1_.private_seg_size, 0
	.set _ZN7rocprim17ROCPRIM_400000_NS6detail17trampoline_kernelINS0_14default_configENS1_25partition_config_selectorILNS1_17partition_subalgoE8ExNS0_10empty_typeEbEEZZNS1_14partition_implILS5_8ELb0ES3_jN6thrust23THRUST_200600_302600_NS6detail15normal_iteratorINSA_10device_ptrIxEEEEPS6_PKS6_NS0_5tupleIJSF_S6_EEENSJ_IJSG_SG_EEENS0_18inequality_wrapperINSA_8equal_toIxEEEEPmJS6_EEE10hipError_tPvRmT3_T4_T5_T6_T7_T9_mT8_P12ihipStream_tbDpT10_ENKUlT_T0_E_clISt17integral_constantIbLb0EES1A_EEDaS15_S16_EUlS15_E_NS1_11comp_targetILNS1_3genE8ELNS1_11target_archE1030ELNS1_3gpuE2ELNS1_3repE0EEENS1_30default_config_static_selectorELNS0_4arch9wavefront6targetE1EEEvT1_.uses_vcc, 0
	.set _ZN7rocprim17ROCPRIM_400000_NS6detail17trampoline_kernelINS0_14default_configENS1_25partition_config_selectorILNS1_17partition_subalgoE8ExNS0_10empty_typeEbEEZZNS1_14partition_implILS5_8ELb0ES3_jN6thrust23THRUST_200600_302600_NS6detail15normal_iteratorINSA_10device_ptrIxEEEEPS6_PKS6_NS0_5tupleIJSF_S6_EEENSJ_IJSG_SG_EEENS0_18inequality_wrapperINSA_8equal_toIxEEEEPmJS6_EEE10hipError_tPvRmT3_T4_T5_T6_T7_T9_mT8_P12ihipStream_tbDpT10_ENKUlT_T0_E_clISt17integral_constantIbLb0EES1A_EEDaS15_S16_EUlS15_E_NS1_11comp_targetILNS1_3genE8ELNS1_11target_archE1030ELNS1_3gpuE2ELNS1_3repE0EEENS1_30default_config_static_selectorELNS0_4arch9wavefront6targetE1EEEvT1_.uses_flat_scratch, 0
	.set _ZN7rocprim17ROCPRIM_400000_NS6detail17trampoline_kernelINS0_14default_configENS1_25partition_config_selectorILNS1_17partition_subalgoE8ExNS0_10empty_typeEbEEZZNS1_14partition_implILS5_8ELb0ES3_jN6thrust23THRUST_200600_302600_NS6detail15normal_iteratorINSA_10device_ptrIxEEEEPS6_PKS6_NS0_5tupleIJSF_S6_EEENSJ_IJSG_SG_EEENS0_18inequality_wrapperINSA_8equal_toIxEEEEPmJS6_EEE10hipError_tPvRmT3_T4_T5_T6_T7_T9_mT8_P12ihipStream_tbDpT10_ENKUlT_T0_E_clISt17integral_constantIbLb0EES1A_EEDaS15_S16_EUlS15_E_NS1_11comp_targetILNS1_3genE8ELNS1_11target_archE1030ELNS1_3gpuE2ELNS1_3repE0EEENS1_30default_config_static_selectorELNS0_4arch9wavefront6targetE1EEEvT1_.has_dyn_sized_stack, 0
	.set _ZN7rocprim17ROCPRIM_400000_NS6detail17trampoline_kernelINS0_14default_configENS1_25partition_config_selectorILNS1_17partition_subalgoE8ExNS0_10empty_typeEbEEZZNS1_14partition_implILS5_8ELb0ES3_jN6thrust23THRUST_200600_302600_NS6detail15normal_iteratorINSA_10device_ptrIxEEEEPS6_PKS6_NS0_5tupleIJSF_S6_EEENSJ_IJSG_SG_EEENS0_18inequality_wrapperINSA_8equal_toIxEEEEPmJS6_EEE10hipError_tPvRmT3_T4_T5_T6_T7_T9_mT8_P12ihipStream_tbDpT10_ENKUlT_T0_E_clISt17integral_constantIbLb0EES1A_EEDaS15_S16_EUlS15_E_NS1_11comp_targetILNS1_3genE8ELNS1_11target_archE1030ELNS1_3gpuE2ELNS1_3repE0EEENS1_30default_config_static_selectorELNS0_4arch9wavefront6targetE1EEEvT1_.has_recursion, 0
	.set _ZN7rocprim17ROCPRIM_400000_NS6detail17trampoline_kernelINS0_14default_configENS1_25partition_config_selectorILNS1_17partition_subalgoE8ExNS0_10empty_typeEbEEZZNS1_14partition_implILS5_8ELb0ES3_jN6thrust23THRUST_200600_302600_NS6detail15normal_iteratorINSA_10device_ptrIxEEEEPS6_PKS6_NS0_5tupleIJSF_S6_EEENSJ_IJSG_SG_EEENS0_18inequality_wrapperINSA_8equal_toIxEEEEPmJS6_EEE10hipError_tPvRmT3_T4_T5_T6_T7_T9_mT8_P12ihipStream_tbDpT10_ENKUlT_T0_E_clISt17integral_constantIbLb0EES1A_EEDaS15_S16_EUlS15_E_NS1_11comp_targetILNS1_3genE8ELNS1_11target_archE1030ELNS1_3gpuE2ELNS1_3repE0EEENS1_30default_config_static_selectorELNS0_4arch9wavefront6targetE1EEEvT1_.has_indirect_call, 0
	.section	.AMDGPU.csdata,"",@progbits
; Kernel info:
; codeLenInByte = 0
; TotalNumSgprs: 4
; NumVgprs: 0
; ScratchSize: 0
; MemoryBound: 0
; FloatMode: 240
; IeeeMode: 1
; LDSByteSize: 0 bytes/workgroup (compile time only)
; SGPRBlocks: 0
; VGPRBlocks: 0
; NumSGPRsForWavesPerEU: 4
; NumVGPRsForWavesPerEU: 1
; Occupancy: 10
; WaveLimiterHint : 0
; COMPUTE_PGM_RSRC2:SCRATCH_EN: 0
; COMPUTE_PGM_RSRC2:USER_SGPR: 6
; COMPUTE_PGM_RSRC2:TRAP_HANDLER: 0
; COMPUTE_PGM_RSRC2:TGID_X_EN: 1
; COMPUTE_PGM_RSRC2:TGID_Y_EN: 0
; COMPUTE_PGM_RSRC2:TGID_Z_EN: 0
; COMPUTE_PGM_RSRC2:TIDIG_COMP_CNT: 0
	.section	.text._ZN7rocprim17ROCPRIM_400000_NS6detail17trampoline_kernelINS0_14default_configENS1_25partition_config_selectorILNS1_17partition_subalgoE8ExNS0_10empty_typeEbEEZZNS1_14partition_implILS5_8ELb0ES3_jN6thrust23THRUST_200600_302600_NS6detail15normal_iteratorINSA_10device_ptrIxEEEEPS6_PKS6_NS0_5tupleIJSF_S6_EEENSJ_IJSG_SG_EEENS0_18inequality_wrapperINSA_8equal_toIxEEEEPmJS6_EEE10hipError_tPvRmT3_T4_T5_T6_T7_T9_mT8_P12ihipStream_tbDpT10_ENKUlT_T0_E_clISt17integral_constantIbLb1EES1A_EEDaS15_S16_EUlS15_E_NS1_11comp_targetILNS1_3genE0ELNS1_11target_archE4294967295ELNS1_3gpuE0ELNS1_3repE0EEENS1_30default_config_static_selectorELNS0_4arch9wavefront6targetE1EEEvT1_,"axG",@progbits,_ZN7rocprim17ROCPRIM_400000_NS6detail17trampoline_kernelINS0_14default_configENS1_25partition_config_selectorILNS1_17partition_subalgoE8ExNS0_10empty_typeEbEEZZNS1_14partition_implILS5_8ELb0ES3_jN6thrust23THRUST_200600_302600_NS6detail15normal_iteratorINSA_10device_ptrIxEEEEPS6_PKS6_NS0_5tupleIJSF_S6_EEENSJ_IJSG_SG_EEENS0_18inequality_wrapperINSA_8equal_toIxEEEEPmJS6_EEE10hipError_tPvRmT3_T4_T5_T6_T7_T9_mT8_P12ihipStream_tbDpT10_ENKUlT_T0_E_clISt17integral_constantIbLb1EES1A_EEDaS15_S16_EUlS15_E_NS1_11comp_targetILNS1_3genE0ELNS1_11target_archE4294967295ELNS1_3gpuE0ELNS1_3repE0EEENS1_30default_config_static_selectorELNS0_4arch9wavefront6targetE1EEEvT1_,comdat
	.protected	_ZN7rocprim17ROCPRIM_400000_NS6detail17trampoline_kernelINS0_14default_configENS1_25partition_config_selectorILNS1_17partition_subalgoE8ExNS0_10empty_typeEbEEZZNS1_14partition_implILS5_8ELb0ES3_jN6thrust23THRUST_200600_302600_NS6detail15normal_iteratorINSA_10device_ptrIxEEEEPS6_PKS6_NS0_5tupleIJSF_S6_EEENSJ_IJSG_SG_EEENS0_18inequality_wrapperINSA_8equal_toIxEEEEPmJS6_EEE10hipError_tPvRmT3_T4_T5_T6_T7_T9_mT8_P12ihipStream_tbDpT10_ENKUlT_T0_E_clISt17integral_constantIbLb1EES1A_EEDaS15_S16_EUlS15_E_NS1_11comp_targetILNS1_3genE0ELNS1_11target_archE4294967295ELNS1_3gpuE0ELNS1_3repE0EEENS1_30default_config_static_selectorELNS0_4arch9wavefront6targetE1EEEvT1_ ; -- Begin function _ZN7rocprim17ROCPRIM_400000_NS6detail17trampoline_kernelINS0_14default_configENS1_25partition_config_selectorILNS1_17partition_subalgoE8ExNS0_10empty_typeEbEEZZNS1_14partition_implILS5_8ELb0ES3_jN6thrust23THRUST_200600_302600_NS6detail15normal_iteratorINSA_10device_ptrIxEEEEPS6_PKS6_NS0_5tupleIJSF_S6_EEENSJ_IJSG_SG_EEENS0_18inequality_wrapperINSA_8equal_toIxEEEEPmJS6_EEE10hipError_tPvRmT3_T4_T5_T6_T7_T9_mT8_P12ihipStream_tbDpT10_ENKUlT_T0_E_clISt17integral_constantIbLb1EES1A_EEDaS15_S16_EUlS15_E_NS1_11comp_targetILNS1_3genE0ELNS1_11target_archE4294967295ELNS1_3gpuE0ELNS1_3repE0EEENS1_30default_config_static_selectorELNS0_4arch9wavefront6targetE1EEEvT1_
	.globl	_ZN7rocprim17ROCPRIM_400000_NS6detail17trampoline_kernelINS0_14default_configENS1_25partition_config_selectorILNS1_17partition_subalgoE8ExNS0_10empty_typeEbEEZZNS1_14partition_implILS5_8ELb0ES3_jN6thrust23THRUST_200600_302600_NS6detail15normal_iteratorINSA_10device_ptrIxEEEEPS6_PKS6_NS0_5tupleIJSF_S6_EEENSJ_IJSG_SG_EEENS0_18inequality_wrapperINSA_8equal_toIxEEEEPmJS6_EEE10hipError_tPvRmT3_T4_T5_T6_T7_T9_mT8_P12ihipStream_tbDpT10_ENKUlT_T0_E_clISt17integral_constantIbLb1EES1A_EEDaS15_S16_EUlS15_E_NS1_11comp_targetILNS1_3genE0ELNS1_11target_archE4294967295ELNS1_3gpuE0ELNS1_3repE0EEENS1_30default_config_static_selectorELNS0_4arch9wavefront6targetE1EEEvT1_
	.p2align	8
	.type	_ZN7rocprim17ROCPRIM_400000_NS6detail17trampoline_kernelINS0_14default_configENS1_25partition_config_selectorILNS1_17partition_subalgoE8ExNS0_10empty_typeEbEEZZNS1_14partition_implILS5_8ELb0ES3_jN6thrust23THRUST_200600_302600_NS6detail15normal_iteratorINSA_10device_ptrIxEEEEPS6_PKS6_NS0_5tupleIJSF_S6_EEENSJ_IJSG_SG_EEENS0_18inequality_wrapperINSA_8equal_toIxEEEEPmJS6_EEE10hipError_tPvRmT3_T4_T5_T6_T7_T9_mT8_P12ihipStream_tbDpT10_ENKUlT_T0_E_clISt17integral_constantIbLb1EES1A_EEDaS15_S16_EUlS15_E_NS1_11comp_targetILNS1_3genE0ELNS1_11target_archE4294967295ELNS1_3gpuE0ELNS1_3repE0EEENS1_30default_config_static_selectorELNS0_4arch9wavefront6targetE1EEEvT1_,@function
_ZN7rocprim17ROCPRIM_400000_NS6detail17trampoline_kernelINS0_14default_configENS1_25partition_config_selectorILNS1_17partition_subalgoE8ExNS0_10empty_typeEbEEZZNS1_14partition_implILS5_8ELb0ES3_jN6thrust23THRUST_200600_302600_NS6detail15normal_iteratorINSA_10device_ptrIxEEEEPS6_PKS6_NS0_5tupleIJSF_S6_EEENSJ_IJSG_SG_EEENS0_18inequality_wrapperINSA_8equal_toIxEEEEPmJS6_EEE10hipError_tPvRmT3_T4_T5_T6_T7_T9_mT8_P12ihipStream_tbDpT10_ENKUlT_T0_E_clISt17integral_constantIbLb1EES1A_EEDaS15_S16_EUlS15_E_NS1_11comp_targetILNS1_3genE0ELNS1_11target_archE4294967295ELNS1_3gpuE0ELNS1_3repE0EEENS1_30default_config_static_selectorELNS0_4arch9wavefront6targetE1EEEvT1_: ; @_ZN7rocprim17ROCPRIM_400000_NS6detail17trampoline_kernelINS0_14default_configENS1_25partition_config_selectorILNS1_17partition_subalgoE8ExNS0_10empty_typeEbEEZZNS1_14partition_implILS5_8ELb0ES3_jN6thrust23THRUST_200600_302600_NS6detail15normal_iteratorINSA_10device_ptrIxEEEEPS6_PKS6_NS0_5tupleIJSF_S6_EEENSJ_IJSG_SG_EEENS0_18inequality_wrapperINSA_8equal_toIxEEEEPmJS6_EEE10hipError_tPvRmT3_T4_T5_T6_T7_T9_mT8_P12ihipStream_tbDpT10_ENKUlT_T0_E_clISt17integral_constantIbLb1EES1A_EEDaS15_S16_EUlS15_E_NS1_11comp_targetILNS1_3genE0ELNS1_11target_archE4294967295ELNS1_3gpuE0ELNS1_3repE0EEENS1_30default_config_static_selectorELNS0_4arch9wavefront6targetE1EEEvT1_
; %bb.0:
	.section	.rodata,"a",@progbits
	.p2align	6, 0x0
	.amdhsa_kernel _ZN7rocprim17ROCPRIM_400000_NS6detail17trampoline_kernelINS0_14default_configENS1_25partition_config_selectorILNS1_17partition_subalgoE8ExNS0_10empty_typeEbEEZZNS1_14partition_implILS5_8ELb0ES3_jN6thrust23THRUST_200600_302600_NS6detail15normal_iteratorINSA_10device_ptrIxEEEEPS6_PKS6_NS0_5tupleIJSF_S6_EEENSJ_IJSG_SG_EEENS0_18inequality_wrapperINSA_8equal_toIxEEEEPmJS6_EEE10hipError_tPvRmT3_T4_T5_T6_T7_T9_mT8_P12ihipStream_tbDpT10_ENKUlT_T0_E_clISt17integral_constantIbLb1EES1A_EEDaS15_S16_EUlS15_E_NS1_11comp_targetILNS1_3genE0ELNS1_11target_archE4294967295ELNS1_3gpuE0ELNS1_3repE0EEENS1_30default_config_static_selectorELNS0_4arch9wavefront6targetE1EEEvT1_
		.amdhsa_group_segment_fixed_size 0
		.amdhsa_private_segment_fixed_size 0
		.amdhsa_kernarg_size 128
		.amdhsa_user_sgpr_count 6
		.amdhsa_user_sgpr_private_segment_buffer 1
		.amdhsa_user_sgpr_dispatch_ptr 0
		.amdhsa_user_sgpr_queue_ptr 0
		.amdhsa_user_sgpr_kernarg_segment_ptr 1
		.amdhsa_user_sgpr_dispatch_id 0
		.amdhsa_user_sgpr_flat_scratch_init 0
		.amdhsa_user_sgpr_private_segment_size 0
		.amdhsa_uses_dynamic_stack 0
		.amdhsa_system_sgpr_private_segment_wavefront_offset 0
		.amdhsa_system_sgpr_workgroup_id_x 1
		.amdhsa_system_sgpr_workgroup_id_y 0
		.amdhsa_system_sgpr_workgroup_id_z 0
		.amdhsa_system_sgpr_workgroup_info 0
		.amdhsa_system_vgpr_workitem_id 0
		.amdhsa_next_free_vgpr 1
		.amdhsa_next_free_sgpr 0
		.amdhsa_reserve_vcc 0
		.amdhsa_reserve_flat_scratch 0
		.amdhsa_float_round_mode_32 0
		.amdhsa_float_round_mode_16_64 0
		.amdhsa_float_denorm_mode_32 3
		.amdhsa_float_denorm_mode_16_64 3
		.amdhsa_dx10_clamp 1
		.amdhsa_ieee_mode 1
		.amdhsa_fp16_overflow 0
		.amdhsa_exception_fp_ieee_invalid_op 0
		.amdhsa_exception_fp_denorm_src 0
		.amdhsa_exception_fp_ieee_div_zero 0
		.amdhsa_exception_fp_ieee_overflow 0
		.amdhsa_exception_fp_ieee_underflow 0
		.amdhsa_exception_fp_ieee_inexact 0
		.amdhsa_exception_int_div_zero 0
	.end_amdhsa_kernel
	.section	.text._ZN7rocprim17ROCPRIM_400000_NS6detail17trampoline_kernelINS0_14default_configENS1_25partition_config_selectorILNS1_17partition_subalgoE8ExNS0_10empty_typeEbEEZZNS1_14partition_implILS5_8ELb0ES3_jN6thrust23THRUST_200600_302600_NS6detail15normal_iteratorINSA_10device_ptrIxEEEEPS6_PKS6_NS0_5tupleIJSF_S6_EEENSJ_IJSG_SG_EEENS0_18inequality_wrapperINSA_8equal_toIxEEEEPmJS6_EEE10hipError_tPvRmT3_T4_T5_T6_T7_T9_mT8_P12ihipStream_tbDpT10_ENKUlT_T0_E_clISt17integral_constantIbLb1EES1A_EEDaS15_S16_EUlS15_E_NS1_11comp_targetILNS1_3genE0ELNS1_11target_archE4294967295ELNS1_3gpuE0ELNS1_3repE0EEENS1_30default_config_static_selectorELNS0_4arch9wavefront6targetE1EEEvT1_,"axG",@progbits,_ZN7rocprim17ROCPRIM_400000_NS6detail17trampoline_kernelINS0_14default_configENS1_25partition_config_selectorILNS1_17partition_subalgoE8ExNS0_10empty_typeEbEEZZNS1_14partition_implILS5_8ELb0ES3_jN6thrust23THRUST_200600_302600_NS6detail15normal_iteratorINSA_10device_ptrIxEEEEPS6_PKS6_NS0_5tupleIJSF_S6_EEENSJ_IJSG_SG_EEENS0_18inequality_wrapperINSA_8equal_toIxEEEEPmJS6_EEE10hipError_tPvRmT3_T4_T5_T6_T7_T9_mT8_P12ihipStream_tbDpT10_ENKUlT_T0_E_clISt17integral_constantIbLb1EES1A_EEDaS15_S16_EUlS15_E_NS1_11comp_targetILNS1_3genE0ELNS1_11target_archE4294967295ELNS1_3gpuE0ELNS1_3repE0EEENS1_30default_config_static_selectorELNS0_4arch9wavefront6targetE1EEEvT1_,comdat
.Lfunc_end348:
	.size	_ZN7rocprim17ROCPRIM_400000_NS6detail17trampoline_kernelINS0_14default_configENS1_25partition_config_selectorILNS1_17partition_subalgoE8ExNS0_10empty_typeEbEEZZNS1_14partition_implILS5_8ELb0ES3_jN6thrust23THRUST_200600_302600_NS6detail15normal_iteratorINSA_10device_ptrIxEEEEPS6_PKS6_NS0_5tupleIJSF_S6_EEENSJ_IJSG_SG_EEENS0_18inequality_wrapperINSA_8equal_toIxEEEEPmJS6_EEE10hipError_tPvRmT3_T4_T5_T6_T7_T9_mT8_P12ihipStream_tbDpT10_ENKUlT_T0_E_clISt17integral_constantIbLb1EES1A_EEDaS15_S16_EUlS15_E_NS1_11comp_targetILNS1_3genE0ELNS1_11target_archE4294967295ELNS1_3gpuE0ELNS1_3repE0EEENS1_30default_config_static_selectorELNS0_4arch9wavefront6targetE1EEEvT1_, .Lfunc_end348-_ZN7rocprim17ROCPRIM_400000_NS6detail17trampoline_kernelINS0_14default_configENS1_25partition_config_selectorILNS1_17partition_subalgoE8ExNS0_10empty_typeEbEEZZNS1_14partition_implILS5_8ELb0ES3_jN6thrust23THRUST_200600_302600_NS6detail15normal_iteratorINSA_10device_ptrIxEEEEPS6_PKS6_NS0_5tupleIJSF_S6_EEENSJ_IJSG_SG_EEENS0_18inequality_wrapperINSA_8equal_toIxEEEEPmJS6_EEE10hipError_tPvRmT3_T4_T5_T6_T7_T9_mT8_P12ihipStream_tbDpT10_ENKUlT_T0_E_clISt17integral_constantIbLb1EES1A_EEDaS15_S16_EUlS15_E_NS1_11comp_targetILNS1_3genE0ELNS1_11target_archE4294967295ELNS1_3gpuE0ELNS1_3repE0EEENS1_30default_config_static_selectorELNS0_4arch9wavefront6targetE1EEEvT1_
                                        ; -- End function
	.set _ZN7rocprim17ROCPRIM_400000_NS6detail17trampoline_kernelINS0_14default_configENS1_25partition_config_selectorILNS1_17partition_subalgoE8ExNS0_10empty_typeEbEEZZNS1_14partition_implILS5_8ELb0ES3_jN6thrust23THRUST_200600_302600_NS6detail15normal_iteratorINSA_10device_ptrIxEEEEPS6_PKS6_NS0_5tupleIJSF_S6_EEENSJ_IJSG_SG_EEENS0_18inequality_wrapperINSA_8equal_toIxEEEEPmJS6_EEE10hipError_tPvRmT3_T4_T5_T6_T7_T9_mT8_P12ihipStream_tbDpT10_ENKUlT_T0_E_clISt17integral_constantIbLb1EES1A_EEDaS15_S16_EUlS15_E_NS1_11comp_targetILNS1_3genE0ELNS1_11target_archE4294967295ELNS1_3gpuE0ELNS1_3repE0EEENS1_30default_config_static_selectorELNS0_4arch9wavefront6targetE1EEEvT1_.num_vgpr, 0
	.set _ZN7rocprim17ROCPRIM_400000_NS6detail17trampoline_kernelINS0_14default_configENS1_25partition_config_selectorILNS1_17partition_subalgoE8ExNS0_10empty_typeEbEEZZNS1_14partition_implILS5_8ELb0ES3_jN6thrust23THRUST_200600_302600_NS6detail15normal_iteratorINSA_10device_ptrIxEEEEPS6_PKS6_NS0_5tupleIJSF_S6_EEENSJ_IJSG_SG_EEENS0_18inequality_wrapperINSA_8equal_toIxEEEEPmJS6_EEE10hipError_tPvRmT3_T4_T5_T6_T7_T9_mT8_P12ihipStream_tbDpT10_ENKUlT_T0_E_clISt17integral_constantIbLb1EES1A_EEDaS15_S16_EUlS15_E_NS1_11comp_targetILNS1_3genE0ELNS1_11target_archE4294967295ELNS1_3gpuE0ELNS1_3repE0EEENS1_30default_config_static_selectorELNS0_4arch9wavefront6targetE1EEEvT1_.num_agpr, 0
	.set _ZN7rocprim17ROCPRIM_400000_NS6detail17trampoline_kernelINS0_14default_configENS1_25partition_config_selectorILNS1_17partition_subalgoE8ExNS0_10empty_typeEbEEZZNS1_14partition_implILS5_8ELb0ES3_jN6thrust23THRUST_200600_302600_NS6detail15normal_iteratorINSA_10device_ptrIxEEEEPS6_PKS6_NS0_5tupleIJSF_S6_EEENSJ_IJSG_SG_EEENS0_18inequality_wrapperINSA_8equal_toIxEEEEPmJS6_EEE10hipError_tPvRmT3_T4_T5_T6_T7_T9_mT8_P12ihipStream_tbDpT10_ENKUlT_T0_E_clISt17integral_constantIbLb1EES1A_EEDaS15_S16_EUlS15_E_NS1_11comp_targetILNS1_3genE0ELNS1_11target_archE4294967295ELNS1_3gpuE0ELNS1_3repE0EEENS1_30default_config_static_selectorELNS0_4arch9wavefront6targetE1EEEvT1_.numbered_sgpr, 0
	.set _ZN7rocprim17ROCPRIM_400000_NS6detail17trampoline_kernelINS0_14default_configENS1_25partition_config_selectorILNS1_17partition_subalgoE8ExNS0_10empty_typeEbEEZZNS1_14partition_implILS5_8ELb0ES3_jN6thrust23THRUST_200600_302600_NS6detail15normal_iteratorINSA_10device_ptrIxEEEEPS6_PKS6_NS0_5tupleIJSF_S6_EEENSJ_IJSG_SG_EEENS0_18inequality_wrapperINSA_8equal_toIxEEEEPmJS6_EEE10hipError_tPvRmT3_T4_T5_T6_T7_T9_mT8_P12ihipStream_tbDpT10_ENKUlT_T0_E_clISt17integral_constantIbLb1EES1A_EEDaS15_S16_EUlS15_E_NS1_11comp_targetILNS1_3genE0ELNS1_11target_archE4294967295ELNS1_3gpuE0ELNS1_3repE0EEENS1_30default_config_static_selectorELNS0_4arch9wavefront6targetE1EEEvT1_.num_named_barrier, 0
	.set _ZN7rocprim17ROCPRIM_400000_NS6detail17trampoline_kernelINS0_14default_configENS1_25partition_config_selectorILNS1_17partition_subalgoE8ExNS0_10empty_typeEbEEZZNS1_14partition_implILS5_8ELb0ES3_jN6thrust23THRUST_200600_302600_NS6detail15normal_iteratorINSA_10device_ptrIxEEEEPS6_PKS6_NS0_5tupleIJSF_S6_EEENSJ_IJSG_SG_EEENS0_18inequality_wrapperINSA_8equal_toIxEEEEPmJS6_EEE10hipError_tPvRmT3_T4_T5_T6_T7_T9_mT8_P12ihipStream_tbDpT10_ENKUlT_T0_E_clISt17integral_constantIbLb1EES1A_EEDaS15_S16_EUlS15_E_NS1_11comp_targetILNS1_3genE0ELNS1_11target_archE4294967295ELNS1_3gpuE0ELNS1_3repE0EEENS1_30default_config_static_selectorELNS0_4arch9wavefront6targetE1EEEvT1_.private_seg_size, 0
	.set _ZN7rocprim17ROCPRIM_400000_NS6detail17trampoline_kernelINS0_14default_configENS1_25partition_config_selectorILNS1_17partition_subalgoE8ExNS0_10empty_typeEbEEZZNS1_14partition_implILS5_8ELb0ES3_jN6thrust23THRUST_200600_302600_NS6detail15normal_iteratorINSA_10device_ptrIxEEEEPS6_PKS6_NS0_5tupleIJSF_S6_EEENSJ_IJSG_SG_EEENS0_18inequality_wrapperINSA_8equal_toIxEEEEPmJS6_EEE10hipError_tPvRmT3_T4_T5_T6_T7_T9_mT8_P12ihipStream_tbDpT10_ENKUlT_T0_E_clISt17integral_constantIbLb1EES1A_EEDaS15_S16_EUlS15_E_NS1_11comp_targetILNS1_3genE0ELNS1_11target_archE4294967295ELNS1_3gpuE0ELNS1_3repE0EEENS1_30default_config_static_selectorELNS0_4arch9wavefront6targetE1EEEvT1_.uses_vcc, 0
	.set _ZN7rocprim17ROCPRIM_400000_NS6detail17trampoline_kernelINS0_14default_configENS1_25partition_config_selectorILNS1_17partition_subalgoE8ExNS0_10empty_typeEbEEZZNS1_14partition_implILS5_8ELb0ES3_jN6thrust23THRUST_200600_302600_NS6detail15normal_iteratorINSA_10device_ptrIxEEEEPS6_PKS6_NS0_5tupleIJSF_S6_EEENSJ_IJSG_SG_EEENS0_18inequality_wrapperINSA_8equal_toIxEEEEPmJS6_EEE10hipError_tPvRmT3_T4_T5_T6_T7_T9_mT8_P12ihipStream_tbDpT10_ENKUlT_T0_E_clISt17integral_constantIbLb1EES1A_EEDaS15_S16_EUlS15_E_NS1_11comp_targetILNS1_3genE0ELNS1_11target_archE4294967295ELNS1_3gpuE0ELNS1_3repE0EEENS1_30default_config_static_selectorELNS0_4arch9wavefront6targetE1EEEvT1_.uses_flat_scratch, 0
	.set _ZN7rocprim17ROCPRIM_400000_NS6detail17trampoline_kernelINS0_14default_configENS1_25partition_config_selectorILNS1_17partition_subalgoE8ExNS0_10empty_typeEbEEZZNS1_14partition_implILS5_8ELb0ES3_jN6thrust23THRUST_200600_302600_NS6detail15normal_iteratorINSA_10device_ptrIxEEEEPS6_PKS6_NS0_5tupleIJSF_S6_EEENSJ_IJSG_SG_EEENS0_18inequality_wrapperINSA_8equal_toIxEEEEPmJS6_EEE10hipError_tPvRmT3_T4_T5_T6_T7_T9_mT8_P12ihipStream_tbDpT10_ENKUlT_T0_E_clISt17integral_constantIbLb1EES1A_EEDaS15_S16_EUlS15_E_NS1_11comp_targetILNS1_3genE0ELNS1_11target_archE4294967295ELNS1_3gpuE0ELNS1_3repE0EEENS1_30default_config_static_selectorELNS0_4arch9wavefront6targetE1EEEvT1_.has_dyn_sized_stack, 0
	.set _ZN7rocprim17ROCPRIM_400000_NS6detail17trampoline_kernelINS0_14default_configENS1_25partition_config_selectorILNS1_17partition_subalgoE8ExNS0_10empty_typeEbEEZZNS1_14partition_implILS5_8ELb0ES3_jN6thrust23THRUST_200600_302600_NS6detail15normal_iteratorINSA_10device_ptrIxEEEEPS6_PKS6_NS0_5tupleIJSF_S6_EEENSJ_IJSG_SG_EEENS0_18inequality_wrapperINSA_8equal_toIxEEEEPmJS6_EEE10hipError_tPvRmT3_T4_T5_T6_T7_T9_mT8_P12ihipStream_tbDpT10_ENKUlT_T0_E_clISt17integral_constantIbLb1EES1A_EEDaS15_S16_EUlS15_E_NS1_11comp_targetILNS1_3genE0ELNS1_11target_archE4294967295ELNS1_3gpuE0ELNS1_3repE0EEENS1_30default_config_static_selectorELNS0_4arch9wavefront6targetE1EEEvT1_.has_recursion, 0
	.set _ZN7rocprim17ROCPRIM_400000_NS6detail17trampoline_kernelINS0_14default_configENS1_25partition_config_selectorILNS1_17partition_subalgoE8ExNS0_10empty_typeEbEEZZNS1_14partition_implILS5_8ELb0ES3_jN6thrust23THRUST_200600_302600_NS6detail15normal_iteratorINSA_10device_ptrIxEEEEPS6_PKS6_NS0_5tupleIJSF_S6_EEENSJ_IJSG_SG_EEENS0_18inequality_wrapperINSA_8equal_toIxEEEEPmJS6_EEE10hipError_tPvRmT3_T4_T5_T6_T7_T9_mT8_P12ihipStream_tbDpT10_ENKUlT_T0_E_clISt17integral_constantIbLb1EES1A_EEDaS15_S16_EUlS15_E_NS1_11comp_targetILNS1_3genE0ELNS1_11target_archE4294967295ELNS1_3gpuE0ELNS1_3repE0EEENS1_30default_config_static_selectorELNS0_4arch9wavefront6targetE1EEEvT1_.has_indirect_call, 0
	.section	.AMDGPU.csdata,"",@progbits
; Kernel info:
; codeLenInByte = 0
; TotalNumSgprs: 4
; NumVgprs: 0
; ScratchSize: 0
; MemoryBound: 0
; FloatMode: 240
; IeeeMode: 1
; LDSByteSize: 0 bytes/workgroup (compile time only)
; SGPRBlocks: 0
; VGPRBlocks: 0
; NumSGPRsForWavesPerEU: 4
; NumVGPRsForWavesPerEU: 1
; Occupancy: 10
; WaveLimiterHint : 0
; COMPUTE_PGM_RSRC2:SCRATCH_EN: 0
; COMPUTE_PGM_RSRC2:USER_SGPR: 6
; COMPUTE_PGM_RSRC2:TRAP_HANDLER: 0
; COMPUTE_PGM_RSRC2:TGID_X_EN: 1
; COMPUTE_PGM_RSRC2:TGID_Y_EN: 0
; COMPUTE_PGM_RSRC2:TGID_Z_EN: 0
; COMPUTE_PGM_RSRC2:TIDIG_COMP_CNT: 0
	.section	.text._ZN7rocprim17ROCPRIM_400000_NS6detail17trampoline_kernelINS0_14default_configENS1_25partition_config_selectorILNS1_17partition_subalgoE8ExNS0_10empty_typeEbEEZZNS1_14partition_implILS5_8ELb0ES3_jN6thrust23THRUST_200600_302600_NS6detail15normal_iteratorINSA_10device_ptrIxEEEEPS6_PKS6_NS0_5tupleIJSF_S6_EEENSJ_IJSG_SG_EEENS0_18inequality_wrapperINSA_8equal_toIxEEEEPmJS6_EEE10hipError_tPvRmT3_T4_T5_T6_T7_T9_mT8_P12ihipStream_tbDpT10_ENKUlT_T0_E_clISt17integral_constantIbLb1EES1A_EEDaS15_S16_EUlS15_E_NS1_11comp_targetILNS1_3genE5ELNS1_11target_archE942ELNS1_3gpuE9ELNS1_3repE0EEENS1_30default_config_static_selectorELNS0_4arch9wavefront6targetE1EEEvT1_,"axG",@progbits,_ZN7rocprim17ROCPRIM_400000_NS6detail17trampoline_kernelINS0_14default_configENS1_25partition_config_selectorILNS1_17partition_subalgoE8ExNS0_10empty_typeEbEEZZNS1_14partition_implILS5_8ELb0ES3_jN6thrust23THRUST_200600_302600_NS6detail15normal_iteratorINSA_10device_ptrIxEEEEPS6_PKS6_NS0_5tupleIJSF_S6_EEENSJ_IJSG_SG_EEENS0_18inequality_wrapperINSA_8equal_toIxEEEEPmJS6_EEE10hipError_tPvRmT3_T4_T5_T6_T7_T9_mT8_P12ihipStream_tbDpT10_ENKUlT_T0_E_clISt17integral_constantIbLb1EES1A_EEDaS15_S16_EUlS15_E_NS1_11comp_targetILNS1_3genE5ELNS1_11target_archE942ELNS1_3gpuE9ELNS1_3repE0EEENS1_30default_config_static_selectorELNS0_4arch9wavefront6targetE1EEEvT1_,comdat
	.protected	_ZN7rocprim17ROCPRIM_400000_NS6detail17trampoline_kernelINS0_14default_configENS1_25partition_config_selectorILNS1_17partition_subalgoE8ExNS0_10empty_typeEbEEZZNS1_14partition_implILS5_8ELb0ES3_jN6thrust23THRUST_200600_302600_NS6detail15normal_iteratorINSA_10device_ptrIxEEEEPS6_PKS6_NS0_5tupleIJSF_S6_EEENSJ_IJSG_SG_EEENS0_18inequality_wrapperINSA_8equal_toIxEEEEPmJS6_EEE10hipError_tPvRmT3_T4_T5_T6_T7_T9_mT8_P12ihipStream_tbDpT10_ENKUlT_T0_E_clISt17integral_constantIbLb1EES1A_EEDaS15_S16_EUlS15_E_NS1_11comp_targetILNS1_3genE5ELNS1_11target_archE942ELNS1_3gpuE9ELNS1_3repE0EEENS1_30default_config_static_selectorELNS0_4arch9wavefront6targetE1EEEvT1_ ; -- Begin function _ZN7rocprim17ROCPRIM_400000_NS6detail17trampoline_kernelINS0_14default_configENS1_25partition_config_selectorILNS1_17partition_subalgoE8ExNS0_10empty_typeEbEEZZNS1_14partition_implILS5_8ELb0ES3_jN6thrust23THRUST_200600_302600_NS6detail15normal_iteratorINSA_10device_ptrIxEEEEPS6_PKS6_NS0_5tupleIJSF_S6_EEENSJ_IJSG_SG_EEENS0_18inequality_wrapperINSA_8equal_toIxEEEEPmJS6_EEE10hipError_tPvRmT3_T4_T5_T6_T7_T9_mT8_P12ihipStream_tbDpT10_ENKUlT_T0_E_clISt17integral_constantIbLb1EES1A_EEDaS15_S16_EUlS15_E_NS1_11comp_targetILNS1_3genE5ELNS1_11target_archE942ELNS1_3gpuE9ELNS1_3repE0EEENS1_30default_config_static_selectorELNS0_4arch9wavefront6targetE1EEEvT1_
	.globl	_ZN7rocprim17ROCPRIM_400000_NS6detail17trampoline_kernelINS0_14default_configENS1_25partition_config_selectorILNS1_17partition_subalgoE8ExNS0_10empty_typeEbEEZZNS1_14partition_implILS5_8ELb0ES3_jN6thrust23THRUST_200600_302600_NS6detail15normal_iteratorINSA_10device_ptrIxEEEEPS6_PKS6_NS0_5tupleIJSF_S6_EEENSJ_IJSG_SG_EEENS0_18inequality_wrapperINSA_8equal_toIxEEEEPmJS6_EEE10hipError_tPvRmT3_T4_T5_T6_T7_T9_mT8_P12ihipStream_tbDpT10_ENKUlT_T0_E_clISt17integral_constantIbLb1EES1A_EEDaS15_S16_EUlS15_E_NS1_11comp_targetILNS1_3genE5ELNS1_11target_archE942ELNS1_3gpuE9ELNS1_3repE0EEENS1_30default_config_static_selectorELNS0_4arch9wavefront6targetE1EEEvT1_
	.p2align	8
	.type	_ZN7rocprim17ROCPRIM_400000_NS6detail17trampoline_kernelINS0_14default_configENS1_25partition_config_selectorILNS1_17partition_subalgoE8ExNS0_10empty_typeEbEEZZNS1_14partition_implILS5_8ELb0ES3_jN6thrust23THRUST_200600_302600_NS6detail15normal_iteratorINSA_10device_ptrIxEEEEPS6_PKS6_NS0_5tupleIJSF_S6_EEENSJ_IJSG_SG_EEENS0_18inequality_wrapperINSA_8equal_toIxEEEEPmJS6_EEE10hipError_tPvRmT3_T4_T5_T6_T7_T9_mT8_P12ihipStream_tbDpT10_ENKUlT_T0_E_clISt17integral_constantIbLb1EES1A_EEDaS15_S16_EUlS15_E_NS1_11comp_targetILNS1_3genE5ELNS1_11target_archE942ELNS1_3gpuE9ELNS1_3repE0EEENS1_30default_config_static_selectorELNS0_4arch9wavefront6targetE1EEEvT1_,@function
_ZN7rocprim17ROCPRIM_400000_NS6detail17trampoline_kernelINS0_14default_configENS1_25partition_config_selectorILNS1_17partition_subalgoE8ExNS0_10empty_typeEbEEZZNS1_14partition_implILS5_8ELb0ES3_jN6thrust23THRUST_200600_302600_NS6detail15normal_iteratorINSA_10device_ptrIxEEEEPS6_PKS6_NS0_5tupleIJSF_S6_EEENSJ_IJSG_SG_EEENS0_18inequality_wrapperINSA_8equal_toIxEEEEPmJS6_EEE10hipError_tPvRmT3_T4_T5_T6_T7_T9_mT8_P12ihipStream_tbDpT10_ENKUlT_T0_E_clISt17integral_constantIbLb1EES1A_EEDaS15_S16_EUlS15_E_NS1_11comp_targetILNS1_3genE5ELNS1_11target_archE942ELNS1_3gpuE9ELNS1_3repE0EEENS1_30default_config_static_selectorELNS0_4arch9wavefront6targetE1EEEvT1_: ; @_ZN7rocprim17ROCPRIM_400000_NS6detail17trampoline_kernelINS0_14default_configENS1_25partition_config_selectorILNS1_17partition_subalgoE8ExNS0_10empty_typeEbEEZZNS1_14partition_implILS5_8ELb0ES3_jN6thrust23THRUST_200600_302600_NS6detail15normal_iteratorINSA_10device_ptrIxEEEEPS6_PKS6_NS0_5tupleIJSF_S6_EEENSJ_IJSG_SG_EEENS0_18inequality_wrapperINSA_8equal_toIxEEEEPmJS6_EEE10hipError_tPvRmT3_T4_T5_T6_T7_T9_mT8_P12ihipStream_tbDpT10_ENKUlT_T0_E_clISt17integral_constantIbLb1EES1A_EEDaS15_S16_EUlS15_E_NS1_11comp_targetILNS1_3genE5ELNS1_11target_archE942ELNS1_3gpuE9ELNS1_3repE0EEENS1_30default_config_static_selectorELNS0_4arch9wavefront6targetE1EEEvT1_
; %bb.0:
	.section	.rodata,"a",@progbits
	.p2align	6, 0x0
	.amdhsa_kernel _ZN7rocprim17ROCPRIM_400000_NS6detail17trampoline_kernelINS0_14default_configENS1_25partition_config_selectorILNS1_17partition_subalgoE8ExNS0_10empty_typeEbEEZZNS1_14partition_implILS5_8ELb0ES3_jN6thrust23THRUST_200600_302600_NS6detail15normal_iteratorINSA_10device_ptrIxEEEEPS6_PKS6_NS0_5tupleIJSF_S6_EEENSJ_IJSG_SG_EEENS0_18inequality_wrapperINSA_8equal_toIxEEEEPmJS6_EEE10hipError_tPvRmT3_T4_T5_T6_T7_T9_mT8_P12ihipStream_tbDpT10_ENKUlT_T0_E_clISt17integral_constantIbLb1EES1A_EEDaS15_S16_EUlS15_E_NS1_11comp_targetILNS1_3genE5ELNS1_11target_archE942ELNS1_3gpuE9ELNS1_3repE0EEENS1_30default_config_static_selectorELNS0_4arch9wavefront6targetE1EEEvT1_
		.amdhsa_group_segment_fixed_size 0
		.amdhsa_private_segment_fixed_size 0
		.amdhsa_kernarg_size 128
		.amdhsa_user_sgpr_count 6
		.amdhsa_user_sgpr_private_segment_buffer 1
		.amdhsa_user_sgpr_dispatch_ptr 0
		.amdhsa_user_sgpr_queue_ptr 0
		.amdhsa_user_sgpr_kernarg_segment_ptr 1
		.amdhsa_user_sgpr_dispatch_id 0
		.amdhsa_user_sgpr_flat_scratch_init 0
		.amdhsa_user_sgpr_private_segment_size 0
		.amdhsa_uses_dynamic_stack 0
		.amdhsa_system_sgpr_private_segment_wavefront_offset 0
		.amdhsa_system_sgpr_workgroup_id_x 1
		.amdhsa_system_sgpr_workgroup_id_y 0
		.amdhsa_system_sgpr_workgroup_id_z 0
		.amdhsa_system_sgpr_workgroup_info 0
		.amdhsa_system_vgpr_workitem_id 0
		.amdhsa_next_free_vgpr 1
		.amdhsa_next_free_sgpr 0
		.amdhsa_reserve_vcc 0
		.amdhsa_reserve_flat_scratch 0
		.amdhsa_float_round_mode_32 0
		.amdhsa_float_round_mode_16_64 0
		.amdhsa_float_denorm_mode_32 3
		.amdhsa_float_denorm_mode_16_64 3
		.amdhsa_dx10_clamp 1
		.amdhsa_ieee_mode 1
		.amdhsa_fp16_overflow 0
		.amdhsa_exception_fp_ieee_invalid_op 0
		.amdhsa_exception_fp_denorm_src 0
		.amdhsa_exception_fp_ieee_div_zero 0
		.amdhsa_exception_fp_ieee_overflow 0
		.amdhsa_exception_fp_ieee_underflow 0
		.amdhsa_exception_fp_ieee_inexact 0
		.amdhsa_exception_int_div_zero 0
	.end_amdhsa_kernel
	.section	.text._ZN7rocprim17ROCPRIM_400000_NS6detail17trampoline_kernelINS0_14default_configENS1_25partition_config_selectorILNS1_17partition_subalgoE8ExNS0_10empty_typeEbEEZZNS1_14partition_implILS5_8ELb0ES3_jN6thrust23THRUST_200600_302600_NS6detail15normal_iteratorINSA_10device_ptrIxEEEEPS6_PKS6_NS0_5tupleIJSF_S6_EEENSJ_IJSG_SG_EEENS0_18inequality_wrapperINSA_8equal_toIxEEEEPmJS6_EEE10hipError_tPvRmT3_T4_T5_T6_T7_T9_mT8_P12ihipStream_tbDpT10_ENKUlT_T0_E_clISt17integral_constantIbLb1EES1A_EEDaS15_S16_EUlS15_E_NS1_11comp_targetILNS1_3genE5ELNS1_11target_archE942ELNS1_3gpuE9ELNS1_3repE0EEENS1_30default_config_static_selectorELNS0_4arch9wavefront6targetE1EEEvT1_,"axG",@progbits,_ZN7rocprim17ROCPRIM_400000_NS6detail17trampoline_kernelINS0_14default_configENS1_25partition_config_selectorILNS1_17partition_subalgoE8ExNS0_10empty_typeEbEEZZNS1_14partition_implILS5_8ELb0ES3_jN6thrust23THRUST_200600_302600_NS6detail15normal_iteratorINSA_10device_ptrIxEEEEPS6_PKS6_NS0_5tupleIJSF_S6_EEENSJ_IJSG_SG_EEENS0_18inequality_wrapperINSA_8equal_toIxEEEEPmJS6_EEE10hipError_tPvRmT3_T4_T5_T6_T7_T9_mT8_P12ihipStream_tbDpT10_ENKUlT_T0_E_clISt17integral_constantIbLb1EES1A_EEDaS15_S16_EUlS15_E_NS1_11comp_targetILNS1_3genE5ELNS1_11target_archE942ELNS1_3gpuE9ELNS1_3repE0EEENS1_30default_config_static_selectorELNS0_4arch9wavefront6targetE1EEEvT1_,comdat
.Lfunc_end349:
	.size	_ZN7rocprim17ROCPRIM_400000_NS6detail17trampoline_kernelINS0_14default_configENS1_25partition_config_selectorILNS1_17partition_subalgoE8ExNS0_10empty_typeEbEEZZNS1_14partition_implILS5_8ELb0ES3_jN6thrust23THRUST_200600_302600_NS6detail15normal_iteratorINSA_10device_ptrIxEEEEPS6_PKS6_NS0_5tupleIJSF_S6_EEENSJ_IJSG_SG_EEENS0_18inequality_wrapperINSA_8equal_toIxEEEEPmJS6_EEE10hipError_tPvRmT3_T4_T5_T6_T7_T9_mT8_P12ihipStream_tbDpT10_ENKUlT_T0_E_clISt17integral_constantIbLb1EES1A_EEDaS15_S16_EUlS15_E_NS1_11comp_targetILNS1_3genE5ELNS1_11target_archE942ELNS1_3gpuE9ELNS1_3repE0EEENS1_30default_config_static_selectorELNS0_4arch9wavefront6targetE1EEEvT1_, .Lfunc_end349-_ZN7rocprim17ROCPRIM_400000_NS6detail17trampoline_kernelINS0_14default_configENS1_25partition_config_selectorILNS1_17partition_subalgoE8ExNS0_10empty_typeEbEEZZNS1_14partition_implILS5_8ELb0ES3_jN6thrust23THRUST_200600_302600_NS6detail15normal_iteratorINSA_10device_ptrIxEEEEPS6_PKS6_NS0_5tupleIJSF_S6_EEENSJ_IJSG_SG_EEENS0_18inequality_wrapperINSA_8equal_toIxEEEEPmJS6_EEE10hipError_tPvRmT3_T4_T5_T6_T7_T9_mT8_P12ihipStream_tbDpT10_ENKUlT_T0_E_clISt17integral_constantIbLb1EES1A_EEDaS15_S16_EUlS15_E_NS1_11comp_targetILNS1_3genE5ELNS1_11target_archE942ELNS1_3gpuE9ELNS1_3repE0EEENS1_30default_config_static_selectorELNS0_4arch9wavefront6targetE1EEEvT1_
                                        ; -- End function
	.set _ZN7rocprim17ROCPRIM_400000_NS6detail17trampoline_kernelINS0_14default_configENS1_25partition_config_selectorILNS1_17partition_subalgoE8ExNS0_10empty_typeEbEEZZNS1_14partition_implILS5_8ELb0ES3_jN6thrust23THRUST_200600_302600_NS6detail15normal_iteratorINSA_10device_ptrIxEEEEPS6_PKS6_NS0_5tupleIJSF_S6_EEENSJ_IJSG_SG_EEENS0_18inequality_wrapperINSA_8equal_toIxEEEEPmJS6_EEE10hipError_tPvRmT3_T4_T5_T6_T7_T9_mT8_P12ihipStream_tbDpT10_ENKUlT_T0_E_clISt17integral_constantIbLb1EES1A_EEDaS15_S16_EUlS15_E_NS1_11comp_targetILNS1_3genE5ELNS1_11target_archE942ELNS1_3gpuE9ELNS1_3repE0EEENS1_30default_config_static_selectorELNS0_4arch9wavefront6targetE1EEEvT1_.num_vgpr, 0
	.set _ZN7rocprim17ROCPRIM_400000_NS6detail17trampoline_kernelINS0_14default_configENS1_25partition_config_selectorILNS1_17partition_subalgoE8ExNS0_10empty_typeEbEEZZNS1_14partition_implILS5_8ELb0ES3_jN6thrust23THRUST_200600_302600_NS6detail15normal_iteratorINSA_10device_ptrIxEEEEPS6_PKS6_NS0_5tupleIJSF_S6_EEENSJ_IJSG_SG_EEENS0_18inequality_wrapperINSA_8equal_toIxEEEEPmJS6_EEE10hipError_tPvRmT3_T4_T5_T6_T7_T9_mT8_P12ihipStream_tbDpT10_ENKUlT_T0_E_clISt17integral_constantIbLb1EES1A_EEDaS15_S16_EUlS15_E_NS1_11comp_targetILNS1_3genE5ELNS1_11target_archE942ELNS1_3gpuE9ELNS1_3repE0EEENS1_30default_config_static_selectorELNS0_4arch9wavefront6targetE1EEEvT1_.num_agpr, 0
	.set _ZN7rocprim17ROCPRIM_400000_NS6detail17trampoline_kernelINS0_14default_configENS1_25partition_config_selectorILNS1_17partition_subalgoE8ExNS0_10empty_typeEbEEZZNS1_14partition_implILS5_8ELb0ES3_jN6thrust23THRUST_200600_302600_NS6detail15normal_iteratorINSA_10device_ptrIxEEEEPS6_PKS6_NS0_5tupleIJSF_S6_EEENSJ_IJSG_SG_EEENS0_18inequality_wrapperINSA_8equal_toIxEEEEPmJS6_EEE10hipError_tPvRmT3_T4_T5_T6_T7_T9_mT8_P12ihipStream_tbDpT10_ENKUlT_T0_E_clISt17integral_constantIbLb1EES1A_EEDaS15_S16_EUlS15_E_NS1_11comp_targetILNS1_3genE5ELNS1_11target_archE942ELNS1_3gpuE9ELNS1_3repE0EEENS1_30default_config_static_selectorELNS0_4arch9wavefront6targetE1EEEvT1_.numbered_sgpr, 0
	.set _ZN7rocprim17ROCPRIM_400000_NS6detail17trampoline_kernelINS0_14default_configENS1_25partition_config_selectorILNS1_17partition_subalgoE8ExNS0_10empty_typeEbEEZZNS1_14partition_implILS5_8ELb0ES3_jN6thrust23THRUST_200600_302600_NS6detail15normal_iteratorINSA_10device_ptrIxEEEEPS6_PKS6_NS0_5tupleIJSF_S6_EEENSJ_IJSG_SG_EEENS0_18inequality_wrapperINSA_8equal_toIxEEEEPmJS6_EEE10hipError_tPvRmT3_T4_T5_T6_T7_T9_mT8_P12ihipStream_tbDpT10_ENKUlT_T0_E_clISt17integral_constantIbLb1EES1A_EEDaS15_S16_EUlS15_E_NS1_11comp_targetILNS1_3genE5ELNS1_11target_archE942ELNS1_3gpuE9ELNS1_3repE0EEENS1_30default_config_static_selectorELNS0_4arch9wavefront6targetE1EEEvT1_.num_named_barrier, 0
	.set _ZN7rocprim17ROCPRIM_400000_NS6detail17trampoline_kernelINS0_14default_configENS1_25partition_config_selectorILNS1_17partition_subalgoE8ExNS0_10empty_typeEbEEZZNS1_14partition_implILS5_8ELb0ES3_jN6thrust23THRUST_200600_302600_NS6detail15normal_iteratorINSA_10device_ptrIxEEEEPS6_PKS6_NS0_5tupleIJSF_S6_EEENSJ_IJSG_SG_EEENS0_18inequality_wrapperINSA_8equal_toIxEEEEPmJS6_EEE10hipError_tPvRmT3_T4_T5_T6_T7_T9_mT8_P12ihipStream_tbDpT10_ENKUlT_T0_E_clISt17integral_constantIbLb1EES1A_EEDaS15_S16_EUlS15_E_NS1_11comp_targetILNS1_3genE5ELNS1_11target_archE942ELNS1_3gpuE9ELNS1_3repE0EEENS1_30default_config_static_selectorELNS0_4arch9wavefront6targetE1EEEvT1_.private_seg_size, 0
	.set _ZN7rocprim17ROCPRIM_400000_NS6detail17trampoline_kernelINS0_14default_configENS1_25partition_config_selectorILNS1_17partition_subalgoE8ExNS0_10empty_typeEbEEZZNS1_14partition_implILS5_8ELb0ES3_jN6thrust23THRUST_200600_302600_NS6detail15normal_iteratorINSA_10device_ptrIxEEEEPS6_PKS6_NS0_5tupleIJSF_S6_EEENSJ_IJSG_SG_EEENS0_18inequality_wrapperINSA_8equal_toIxEEEEPmJS6_EEE10hipError_tPvRmT3_T4_T5_T6_T7_T9_mT8_P12ihipStream_tbDpT10_ENKUlT_T0_E_clISt17integral_constantIbLb1EES1A_EEDaS15_S16_EUlS15_E_NS1_11comp_targetILNS1_3genE5ELNS1_11target_archE942ELNS1_3gpuE9ELNS1_3repE0EEENS1_30default_config_static_selectorELNS0_4arch9wavefront6targetE1EEEvT1_.uses_vcc, 0
	.set _ZN7rocprim17ROCPRIM_400000_NS6detail17trampoline_kernelINS0_14default_configENS1_25partition_config_selectorILNS1_17partition_subalgoE8ExNS0_10empty_typeEbEEZZNS1_14partition_implILS5_8ELb0ES3_jN6thrust23THRUST_200600_302600_NS6detail15normal_iteratorINSA_10device_ptrIxEEEEPS6_PKS6_NS0_5tupleIJSF_S6_EEENSJ_IJSG_SG_EEENS0_18inequality_wrapperINSA_8equal_toIxEEEEPmJS6_EEE10hipError_tPvRmT3_T4_T5_T6_T7_T9_mT8_P12ihipStream_tbDpT10_ENKUlT_T0_E_clISt17integral_constantIbLb1EES1A_EEDaS15_S16_EUlS15_E_NS1_11comp_targetILNS1_3genE5ELNS1_11target_archE942ELNS1_3gpuE9ELNS1_3repE0EEENS1_30default_config_static_selectorELNS0_4arch9wavefront6targetE1EEEvT1_.uses_flat_scratch, 0
	.set _ZN7rocprim17ROCPRIM_400000_NS6detail17trampoline_kernelINS0_14default_configENS1_25partition_config_selectorILNS1_17partition_subalgoE8ExNS0_10empty_typeEbEEZZNS1_14partition_implILS5_8ELb0ES3_jN6thrust23THRUST_200600_302600_NS6detail15normal_iteratorINSA_10device_ptrIxEEEEPS6_PKS6_NS0_5tupleIJSF_S6_EEENSJ_IJSG_SG_EEENS0_18inequality_wrapperINSA_8equal_toIxEEEEPmJS6_EEE10hipError_tPvRmT3_T4_T5_T6_T7_T9_mT8_P12ihipStream_tbDpT10_ENKUlT_T0_E_clISt17integral_constantIbLb1EES1A_EEDaS15_S16_EUlS15_E_NS1_11comp_targetILNS1_3genE5ELNS1_11target_archE942ELNS1_3gpuE9ELNS1_3repE0EEENS1_30default_config_static_selectorELNS0_4arch9wavefront6targetE1EEEvT1_.has_dyn_sized_stack, 0
	.set _ZN7rocprim17ROCPRIM_400000_NS6detail17trampoline_kernelINS0_14default_configENS1_25partition_config_selectorILNS1_17partition_subalgoE8ExNS0_10empty_typeEbEEZZNS1_14partition_implILS5_8ELb0ES3_jN6thrust23THRUST_200600_302600_NS6detail15normal_iteratorINSA_10device_ptrIxEEEEPS6_PKS6_NS0_5tupleIJSF_S6_EEENSJ_IJSG_SG_EEENS0_18inequality_wrapperINSA_8equal_toIxEEEEPmJS6_EEE10hipError_tPvRmT3_T4_T5_T6_T7_T9_mT8_P12ihipStream_tbDpT10_ENKUlT_T0_E_clISt17integral_constantIbLb1EES1A_EEDaS15_S16_EUlS15_E_NS1_11comp_targetILNS1_3genE5ELNS1_11target_archE942ELNS1_3gpuE9ELNS1_3repE0EEENS1_30default_config_static_selectorELNS0_4arch9wavefront6targetE1EEEvT1_.has_recursion, 0
	.set _ZN7rocprim17ROCPRIM_400000_NS6detail17trampoline_kernelINS0_14default_configENS1_25partition_config_selectorILNS1_17partition_subalgoE8ExNS0_10empty_typeEbEEZZNS1_14partition_implILS5_8ELb0ES3_jN6thrust23THRUST_200600_302600_NS6detail15normal_iteratorINSA_10device_ptrIxEEEEPS6_PKS6_NS0_5tupleIJSF_S6_EEENSJ_IJSG_SG_EEENS0_18inequality_wrapperINSA_8equal_toIxEEEEPmJS6_EEE10hipError_tPvRmT3_T4_T5_T6_T7_T9_mT8_P12ihipStream_tbDpT10_ENKUlT_T0_E_clISt17integral_constantIbLb1EES1A_EEDaS15_S16_EUlS15_E_NS1_11comp_targetILNS1_3genE5ELNS1_11target_archE942ELNS1_3gpuE9ELNS1_3repE0EEENS1_30default_config_static_selectorELNS0_4arch9wavefront6targetE1EEEvT1_.has_indirect_call, 0
	.section	.AMDGPU.csdata,"",@progbits
; Kernel info:
; codeLenInByte = 0
; TotalNumSgprs: 4
; NumVgprs: 0
; ScratchSize: 0
; MemoryBound: 0
; FloatMode: 240
; IeeeMode: 1
; LDSByteSize: 0 bytes/workgroup (compile time only)
; SGPRBlocks: 0
; VGPRBlocks: 0
; NumSGPRsForWavesPerEU: 4
; NumVGPRsForWavesPerEU: 1
; Occupancy: 10
; WaveLimiterHint : 0
; COMPUTE_PGM_RSRC2:SCRATCH_EN: 0
; COMPUTE_PGM_RSRC2:USER_SGPR: 6
; COMPUTE_PGM_RSRC2:TRAP_HANDLER: 0
; COMPUTE_PGM_RSRC2:TGID_X_EN: 1
; COMPUTE_PGM_RSRC2:TGID_Y_EN: 0
; COMPUTE_PGM_RSRC2:TGID_Z_EN: 0
; COMPUTE_PGM_RSRC2:TIDIG_COMP_CNT: 0
	.section	.text._ZN7rocprim17ROCPRIM_400000_NS6detail17trampoline_kernelINS0_14default_configENS1_25partition_config_selectorILNS1_17partition_subalgoE8ExNS0_10empty_typeEbEEZZNS1_14partition_implILS5_8ELb0ES3_jN6thrust23THRUST_200600_302600_NS6detail15normal_iteratorINSA_10device_ptrIxEEEEPS6_PKS6_NS0_5tupleIJSF_S6_EEENSJ_IJSG_SG_EEENS0_18inequality_wrapperINSA_8equal_toIxEEEEPmJS6_EEE10hipError_tPvRmT3_T4_T5_T6_T7_T9_mT8_P12ihipStream_tbDpT10_ENKUlT_T0_E_clISt17integral_constantIbLb1EES1A_EEDaS15_S16_EUlS15_E_NS1_11comp_targetILNS1_3genE4ELNS1_11target_archE910ELNS1_3gpuE8ELNS1_3repE0EEENS1_30default_config_static_selectorELNS0_4arch9wavefront6targetE1EEEvT1_,"axG",@progbits,_ZN7rocprim17ROCPRIM_400000_NS6detail17trampoline_kernelINS0_14default_configENS1_25partition_config_selectorILNS1_17partition_subalgoE8ExNS0_10empty_typeEbEEZZNS1_14partition_implILS5_8ELb0ES3_jN6thrust23THRUST_200600_302600_NS6detail15normal_iteratorINSA_10device_ptrIxEEEEPS6_PKS6_NS0_5tupleIJSF_S6_EEENSJ_IJSG_SG_EEENS0_18inequality_wrapperINSA_8equal_toIxEEEEPmJS6_EEE10hipError_tPvRmT3_T4_T5_T6_T7_T9_mT8_P12ihipStream_tbDpT10_ENKUlT_T0_E_clISt17integral_constantIbLb1EES1A_EEDaS15_S16_EUlS15_E_NS1_11comp_targetILNS1_3genE4ELNS1_11target_archE910ELNS1_3gpuE8ELNS1_3repE0EEENS1_30default_config_static_selectorELNS0_4arch9wavefront6targetE1EEEvT1_,comdat
	.protected	_ZN7rocprim17ROCPRIM_400000_NS6detail17trampoline_kernelINS0_14default_configENS1_25partition_config_selectorILNS1_17partition_subalgoE8ExNS0_10empty_typeEbEEZZNS1_14partition_implILS5_8ELb0ES3_jN6thrust23THRUST_200600_302600_NS6detail15normal_iteratorINSA_10device_ptrIxEEEEPS6_PKS6_NS0_5tupleIJSF_S6_EEENSJ_IJSG_SG_EEENS0_18inequality_wrapperINSA_8equal_toIxEEEEPmJS6_EEE10hipError_tPvRmT3_T4_T5_T6_T7_T9_mT8_P12ihipStream_tbDpT10_ENKUlT_T0_E_clISt17integral_constantIbLb1EES1A_EEDaS15_S16_EUlS15_E_NS1_11comp_targetILNS1_3genE4ELNS1_11target_archE910ELNS1_3gpuE8ELNS1_3repE0EEENS1_30default_config_static_selectorELNS0_4arch9wavefront6targetE1EEEvT1_ ; -- Begin function _ZN7rocprim17ROCPRIM_400000_NS6detail17trampoline_kernelINS0_14default_configENS1_25partition_config_selectorILNS1_17partition_subalgoE8ExNS0_10empty_typeEbEEZZNS1_14partition_implILS5_8ELb0ES3_jN6thrust23THRUST_200600_302600_NS6detail15normal_iteratorINSA_10device_ptrIxEEEEPS6_PKS6_NS0_5tupleIJSF_S6_EEENSJ_IJSG_SG_EEENS0_18inequality_wrapperINSA_8equal_toIxEEEEPmJS6_EEE10hipError_tPvRmT3_T4_T5_T6_T7_T9_mT8_P12ihipStream_tbDpT10_ENKUlT_T0_E_clISt17integral_constantIbLb1EES1A_EEDaS15_S16_EUlS15_E_NS1_11comp_targetILNS1_3genE4ELNS1_11target_archE910ELNS1_3gpuE8ELNS1_3repE0EEENS1_30default_config_static_selectorELNS0_4arch9wavefront6targetE1EEEvT1_
	.globl	_ZN7rocprim17ROCPRIM_400000_NS6detail17trampoline_kernelINS0_14default_configENS1_25partition_config_selectorILNS1_17partition_subalgoE8ExNS0_10empty_typeEbEEZZNS1_14partition_implILS5_8ELb0ES3_jN6thrust23THRUST_200600_302600_NS6detail15normal_iteratorINSA_10device_ptrIxEEEEPS6_PKS6_NS0_5tupleIJSF_S6_EEENSJ_IJSG_SG_EEENS0_18inequality_wrapperINSA_8equal_toIxEEEEPmJS6_EEE10hipError_tPvRmT3_T4_T5_T6_T7_T9_mT8_P12ihipStream_tbDpT10_ENKUlT_T0_E_clISt17integral_constantIbLb1EES1A_EEDaS15_S16_EUlS15_E_NS1_11comp_targetILNS1_3genE4ELNS1_11target_archE910ELNS1_3gpuE8ELNS1_3repE0EEENS1_30default_config_static_selectorELNS0_4arch9wavefront6targetE1EEEvT1_
	.p2align	8
	.type	_ZN7rocprim17ROCPRIM_400000_NS6detail17trampoline_kernelINS0_14default_configENS1_25partition_config_selectorILNS1_17partition_subalgoE8ExNS0_10empty_typeEbEEZZNS1_14partition_implILS5_8ELb0ES3_jN6thrust23THRUST_200600_302600_NS6detail15normal_iteratorINSA_10device_ptrIxEEEEPS6_PKS6_NS0_5tupleIJSF_S6_EEENSJ_IJSG_SG_EEENS0_18inequality_wrapperINSA_8equal_toIxEEEEPmJS6_EEE10hipError_tPvRmT3_T4_T5_T6_T7_T9_mT8_P12ihipStream_tbDpT10_ENKUlT_T0_E_clISt17integral_constantIbLb1EES1A_EEDaS15_S16_EUlS15_E_NS1_11comp_targetILNS1_3genE4ELNS1_11target_archE910ELNS1_3gpuE8ELNS1_3repE0EEENS1_30default_config_static_selectorELNS0_4arch9wavefront6targetE1EEEvT1_,@function
_ZN7rocprim17ROCPRIM_400000_NS6detail17trampoline_kernelINS0_14default_configENS1_25partition_config_selectorILNS1_17partition_subalgoE8ExNS0_10empty_typeEbEEZZNS1_14partition_implILS5_8ELb0ES3_jN6thrust23THRUST_200600_302600_NS6detail15normal_iteratorINSA_10device_ptrIxEEEEPS6_PKS6_NS0_5tupleIJSF_S6_EEENSJ_IJSG_SG_EEENS0_18inequality_wrapperINSA_8equal_toIxEEEEPmJS6_EEE10hipError_tPvRmT3_T4_T5_T6_T7_T9_mT8_P12ihipStream_tbDpT10_ENKUlT_T0_E_clISt17integral_constantIbLb1EES1A_EEDaS15_S16_EUlS15_E_NS1_11comp_targetILNS1_3genE4ELNS1_11target_archE910ELNS1_3gpuE8ELNS1_3repE0EEENS1_30default_config_static_selectorELNS0_4arch9wavefront6targetE1EEEvT1_: ; @_ZN7rocprim17ROCPRIM_400000_NS6detail17trampoline_kernelINS0_14default_configENS1_25partition_config_selectorILNS1_17partition_subalgoE8ExNS0_10empty_typeEbEEZZNS1_14partition_implILS5_8ELb0ES3_jN6thrust23THRUST_200600_302600_NS6detail15normal_iteratorINSA_10device_ptrIxEEEEPS6_PKS6_NS0_5tupleIJSF_S6_EEENSJ_IJSG_SG_EEENS0_18inequality_wrapperINSA_8equal_toIxEEEEPmJS6_EEE10hipError_tPvRmT3_T4_T5_T6_T7_T9_mT8_P12ihipStream_tbDpT10_ENKUlT_T0_E_clISt17integral_constantIbLb1EES1A_EEDaS15_S16_EUlS15_E_NS1_11comp_targetILNS1_3genE4ELNS1_11target_archE910ELNS1_3gpuE8ELNS1_3repE0EEENS1_30default_config_static_selectorELNS0_4arch9wavefront6targetE1EEEvT1_
; %bb.0:
	.section	.rodata,"a",@progbits
	.p2align	6, 0x0
	.amdhsa_kernel _ZN7rocprim17ROCPRIM_400000_NS6detail17trampoline_kernelINS0_14default_configENS1_25partition_config_selectorILNS1_17partition_subalgoE8ExNS0_10empty_typeEbEEZZNS1_14partition_implILS5_8ELb0ES3_jN6thrust23THRUST_200600_302600_NS6detail15normal_iteratorINSA_10device_ptrIxEEEEPS6_PKS6_NS0_5tupleIJSF_S6_EEENSJ_IJSG_SG_EEENS0_18inequality_wrapperINSA_8equal_toIxEEEEPmJS6_EEE10hipError_tPvRmT3_T4_T5_T6_T7_T9_mT8_P12ihipStream_tbDpT10_ENKUlT_T0_E_clISt17integral_constantIbLb1EES1A_EEDaS15_S16_EUlS15_E_NS1_11comp_targetILNS1_3genE4ELNS1_11target_archE910ELNS1_3gpuE8ELNS1_3repE0EEENS1_30default_config_static_selectorELNS0_4arch9wavefront6targetE1EEEvT1_
		.amdhsa_group_segment_fixed_size 0
		.amdhsa_private_segment_fixed_size 0
		.amdhsa_kernarg_size 128
		.amdhsa_user_sgpr_count 6
		.amdhsa_user_sgpr_private_segment_buffer 1
		.amdhsa_user_sgpr_dispatch_ptr 0
		.amdhsa_user_sgpr_queue_ptr 0
		.amdhsa_user_sgpr_kernarg_segment_ptr 1
		.amdhsa_user_sgpr_dispatch_id 0
		.amdhsa_user_sgpr_flat_scratch_init 0
		.amdhsa_user_sgpr_private_segment_size 0
		.amdhsa_uses_dynamic_stack 0
		.amdhsa_system_sgpr_private_segment_wavefront_offset 0
		.amdhsa_system_sgpr_workgroup_id_x 1
		.amdhsa_system_sgpr_workgroup_id_y 0
		.amdhsa_system_sgpr_workgroup_id_z 0
		.amdhsa_system_sgpr_workgroup_info 0
		.amdhsa_system_vgpr_workitem_id 0
		.amdhsa_next_free_vgpr 1
		.amdhsa_next_free_sgpr 0
		.amdhsa_reserve_vcc 0
		.amdhsa_reserve_flat_scratch 0
		.amdhsa_float_round_mode_32 0
		.amdhsa_float_round_mode_16_64 0
		.amdhsa_float_denorm_mode_32 3
		.amdhsa_float_denorm_mode_16_64 3
		.amdhsa_dx10_clamp 1
		.amdhsa_ieee_mode 1
		.amdhsa_fp16_overflow 0
		.amdhsa_exception_fp_ieee_invalid_op 0
		.amdhsa_exception_fp_denorm_src 0
		.amdhsa_exception_fp_ieee_div_zero 0
		.amdhsa_exception_fp_ieee_overflow 0
		.amdhsa_exception_fp_ieee_underflow 0
		.amdhsa_exception_fp_ieee_inexact 0
		.amdhsa_exception_int_div_zero 0
	.end_amdhsa_kernel
	.section	.text._ZN7rocprim17ROCPRIM_400000_NS6detail17trampoline_kernelINS0_14default_configENS1_25partition_config_selectorILNS1_17partition_subalgoE8ExNS0_10empty_typeEbEEZZNS1_14partition_implILS5_8ELb0ES3_jN6thrust23THRUST_200600_302600_NS6detail15normal_iteratorINSA_10device_ptrIxEEEEPS6_PKS6_NS0_5tupleIJSF_S6_EEENSJ_IJSG_SG_EEENS0_18inequality_wrapperINSA_8equal_toIxEEEEPmJS6_EEE10hipError_tPvRmT3_T4_T5_T6_T7_T9_mT8_P12ihipStream_tbDpT10_ENKUlT_T0_E_clISt17integral_constantIbLb1EES1A_EEDaS15_S16_EUlS15_E_NS1_11comp_targetILNS1_3genE4ELNS1_11target_archE910ELNS1_3gpuE8ELNS1_3repE0EEENS1_30default_config_static_selectorELNS0_4arch9wavefront6targetE1EEEvT1_,"axG",@progbits,_ZN7rocprim17ROCPRIM_400000_NS6detail17trampoline_kernelINS0_14default_configENS1_25partition_config_selectorILNS1_17partition_subalgoE8ExNS0_10empty_typeEbEEZZNS1_14partition_implILS5_8ELb0ES3_jN6thrust23THRUST_200600_302600_NS6detail15normal_iteratorINSA_10device_ptrIxEEEEPS6_PKS6_NS0_5tupleIJSF_S6_EEENSJ_IJSG_SG_EEENS0_18inequality_wrapperINSA_8equal_toIxEEEEPmJS6_EEE10hipError_tPvRmT3_T4_T5_T6_T7_T9_mT8_P12ihipStream_tbDpT10_ENKUlT_T0_E_clISt17integral_constantIbLb1EES1A_EEDaS15_S16_EUlS15_E_NS1_11comp_targetILNS1_3genE4ELNS1_11target_archE910ELNS1_3gpuE8ELNS1_3repE0EEENS1_30default_config_static_selectorELNS0_4arch9wavefront6targetE1EEEvT1_,comdat
.Lfunc_end350:
	.size	_ZN7rocprim17ROCPRIM_400000_NS6detail17trampoline_kernelINS0_14default_configENS1_25partition_config_selectorILNS1_17partition_subalgoE8ExNS0_10empty_typeEbEEZZNS1_14partition_implILS5_8ELb0ES3_jN6thrust23THRUST_200600_302600_NS6detail15normal_iteratorINSA_10device_ptrIxEEEEPS6_PKS6_NS0_5tupleIJSF_S6_EEENSJ_IJSG_SG_EEENS0_18inequality_wrapperINSA_8equal_toIxEEEEPmJS6_EEE10hipError_tPvRmT3_T4_T5_T6_T7_T9_mT8_P12ihipStream_tbDpT10_ENKUlT_T0_E_clISt17integral_constantIbLb1EES1A_EEDaS15_S16_EUlS15_E_NS1_11comp_targetILNS1_3genE4ELNS1_11target_archE910ELNS1_3gpuE8ELNS1_3repE0EEENS1_30default_config_static_selectorELNS0_4arch9wavefront6targetE1EEEvT1_, .Lfunc_end350-_ZN7rocprim17ROCPRIM_400000_NS6detail17trampoline_kernelINS0_14default_configENS1_25partition_config_selectorILNS1_17partition_subalgoE8ExNS0_10empty_typeEbEEZZNS1_14partition_implILS5_8ELb0ES3_jN6thrust23THRUST_200600_302600_NS6detail15normal_iteratorINSA_10device_ptrIxEEEEPS6_PKS6_NS0_5tupleIJSF_S6_EEENSJ_IJSG_SG_EEENS0_18inequality_wrapperINSA_8equal_toIxEEEEPmJS6_EEE10hipError_tPvRmT3_T4_T5_T6_T7_T9_mT8_P12ihipStream_tbDpT10_ENKUlT_T0_E_clISt17integral_constantIbLb1EES1A_EEDaS15_S16_EUlS15_E_NS1_11comp_targetILNS1_3genE4ELNS1_11target_archE910ELNS1_3gpuE8ELNS1_3repE0EEENS1_30default_config_static_selectorELNS0_4arch9wavefront6targetE1EEEvT1_
                                        ; -- End function
	.set _ZN7rocprim17ROCPRIM_400000_NS6detail17trampoline_kernelINS0_14default_configENS1_25partition_config_selectorILNS1_17partition_subalgoE8ExNS0_10empty_typeEbEEZZNS1_14partition_implILS5_8ELb0ES3_jN6thrust23THRUST_200600_302600_NS6detail15normal_iteratorINSA_10device_ptrIxEEEEPS6_PKS6_NS0_5tupleIJSF_S6_EEENSJ_IJSG_SG_EEENS0_18inequality_wrapperINSA_8equal_toIxEEEEPmJS6_EEE10hipError_tPvRmT3_T4_T5_T6_T7_T9_mT8_P12ihipStream_tbDpT10_ENKUlT_T0_E_clISt17integral_constantIbLb1EES1A_EEDaS15_S16_EUlS15_E_NS1_11comp_targetILNS1_3genE4ELNS1_11target_archE910ELNS1_3gpuE8ELNS1_3repE0EEENS1_30default_config_static_selectorELNS0_4arch9wavefront6targetE1EEEvT1_.num_vgpr, 0
	.set _ZN7rocprim17ROCPRIM_400000_NS6detail17trampoline_kernelINS0_14default_configENS1_25partition_config_selectorILNS1_17partition_subalgoE8ExNS0_10empty_typeEbEEZZNS1_14partition_implILS5_8ELb0ES3_jN6thrust23THRUST_200600_302600_NS6detail15normal_iteratorINSA_10device_ptrIxEEEEPS6_PKS6_NS0_5tupleIJSF_S6_EEENSJ_IJSG_SG_EEENS0_18inequality_wrapperINSA_8equal_toIxEEEEPmJS6_EEE10hipError_tPvRmT3_T4_T5_T6_T7_T9_mT8_P12ihipStream_tbDpT10_ENKUlT_T0_E_clISt17integral_constantIbLb1EES1A_EEDaS15_S16_EUlS15_E_NS1_11comp_targetILNS1_3genE4ELNS1_11target_archE910ELNS1_3gpuE8ELNS1_3repE0EEENS1_30default_config_static_selectorELNS0_4arch9wavefront6targetE1EEEvT1_.num_agpr, 0
	.set _ZN7rocprim17ROCPRIM_400000_NS6detail17trampoline_kernelINS0_14default_configENS1_25partition_config_selectorILNS1_17partition_subalgoE8ExNS0_10empty_typeEbEEZZNS1_14partition_implILS5_8ELb0ES3_jN6thrust23THRUST_200600_302600_NS6detail15normal_iteratorINSA_10device_ptrIxEEEEPS6_PKS6_NS0_5tupleIJSF_S6_EEENSJ_IJSG_SG_EEENS0_18inequality_wrapperINSA_8equal_toIxEEEEPmJS6_EEE10hipError_tPvRmT3_T4_T5_T6_T7_T9_mT8_P12ihipStream_tbDpT10_ENKUlT_T0_E_clISt17integral_constantIbLb1EES1A_EEDaS15_S16_EUlS15_E_NS1_11comp_targetILNS1_3genE4ELNS1_11target_archE910ELNS1_3gpuE8ELNS1_3repE0EEENS1_30default_config_static_selectorELNS0_4arch9wavefront6targetE1EEEvT1_.numbered_sgpr, 0
	.set _ZN7rocprim17ROCPRIM_400000_NS6detail17trampoline_kernelINS0_14default_configENS1_25partition_config_selectorILNS1_17partition_subalgoE8ExNS0_10empty_typeEbEEZZNS1_14partition_implILS5_8ELb0ES3_jN6thrust23THRUST_200600_302600_NS6detail15normal_iteratorINSA_10device_ptrIxEEEEPS6_PKS6_NS0_5tupleIJSF_S6_EEENSJ_IJSG_SG_EEENS0_18inequality_wrapperINSA_8equal_toIxEEEEPmJS6_EEE10hipError_tPvRmT3_T4_T5_T6_T7_T9_mT8_P12ihipStream_tbDpT10_ENKUlT_T0_E_clISt17integral_constantIbLb1EES1A_EEDaS15_S16_EUlS15_E_NS1_11comp_targetILNS1_3genE4ELNS1_11target_archE910ELNS1_3gpuE8ELNS1_3repE0EEENS1_30default_config_static_selectorELNS0_4arch9wavefront6targetE1EEEvT1_.num_named_barrier, 0
	.set _ZN7rocprim17ROCPRIM_400000_NS6detail17trampoline_kernelINS0_14default_configENS1_25partition_config_selectorILNS1_17partition_subalgoE8ExNS0_10empty_typeEbEEZZNS1_14partition_implILS5_8ELb0ES3_jN6thrust23THRUST_200600_302600_NS6detail15normal_iteratorINSA_10device_ptrIxEEEEPS6_PKS6_NS0_5tupleIJSF_S6_EEENSJ_IJSG_SG_EEENS0_18inequality_wrapperINSA_8equal_toIxEEEEPmJS6_EEE10hipError_tPvRmT3_T4_T5_T6_T7_T9_mT8_P12ihipStream_tbDpT10_ENKUlT_T0_E_clISt17integral_constantIbLb1EES1A_EEDaS15_S16_EUlS15_E_NS1_11comp_targetILNS1_3genE4ELNS1_11target_archE910ELNS1_3gpuE8ELNS1_3repE0EEENS1_30default_config_static_selectorELNS0_4arch9wavefront6targetE1EEEvT1_.private_seg_size, 0
	.set _ZN7rocprim17ROCPRIM_400000_NS6detail17trampoline_kernelINS0_14default_configENS1_25partition_config_selectorILNS1_17partition_subalgoE8ExNS0_10empty_typeEbEEZZNS1_14partition_implILS5_8ELb0ES3_jN6thrust23THRUST_200600_302600_NS6detail15normal_iteratorINSA_10device_ptrIxEEEEPS6_PKS6_NS0_5tupleIJSF_S6_EEENSJ_IJSG_SG_EEENS0_18inequality_wrapperINSA_8equal_toIxEEEEPmJS6_EEE10hipError_tPvRmT3_T4_T5_T6_T7_T9_mT8_P12ihipStream_tbDpT10_ENKUlT_T0_E_clISt17integral_constantIbLb1EES1A_EEDaS15_S16_EUlS15_E_NS1_11comp_targetILNS1_3genE4ELNS1_11target_archE910ELNS1_3gpuE8ELNS1_3repE0EEENS1_30default_config_static_selectorELNS0_4arch9wavefront6targetE1EEEvT1_.uses_vcc, 0
	.set _ZN7rocprim17ROCPRIM_400000_NS6detail17trampoline_kernelINS0_14default_configENS1_25partition_config_selectorILNS1_17partition_subalgoE8ExNS0_10empty_typeEbEEZZNS1_14partition_implILS5_8ELb0ES3_jN6thrust23THRUST_200600_302600_NS6detail15normal_iteratorINSA_10device_ptrIxEEEEPS6_PKS6_NS0_5tupleIJSF_S6_EEENSJ_IJSG_SG_EEENS0_18inequality_wrapperINSA_8equal_toIxEEEEPmJS6_EEE10hipError_tPvRmT3_T4_T5_T6_T7_T9_mT8_P12ihipStream_tbDpT10_ENKUlT_T0_E_clISt17integral_constantIbLb1EES1A_EEDaS15_S16_EUlS15_E_NS1_11comp_targetILNS1_3genE4ELNS1_11target_archE910ELNS1_3gpuE8ELNS1_3repE0EEENS1_30default_config_static_selectorELNS0_4arch9wavefront6targetE1EEEvT1_.uses_flat_scratch, 0
	.set _ZN7rocprim17ROCPRIM_400000_NS6detail17trampoline_kernelINS0_14default_configENS1_25partition_config_selectorILNS1_17partition_subalgoE8ExNS0_10empty_typeEbEEZZNS1_14partition_implILS5_8ELb0ES3_jN6thrust23THRUST_200600_302600_NS6detail15normal_iteratorINSA_10device_ptrIxEEEEPS6_PKS6_NS0_5tupleIJSF_S6_EEENSJ_IJSG_SG_EEENS0_18inequality_wrapperINSA_8equal_toIxEEEEPmJS6_EEE10hipError_tPvRmT3_T4_T5_T6_T7_T9_mT8_P12ihipStream_tbDpT10_ENKUlT_T0_E_clISt17integral_constantIbLb1EES1A_EEDaS15_S16_EUlS15_E_NS1_11comp_targetILNS1_3genE4ELNS1_11target_archE910ELNS1_3gpuE8ELNS1_3repE0EEENS1_30default_config_static_selectorELNS0_4arch9wavefront6targetE1EEEvT1_.has_dyn_sized_stack, 0
	.set _ZN7rocprim17ROCPRIM_400000_NS6detail17trampoline_kernelINS0_14default_configENS1_25partition_config_selectorILNS1_17partition_subalgoE8ExNS0_10empty_typeEbEEZZNS1_14partition_implILS5_8ELb0ES3_jN6thrust23THRUST_200600_302600_NS6detail15normal_iteratorINSA_10device_ptrIxEEEEPS6_PKS6_NS0_5tupleIJSF_S6_EEENSJ_IJSG_SG_EEENS0_18inequality_wrapperINSA_8equal_toIxEEEEPmJS6_EEE10hipError_tPvRmT3_T4_T5_T6_T7_T9_mT8_P12ihipStream_tbDpT10_ENKUlT_T0_E_clISt17integral_constantIbLb1EES1A_EEDaS15_S16_EUlS15_E_NS1_11comp_targetILNS1_3genE4ELNS1_11target_archE910ELNS1_3gpuE8ELNS1_3repE0EEENS1_30default_config_static_selectorELNS0_4arch9wavefront6targetE1EEEvT1_.has_recursion, 0
	.set _ZN7rocprim17ROCPRIM_400000_NS6detail17trampoline_kernelINS0_14default_configENS1_25partition_config_selectorILNS1_17partition_subalgoE8ExNS0_10empty_typeEbEEZZNS1_14partition_implILS5_8ELb0ES3_jN6thrust23THRUST_200600_302600_NS6detail15normal_iteratorINSA_10device_ptrIxEEEEPS6_PKS6_NS0_5tupleIJSF_S6_EEENSJ_IJSG_SG_EEENS0_18inequality_wrapperINSA_8equal_toIxEEEEPmJS6_EEE10hipError_tPvRmT3_T4_T5_T6_T7_T9_mT8_P12ihipStream_tbDpT10_ENKUlT_T0_E_clISt17integral_constantIbLb1EES1A_EEDaS15_S16_EUlS15_E_NS1_11comp_targetILNS1_3genE4ELNS1_11target_archE910ELNS1_3gpuE8ELNS1_3repE0EEENS1_30default_config_static_selectorELNS0_4arch9wavefront6targetE1EEEvT1_.has_indirect_call, 0
	.section	.AMDGPU.csdata,"",@progbits
; Kernel info:
; codeLenInByte = 0
; TotalNumSgprs: 4
; NumVgprs: 0
; ScratchSize: 0
; MemoryBound: 0
; FloatMode: 240
; IeeeMode: 1
; LDSByteSize: 0 bytes/workgroup (compile time only)
; SGPRBlocks: 0
; VGPRBlocks: 0
; NumSGPRsForWavesPerEU: 4
; NumVGPRsForWavesPerEU: 1
; Occupancy: 10
; WaveLimiterHint : 0
; COMPUTE_PGM_RSRC2:SCRATCH_EN: 0
; COMPUTE_PGM_RSRC2:USER_SGPR: 6
; COMPUTE_PGM_RSRC2:TRAP_HANDLER: 0
; COMPUTE_PGM_RSRC2:TGID_X_EN: 1
; COMPUTE_PGM_RSRC2:TGID_Y_EN: 0
; COMPUTE_PGM_RSRC2:TGID_Z_EN: 0
; COMPUTE_PGM_RSRC2:TIDIG_COMP_CNT: 0
	.section	.text._ZN7rocprim17ROCPRIM_400000_NS6detail17trampoline_kernelINS0_14default_configENS1_25partition_config_selectorILNS1_17partition_subalgoE8ExNS0_10empty_typeEbEEZZNS1_14partition_implILS5_8ELb0ES3_jN6thrust23THRUST_200600_302600_NS6detail15normal_iteratorINSA_10device_ptrIxEEEEPS6_PKS6_NS0_5tupleIJSF_S6_EEENSJ_IJSG_SG_EEENS0_18inequality_wrapperINSA_8equal_toIxEEEEPmJS6_EEE10hipError_tPvRmT3_T4_T5_T6_T7_T9_mT8_P12ihipStream_tbDpT10_ENKUlT_T0_E_clISt17integral_constantIbLb1EES1A_EEDaS15_S16_EUlS15_E_NS1_11comp_targetILNS1_3genE3ELNS1_11target_archE908ELNS1_3gpuE7ELNS1_3repE0EEENS1_30default_config_static_selectorELNS0_4arch9wavefront6targetE1EEEvT1_,"axG",@progbits,_ZN7rocprim17ROCPRIM_400000_NS6detail17trampoline_kernelINS0_14default_configENS1_25partition_config_selectorILNS1_17partition_subalgoE8ExNS0_10empty_typeEbEEZZNS1_14partition_implILS5_8ELb0ES3_jN6thrust23THRUST_200600_302600_NS6detail15normal_iteratorINSA_10device_ptrIxEEEEPS6_PKS6_NS0_5tupleIJSF_S6_EEENSJ_IJSG_SG_EEENS0_18inequality_wrapperINSA_8equal_toIxEEEEPmJS6_EEE10hipError_tPvRmT3_T4_T5_T6_T7_T9_mT8_P12ihipStream_tbDpT10_ENKUlT_T0_E_clISt17integral_constantIbLb1EES1A_EEDaS15_S16_EUlS15_E_NS1_11comp_targetILNS1_3genE3ELNS1_11target_archE908ELNS1_3gpuE7ELNS1_3repE0EEENS1_30default_config_static_selectorELNS0_4arch9wavefront6targetE1EEEvT1_,comdat
	.protected	_ZN7rocprim17ROCPRIM_400000_NS6detail17trampoline_kernelINS0_14default_configENS1_25partition_config_selectorILNS1_17partition_subalgoE8ExNS0_10empty_typeEbEEZZNS1_14partition_implILS5_8ELb0ES3_jN6thrust23THRUST_200600_302600_NS6detail15normal_iteratorINSA_10device_ptrIxEEEEPS6_PKS6_NS0_5tupleIJSF_S6_EEENSJ_IJSG_SG_EEENS0_18inequality_wrapperINSA_8equal_toIxEEEEPmJS6_EEE10hipError_tPvRmT3_T4_T5_T6_T7_T9_mT8_P12ihipStream_tbDpT10_ENKUlT_T0_E_clISt17integral_constantIbLb1EES1A_EEDaS15_S16_EUlS15_E_NS1_11comp_targetILNS1_3genE3ELNS1_11target_archE908ELNS1_3gpuE7ELNS1_3repE0EEENS1_30default_config_static_selectorELNS0_4arch9wavefront6targetE1EEEvT1_ ; -- Begin function _ZN7rocprim17ROCPRIM_400000_NS6detail17trampoline_kernelINS0_14default_configENS1_25partition_config_selectorILNS1_17partition_subalgoE8ExNS0_10empty_typeEbEEZZNS1_14partition_implILS5_8ELb0ES3_jN6thrust23THRUST_200600_302600_NS6detail15normal_iteratorINSA_10device_ptrIxEEEEPS6_PKS6_NS0_5tupleIJSF_S6_EEENSJ_IJSG_SG_EEENS0_18inequality_wrapperINSA_8equal_toIxEEEEPmJS6_EEE10hipError_tPvRmT3_T4_T5_T6_T7_T9_mT8_P12ihipStream_tbDpT10_ENKUlT_T0_E_clISt17integral_constantIbLb1EES1A_EEDaS15_S16_EUlS15_E_NS1_11comp_targetILNS1_3genE3ELNS1_11target_archE908ELNS1_3gpuE7ELNS1_3repE0EEENS1_30default_config_static_selectorELNS0_4arch9wavefront6targetE1EEEvT1_
	.globl	_ZN7rocprim17ROCPRIM_400000_NS6detail17trampoline_kernelINS0_14default_configENS1_25partition_config_selectorILNS1_17partition_subalgoE8ExNS0_10empty_typeEbEEZZNS1_14partition_implILS5_8ELb0ES3_jN6thrust23THRUST_200600_302600_NS6detail15normal_iteratorINSA_10device_ptrIxEEEEPS6_PKS6_NS0_5tupleIJSF_S6_EEENSJ_IJSG_SG_EEENS0_18inequality_wrapperINSA_8equal_toIxEEEEPmJS6_EEE10hipError_tPvRmT3_T4_T5_T6_T7_T9_mT8_P12ihipStream_tbDpT10_ENKUlT_T0_E_clISt17integral_constantIbLb1EES1A_EEDaS15_S16_EUlS15_E_NS1_11comp_targetILNS1_3genE3ELNS1_11target_archE908ELNS1_3gpuE7ELNS1_3repE0EEENS1_30default_config_static_selectorELNS0_4arch9wavefront6targetE1EEEvT1_
	.p2align	8
	.type	_ZN7rocprim17ROCPRIM_400000_NS6detail17trampoline_kernelINS0_14default_configENS1_25partition_config_selectorILNS1_17partition_subalgoE8ExNS0_10empty_typeEbEEZZNS1_14partition_implILS5_8ELb0ES3_jN6thrust23THRUST_200600_302600_NS6detail15normal_iteratorINSA_10device_ptrIxEEEEPS6_PKS6_NS0_5tupleIJSF_S6_EEENSJ_IJSG_SG_EEENS0_18inequality_wrapperINSA_8equal_toIxEEEEPmJS6_EEE10hipError_tPvRmT3_T4_T5_T6_T7_T9_mT8_P12ihipStream_tbDpT10_ENKUlT_T0_E_clISt17integral_constantIbLb1EES1A_EEDaS15_S16_EUlS15_E_NS1_11comp_targetILNS1_3genE3ELNS1_11target_archE908ELNS1_3gpuE7ELNS1_3repE0EEENS1_30default_config_static_selectorELNS0_4arch9wavefront6targetE1EEEvT1_,@function
_ZN7rocprim17ROCPRIM_400000_NS6detail17trampoline_kernelINS0_14default_configENS1_25partition_config_selectorILNS1_17partition_subalgoE8ExNS0_10empty_typeEbEEZZNS1_14partition_implILS5_8ELb0ES3_jN6thrust23THRUST_200600_302600_NS6detail15normal_iteratorINSA_10device_ptrIxEEEEPS6_PKS6_NS0_5tupleIJSF_S6_EEENSJ_IJSG_SG_EEENS0_18inequality_wrapperINSA_8equal_toIxEEEEPmJS6_EEE10hipError_tPvRmT3_T4_T5_T6_T7_T9_mT8_P12ihipStream_tbDpT10_ENKUlT_T0_E_clISt17integral_constantIbLb1EES1A_EEDaS15_S16_EUlS15_E_NS1_11comp_targetILNS1_3genE3ELNS1_11target_archE908ELNS1_3gpuE7ELNS1_3repE0EEENS1_30default_config_static_selectorELNS0_4arch9wavefront6targetE1EEEvT1_: ; @_ZN7rocprim17ROCPRIM_400000_NS6detail17trampoline_kernelINS0_14default_configENS1_25partition_config_selectorILNS1_17partition_subalgoE8ExNS0_10empty_typeEbEEZZNS1_14partition_implILS5_8ELb0ES3_jN6thrust23THRUST_200600_302600_NS6detail15normal_iteratorINSA_10device_ptrIxEEEEPS6_PKS6_NS0_5tupleIJSF_S6_EEENSJ_IJSG_SG_EEENS0_18inequality_wrapperINSA_8equal_toIxEEEEPmJS6_EEE10hipError_tPvRmT3_T4_T5_T6_T7_T9_mT8_P12ihipStream_tbDpT10_ENKUlT_T0_E_clISt17integral_constantIbLb1EES1A_EEDaS15_S16_EUlS15_E_NS1_11comp_targetILNS1_3genE3ELNS1_11target_archE908ELNS1_3gpuE7ELNS1_3repE0EEENS1_30default_config_static_selectorELNS0_4arch9wavefront6targetE1EEEvT1_
; %bb.0:
	.section	.rodata,"a",@progbits
	.p2align	6, 0x0
	.amdhsa_kernel _ZN7rocprim17ROCPRIM_400000_NS6detail17trampoline_kernelINS0_14default_configENS1_25partition_config_selectorILNS1_17partition_subalgoE8ExNS0_10empty_typeEbEEZZNS1_14partition_implILS5_8ELb0ES3_jN6thrust23THRUST_200600_302600_NS6detail15normal_iteratorINSA_10device_ptrIxEEEEPS6_PKS6_NS0_5tupleIJSF_S6_EEENSJ_IJSG_SG_EEENS0_18inequality_wrapperINSA_8equal_toIxEEEEPmJS6_EEE10hipError_tPvRmT3_T4_T5_T6_T7_T9_mT8_P12ihipStream_tbDpT10_ENKUlT_T0_E_clISt17integral_constantIbLb1EES1A_EEDaS15_S16_EUlS15_E_NS1_11comp_targetILNS1_3genE3ELNS1_11target_archE908ELNS1_3gpuE7ELNS1_3repE0EEENS1_30default_config_static_selectorELNS0_4arch9wavefront6targetE1EEEvT1_
		.amdhsa_group_segment_fixed_size 0
		.amdhsa_private_segment_fixed_size 0
		.amdhsa_kernarg_size 128
		.amdhsa_user_sgpr_count 6
		.amdhsa_user_sgpr_private_segment_buffer 1
		.amdhsa_user_sgpr_dispatch_ptr 0
		.amdhsa_user_sgpr_queue_ptr 0
		.amdhsa_user_sgpr_kernarg_segment_ptr 1
		.amdhsa_user_sgpr_dispatch_id 0
		.amdhsa_user_sgpr_flat_scratch_init 0
		.amdhsa_user_sgpr_private_segment_size 0
		.amdhsa_uses_dynamic_stack 0
		.amdhsa_system_sgpr_private_segment_wavefront_offset 0
		.amdhsa_system_sgpr_workgroup_id_x 1
		.amdhsa_system_sgpr_workgroup_id_y 0
		.amdhsa_system_sgpr_workgroup_id_z 0
		.amdhsa_system_sgpr_workgroup_info 0
		.amdhsa_system_vgpr_workitem_id 0
		.amdhsa_next_free_vgpr 1
		.amdhsa_next_free_sgpr 0
		.amdhsa_reserve_vcc 0
		.amdhsa_reserve_flat_scratch 0
		.amdhsa_float_round_mode_32 0
		.amdhsa_float_round_mode_16_64 0
		.amdhsa_float_denorm_mode_32 3
		.amdhsa_float_denorm_mode_16_64 3
		.amdhsa_dx10_clamp 1
		.amdhsa_ieee_mode 1
		.amdhsa_fp16_overflow 0
		.amdhsa_exception_fp_ieee_invalid_op 0
		.amdhsa_exception_fp_denorm_src 0
		.amdhsa_exception_fp_ieee_div_zero 0
		.amdhsa_exception_fp_ieee_overflow 0
		.amdhsa_exception_fp_ieee_underflow 0
		.amdhsa_exception_fp_ieee_inexact 0
		.amdhsa_exception_int_div_zero 0
	.end_amdhsa_kernel
	.section	.text._ZN7rocprim17ROCPRIM_400000_NS6detail17trampoline_kernelINS0_14default_configENS1_25partition_config_selectorILNS1_17partition_subalgoE8ExNS0_10empty_typeEbEEZZNS1_14partition_implILS5_8ELb0ES3_jN6thrust23THRUST_200600_302600_NS6detail15normal_iteratorINSA_10device_ptrIxEEEEPS6_PKS6_NS0_5tupleIJSF_S6_EEENSJ_IJSG_SG_EEENS0_18inequality_wrapperINSA_8equal_toIxEEEEPmJS6_EEE10hipError_tPvRmT3_T4_T5_T6_T7_T9_mT8_P12ihipStream_tbDpT10_ENKUlT_T0_E_clISt17integral_constantIbLb1EES1A_EEDaS15_S16_EUlS15_E_NS1_11comp_targetILNS1_3genE3ELNS1_11target_archE908ELNS1_3gpuE7ELNS1_3repE0EEENS1_30default_config_static_selectorELNS0_4arch9wavefront6targetE1EEEvT1_,"axG",@progbits,_ZN7rocprim17ROCPRIM_400000_NS6detail17trampoline_kernelINS0_14default_configENS1_25partition_config_selectorILNS1_17partition_subalgoE8ExNS0_10empty_typeEbEEZZNS1_14partition_implILS5_8ELb0ES3_jN6thrust23THRUST_200600_302600_NS6detail15normal_iteratorINSA_10device_ptrIxEEEEPS6_PKS6_NS0_5tupleIJSF_S6_EEENSJ_IJSG_SG_EEENS0_18inequality_wrapperINSA_8equal_toIxEEEEPmJS6_EEE10hipError_tPvRmT3_T4_T5_T6_T7_T9_mT8_P12ihipStream_tbDpT10_ENKUlT_T0_E_clISt17integral_constantIbLb1EES1A_EEDaS15_S16_EUlS15_E_NS1_11comp_targetILNS1_3genE3ELNS1_11target_archE908ELNS1_3gpuE7ELNS1_3repE0EEENS1_30default_config_static_selectorELNS0_4arch9wavefront6targetE1EEEvT1_,comdat
.Lfunc_end351:
	.size	_ZN7rocprim17ROCPRIM_400000_NS6detail17trampoline_kernelINS0_14default_configENS1_25partition_config_selectorILNS1_17partition_subalgoE8ExNS0_10empty_typeEbEEZZNS1_14partition_implILS5_8ELb0ES3_jN6thrust23THRUST_200600_302600_NS6detail15normal_iteratorINSA_10device_ptrIxEEEEPS6_PKS6_NS0_5tupleIJSF_S6_EEENSJ_IJSG_SG_EEENS0_18inequality_wrapperINSA_8equal_toIxEEEEPmJS6_EEE10hipError_tPvRmT3_T4_T5_T6_T7_T9_mT8_P12ihipStream_tbDpT10_ENKUlT_T0_E_clISt17integral_constantIbLb1EES1A_EEDaS15_S16_EUlS15_E_NS1_11comp_targetILNS1_3genE3ELNS1_11target_archE908ELNS1_3gpuE7ELNS1_3repE0EEENS1_30default_config_static_selectorELNS0_4arch9wavefront6targetE1EEEvT1_, .Lfunc_end351-_ZN7rocprim17ROCPRIM_400000_NS6detail17trampoline_kernelINS0_14default_configENS1_25partition_config_selectorILNS1_17partition_subalgoE8ExNS0_10empty_typeEbEEZZNS1_14partition_implILS5_8ELb0ES3_jN6thrust23THRUST_200600_302600_NS6detail15normal_iteratorINSA_10device_ptrIxEEEEPS6_PKS6_NS0_5tupleIJSF_S6_EEENSJ_IJSG_SG_EEENS0_18inequality_wrapperINSA_8equal_toIxEEEEPmJS6_EEE10hipError_tPvRmT3_T4_T5_T6_T7_T9_mT8_P12ihipStream_tbDpT10_ENKUlT_T0_E_clISt17integral_constantIbLb1EES1A_EEDaS15_S16_EUlS15_E_NS1_11comp_targetILNS1_3genE3ELNS1_11target_archE908ELNS1_3gpuE7ELNS1_3repE0EEENS1_30default_config_static_selectorELNS0_4arch9wavefront6targetE1EEEvT1_
                                        ; -- End function
	.set _ZN7rocprim17ROCPRIM_400000_NS6detail17trampoline_kernelINS0_14default_configENS1_25partition_config_selectorILNS1_17partition_subalgoE8ExNS0_10empty_typeEbEEZZNS1_14partition_implILS5_8ELb0ES3_jN6thrust23THRUST_200600_302600_NS6detail15normal_iteratorINSA_10device_ptrIxEEEEPS6_PKS6_NS0_5tupleIJSF_S6_EEENSJ_IJSG_SG_EEENS0_18inequality_wrapperINSA_8equal_toIxEEEEPmJS6_EEE10hipError_tPvRmT3_T4_T5_T6_T7_T9_mT8_P12ihipStream_tbDpT10_ENKUlT_T0_E_clISt17integral_constantIbLb1EES1A_EEDaS15_S16_EUlS15_E_NS1_11comp_targetILNS1_3genE3ELNS1_11target_archE908ELNS1_3gpuE7ELNS1_3repE0EEENS1_30default_config_static_selectorELNS0_4arch9wavefront6targetE1EEEvT1_.num_vgpr, 0
	.set _ZN7rocprim17ROCPRIM_400000_NS6detail17trampoline_kernelINS0_14default_configENS1_25partition_config_selectorILNS1_17partition_subalgoE8ExNS0_10empty_typeEbEEZZNS1_14partition_implILS5_8ELb0ES3_jN6thrust23THRUST_200600_302600_NS6detail15normal_iteratorINSA_10device_ptrIxEEEEPS6_PKS6_NS0_5tupleIJSF_S6_EEENSJ_IJSG_SG_EEENS0_18inequality_wrapperINSA_8equal_toIxEEEEPmJS6_EEE10hipError_tPvRmT3_T4_T5_T6_T7_T9_mT8_P12ihipStream_tbDpT10_ENKUlT_T0_E_clISt17integral_constantIbLb1EES1A_EEDaS15_S16_EUlS15_E_NS1_11comp_targetILNS1_3genE3ELNS1_11target_archE908ELNS1_3gpuE7ELNS1_3repE0EEENS1_30default_config_static_selectorELNS0_4arch9wavefront6targetE1EEEvT1_.num_agpr, 0
	.set _ZN7rocprim17ROCPRIM_400000_NS6detail17trampoline_kernelINS0_14default_configENS1_25partition_config_selectorILNS1_17partition_subalgoE8ExNS0_10empty_typeEbEEZZNS1_14partition_implILS5_8ELb0ES3_jN6thrust23THRUST_200600_302600_NS6detail15normal_iteratorINSA_10device_ptrIxEEEEPS6_PKS6_NS0_5tupleIJSF_S6_EEENSJ_IJSG_SG_EEENS0_18inequality_wrapperINSA_8equal_toIxEEEEPmJS6_EEE10hipError_tPvRmT3_T4_T5_T6_T7_T9_mT8_P12ihipStream_tbDpT10_ENKUlT_T0_E_clISt17integral_constantIbLb1EES1A_EEDaS15_S16_EUlS15_E_NS1_11comp_targetILNS1_3genE3ELNS1_11target_archE908ELNS1_3gpuE7ELNS1_3repE0EEENS1_30default_config_static_selectorELNS0_4arch9wavefront6targetE1EEEvT1_.numbered_sgpr, 0
	.set _ZN7rocprim17ROCPRIM_400000_NS6detail17trampoline_kernelINS0_14default_configENS1_25partition_config_selectorILNS1_17partition_subalgoE8ExNS0_10empty_typeEbEEZZNS1_14partition_implILS5_8ELb0ES3_jN6thrust23THRUST_200600_302600_NS6detail15normal_iteratorINSA_10device_ptrIxEEEEPS6_PKS6_NS0_5tupleIJSF_S6_EEENSJ_IJSG_SG_EEENS0_18inequality_wrapperINSA_8equal_toIxEEEEPmJS6_EEE10hipError_tPvRmT3_T4_T5_T6_T7_T9_mT8_P12ihipStream_tbDpT10_ENKUlT_T0_E_clISt17integral_constantIbLb1EES1A_EEDaS15_S16_EUlS15_E_NS1_11comp_targetILNS1_3genE3ELNS1_11target_archE908ELNS1_3gpuE7ELNS1_3repE0EEENS1_30default_config_static_selectorELNS0_4arch9wavefront6targetE1EEEvT1_.num_named_barrier, 0
	.set _ZN7rocprim17ROCPRIM_400000_NS6detail17trampoline_kernelINS0_14default_configENS1_25partition_config_selectorILNS1_17partition_subalgoE8ExNS0_10empty_typeEbEEZZNS1_14partition_implILS5_8ELb0ES3_jN6thrust23THRUST_200600_302600_NS6detail15normal_iteratorINSA_10device_ptrIxEEEEPS6_PKS6_NS0_5tupleIJSF_S6_EEENSJ_IJSG_SG_EEENS0_18inequality_wrapperINSA_8equal_toIxEEEEPmJS6_EEE10hipError_tPvRmT3_T4_T5_T6_T7_T9_mT8_P12ihipStream_tbDpT10_ENKUlT_T0_E_clISt17integral_constantIbLb1EES1A_EEDaS15_S16_EUlS15_E_NS1_11comp_targetILNS1_3genE3ELNS1_11target_archE908ELNS1_3gpuE7ELNS1_3repE0EEENS1_30default_config_static_selectorELNS0_4arch9wavefront6targetE1EEEvT1_.private_seg_size, 0
	.set _ZN7rocprim17ROCPRIM_400000_NS6detail17trampoline_kernelINS0_14default_configENS1_25partition_config_selectorILNS1_17partition_subalgoE8ExNS0_10empty_typeEbEEZZNS1_14partition_implILS5_8ELb0ES3_jN6thrust23THRUST_200600_302600_NS6detail15normal_iteratorINSA_10device_ptrIxEEEEPS6_PKS6_NS0_5tupleIJSF_S6_EEENSJ_IJSG_SG_EEENS0_18inequality_wrapperINSA_8equal_toIxEEEEPmJS6_EEE10hipError_tPvRmT3_T4_T5_T6_T7_T9_mT8_P12ihipStream_tbDpT10_ENKUlT_T0_E_clISt17integral_constantIbLb1EES1A_EEDaS15_S16_EUlS15_E_NS1_11comp_targetILNS1_3genE3ELNS1_11target_archE908ELNS1_3gpuE7ELNS1_3repE0EEENS1_30default_config_static_selectorELNS0_4arch9wavefront6targetE1EEEvT1_.uses_vcc, 0
	.set _ZN7rocprim17ROCPRIM_400000_NS6detail17trampoline_kernelINS0_14default_configENS1_25partition_config_selectorILNS1_17partition_subalgoE8ExNS0_10empty_typeEbEEZZNS1_14partition_implILS5_8ELb0ES3_jN6thrust23THRUST_200600_302600_NS6detail15normal_iteratorINSA_10device_ptrIxEEEEPS6_PKS6_NS0_5tupleIJSF_S6_EEENSJ_IJSG_SG_EEENS0_18inequality_wrapperINSA_8equal_toIxEEEEPmJS6_EEE10hipError_tPvRmT3_T4_T5_T6_T7_T9_mT8_P12ihipStream_tbDpT10_ENKUlT_T0_E_clISt17integral_constantIbLb1EES1A_EEDaS15_S16_EUlS15_E_NS1_11comp_targetILNS1_3genE3ELNS1_11target_archE908ELNS1_3gpuE7ELNS1_3repE0EEENS1_30default_config_static_selectorELNS0_4arch9wavefront6targetE1EEEvT1_.uses_flat_scratch, 0
	.set _ZN7rocprim17ROCPRIM_400000_NS6detail17trampoline_kernelINS0_14default_configENS1_25partition_config_selectorILNS1_17partition_subalgoE8ExNS0_10empty_typeEbEEZZNS1_14partition_implILS5_8ELb0ES3_jN6thrust23THRUST_200600_302600_NS6detail15normal_iteratorINSA_10device_ptrIxEEEEPS6_PKS6_NS0_5tupleIJSF_S6_EEENSJ_IJSG_SG_EEENS0_18inequality_wrapperINSA_8equal_toIxEEEEPmJS6_EEE10hipError_tPvRmT3_T4_T5_T6_T7_T9_mT8_P12ihipStream_tbDpT10_ENKUlT_T0_E_clISt17integral_constantIbLb1EES1A_EEDaS15_S16_EUlS15_E_NS1_11comp_targetILNS1_3genE3ELNS1_11target_archE908ELNS1_3gpuE7ELNS1_3repE0EEENS1_30default_config_static_selectorELNS0_4arch9wavefront6targetE1EEEvT1_.has_dyn_sized_stack, 0
	.set _ZN7rocprim17ROCPRIM_400000_NS6detail17trampoline_kernelINS0_14default_configENS1_25partition_config_selectorILNS1_17partition_subalgoE8ExNS0_10empty_typeEbEEZZNS1_14partition_implILS5_8ELb0ES3_jN6thrust23THRUST_200600_302600_NS6detail15normal_iteratorINSA_10device_ptrIxEEEEPS6_PKS6_NS0_5tupleIJSF_S6_EEENSJ_IJSG_SG_EEENS0_18inequality_wrapperINSA_8equal_toIxEEEEPmJS6_EEE10hipError_tPvRmT3_T4_T5_T6_T7_T9_mT8_P12ihipStream_tbDpT10_ENKUlT_T0_E_clISt17integral_constantIbLb1EES1A_EEDaS15_S16_EUlS15_E_NS1_11comp_targetILNS1_3genE3ELNS1_11target_archE908ELNS1_3gpuE7ELNS1_3repE0EEENS1_30default_config_static_selectorELNS0_4arch9wavefront6targetE1EEEvT1_.has_recursion, 0
	.set _ZN7rocprim17ROCPRIM_400000_NS6detail17trampoline_kernelINS0_14default_configENS1_25partition_config_selectorILNS1_17partition_subalgoE8ExNS0_10empty_typeEbEEZZNS1_14partition_implILS5_8ELb0ES3_jN6thrust23THRUST_200600_302600_NS6detail15normal_iteratorINSA_10device_ptrIxEEEEPS6_PKS6_NS0_5tupleIJSF_S6_EEENSJ_IJSG_SG_EEENS0_18inequality_wrapperINSA_8equal_toIxEEEEPmJS6_EEE10hipError_tPvRmT3_T4_T5_T6_T7_T9_mT8_P12ihipStream_tbDpT10_ENKUlT_T0_E_clISt17integral_constantIbLb1EES1A_EEDaS15_S16_EUlS15_E_NS1_11comp_targetILNS1_3genE3ELNS1_11target_archE908ELNS1_3gpuE7ELNS1_3repE0EEENS1_30default_config_static_selectorELNS0_4arch9wavefront6targetE1EEEvT1_.has_indirect_call, 0
	.section	.AMDGPU.csdata,"",@progbits
; Kernel info:
; codeLenInByte = 0
; TotalNumSgprs: 4
; NumVgprs: 0
; ScratchSize: 0
; MemoryBound: 0
; FloatMode: 240
; IeeeMode: 1
; LDSByteSize: 0 bytes/workgroup (compile time only)
; SGPRBlocks: 0
; VGPRBlocks: 0
; NumSGPRsForWavesPerEU: 4
; NumVGPRsForWavesPerEU: 1
; Occupancy: 10
; WaveLimiterHint : 0
; COMPUTE_PGM_RSRC2:SCRATCH_EN: 0
; COMPUTE_PGM_RSRC2:USER_SGPR: 6
; COMPUTE_PGM_RSRC2:TRAP_HANDLER: 0
; COMPUTE_PGM_RSRC2:TGID_X_EN: 1
; COMPUTE_PGM_RSRC2:TGID_Y_EN: 0
; COMPUTE_PGM_RSRC2:TGID_Z_EN: 0
; COMPUTE_PGM_RSRC2:TIDIG_COMP_CNT: 0
	.section	.text._ZN7rocprim17ROCPRIM_400000_NS6detail17trampoline_kernelINS0_14default_configENS1_25partition_config_selectorILNS1_17partition_subalgoE8ExNS0_10empty_typeEbEEZZNS1_14partition_implILS5_8ELb0ES3_jN6thrust23THRUST_200600_302600_NS6detail15normal_iteratorINSA_10device_ptrIxEEEEPS6_PKS6_NS0_5tupleIJSF_S6_EEENSJ_IJSG_SG_EEENS0_18inequality_wrapperINSA_8equal_toIxEEEEPmJS6_EEE10hipError_tPvRmT3_T4_T5_T6_T7_T9_mT8_P12ihipStream_tbDpT10_ENKUlT_T0_E_clISt17integral_constantIbLb1EES1A_EEDaS15_S16_EUlS15_E_NS1_11comp_targetILNS1_3genE2ELNS1_11target_archE906ELNS1_3gpuE6ELNS1_3repE0EEENS1_30default_config_static_selectorELNS0_4arch9wavefront6targetE1EEEvT1_,"axG",@progbits,_ZN7rocprim17ROCPRIM_400000_NS6detail17trampoline_kernelINS0_14default_configENS1_25partition_config_selectorILNS1_17partition_subalgoE8ExNS0_10empty_typeEbEEZZNS1_14partition_implILS5_8ELb0ES3_jN6thrust23THRUST_200600_302600_NS6detail15normal_iteratorINSA_10device_ptrIxEEEEPS6_PKS6_NS0_5tupleIJSF_S6_EEENSJ_IJSG_SG_EEENS0_18inequality_wrapperINSA_8equal_toIxEEEEPmJS6_EEE10hipError_tPvRmT3_T4_T5_T6_T7_T9_mT8_P12ihipStream_tbDpT10_ENKUlT_T0_E_clISt17integral_constantIbLb1EES1A_EEDaS15_S16_EUlS15_E_NS1_11comp_targetILNS1_3genE2ELNS1_11target_archE906ELNS1_3gpuE6ELNS1_3repE0EEENS1_30default_config_static_selectorELNS0_4arch9wavefront6targetE1EEEvT1_,comdat
	.protected	_ZN7rocprim17ROCPRIM_400000_NS6detail17trampoline_kernelINS0_14default_configENS1_25partition_config_selectorILNS1_17partition_subalgoE8ExNS0_10empty_typeEbEEZZNS1_14partition_implILS5_8ELb0ES3_jN6thrust23THRUST_200600_302600_NS6detail15normal_iteratorINSA_10device_ptrIxEEEEPS6_PKS6_NS0_5tupleIJSF_S6_EEENSJ_IJSG_SG_EEENS0_18inequality_wrapperINSA_8equal_toIxEEEEPmJS6_EEE10hipError_tPvRmT3_T4_T5_T6_T7_T9_mT8_P12ihipStream_tbDpT10_ENKUlT_T0_E_clISt17integral_constantIbLb1EES1A_EEDaS15_S16_EUlS15_E_NS1_11comp_targetILNS1_3genE2ELNS1_11target_archE906ELNS1_3gpuE6ELNS1_3repE0EEENS1_30default_config_static_selectorELNS0_4arch9wavefront6targetE1EEEvT1_ ; -- Begin function _ZN7rocprim17ROCPRIM_400000_NS6detail17trampoline_kernelINS0_14default_configENS1_25partition_config_selectorILNS1_17partition_subalgoE8ExNS0_10empty_typeEbEEZZNS1_14partition_implILS5_8ELb0ES3_jN6thrust23THRUST_200600_302600_NS6detail15normal_iteratorINSA_10device_ptrIxEEEEPS6_PKS6_NS0_5tupleIJSF_S6_EEENSJ_IJSG_SG_EEENS0_18inequality_wrapperINSA_8equal_toIxEEEEPmJS6_EEE10hipError_tPvRmT3_T4_T5_T6_T7_T9_mT8_P12ihipStream_tbDpT10_ENKUlT_T0_E_clISt17integral_constantIbLb1EES1A_EEDaS15_S16_EUlS15_E_NS1_11comp_targetILNS1_3genE2ELNS1_11target_archE906ELNS1_3gpuE6ELNS1_3repE0EEENS1_30default_config_static_selectorELNS0_4arch9wavefront6targetE1EEEvT1_
	.globl	_ZN7rocprim17ROCPRIM_400000_NS6detail17trampoline_kernelINS0_14default_configENS1_25partition_config_selectorILNS1_17partition_subalgoE8ExNS0_10empty_typeEbEEZZNS1_14partition_implILS5_8ELb0ES3_jN6thrust23THRUST_200600_302600_NS6detail15normal_iteratorINSA_10device_ptrIxEEEEPS6_PKS6_NS0_5tupleIJSF_S6_EEENSJ_IJSG_SG_EEENS0_18inequality_wrapperINSA_8equal_toIxEEEEPmJS6_EEE10hipError_tPvRmT3_T4_T5_T6_T7_T9_mT8_P12ihipStream_tbDpT10_ENKUlT_T0_E_clISt17integral_constantIbLb1EES1A_EEDaS15_S16_EUlS15_E_NS1_11comp_targetILNS1_3genE2ELNS1_11target_archE906ELNS1_3gpuE6ELNS1_3repE0EEENS1_30default_config_static_selectorELNS0_4arch9wavefront6targetE1EEEvT1_
	.p2align	8
	.type	_ZN7rocprim17ROCPRIM_400000_NS6detail17trampoline_kernelINS0_14default_configENS1_25partition_config_selectorILNS1_17partition_subalgoE8ExNS0_10empty_typeEbEEZZNS1_14partition_implILS5_8ELb0ES3_jN6thrust23THRUST_200600_302600_NS6detail15normal_iteratorINSA_10device_ptrIxEEEEPS6_PKS6_NS0_5tupleIJSF_S6_EEENSJ_IJSG_SG_EEENS0_18inequality_wrapperINSA_8equal_toIxEEEEPmJS6_EEE10hipError_tPvRmT3_T4_T5_T6_T7_T9_mT8_P12ihipStream_tbDpT10_ENKUlT_T0_E_clISt17integral_constantIbLb1EES1A_EEDaS15_S16_EUlS15_E_NS1_11comp_targetILNS1_3genE2ELNS1_11target_archE906ELNS1_3gpuE6ELNS1_3repE0EEENS1_30default_config_static_selectorELNS0_4arch9wavefront6targetE1EEEvT1_,@function
_ZN7rocprim17ROCPRIM_400000_NS6detail17trampoline_kernelINS0_14default_configENS1_25partition_config_selectorILNS1_17partition_subalgoE8ExNS0_10empty_typeEbEEZZNS1_14partition_implILS5_8ELb0ES3_jN6thrust23THRUST_200600_302600_NS6detail15normal_iteratorINSA_10device_ptrIxEEEEPS6_PKS6_NS0_5tupleIJSF_S6_EEENSJ_IJSG_SG_EEENS0_18inequality_wrapperINSA_8equal_toIxEEEEPmJS6_EEE10hipError_tPvRmT3_T4_T5_T6_T7_T9_mT8_P12ihipStream_tbDpT10_ENKUlT_T0_E_clISt17integral_constantIbLb1EES1A_EEDaS15_S16_EUlS15_E_NS1_11comp_targetILNS1_3genE2ELNS1_11target_archE906ELNS1_3gpuE6ELNS1_3repE0EEENS1_30default_config_static_selectorELNS0_4arch9wavefront6targetE1EEEvT1_: ; @_ZN7rocprim17ROCPRIM_400000_NS6detail17trampoline_kernelINS0_14default_configENS1_25partition_config_selectorILNS1_17partition_subalgoE8ExNS0_10empty_typeEbEEZZNS1_14partition_implILS5_8ELb0ES3_jN6thrust23THRUST_200600_302600_NS6detail15normal_iteratorINSA_10device_ptrIxEEEEPS6_PKS6_NS0_5tupleIJSF_S6_EEENSJ_IJSG_SG_EEENS0_18inequality_wrapperINSA_8equal_toIxEEEEPmJS6_EEE10hipError_tPvRmT3_T4_T5_T6_T7_T9_mT8_P12ihipStream_tbDpT10_ENKUlT_T0_E_clISt17integral_constantIbLb1EES1A_EEDaS15_S16_EUlS15_E_NS1_11comp_targetILNS1_3genE2ELNS1_11target_archE906ELNS1_3gpuE6ELNS1_3repE0EEENS1_30default_config_static_selectorELNS0_4arch9wavefront6targetE1EEEvT1_
; %bb.0:
	s_endpgm
	.section	.rodata,"a",@progbits
	.p2align	6, 0x0
	.amdhsa_kernel _ZN7rocprim17ROCPRIM_400000_NS6detail17trampoline_kernelINS0_14default_configENS1_25partition_config_selectorILNS1_17partition_subalgoE8ExNS0_10empty_typeEbEEZZNS1_14partition_implILS5_8ELb0ES3_jN6thrust23THRUST_200600_302600_NS6detail15normal_iteratorINSA_10device_ptrIxEEEEPS6_PKS6_NS0_5tupleIJSF_S6_EEENSJ_IJSG_SG_EEENS0_18inequality_wrapperINSA_8equal_toIxEEEEPmJS6_EEE10hipError_tPvRmT3_T4_T5_T6_T7_T9_mT8_P12ihipStream_tbDpT10_ENKUlT_T0_E_clISt17integral_constantIbLb1EES1A_EEDaS15_S16_EUlS15_E_NS1_11comp_targetILNS1_3genE2ELNS1_11target_archE906ELNS1_3gpuE6ELNS1_3repE0EEENS1_30default_config_static_selectorELNS0_4arch9wavefront6targetE1EEEvT1_
		.amdhsa_group_segment_fixed_size 0
		.amdhsa_private_segment_fixed_size 0
		.amdhsa_kernarg_size 128
		.amdhsa_user_sgpr_count 6
		.amdhsa_user_sgpr_private_segment_buffer 1
		.amdhsa_user_sgpr_dispatch_ptr 0
		.amdhsa_user_sgpr_queue_ptr 0
		.amdhsa_user_sgpr_kernarg_segment_ptr 1
		.amdhsa_user_sgpr_dispatch_id 0
		.amdhsa_user_sgpr_flat_scratch_init 0
		.amdhsa_user_sgpr_private_segment_size 0
		.amdhsa_uses_dynamic_stack 0
		.amdhsa_system_sgpr_private_segment_wavefront_offset 0
		.amdhsa_system_sgpr_workgroup_id_x 1
		.amdhsa_system_sgpr_workgroup_id_y 0
		.amdhsa_system_sgpr_workgroup_id_z 0
		.amdhsa_system_sgpr_workgroup_info 0
		.amdhsa_system_vgpr_workitem_id 0
		.amdhsa_next_free_vgpr 1
		.amdhsa_next_free_sgpr 0
		.amdhsa_reserve_vcc 0
		.amdhsa_reserve_flat_scratch 0
		.amdhsa_float_round_mode_32 0
		.amdhsa_float_round_mode_16_64 0
		.amdhsa_float_denorm_mode_32 3
		.amdhsa_float_denorm_mode_16_64 3
		.amdhsa_dx10_clamp 1
		.amdhsa_ieee_mode 1
		.amdhsa_fp16_overflow 0
		.amdhsa_exception_fp_ieee_invalid_op 0
		.amdhsa_exception_fp_denorm_src 0
		.amdhsa_exception_fp_ieee_div_zero 0
		.amdhsa_exception_fp_ieee_overflow 0
		.amdhsa_exception_fp_ieee_underflow 0
		.amdhsa_exception_fp_ieee_inexact 0
		.amdhsa_exception_int_div_zero 0
	.end_amdhsa_kernel
	.section	.text._ZN7rocprim17ROCPRIM_400000_NS6detail17trampoline_kernelINS0_14default_configENS1_25partition_config_selectorILNS1_17partition_subalgoE8ExNS0_10empty_typeEbEEZZNS1_14partition_implILS5_8ELb0ES3_jN6thrust23THRUST_200600_302600_NS6detail15normal_iteratorINSA_10device_ptrIxEEEEPS6_PKS6_NS0_5tupleIJSF_S6_EEENSJ_IJSG_SG_EEENS0_18inequality_wrapperINSA_8equal_toIxEEEEPmJS6_EEE10hipError_tPvRmT3_T4_T5_T6_T7_T9_mT8_P12ihipStream_tbDpT10_ENKUlT_T0_E_clISt17integral_constantIbLb1EES1A_EEDaS15_S16_EUlS15_E_NS1_11comp_targetILNS1_3genE2ELNS1_11target_archE906ELNS1_3gpuE6ELNS1_3repE0EEENS1_30default_config_static_selectorELNS0_4arch9wavefront6targetE1EEEvT1_,"axG",@progbits,_ZN7rocprim17ROCPRIM_400000_NS6detail17trampoline_kernelINS0_14default_configENS1_25partition_config_selectorILNS1_17partition_subalgoE8ExNS0_10empty_typeEbEEZZNS1_14partition_implILS5_8ELb0ES3_jN6thrust23THRUST_200600_302600_NS6detail15normal_iteratorINSA_10device_ptrIxEEEEPS6_PKS6_NS0_5tupleIJSF_S6_EEENSJ_IJSG_SG_EEENS0_18inequality_wrapperINSA_8equal_toIxEEEEPmJS6_EEE10hipError_tPvRmT3_T4_T5_T6_T7_T9_mT8_P12ihipStream_tbDpT10_ENKUlT_T0_E_clISt17integral_constantIbLb1EES1A_EEDaS15_S16_EUlS15_E_NS1_11comp_targetILNS1_3genE2ELNS1_11target_archE906ELNS1_3gpuE6ELNS1_3repE0EEENS1_30default_config_static_selectorELNS0_4arch9wavefront6targetE1EEEvT1_,comdat
.Lfunc_end352:
	.size	_ZN7rocprim17ROCPRIM_400000_NS6detail17trampoline_kernelINS0_14default_configENS1_25partition_config_selectorILNS1_17partition_subalgoE8ExNS0_10empty_typeEbEEZZNS1_14partition_implILS5_8ELb0ES3_jN6thrust23THRUST_200600_302600_NS6detail15normal_iteratorINSA_10device_ptrIxEEEEPS6_PKS6_NS0_5tupleIJSF_S6_EEENSJ_IJSG_SG_EEENS0_18inequality_wrapperINSA_8equal_toIxEEEEPmJS6_EEE10hipError_tPvRmT3_T4_T5_T6_T7_T9_mT8_P12ihipStream_tbDpT10_ENKUlT_T0_E_clISt17integral_constantIbLb1EES1A_EEDaS15_S16_EUlS15_E_NS1_11comp_targetILNS1_3genE2ELNS1_11target_archE906ELNS1_3gpuE6ELNS1_3repE0EEENS1_30default_config_static_selectorELNS0_4arch9wavefront6targetE1EEEvT1_, .Lfunc_end352-_ZN7rocprim17ROCPRIM_400000_NS6detail17trampoline_kernelINS0_14default_configENS1_25partition_config_selectorILNS1_17partition_subalgoE8ExNS0_10empty_typeEbEEZZNS1_14partition_implILS5_8ELb0ES3_jN6thrust23THRUST_200600_302600_NS6detail15normal_iteratorINSA_10device_ptrIxEEEEPS6_PKS6_NS0_5tupleIJSF_S6_EEENSJ_IJSG_SG_EEENS0_18inequality_wrapperINSA_8equal_toIxEEEEPmJS6_EEE10hipError_tPvRmT3_T4_T5_T6_T7_T9_mT8_P12ihipStream_tbDpT10_ENKUlT_T0_E_clISt17integral_constantIbLb1EES1A_EEDaS15_S16_EUlS15_E_NS1_11comp_targetILNS1_3genE2ELNS1_11target_archE906ELNS1_3gpuE6ELNS1_3repE0EEENS1_30default_config_static_selectorELNS0_4arch9wavefront6targetE1EEEvT1_
                                        ; -- End function
	.set _ZN7rocprim17ROCPRIM_400000_NS6detail17trampoline_kernelINS0_14default_configENS1_25partition_config_selectorILNS1_17partition_subalgoE8ExNS0_10empty_typeEbEEZZNS1_14partition_implILS5_8ELb0ES3_jN6thrust23THRUST_200600_302600_NS6detail15normal_iteratorINSA_10device_ptrIxEEEEPS6_PKS6_NS0_5tupleIJSF_S6_EEENSJ_IJSG_SG_EEENS0_18inequality_wrapperINSA_8equal_toIxEEEEPmJS6_EEE10hipError_tPvRmT3_T4_T5_T6_T7_T9_mT8_P12ihipStream_tbDpT10_ENKUlT_T0_E_clISt17integral_constantIbLb1EES1A_EEDaS15_S16_EUlS15_E_NS1_11comp_targetILNS1_3genE2ELNS1_11target_archE906ELNS1_3gpuE6ELNS1_3repE0EEENS1_30default_config_static_selectorELNS0_4arch9wavefront6targetE1EEEvT1_.num_vgpr, 0
	.set _ZN7rocprim17ROCPRIM_400000_NS6detail17trampoline_kernelINS0_14default_configENS1_25partition_config_selectorILNS1_17partition_subalgoE8ExNS0_10empty_typeEbEEZZNS1_14partition_implILS5_8ELb0ES3_jN6thrust23THRUST_200600_302600_NS6detail15normal_iteratorINSA_10device_ptrIxEEEEPS6_PKS6_NS0_5tupleIJSF_S6_EEENSJ_IJSG_SG_EEENS0_18inequality_wrapperINSA_8equal_toIxEEEEPmJS6_EEE10hipError_tPvRmT3_T4_T5_T6_T7_T9_mT8_P12ihipStream_tbDpT10_ENKUlT_T0_E_clISt17integral_constantIbLb1EES1A_EEDaS15_S16_EUlS15_E_NS1_11comp_targetILNS1_3genE2ELNS1_11target_archE906ELNS1_3gpuE6ELNS1_3repE0EEENS1_30default_config_static_selectorELNS0_4arch9wavefront6targetE1EEEvT1_.num_agpr, 0
	.set _ZN7rocprim17ROCPRIM_400000_NS6detail17trampoline_kernelINS0_14default_configENS1_25partition_config_selectorILNS1_17partition_subalgoE8ExNS0_10empty_typeEbEEZZNS1_14partition_implILS5_8ELb0ES3_jN6thrust23THRUST_200600_302600_NS6detail15normal_iteratorINSA_10device_ptrIxEEEEPS6_PKS6_NS0_5tupleIJSF_S6_EEENSJ_IJSG_SG_EEENS0_18inequality_wrapperINSA_8equal_toIxEEEEPmJS6_EEE10hipError_tPvRmT3_T4_T5_T6_T7_T9_mT8_P12ihipStream_tbDpT10_ENKUlT_T0_E_clISt17integral_constantIbLb1EES1A_EEDaS15_S16_EUlS15_E_NS1_11comp_targetILNS1_3genE2ELNS1_11target_archE906ELNS1_3gpuE6ELNS1_3repE0EEENS1_30default_config_static_selectorELNS0_4arch9wavefront6targetE1EEEvT1_.numbered_sgpr, 0
	.set _ZN7rocprim17ROCPRIM_400000_NS6detail17trampoline_kernelINS0_14default_configENS1_25partition_config_selectorILNS1_17partition_subalgoE8ExNS0_10empty_typeEbEEZZNS1_14partition_implILS5_8ELb0ES3_jN6thrust23THRUST_200600_302600_NS6detail15normal_iteratorINSA_10device_ptrIxEEEEPS6_PKS6_NS0_5tupleIJSF_S6_EEENSJ_IJSG_SG_EEENS0_18inequality_wrapperINSA_8equal_toIxEEEEPmJS6_EEE10hipError_tPvRmT3_T4_T5_T6_T7_T9_mT8_P12ihipStream_tbDpT10_ENKUlT_T0_E_clISt17integral_constantIbLb1EES1A_EEDaS15_S16_EUlS15_E_NS1_11comp_targetILNS1_3genE2ELNS1_11target_archE906ELNS1_3gpuE6ELNS1_3repE0EEENS1_30default_config_static_selectorELNS0_4arch9wavefront6targetE1EEEvT1_.num_named_barrier, 0
	.set _ZN7rocprim17ROCPRIM_400000_NS6detail17trampoline_kernelINS0_14default_configENS1_25partition_config_selectorILNS1_17partition_subalgoE8ExNS0_10empty_typeEbEEZZNS1_14partition_implILS5_8ELb0ES3_jN6thrust23THRUST_200600_302600_NS6detail15normal_iteratorINSA_10device_ptrIxEEEEPS6_PKS6_NS0_5tupleIJSF_S6_EEENSJ_IJSG_SG_EEENS0_18inequality_wrapperINSA_8equal_toIxEEEEPmJS6_EEE10hipError_tPvRmT3_T4_T5_T6_T7_T9_mT8_P12ihipStream_tbDpT10_ENKUlT_T0_E_clISt17integral_constantIbLb1EES1A_EEDaS15_S16_EUlS15_E_NS1_11comp_targetILNS1_3genE2ELNS1_11target_archE906ELNS1_3gpuE6ELNS1_3repE0EEENS1_30default_config_static_selectorELNS0_4arch9wavefront6targetE1EEEvT1_.private_seg_size, 0
	.set _ZN7rocprim17ROCPRIM_400000_NS6detail17trampoline_kernelINS0_14default_configENS1_25partition_config_selectorILNS1_17partition_subalgoE8ExNS0_10empty_typeEbEEZZNS1_14partition_implILS5_8ELb0ES3_jN6thrust23THRUST_200600_302600_NS6detail15normal_iteratorINSA_10device_ptrIxEEEEPS6_PKS6_NS0_5tupleIJSF_S6_EEENSJ_IJSG_SG_EEENS0_18inequality_wrapperINSA_8equal_toIxEEEEPmJS6_EEE10hipError_tPvRmT3_T4_T5_T6_T7_T9_mT8_P12ihipStream_tbDpT10_ENKUlT_T0_E_clISt17integral_constantIbLb1EES1A_EEDaS15_S16_EUlS15_E_NS1_11comp_targetILNS1_3genE2ELNS1_11target_archE906ELNS1_3gpuE6ELNS1_3repE0EEENS1_30default_config_static_selectorELNS0_4arch9wavefront6targetE1EEEvT1_.uses_vcc, 0
	.set _ZN7rocprim17ROCPRIM_400000_NS6detail17trampoline_kernelINS0_14default_configENS1_25partition_config_selectorILNS1_17partition_subalgoE8ExNS0_10empty_typeEbEEZZNS1_14partition_implILS5_8ELb0ES3_jN6thrust23THRUST_200600_302600_NS6detail15normal_iteratorINSA_10device_ptrIxEEEEPS6_PKS6_NS0_5tupleIJSF_S6_EEENSJ_IJSG_SG_EEENS0_18inequality_wrapperINSA_8equal_toIxEEEEPmJS6_EEE10hipError_tPvRmT3_T4_T5_T6_T7_T9_mT8_P12ihipStream_tbDpT10_ENKUlT_T0_E_clISt17integral_constantIbLb1EES1A_EEDaS15_S16_EUlS15_E_NS1_11comp_targetILNS1_3genE2ELNS1_11target_archE906ELNS1_3gpuE6ELNS1_3repE0EEENS1_30default_config_static_selectorELNS0_4arch9wavefront6targetE1EEEvT1_.uses_flat_scratch, 0
	.set _ZN7rocprim17ROCPRIM_400000_NS6detail17trampoline_kernelINS0_14default_configENS1_25partition_config_selectorILNS1_17partition_subalgoE8ExNS0_10empty_typeEbEEZZNS1_14partition_implILS5_8ELb0ES3_jN6thrust23THRUST_200600_302600_NS6detail15normal_iteratorINSA_10device_ptrIxEEEEPS6_PKS6_NS0_5tupleIJSF_S6_EEENSJ_IJSG_SG_EEENS0_18inequality_wrapperINSA_8equal_toIxEEEEPmJS6_EEE10hipError_tPvRmT3_T4_T5_T6_T7_T9_mT8_P12ihipStream_tbDpT10_ENKUlT_T0_E_clISt17integral_constantIbLb1EES1A_EEDaS15_S16_EUlS15_E_NS1_11comp_targetILNS1_3genE2ELNS1_11target_archE906ELNS1_3gpuE6ELNS1_3repE0EEENS1_30default_config_static_selectorELNS0_4arch9wavefront6targetE1EEEvT1_.has_dyn_sized_stack, 0
	.set _ZN7rocprim17ROCPRIM_400000_NS6detail17trampoline_kernelINS0_14default_configENS1_25partition_config_selectorILNS1_17partition_subalgoE8ExNS0_10empty_typeEbEEZZNS1_14partition_implILS5_8ELb0ES3_jN6thrust23THRUST_200600_302600_NS6detail15normal_iteratorINSA_10device_ptrIxEEEEPS6_PKS6_NS0_5tupleIJSF_S6_EEENSJ_IJSG_SG_EEENS0_18inequality_wrapperINSA_8equal_toIxEEEEPmJS6_EEE10hipError_tPvRmT3_T4_T5_T6_T7_T9_mT8_P12ihipStream_tbDpT10_ENKUlT_T0_E_clISt17integral_constantIbLb1EES1A_EEDaS15_S16_EUlS15_E_NS1_11comp_targetILNS1_3genE2ELNS1_11target_archE906ELNS1_3gpuE6ELNS1_3repE0EEENS1_30default_config_static_selectorELNS0_4arch9wavefront6targetE1EEEvT1_.has_recursion, 0
	.set _ZN7rocprim17ROCPRIM_400000_NS6detail17trampoline_kernelINS0_14default_configENS1_25partition_config_selectorILNS1_17partition_subalgoE8ExNS0_10empty_typeEbEEZZNS1_14partition_implILS5_8ELb0ES3_jN6thrust23THRUST_200600_302600_NS6detail15normal_iteratorINSA_10device_ptrIxEEEEPS6_PKS6_NS0_5tupleIJSF_S6_EEENSJ_IJSG_SG_EEENS0_18inequality_wrapperINSA_8equal_toIxEEEEPmJS6_EEE10hipError_tPvRmT3_T4_T5_T6_T7_T9_mT8_P12ihipStream_tbDpT10_ENKUlT_T0_E_clISt17integral_constantIbLb1EES1A_EEDaS15_S16_EUlS15_E_NS1_11comp_targetILNS1_3genE2ELNS1_11target_archE906ELNS1_3gpuE6ELNS1_3repE0EEENS1_30default_config_static_selectorELNS0_4arch9wavefront6targetE1EEEvT1_.has_indirect_call, 0
	.section	.AMDGPU.csdata,"",@progbits
; Kernel info:
; codeLenInByte = 4
; TotalNumSgprs: 4
; NumVgprs: 0
; ScratchSize: 0
; MemoryBound: 0
; FloatMode: 240
; IeeeMode: 1
; LDSByteSize: 0 bytes/workgroup (compile time only)
; SGPRBlocks: 0
; VGPRBlocks: 0
; NumSGPRsForWavesPerEU: 4
; NumVGPRsForWavesPerEU: 1
; Occupancy: 10
; WaveLimiterHint : 0
; COMPUTE_PGM_RSRC2:SCRATCH_EN: 0
; COMPUTE_PGM_RSRC2:USER_SGPR: 6
; COMPUTE_PGM_RSRC2:TRAP_HANDLER: 0
; COMPUTE_PGM_RSRC2:TGID_X_EN: 1
; COMPUTE_PGM_RSRC2:TGID_Y_EN: 0
; COMPUTE_PGM_RSRC2:TGID_Z_EN: 0
; COMPUTE_PGM_RSRC2:TIDIG_COMP_CNT: 0
	.section	.text._ZN7rocprim17ROCPRIM_400000_NS6detail17trampoline_kernelINS0_14default_configENS1_25partition_config_selectorILNS1_17partition_subalgoE8ExNS0_10empty_typeEbEEZZNS1_14partition_implILS5_8ELb0ES3_jN6thrust23THRUST_200600_302600_NS6detail15normal_iteratorINSA_10device_ptrIxEEEEPS6_PKS6_NS0_5tupleIJSF_S6_EEENSJ_IJSG_SG_EEENS0_18inequality_wrapperINSA_8equal_toIxEEEEPmJS6_EEE10hipError_tPvRmT3_T4_T5_T6_T7_T9_mT8_P12ihipStream_tbDpT10_ENKUlT_T0_E_clISt17integral_constantIbLb1EES1A_EEDaS15_S16_EUlS15_E_NS1_11comp_targetILNS1_3genE10ELNS1_11target_archE1200ELNS1_3gpuE4ELNS1_3repE0EEENS1_30default_config_static_selectorELNS0_4arch9wavefront6targetE1EEEvT1_,"axG",@progbits,_ZN7rocprim17ROCPRIM_400000_NS6detail17trampoline_kernelINS0_14default_configENS1_25partition_config_selectorILNS1_17partition_subalgoE8ExNS0_10empty_typeEbEEZZNS1_14partition_implILS5_8ELb0ES3_jN6thrust23THRUST_200600_302600_NS6detail15normal_iteratorINSA_10device_ptrIxEEEEPS6_PKS6_NS0_5tupleIJSF_S6_EEENSJ_IJSG_SG_EEENS0_18inequality_wrapperINSA_8equal_toIxEEEEPmJS6_EEE10hipError_tPvRmT3_T4_T5_T6_T7_T9_mT8_P12ihipStream_tbDpT10_ENKUlT_T0_E_clISt17integral_constantIbLb1EES1A_EEDaS15_S16_EUlS15_E_NS1_11comp_targetILNS1_3genE10ELNS1_11target_archE1200ELNS1_3gpuE4ELNS1_3repE0EEENS1_30default_config_static_selectorELNS0_4arch9wavefront6targetE1EEEvT1_,comdat
	.protected	_ZN7rocprim17ROCPRIM_400000_NS6detail17trampoline_kernelINS0_14default_configENS1_25partition_config_selectorILNS1_17partition_subalgoE8ExNS0_10empty_typeEbEEZZNS1_14partition_implILS5_8ELb0ES3_jN6thrust23THRUST_200600_302600_NS6detail15normal_iteratorINSA_10device_ptrIxEEEEPS6_PKS6_NS0_5tupleIJSF_S6_EEENSJ_IJSG_SG_EEENS0_18inequality_wrapperINSA_8equal_toIxEEEEPmJS6_EEE10hipError_tPvRmT3_T4_T5_T6_T7_T9_mT8_P12ihipStream_tbDpT10_ENKUlT_T0_E_clISt17integral_constantIbLb1EES1A_EEDaS15_S16_EUlS15_E_NS1_11comp_targetILNS1_3genE10ELNS1_11target_archE1200ELNS1_3gpuE4ELNS1_3repE0EEENS1_30default_config_static_selectorELNS0_4arch9wavefront6targetE1EEEvT1_ ; -- Begin function _ZN7rocprim17ROCPRIM_400000_NS6detail17trampoline_kernelINS0_14default_configENS1_25partition_config_selectorILNS1_17partition_subalgoE8ExNS0_10empty_typeEbEEZZNS1_14partition_implILS5_8ELb0ES3_jN6thrust23THRUST_200600_302600_NS6detail15normal_iteratorINSA_10device_ptrIxEEEEPS6_PKS6_NS0_5tupleIJSF_S6_EEENSJ_IJSG_SG_EEENS0_18inequality_wrapperINSA_8equal_toIxEEEEPmJS6_EEE10hipError_tPvRmT3_T4_T5_T6_T7_T9_mT8_P12ihipStream_tbDpT10_ENKUlT_T0_E_clISt17integral_constantIbLb1EES1A_EEDaS15_S16_EUlS15_E_NS1_11comp_targetILNS1_3genE10ELNS1_11target_archE1200ELNS1_3gpuE4ELNS1_3repE0EEENS1_30default_config_static_selectorELNS0_4arch9wavefront6targetE1EEEvT1_
	.globl	_ZN7rocprim17ROCPRIM_400000_NS6detail17trampoline_kernelINS0_14default_configENS1_25partition_config_selectorILNS1_17partition_subalgoE8ExNS0_10empty_typeEbEEZZNS1_14partition_implILS5_8ELb0ES3_jN6thrust23THRUST_200600_302600_NS6detail15normal_iteratorINSA_10device_ptrIxEEEEPS6_PKS6_NS0_5tupleIJSF_S6_EEENSJ_IJSG_SG_EEENS0_18inequality_wrapperINSA_8equal_toIxEEEEPmJS6_EEE10hipError_tPvRmT3_T4_T5_T6_T7_T9_mT8_P12ihipStream_tbDpT10_ENKUlT_T0_E_clISt17integral_constantIbLb1EES1A_EEDaS15_S16_EUlS15_E_NS1_11comp_targetILNS1_3genE10ELNS1_11target_archE1200ELNS1_3gpuE4ELNS1_3repE0EEENS1_30default_config_static_selectorELNS0_4arch9wavefront6targetE1EEEvT1_
	.p2align	8
	.type	_ZN7rocprim17ROCPRIM_400000_NS6detail17trampoline_kernelINS0_14default_configENS1_25partition_config_selectorILNS1_17partition_subalgoE8ExNS0_10empty_typeEbEEZZNS1_14partition_implILS5_8ELb0ES3_jN6thrust23THRUST_200600_302600_NS6detail15normal_iteratorINSA_10device_ptrIxEEEEPS6_PKS6_NS0_5tupleIJSF_S6_EEENSJ_IJSG_SG_EEENS0_18inequality_wrapperINSA_8equal_toIxEEEEPmJS6_EEE10hipError_tPvRmT3_T4_T5_T6_T7_T9_mT8_P12ihipStream_tbDpT10_ENKUlT_T0_E_clISt17integral_constantIbLb1EES1A_EEDaS15_S16_EUlS15_E_NS1_11comp_targetILNS1_3genE10ELNS1_11target_archE1200ELNS1_3gpuE4ELNS1_3repE0EEENS1_30default_config_static_selectorELNS0_4arch9wavefront6targetE1EEEvT1_,@function
_ZN7rocprim17ROCPRIM_400000_NS6detail17trampoline_kernelINS0_14default_configENS1_25partition_config_selectorILNS1_17partition_subalgoE8ExNS0_10empty_typeEbEEZZNS1_14partition_implILS5_8ELb0ES3_jN6thrust23THRUST_200600_302600_NS6detail15normal_iteratorINSA_10device_ptrIxEEEEPS6_PKS6_NS0_5tupleIJSF_S6_EEENSJ_IJSG_SG_EEENS0_18inequality_wrapperINSA_8equal_toIxEEEEPmJS6_EEE10hipError_tPvRmT3_T4_T5_T6_T7_T9_mT8_P12ihipStream_tbDpT10_ENKUlT_T0_E_clISt17integral_constantIbLb1EES1A_EEDaS15_S16_EUlS15_E_NS1_11comp_targetILNS1_3genE10ELNS1_11target_archE1200ELNS1_3gpuE4ELNS1_3repE0EEENS1_30default_config_static_selectorELNS0_4arch9wavefront6targetE1EEEvT1_: ; @_ZN7rocprim17ROCPRIM_400000_NS6detail17trampoline_kernelINS0_14default_configENS1_25partition_config_selectorILNS1_17partition_subalgoE8ExNS0_10empty_typeEbEEZZNS1_14partition_implILS5_8ELb0ES3_jN6thrust23THRUST_200600_302600_NS6detail15normal_iteratorINSA_10device_ptrIxEEEEPS6_PKS6_NS0_5tupleIJSF_S6_EEENSJ_IJSG_SG_EEENS0_18inequality_wrapperINSA_8equal_toIxEEEEPmJS6_EEE10hipError_tPvRmT3_T4_T5_T6_T7_T9_mT8_P12ihipStream_tbDpT10_ENKUlT_T0_E_clISt17integral_constantIbLb1EES1A_EEDaS15_S16_EUlS15_E_NS1_11comp_targetILNS1_3genE10ELNS1_11target_archE1200ELNS1_3gpuE4ELNS1_3repE0EEENS1_30default_config_static_selectorELNS0_4arch9wavefront6targetE1EEEvT1_
; %bb.0:
	.section	.rodata,"a",@progbits
	.p2align	6, 0x0
	.amdhsa_kernel _ZN7rocprim17ROCPRIM_400000_NS6detail17trampoline_kernelINS0_14default_configENS1_25partition_config_selectorILNS1_17partition_subalgoE8ExNS0_10empty_typeEbEEZZNS1_14partition_implILS5_8ELb0ES3_jN6thrust23THRUST_200600_302600_NS6detail15normal_iteratorINSA_10device_ptrIxEEEEPS6_PKS6_NS0_5tupleIJSF_S6_EEENSJ_IJSG_SG_EEENS0_18inequality_wrapperINSA_8equal_toIxEEEEPmJS6_EEE10hipError_tPvRmT3_T4_T5_T6_T7_T9_mT8_P12ihipStream_tbDpT10_ENKUlT_T0_E_clISt17integral_constantIbLb1EES1A_EEDaS15_S16_EUlS15_E_NS1_11comp_targetILNS1_3genE10ELNS1_11target_archE1200ELNS1_3gpuE4ELNS1_3repE0EEENS1_30default_config_static_selectorELNS0_4arch9wavefront6targetE1EEEvT1_
		.amdhsa_group_segment_fixed_size 0
		.amdhsa_private_segment_fixed_size 0
		.amdhsa_kernarg_size 128
		.amdhsa_user_sgpr_count 6
		.amdhsa_user_sgpr_private_segment_buffer 1
		.amdhsa_user_sgpr_dispatch_ptr 0
		.amdhsa_user_sgpr_queue_ptr 0
		.amdhsa_user_sgpr_kernarg_segment_ptr 1
		.amdhsa_user_sgpr_dispatch_id 0
		.amdhsa_user_sgpr_flat_scratch_init 0
		.amdhsa_user_sgpr_private_segment_size 0
		.amdhsa_uses_dynamic_stack 0
		.amdhsa_system_sgpr_private_segment_wavefront_offset 0
		.amdhsa_system_sgpr_workgroup_id_x 1
		.amdhsa_system_sgpr_workgroup_id_y 0
		.amdhsa_system_sgpr_workgroup_id_z 0
		.amdhsa_system_sgpr_workgroup_info 0
		.amdhsa_system_vgpr_workitem_id 0
		.amdhsa_next_free_vgpr 1
		.amdhsa_next_free_sgpr 0
		.amdhsa_reserve_vcc 0
		.amdhsa_reserve_flat_scratch 0
		.amdhsa_float_round_mode_32 0
		.amdhsa_float_round_mode_16_64 0
		.amdhsa_float_denorm_mode_32 3
		.amdhsa_float_denorm_mode_16_64 3
		.amdhsa_dx10_clamp 1
		.amdhsa_ieee_mode 1
		.amdhsa_fp16_overflow 0
		.amdhsa_exception_fp_ieee_invalid_op 0
		.amdhsa_exception_fp_denorm_src 0
		.amdhsa_exception_fp_ieee_div_zero 0
		.amdhsa_exception_fp_ieee_overflow 0
		.amdhsa_exception_fp_ieee_underflow 0
		.amdhsa_exception_fp_ieee_inexact 0
		.amdhsa_exception_int_div_zero 0
	.end_amdhsa_kernel
	.section	.text._ZN7rocprim17ROCPRIM_400000_NS6detail17trampoline_kernelINS0_14default_configENS1_25partition_config_selectorILNS1_17partition_subalgoE8ExNS0_10empty_typeEbEEZZNS1_14partition_implILS5_8ELb0ES3_jN6thrust23THRUST_200600_302600_NS6detail15normal_iteratorINSA_10device_ptrIxEEEEPS6_PKS6_NS0_5tupleIJSF_S6_EEENSJ_IJSG_SG_EEENS0_18inequality_wrapperINSA_8equal_toIxEEEEPmJS6_EEE10hipError_tPvRmT3_T4_T5_T6_T7_T9_mT8_P12ihipStream_tbDpT10_ENKUlT_T0_E_clISt17integral_constantIbLb1EES1A_EEDaS15_S16_EUlS15_E_NS1_11comp_targetILNS1_3genE10ELNS1_11target_archE1200ELNS1_3gpuE4ELNS1_3repE0EEENS1_30default_config_static_selectorELNS0_4arch9wavefront6targetE1EEEvT1_,"axG",@progbits,_ZN7rocprim17ROCPRIM_400000_NS6detail17trampoline_kernelINS0_14default_configENS1_25partition_config_selectorILNS1_17partition_subalgoE8ExNS0_10empty_typeEbEEZZNS1_14partition_implILS5_8ELb0ES3_jN6thrust23THRUST_200600_302600_NS6detail15normal_iteratorINSA_10device_ptrIxEEEEPS6_PKS6_NS0_5tupleIJSF_S6_EEENSJ_IJSG_SG_EEENS0_18inequality_wrapperINSA_8equal_toIxEEEEPmJS6_EEE10hipError_tPvRmT3_T4_T5_T6_T7_T9_mT8_P12ihipStream_tbDpT10_ENKUlT_T0_E_clISt17integral_constantIbLb1EES1A_EEDaS15_S16_EUlS15_E_NS1_11comp_targetILNS1_3genE10ELNS1_11target_archE1200ELNS1_3gpuE4ELNS1_3repE0EEENS1_30default_config_static_selectorELNS0_4arch9wavefront6targetE1EEEvT1_,comdat
.Lfunc_end353:
	.size	_ZN7rocprim17ROCPRIM_400000_NS6detail17trampoline_kernelINS0_14default_configENS1_25partition_config_selectorILNS1_17partition_subalgoE8ExNS0_10empty_typeEbEEZZNS1_14partition_implILS5_8ELb0ES3_jN6thrust23THRUST_200600_302600_NS6detail15normal_iteratorINSA_10device_ptrIxEEEEPS6_PKS6_NS0_5tupleIJSF_S6_EEENSJ_IJSG_SG_EEENS0_18inequality_wrapperINSA_8equal_toIxEEEEPmJS6_EEE10hipError_tPvRmT3_T4_T5_T6_T7_T9_mT8_P12ihipStream_tbDpT10_ENKUlT_T0_E_clISt17integral_constantIbLb1EES1A_EEDaS15_S16_EUlS15_E_NS1_11comp_targetILNS1_3genE10ELNS1_11target_archE1200ELNS1_3gpuE4ELNS1_3repE0EEENS1_30default_config_static_selectorELNS0_4arch9wavefront6targetE1EEEvT1_, .Lfunc_end353-_ZN7rocprim17ROCPRIM_400000_NS6detail17trampoline_kernelINS0_14default_configENS1_25partition_config_selectorILNS1_17partition_subalgoE8ExNS0_10empty_typeEbEEZZNS1_14partition_implILS5_8ELb0ES3_jN6thrust23THRUST_200600_302600_NS6detail15normal_iteratorINSA_10device_ptrIxEEEEPS6_PKS6_NS0_5tupleIJSF_S6_EEENSJ_IJSG_SG_EEENS0_18inequality_wrapperINSA_8equal_toIxEEEEPmJS6_EEE10hipError_tPvRmT3_T4_T5_T6_T7_T9_mT8_P12ihipStream_tbDpT10_ENKUlT_T0_E_clISt17integral_constantIbLb1EES1A_EEDaS15_S16_EUlS15_E_NS1_11comp_targetILNS1_3genE10ELNS1_11target_archE1200ELNS1_3gpuE4ELNS1_3repE0EEENS1_30default_config_static_selectorELNS0_4arch9wavefront6targetE1EEEvT1_
                                        ; -- End function
	.set _ZN7rocprim17ROCPRIM_400000_NS6detail17trampoline_kernelINS0_14default_configENS1_25partition_config_selectorILNS1_17partition_subalgoE8ExNS0_10empty_typeEbEEZZNS1_14partition_implILS5_8ELb0ES3_jN6thrust23THRUST_200600_302600_NS6detail15normal_iteratorINSA_10device_ptrIxEEEEPS6_PKS6_NS0_5tupleIJSF_S6_EEENSJ_IJSG_SG_EEENS0_18inequality_wrapperINSA_8equal_toIxEEEEPmJS6_EEE10hipError_tPvRmT3_T4_T5_T6_T7_T9_mT8_P12ihipStream_tbDpT10_ENKUlT_T0_E_clISt17integral_constantIbLb1EES1A_EEDaS15_S16_EUlS15_E_NS1_11comp_targetILNS1_3genE10ELNS1_11target_archE1200ELNS1_3gpuE4ELNS1_3repE0EEENS1_30default_config_static_selectorELNS0_4arch9wavefront6targetE1EEEvT1_.num_vgpr, 0
	.set _ZN7rocprim17ROCPRIM_400000_NS6detail17trampoline_kernelINS0_14default_configENS1_25partition_config_selectorILNS1_17partition_subalgoE8ExNS0_10empty_typeEbEEZZNS1_14partition_implILS5_8ELb0ES3_jN6thrust23THRUST_200600_302600_NS6detail15normal_iteratorINSA_10device_ptrIxEEEEPS6_PKS6_NS0_5tupleIJSF_S6_EEENSJ_IJSG_SG_EEENS0_18inequality_wrapperINSA_8equal_toIxEEEEPmJS6_EEE10hipError_tPvRmT3_T4_T5_T6_T7_T9_mT8_P12ihipStream_tbDpT10_ENKUlT_T0_E_clISt17integral_constantIbLb1EES1A_EEDaS15_S16_EUlS15_E_NS1_11comp_targetILNS1_3genE10ELNS1_11target_archE1200ELNS1_3gpuE4ELNS1_3repE0EEENS1_30default_config_static_selectorELNS0_4arch9wavefront6targetE1EEEvT1_.num_agpr, 0
	.set _ZN7rocprim17ROCPRIM_400000_NS6detail17trampoline_kernelINS0_14default_configENS1_25partition_config_selectorILNS1_17partition_subalgoE8ExNS0_10empty_typeEbEEZZNS1_14partition_implILS5_8ELb0ES3_jN6thrust23THRUST_200600_302600_NS6detail15normal_iteratorINSA_10device_ptrIxEEEEPS6_PKS6_NS0_5tupleIJSF_S6_EEENSJ_IJSG_SG_EEENS0_18inequality_wrapperINSA_8equal_toIxEEEEPmJS6_EEE10hipError_tPvRmT3_T4_T5_T6_T7_T9_mT8_P12ihipStream_tbDpT10_ENKUlT_T0_E_clISt17integral_constantIbLb1EES1A_EEDaS15_S16_EUlS15_E_NS1_11comp_targetILNS1_3genE10ELNS1_11target_archE1200ELNS1_3gpuE4ELNS1_3repE0EEENS1_30default_config_static_selectorELNS0_4arch9wavefront6targetE1EEEvT1_.numbered_sgpr, 0
	.set _ZN7rocprim17ROCPRIM_400000_NS6detail17trampoline_kernelINS0_14default_configENS1_25partition_config_selectorILNS1_17partition_subalgoE8ExNS0_10empty_typeEbEEZZNS1_14partition_implILS5_8ELb0ES3_jN6thrust23THRUST_200600_302600_NS6detail15normal_iteratorINSA_10device_ptrIxEEEEPS6_PKS6_NS0_5tupleIJSF_S6_EEENSJ_IJSG_SG_EEENS0_18inequality_wrapperINSA_8equal_toIxEEEEPmJS6_EEE10hipError_tPvRmT3_T4_T5_T6_T7_T9_mT8_P12ihipStream_tbDpT10_ENKUlT_T0_E_clISt17integral_constantIbLb1EES1A_EEDaS15_S16_EUlS15_E_NS1_11comp_targetILNS1_3genE10ELNS1_11target_archE1200ELNS1_3gpuE4ELNS1_3repE0EEENS1_30default_config_static_selectorELNS0_4arch9wavefront6targetE1EEEvT1_.num_named_barrier, 0
	.set _ZN7rocprim17ROCPRIM_400000_NS6detail17trampoline_kernelINS0_14default_configENS1_25partition_config_selectorILNS1_17partition_subalgoE8ExNS0_10empty_typeEbEEZZNS1_14partition_implILS5_8ELb0ES3_jN6thrust23THRUST_200600_302600_NS6detail15normal_iteratorINSA_10device_ptrIxEEEEPS6_PKS6_NS0_5tupleIJSF_S6_EEENSJ_IJSG_SG_EEENS0_18inequality_wrapperINSA_8equal_toIxEEEEPmJS6_EEE10hipError_tPvRmT3_T4_T5_T6_T7_T9_mT8_P12ihipStream_tbDpT10_ENKUlT_T0_E_clISt17integral_constantIbLb1EES1A_EEDaS15_S16_EUlS15_E_NS1_11comp_targetILNS1_3genE10ELNS1_11target_archE1200ELNS1_3gpuE4ELNS1_3repE0EEENS1_30default_config_static_selectorELNS0_4arch9wavefront6targetE1EEEvT1_.private_seg_size, 0
	.set _ZN7rocprim17ROCPRIM_400000_NS6detail17trampoline_kernelINS0_14default_configENS1_25partition_config_selectorILNS1_17partition_subalgoE8ExNS0_10empty_typeEbEEZZNS1_14partition_implILS5_8ELb0ES3_jN6thrust23THRUST_200600_302600_NS6detail15normal_iteratorINSA_10device_ptrIxEEEEPS6_PKS6_NS0_5tupleIJSF_S6_EEENSJ_IJSG_SG_EEENS0_18inequality_wrapperINSA_8equal_toIxEEEEPmJS6_EEE10hipError_tPvRmT3_T4_T5_T6_T7_T9_mT8_P12ihipStream_tbDpT10_ENKUlT_T0_E_clISt17integral_constantIbLb1EES1A_EEDaS15_S16_EUlS15_E_NS1_11comp_targetILNS1_3genE10ELNS1_11target_archE1200ELNS1_3gpuE4ELNS1_3repE0EEENS1_30default_config_static_selectorELNS0_4arch9wavefront6targetE1EEEvT1_.uses_vcc, 0
	.set _ZN7rocprim17ROCPRIM_400000_NS6detail17trampoline_kernelINS0_14default_configENS1_25partition_config_selectorILNS1_17partition_subalgoE8ExNS0_10empty_typeEbEEZZNS1_14partition_implILS5_8ELb0ES3_jN6thrust23THRUST_200600_302600_NS6detail15normal_iteratorINSA_10device_ptrIxEEEEPS6_PKS6_NS0_5tupleIJSF_S6_EEENSJ_IJSG_SG_EEENS0_18inequality_wrapperINSA_8equal_toIxEEEEPmJS6_EEE10hipError_tPvRmT3_T4_T5_T6_T7_T9_mT8_P12ihipStream_tbDpT10_ENKUlT_T0_E_clISt17integral_constantIbLb1EES1A_EEDaS15_S16_EUlS15_E_NS1_11comp_targetILNS1_3genE10ELNS1_11target_archE1200ELNS1_3gpuE4ELNS1_3repE0EEENS1_30default_config_static_selectorELNS0_4arch9wavefront6targetE1EEEvT1_.uses_flat_scratch, 0
	.set _ZN7rocprim17ROCPRIM_400000_NS6detail17trampoline_kernelINS0_14default_configENS1_25partition_config_selectorILNS1_17partition_subalgoE8ExNS0_10empty_typeEbEEZZNS1_14partition_implILS5_8ELb0ES3_jN6thrust23THRUST_200600_302600_NS6detail15normal_iteratorINSA_10device_ptrIxEEEEPS6_PKS6_NS0_5tupleIJSF_S6_EEENSJ_IJSG_SG_EEENS0_18inequality_wrapperINSA_8equal_toIxEEEEPmJS6_EEE10hipError_tPvRmT3_T4_T5_T6_T7_T9_mT8_P12ihipStream_tbDpT10_ENKUlT_T0_E_clISt17integral_constantIbLb1EES1A_EEDaS15_S16_EUlS15_E_NS1_11comp_targetILNS1_3genE10ELNS1_11target_archE1200ELNS1_3gpuE4ELNS1_3repE0EEENS1_30default_config_static_selectorELNS0_4arch9wavefront6targetE1EEEvT1_.has_dyn_sized_stack, 0
	.set _ZN7rocprim17ROCPRIM_400000_NS6detail17trampoline_kernelINS0_14default_configENS1_25partition_config_selectorILNS1_17partition_subalgoE8ExNS0_10empty_typeEbEEZZNS1_14partition_implILS5_8ELb0ES3_jN6thrust23THRUST_200600_302600_NS6detail15normal_iteratorINSA_10device_ptrIxEEEEPS6_PKS6_NS0_5tupleIJSF_S6_EEENSJ_IJSG_SG_EEENS0_18inequality_wrapperINSA_8equal_toIxEEEEPmJS6_EEE10hipError_tPvRmT3_T4_T5_T6_T7_T9_mT8_P12ihipStream_tbDpT10_ENKUlT_T0_E_clISt17integral_constantIbLb1EES1A_EEDaS15_S16_EUlS15_E_NS1_11comp_targetILNS1_3genE10ELNS1_11target_archE1200ELNS1_3gpuE4ELNS1_3repE0EEENS1_30default_config_static_selectorELNS0_4arch9wavefront6targetE1EEEvT1_.has_recursion, 0
	.set _ZN7rocprim17ROCPRIM_400000_NS6detail17trampoline_kernelINS0_14default_configENS1_25partition_config_selectorILNS1_17partition_subalgoE8ExNS0_10empty_typeEbEEZZNS1_14partition_implILS5_8ELb0ES3_jN6thrust23THRUST_200600_302600_NS6detail15normal_iteratorINSA_10device_ptrIxEEEEPS6_PKS6_NS0_5tupleIJSF_S6_EEENSJ_IJSG_SG_EEENS0_18inequality_wrapperINSA_8equal_toIxEEEEPmJS6_EEE10hipError_tPvRmT3_T4_T5_T6_T7_T9_mT8_P12ihipStream_tbDpT10_ENKUlT_T0_E_clISt17integral_constantIbLb1EES1A_EEDaS15_S16_EUlS15_E_NS1_11comp_targetILNS1_3genE10ELNS1_11target_archE1200ELNS1_3gpuE4ELNS1_3repE0EEENS1_30default_config_static_selectorELNS0_4arch9wavefront6targetE1EEEvT1_.has_indirect_call, 0
	.section	.AMDGPU.csdata,"",@progbits
; Kernel info:
; codeLenInByte = 0
; TotalNumSgprs: 4
; NumVgprs: 0
; ScratchSize: 0
; MemoryBound: 0
; FloatMode: 240
; IeeeMode: 1
; LDSByteSize: 0 bytes/workgroup (compile time only)
; SGPRBlocks: 0
; VGPRBlocks: 0
; NumSGPRsForWavesPerEU: 4
; NumVGPRsForWavesPerEU: 1
; Occupancy: 10
; WaveLimiterHint : 0
; COMPUTE_PGM_RSRC2:SCRATCH_EN: 0
; COMPUTE_PGM_RSRC2:USER_SGPR: 6
; COMPUTE_PGM_RSRC2:TRAP_HANDLER: 0
; COMPUTE_PGM_RSRC2:TGID_X_EN: 1
; COMPUTE_PGM_RSRC2:TGID_Y_EN: 0
; COMPUTE_PGM_RSRC2:TGID_Z_EN: 0
; COMPUTE_PGM_RSRC2:TIDIG_COMP_CNT: 0
	.section	.text._ZN7rocprim17ROCPRIM_400000_NS6detail17trampoline_kernelINS0_14default_configENS1_25partition_config_selectorILNS1_17partition_subalgoE8ExNS0_10empty_typeEbEEZZNS1_14partition_implILS5_8ELb0ES3_jN6thrust23THRUST_200600_302600_NS6detail15normal_iteratorINSA_10device_ptrIxEEEEPS6_PKS6_NS0_5tupleIJSF_S6_EEENSJ_IJSG_SG_EEENS0_18inequality_wrapperINSA_8equal_toIxEEEEPmJS6_EEE10hipError_tPvRmT3_T4_T5_T6_T7_T9_mT8_P12ihipStream_tbDpT10_ENKUlT_T0_E_clISt17integral_constantIbLb1EES1A_EEDaS15_S16_EUlS15_E_NS1_11comp_targetILNS1_3genE9ELNS1_11target_archE1100ELNS1_3gpuE3ELNS1_3repE0EEENS1_30default_config_static_selectorELNS0_4arch9wavefront6targetE1EEEvT1_,"axG",@progbits,_ZN7rocprim17ROCPRIM_400000_NS6detail17trampoline_kernelINS0_14default_configENS1_25partition_config_selectorILNS1_17partition_subalgoE8ExNS0_10empty_typeEbEEZZNS1_14partition_implILS5_8ELb0ES3_jN6thrust23THRUST_200600_302600_NS6detail15normal_iteratorINSA_10device_ptrIxEEEEPS6_PKS6_NS0_5tupleIJSF_S6_EEENSJ_IJSG_SG_EEENS0_18inequality_wrapperINSA_8equal_toIxEEEEPmJS6_EEE10hipError_tPvRmT3_T4_T5_T6_T7_T9_mT8_P12ihipStream_tbDpT10_ENKUlT_T0_E_clISt17integral_constantIbLb1EES1A_EEDaS15_S16_EUlS15_E_NS1_11comp_targetILNS1_3genE9ELNS1_11target_archE1100ELNS1_3gpuE3ELNS1_3repE0EEENS1_30default_config_static_selectorELNS0_4arch9wavefront6targetE1EEEvT1_,comdat
	.protected	_ZN7rocprim17ROCPRIM_400000_NS6detail17trampoline_kernelINS0_14default_configENS1_25partition_config_selectorILNS1_17partition_subalgoE8ExNS0_10empty_typeEbEEZZNS1_14partition_implILS5_8ELb0ES3_jN6thrust23THRUST_200600_302600_NS6detail15normal_iteratorINSA_10device_ptrIxEEEEPS6_PKS6_NS0_5tupleIJSF_S6_EEENSJ_IJSG_SG_EEENS0_18inequality_wrapperINSA_8equal_toIxEEEEPmJS6_EEE10hipError_tPvRmT3_T4_T5_T6_T7_T9_mT8_P12ihipStream_tbDpT10_ENKUlT_T0_E_clISt17integral_constantIbLb1EES1A_EEDaS15_S16_EUlS15_E_NS1_11comp_targetILNS1_3genE9ELNS1_11target_archE1100ELNS1_3gpuE3ELNS1_3repE0EEENS1_30default_config_static_selectorELNS0_4arch9wavefront6targetE1EEEvT1_ ; -- Begin function _ZN7rocprim17ROCPRIM_400000_NS6detail17trampoline_kernelINS0_14default_configENS1_25partition_config_selectorILNS1_17partition_subalgoE8ExNS0_10empty_typeEbEEZZNS1_14partition_implILS5_8ELb0ES3_jN6thrust23THRUST_200600_302600_NS6detail15normal_iteratorINSA_10device_ptrIxEEEEPS6_PKS6_NS0_5tupleIJSF_S6_EEENSJ_IJSG_SG_EEENS0_18inequality_wrapperINSA_8equal_toIxEEEEPmJS6_EEE10hipError_tPvRmT3_T4_T5_T6_T7_T9_mT8_P12ihipStream_tbDpT10_ENKUlT_T0_E_clISt17integral_constantIbLb1EES1A_EEDaS15_S16_EUlS15_E_NS1_11comp_targetILNS1_3genE9ELNS1_11target_archE1100ELNS1_3gpuE3ELNS1_3repE0EEENS1_30default_config_static_selectorELNS0_4arch9wavefront6targetE1EEEvT1_
	.globl	_ZN7rocprim17ROCPRIM_400000_NS6detail17trampoline_kernelINS0_14default_configENS1_25partition_config_selectorILNS1_17partition_subalgoE8ExNS0_10empty_typeEbEEZZNS1_14partition_implILS5_8ELb0ES3_jN6thrust23THRUST_200600_302600_NS6detail15normal_iteratorINSA_10device_ptrIxEEEEPS6_PKS6_NS0_5tupleIJSF_S6_EEENSJ_IJSG_SG_EEENS0_18inequality_wrapperINSA_8equal_toIxEEEEPmJS6_EEE10hipError_tPvRmT3_T4_T5_T6_T7_T9_mT8_P12ihipStream_tbDpT10_ENKUlT_T0_E_clISt17integral_constantIbLb1EES1A_EEDaS15_S16_EUlS15_E_NS1_11comp_targetILNS1_3genE9ELNS1_11target_archE1100ELNS1_3gpuE3ELNS1_3repE0EEENS1_30default_config_static_selectorELNS0_4arch9wavefront6targetE1EEEvT1_
	.p2align	8
	.type	_ZN7rocprim17ROCPRIM_400000_NS6detail17trampoline_kernelINS0_14default_configENS1_25partition_config_selectorILNS1_17partition_subalgoE8ExNS0_10empty_typeEbEEZZNS1_14partition_implILS5_8ELb0ES3_jN6thrust23THRUST_200600_302600_NS6detail15normal_iteratorINSA_10device_ptrIxEEEEPS6_PKS6_NS0_5tupleIJSF_S6_EEENSJ_IJSG_SG_EEENS0_18inequality_wrapperINSA_8equal_toIxEEEEPmJS6_EEE10hipError_tPvRmT3_T4_T5_T6_T7_T9_mT8_P12ihipStream_tbDpT10_ENKUlT_T0_E_clISt17integral_constantIbLb1EES1A_EEDaS15_S16_EUlS15_E_NS1_11comp_targetILNS1_3genE9ELNS1_11target_archE1100ELNS1_3gpuE3ELNS1_3repE0EEENS1_30default_config_static_selectorELNS0_4arch9wavefront6targetE1EEEvT1_,@function
_ZN7rocprim17ROCPRIM_400000_NS6detail17trampoline_kernelINS0_14default_configENS1_25partition_config_selectorILNS1_17partition_subalgoE8ExNS0_10empty_typeEbEEZZNS1_14partition_implILS5_8ELb0ES3_jN6thrust23THRUST_200600_302600_NS6detail15normal_iteratorINSA_10device_ptrIxEEEEPS6_PKS6_NS0_5tupleIJSF_S6_EEENSJ_IJSG_SG_EEENS0_18inequality_wrapperINSA_8equal_toIxEEEEPmJS6_EEE10hipError_tPvRmT3_T4_T5_T6_T7_T9_mT8_P12ihipStream_tbDpT10_ENKUlT_T0_E_clISt17integral_constantIbLb1EES1A_EEDaS15_S16_EUlS15_E_NS1_11comp_targetILNS1_3genE9ELNS1_11target_archE1100ELNS1_3gpuE3ELNS1_3repE0EEENS1_30default_config_static_selectorELNS0_4arch9wavefront6targetE1EEEvT1_: ; @_ZN7rocprim17ROCPRIM_400000_NS6detail17trampoline_kernelINS0_14default_configENS1_25partition_config_selectorILNS1_17partition_subalgoE8ExNS0_10empty_typeEbEEZZNS1_14partition_implILS5_8ELb0ES3_jN6thrust23THRUST_200600_302600_NS6detail15normal_iteratorINSA_10device_ptrIxEEEEPS6_PKS6_NS0_5tupleIJSF_S6_EEENSJ_IJSG_SG_EEENS0_18inequality_wrapperINSA_8equal_toIxEEEEPmJS6_EEE10hipError_tPvRmT3_T4_T5_T6_T7_T9_mT8_P12ihipStream_tbDpT10_ENKUlT_T0_E_clISt17integral_constantIbLb1EES1A_EEDaS15_S16_EUlS15_E_NS1_11comp_targetILNS1_3genE9ELNS1_11target_archE1100ELNS1_3gpuE3ELNS1_3repE0EEENS1_30default_config_static_selectorELNS0_4arch9wavefront6targetE1EEEvT1_
; %bb.0:
	.section	.rodata,"a",@progbits
	.p2align	6, 0x0
	.amdhsa_kernel _ZN7rocprim17ROCPRIM_400000_NS6detail17trampoline_kernelINS0_14default_configENS1_25partition_config_selectorILNS1_17partition_subalgoE8ExNS0_10empty_typeEbEEZZNS1_14partition_implILS5_8ELb0ES3_jN6thrust23THRUST_200600_302600_NS6detail15normal_iteratorINSA_10device_ptrIxEEEEPS6_PKS6_NS0_5tupleIJSF_S6_EEENSJ_IJSG_SG_EEENS0_18inequality_wrapperINSA_8equal_toIxEEEEPmJS6_EEE10hipError_tPvRmT3_T4_T5_T6_T7_T9_mT8_P12ihipStream_tbDpT10_ENKUlT_T0_E_clISt17integral_constantIbLb1EES1A_EEDaS15_S16_EUlS15_E_NS1_11comp_targetILNS1_3genE9ELNS1_11target_archE1100ELNS1_3gpuE3ELNS1_3repE0EEENS1_30default_config_static_selectorELNS0_4arch9wavefront6targetE1EEEvT1_
		.amdhsa_group_segment_fixed_size 0
		.amdhsa_private_segment_fixed_size 0
		.amdhsa_kernarg_size 128
		.amdhsa_user_sgpr_count 6
		.amdhsa_user_sgpr_private_segment_buffer 1
		.amdhsa_user_sgpr_dispatch_ptr 0
		.amdhsa_user_sgpr_queue_ptr 0
		.amdhsa_user_sgpr_kernarg_segment_ptr 1
		.amdhsa_user_sgpr_dispatch_id 0
		.amdhsa_user_sgpr_flat_scratch_init 0
		.amdhsa_user_sgpr_private_segment_size 0
		.amdhsa_uses_dynamic_stack 0
		.amdhsa_system_sgpr_private_segment_wavefront_offset 0
		.amdhsa_system_sgpr_workgroup_id_x 1
		.amdhsa_system_sgpr_workgroup_id_y 0
		.amdhsa_system_sgpr_workgroup_id_z 0
		.amdhsa_system_sgpr_workgroup_info 0
		.amdhsa_system_vgpr_workitem_id 0
		.amdhsa_next_free_vgpr 1
		.amdhsa_next_free_sgpr 0
		.amdhsa_reserve_vcc 0
		.amdhsa_reserve_flat_scratch 0
		.amdhsa_float_round_mode_32 0
		.amdhsa_float_round_mode_16_64 0
		.amdhsa_float_denorm_mode_32 3
		.amdhsa_float_denorm_mode_16_64 3
		.amdhsa_dx10_clamp 1
		.amdhsa_ieee_mode 1
		.amdhsa_fp16_overflow 0
		.amdhsa_exception_fp_ieee_invalid_op 0
		.amdhsa_exception_fp_denorm_src 0
		.amdhsa_exception_fp_ieee_div_zero 0
		.amdhsa_exception_fp_ieee_overflow 0
		.amdhsa_exception_fp_ieee_underflow 0
		.amdhsa_exception_fp_ieee_inexact 0
		.amdhsa_exception_int_div_zero 0
	.end_amdhsa_kernel
	.section	.text._ZN7rocprim17ROCPRIM_400000_NS6detail17trampoline_kernelINS0_14default_configENS1_25partition_config_selectorILNS1_17partition_subalgoE8ExNS0_10empty_typeEbEEZZNS1_14partition_implILS5_8ELb0ES3_jN6thrust23THRUST_200600_302600_NS6detail15normal_iteratorINSA_10device_ptrIxEEEEPS6_PKS6_NS0_5tupleIJSF_S6_EEENSJ_IJSG_SG_EEENS0_18inequality_wrapperINSA_8equal_toIxEEEEPmJS6_EEE10hipError_tPvRmT3_T4_T5_T6_T7_T9_mT8_P12ihipStream_tbDpT10_ENKUlT_T0_E_clISt17integral_constantIbLb1EES1A_EEDaS15_S16_EUlS15_E_NS1_11comp_targetILNS1_3genE9ELNS1_11target_archE1100ELNS1_3gpuE3ELNS1_3repE0EEENS1_30default_config_static_selectorELNS0_4arch9wavefront6targetE1EEEvT1_,"axG",@progbits,_ZN7rocprim17ROCPRIM_400000_NS6detail17trampoline_kernelINS0_14default_configENS1_25partition_config_selectorILNS1_17partition_subalgoE8ExNS0_10empty_typeEbEEZZNS1_14partition_implILS5_8ELb0ES3_jN6thrust23THRUST_200600_302600_NS6detail15normal_iteratorINSA_10device_ptrIxEEEEPS6_PKS6_NS0_5tupleIJSF_S6_EEENSJ_IJSG_SG_EEENS0_18inequality_wrapperINSA_8equal_toIxEEEEPmJS6_EEE10hipError_tPvRmT3_T4_T5_T6_T7_T9_mT8_P12ihipStream_tbDpT10_ENKUlT_T0_E_clISt17integral_constantIbLb1EES1A_EEDaS15_S16_EUlS15_E_NS1_11comp_targetILNS1_3genE9ELNS1_11target_archE1100ELNS1_3gpuE3ELNS1_3repE0EEENS1_30default_config_static_selectorELNS0_4arch9wavefront6targetE1EEEvT1_,comdat
.Lfunc_end354:
	.size	_ZN7rocprim17ROCPRIM_400000_NS6detail17trampoline_kernelINS0_14default_configENS1_25partition_config_selectorILNS1_17partition_subalgoE8ExNS0_10empty_typeEbEEZZNS1_14partition_implILS5_8ELb0ES3_jN6thrust23THRUST_200600_302600_NS6detail15normal_iteratorINSA_10device_ptrIxEEEEPS6_PKS6_NS0_5tupleIJSF_S6_EEENSJ_IJSG_SG_EEENS0_18inequality_wrapperINSA_8equal_toIxEEEEPmJS6_EEE10hipError_tPvRmT3_T4_T5_T6_T7_T9_mT8_P12ihipStream_tbDpT10_ENKUlT_T0_E_clISt17integral_constantIbLb1EES1A_EEDaS15_S16_EUlS15_E_NS1_11comp_targetILNS1_3genE9ELNS1_11target_archE1100ELNS1_3gpuE3ELNS1_3repE0EEENS1_30default_config_static_selectorELNS0_4arch9wavefront6targetE1EEEvT1_, .Lfunc_end354-_ZN7rocprim17ROCPRIM_400000_NS6detail17trampoline_kernelINS0_14default_configENS1_25partition_config_selectorILNS1_17partition_subalgoE8ExNS0_10empty_typeEbEEZZNS1_14partition_implILS5_8ELb0ES3_jN6thrust23THRUST_200600_302600_NS6detail15normal_iteratorINSA_10device_ptrIxEEEEPS6_PKS6_NS0_5tupleIJSF_S6_EEENSJ_IJSG_SG_EEENS0_18inequality_wrapperINSA_8equal_toIxEEEEPmJS6_EEE10hipError_tPvRmT3_T4_T5_T6_T7_T9_mT8_P12ihipStream_tbDpT10_ENKUlT_T0_E_clISt17integral_constantIbLb1EES1A_EEDaS15_S16_EUlS15_E_NS1_11comp_targetILNS1_3genE9ELNS1_11target_archE1100ELNS1_3gpuE3ELNS1_3repE0EEENS1_30default_config_static_selectorELNS0_4arch9wavefront6targetE1EEEvT1_
                                        ; -- End function
	.set _ZN7rocprim17ROCPRIM_400000_NS6detail17trampoline_kernelINS0_14default_configENS1_25partition_config_selectorILNS1_17partition_subalgoE8ExNS0_10empty_typeEbEEZZNS1_14partition_implILS5_8ELb0ES3_jN6thrust23THRUST_200600_302600_NS6detail15normal_iteratorINSA_10device_ptrIxEEEEPS6_PKS6_NS0_5tupleIJSF_S6_EEENSJ_IJSG_SG_EEENS0_18inequality_wrapperINSA_8equal_toIxEEEEPmJS6_EEE10hipError_tPvRmT3_T4_T5_T6_T7_T9_mT8_P12ihipStream_tbDpT10_ENKUlT_T0_E_clISt17integral_constantIbLb1EES1A_EEDaS15_S16_EUlS15_E_NS1_11comp_targetILNS1_3genE9ELNS1_11target_archE1100ELNS1_3gpuE3ELNS1_3repE0EEENS1_30default_config_static_selectorELNS0_4arch9wavefront6targetE1EEEvT1_.num_vgpr, 0
	.set _ZN7rocprim17ROCPRIM_400000_NS6detail17trampoline_kernelINS0_14default_configENS1_25partition_config_selectorILNS1_17partition_subalgoE8ExNS0_10empty_typeEbEEZZNS1_14partition_implILS5_8ELb0ES3_jN6thrust23THRUST_200600_302600_NS6detail15normal_iteratorINSA_10device_ptrIxEEEEPS6_PKS6_NS0_5tupleIJSF_S6_EEENSJ_IJSG_SG_EEENS0_18inequality_wrapperINSA_8equal_toIxEEEEPmJS6_EEE10hipError_tPvRmT3_T4_T5_T6_T7_T9_mT8_P12ihipStream_tbDpT10_ENKUlT_T0_E_clISt17integral_constantIbLb1EES1A_EEDaS15_S16_EUlS15_E_NS1_11comp_targetILNS1_3genE9ELNS1_11target_archE1100ELNS1_3gpuE3ELNS1_3repE0EEENS1_30default_config_static_selectorELNS0_4arch9wavefront6targetE1EEEvT1_.num_agpr, 0
	.set _ZN7rocprim17ROCPRIM_400000_NS6detail17trampoline_kernelINS0_14default_configENS1_25partition_config_selectorILNS1_17partition_subalgoE8ExNS0_10empty_typeEbEEZZNS1_14partition_implILS5_8ELb0ES3_jN6thrust23THRUST_200600_302600_NS6detail15normal_iteratorINSA_10device_ptrIxEEEEPS6_PKS6_NS0_5tupleIJSF_S6_EEENSJ_IJSG_SG_EEENS0_18inequality_wrapperINSA_8equal_toIxEEEEPmJS6_EEE10hipError_tPvRmT3_T4_T5_T6_T7_T9_mT8_P12ihipStream_tbDpT10_ENKUlT_T0_E_clISt17integral_constantIbLb1EES1A_EEDaS15_S16_EUlS15_E_NS1_11comp_targetILNS1_3genE9ELNS1_11target_archE1100ELNS1_3gpuE3ELNS1_3repE0EEENS1_30default_config_static_selectorELNS0_4arch9wavefront6targetE1EEEvT1_.numbered_sgpr, 0
	.set _ZN7rocprim17ROCPRIM_400000_NS6detail17trampoline_kernelINS0_14default_configENS1_25partition_config_selectorILNS1_17partition_subalgoE8ExNS0_10empty_typeEbEEZZNS1_14partition_implILS5_8ELb0ES3_jN6thrust23THRUST_200600_302600_NS6detail15normal_iteratorINSA_10device_ptrIxEEEEPS6_PKS6_NS0_5tupleIJSF_S6_EEENSJ_IJSG_SG_EEENS0_18inequality_wrapperINSA_8equal_toIxEEEEPmJS6_EEE10hipError_tPvRmT3_T4_T5_T6_T7_T9_mT8_P12ihipStream_tbDpT10_ENKUlT_T0_E_clISt17integral_constantIbLb1EES1A_EEDaS15_S16_EUlS15_E_NS1_11comp_targetILNS1_3genE9ELNS1_11target_archE1100ELNS1_3gpuE3ELNS1_3repE0EEENS1_30default_config_static_selectorELNS0_4arch9wavefront6targetE1EEEvT1_.num_named_barrier, 0
	.set _ZN7rocprim17ROCPRIM_400000_NS6detail17trampoline_kernelINS0_14default_configENS1_25partition_config_selectorILNS1_17partition_subalgoE8ExNS0_10empty_typeEbEEZZNS1_14partition_implILS5_8ELb0ES3_jN6thrust23THRUST_200600_302600_NS6detail15normal_iteratorINSA_10device_ptrIxEEEEPS6_PKS6_NS0_5tupleIJSF_S6_EEENSJ_IJSG_SG_EEENS0_18inequality_wrapperINSA_8equal_toIxEEEEPmJS6_EEE10hipError_tPvRmT3_T4_T5_T6_T7_T9_mT8_P12ihipStream_tbDpT10_ENKUlT_T0_E_clISt17integral_constantIbLb1EES1A_EEDaS15_S16_EUlS15_E_NS1_11comp_targetILNS1_3genE9ELNS1_11target_archE1100ELNS1_3gpuE3ELNS1_3repE0EEENS1_30default_config_static_selectorELNS0_4arch9wavefront6targetE1EEEvT1_.private_seg_size, 0
	.set _ZN7rocprim17ROCPRIM_400000_NS6detail17trampoline_kernelINS0_14default_configENS1_25partition_config_selectorILNS1_17partition_subalgoE8ExNS0_10empty_typeEbEEZZNS1_14partition_implILS5_8ELb0ES3_jN6thrust23THRUST_200600_302600_NS6detail15normal_iteratorINSA_10device_ptrIxEEEEPS6_PKS6_NS0_5tupleIJSF_S6_EEENSJ_IJSG_SG_EEENS0_18inequality_wrapperINSA_8equal_toIxEEEEPmJS6_EEE10hipError_tPvRmT3_T4_T5_T6_T7_T9_mT8_P12ihipStream_tbDpT10_ENKUlT_T0_E_clISt17integral_constantIbLb1EES1A_EEDaS15_S16_EUlS15_E_NS1_11comp_targetILNS1_3genE9ELNS1_11target_archE1100ELNS1_3gpuE3ELNS1_3repE0EEENS1_30default_config_static_selectorELNS0_4arch9wavefront6targetE1EEEvT1_.uses_vcc, 0
	.set _ZN7rocprim17ROCPRIM_400000_NS6detail17trampoline_kernelINS0_14default_configENS1_25partition_config_selectorILNS1_17partition_subalgoE8ExNS0_10empty_typeEbEEZZNS1_14partition_implILS5_8ELb0ES3_jN6thrust23THRUST_200600_302600_NS6detail15normal_iteratorINSA_10device_ptrIxEEEEPS6_PKS6_NS0_5tupleIJSF_S6_EEENSJ_IJSG_SG_EEENS0_18inequality_wrapperINSA_8equal_toIxEEEEPmJS6_EEE10hipError_tPvRmT3_T4_T5_T6_T7_T9_mT8_P12ihipStream_tbDpT10_ENKUlT_T0_E_clISt17integral_constantIbLb1EES1A_EEDaS15_S16_EUlS15_E_NS1_11comp_targetILNS1_3genE9ELNS1_11target_archE1100ELNS1_3gpuE3ELNS1_3repE0EEENS1_30default_config_static_selectorELNS0_4arch9wavefront6targetE1EEEvT1_.uses_flat_scratch, 0
	.set _ZN7rocprim17ROCPRIM_400000_NS6detail17trampoline_kernelINS0_14default_configENS1_25partition_config_selectorILNS1_17partition_subalgoE8ExNS0_10empty_typeEbEEZZNS1_14partition_implILS5_8ELb0ES3_jN6thrust23THRUST_200600_302600_NS6detail15normal_iteratorINSA_10device_ptrIxEEEEPS6_PKS6_NS0_5tupleIJSF_S6_EEENSJ_IJSG_SG_EEENS0_18inequality_wrapperINSA_8equal_toIxEEEEPmJS6_EEE10hipError_tPvRmT3_T4_T5_T6_T7_T9_mT8_P12ihipStream_tbDpT10_ENKUlT_T0_E_clISt17integral_constantIbLb1EES1A_EEDaS15_S16_EUlS15_E_NS1_11comp_targetILNS1_3genE9ELNS1_11target_archE1100ELNS1_3gpuE3ELNS1_3repE0EEENS1_30default_config_static_selectorELNS0_4arch9wavefront6targetE1EEEvT1_.has_dyn_sized_stack, 0
	.set _ZN7rocprim17ROCPRIM_400000_NS6detail17trampoline_kernelINS0_14default_configENS1_25partition_config_selectorILNS1_17partition_subalgoE8ExNS0_10empty_typeEbEEZZNS1_14partition_implILS5_8ELb0ES3_jN6thrust23THRUST_200600_302600_NS6detail15normal_iteratorINSA_10device_ptrIxEEEEPS6_PKS6_NS0_5tupleIJSF_S6_EEENSJ_IJSG_SG_EEENS0_18inequality_wrapperINSA_8equal_toIxEEEEPmJS6_EEE10hipError_tPvRmT3_T4_T5_T6_T7_T9_mT8_P12ihipStream_tbDpT10_ENKUlT_T0_E_clISt17integral_constantIbLb1EES1A_EEDaS15_S16_EUlS15_E_NS1_11comp_targetILNS1_3genE9ELNS1_11target_archE1100ELNS1_3gpuE3ELNS1_3repE0EEENS1_30default_config_static_selectorELNS0_4arch9wavefront6targetE1EEEvT1_.has_recursion, 0
	.set _ZN7rocprim17ROCPRIM_400000_NS6detail17trampoline_kernelINS0_14default_configENS1_25partition_config_selectorILNS1_17partition_subalgoE8ExNS0_10empty_typeEbEEZZNS1_14partition_implILS5_8ELb0ES3_jN6thrust23THRUST_200600_302600_NS6detail15normal_iteratorINSA_10device_ptrIxEEEEPS6_PKS6_NS0_5tupleIJSF_S6_EEENSJ_IJSG_SG_EEENS0_18inequality_wrapperINSA_8equal_toIxEEEEPmJS6_EEE10hipError_tPvRmT3_T4_T5_T6_T7_T9_mT8_P12ihipStream_tbDpT10_ENKUlT_T0_E_clISt17integral_constantIbLb1EES1A_EEDaS15_S16_EUlS15_E_NS1_11comp_targetILNS1_3genE9ELNS1_11target_archE1100ELNS1_3gpuE3ELNS1_3repE0EEENS1_30default_config_static_selectorELNS0_4arch9wavefront6targetE1EEEvT1_.has_indirect_call, 0
	.section	.AMDGPU.csdata,"",@progbits
; Kernel info:
; codeLenInByte = 0
; TotalNumSgprs: 4
; NumVgprs: 0
; ScratchSize: 0
; MemoryBound: 0
; FloatMode: 240
; IeeeMode: 1
; LDSByteSize: 0 bytes/workgroup (compile time only)
; SGPRBlocks: 0
; VGPRBlocks: 0
; NumSGPRsForWavesPerEU: 4
; NumVGPRsForWavesPerEU: 1
; Occupancy: 10
; WaveLimiterHint : 0
; COMPUTE_PGM_RSRC2:SCRATCH_EN: 0
; COMPUTE_PGM_RSRC2:USER_SGPR: 6
; COMPUTE_PGM_RSRC2:TRAP_HANDLER: 0
; COMPUTE_PGM_RSRC2:TGID_X_EN: 1
; COMPUTE_PGM_RSRC2:TGID_Y_EN: 0
; COMPUTE_PGM_RSRC2:TGID_Z_EN: 0
; COMPUTE_PGM_RSRC2:TIDIG_COMP_CNT: 0
	.section	.text._ZN7rocprim17ROCPRIM_400000_NS6detail17trampoline_kernelINS0_14default_configENS1_25partition_config_selectorILNS1_17partition_subalgoE8ExNS0_10empty_typeEbEEZZNS1_14partition_implILS5_8ELb0ES3_jN6thrust23THRUST_200600_302600_NS6detail15normal_iteratorINSA_10device_ptrIxEEEEPS6_PKS6_NS0_5tupleIJSF_S6_EEENSJ_IJSG_SG_EEENS0_18inequality_wrapperINSA_8equal_toIxEEEEPmJS6_EEE10hipError_tPvRmT3_T4_T5_T6_T7_T9_mT8_P12ihipStream_tbDpT10_ENKUlT_T0_E_clISt17integral_constantIbLb1EES1A_EEDaS15_S16_EUlS15_E_NS1_11comp_targetILNS1_3genE8ELNS1_11target_archE1030ELNS1_3gpuE2ELNS1_3repE0EEENS1_30default_config_static_selectorELNS0_4arch9wavefront6targetE1EEEvT1_,"axG",@progbits,_ZN7rocprim17ROCPRIM_400000_NS6detail17trampoline_kernelINS0_14default_configENS1_25partition_config_selectorILNS1_17partition_subalgoE8ExNS0_10empty_typeEbEEZZNS1_14partition_implILS5_8ELb0ES3_jN6thrust23THRUST_200600_302600_NS6detail15normal_iteratorINSA_10device_ptrIxEEEEPS6_PKS6_NS0_5tupleIJSF_S6_EEENSJ_IJSG_SG_EEENS0_18inequality_wrapperINSA_8equal_toIxEEEEPmJS6_EEE10hipError_tPvRmT3_T4_T5_T6_T7_T9_mT8_P12ihipStream_tbDpT10_ENKUlT_T0_E_clISt17integral_constantIbLb1EES1A_EEDaS15_S16_EUlS15_E_NS1_11comp_targetILNS1_3genE8ELNS1_11target_archE1030ELNS1_3gpuE2ELNS1_3repE0EEENS1_30default_config_static_selectorELNS0_4arch9wavefront6targetE1EEEvT1_,comdat
	.protected	_ZN7rocprim17ROCPRIM_400000_NS6detail17trampoline_kernelINS0_14default_configENS1_25partition_config_selectorILNS1_17partition_subalgoE8ExNS0_10empty_typeEbEEZZNS1_14partition_implILS5_8ELb0ES3_jN6thrust23THRUST_200600_302600_NS6detail15normal_iteratorINSA_10device_ptrIxEEEEPS6_PKS6_NS0_5tupleIJSF_S6_EEENSJ_IJSG_SG_EEENS0_18inequality_wrapperINSA_8equal_toIxEEEEPmJS6_EEE10hipError_tPvRmT3_T4_T5_T6_T7_T9_mT8_P12ihipStream_tbDpT10_ENKUlT_T0_E_clISt17integral_constantIbLb1EES1A_EEDaS15_S16_EUlS15_E_NS1_11comp_targetILNS1_3genE8ELNS1_11target_archE1030ELNS1_3gpuE2ELNS1_3repE0EEENS1_30default_config_static_selectorELNS0_4arch9wavefront6targetE1EEEvT1_ ; -- Begin function _ZN7rocprim17ROCPRIM_400000_NS6detail17trampoline_kernelINS0_14default_configENS1_25partition_config_selectorILNS1_17partition_subalgoE8ExNS0_10empty_typeEbEEZZNS1_14partition_implILS5_8ELb0ES3_jN6thrust23THRUST_200600_302600_NS6detail15normal_iteratorINSA_10device_ptrIxEEEEPS6_PKS6_NS0_5tupleIJSF_S6_EEENSJ_IJSG_SG_EEENS0_18inequality_wrapperINSA_8equal_toIxEEEEPmJS6_EEE10hipError_tPvRmT3_T4_T5_T6_T7_T9_mT8_P12ihipStream_tbDpT10_ENKUlT_T0_E_clISt17integral_constantIbLb1EES1A_EEDaS15_S16_EUlS15_E_NS1_11comp_targetILNS1_3genE8ELNS1_11target_archE1030ELNS1_3gpuE2ELNS1_3repE0EEENS1_30default_config_static_selectorELNS0_4arch9wavefront6targetE1EEEvT1_
	.globl	_ZN7rocprim17ROCPRIM_400000_NS6detail17trampoline_kernelINS0_14default_configENS1_25partition_config_selectorILNS1_17partition_subalgoE8ExNS0_10empty_typeEbEEZZNS1_14partition_implILS5_8ELb0ES3_jN6thrust23THRUST_200600_302600_NS6detail15normal_iteratorINSA_10device_ptrIxEEEEPS6_PKS6_NS0_5tupleIJSF_S6_EEENSJ_IJSG_SG_EEENS0_18inequality_wrapperINSA_8equal_toIxEEEEPmJS6_EEE10hipError_tPvRmT3_T4_T5_T6_T7_T9_mT8_P12ihipStream_tbDpT10_ENKUlT_T0_E_clISt17integral_constantIbLb1EES1A_EEDaS15_S16_EUlS15_E_NS1_11comp_targetILNS1_3genE8ELNS1_11target_archE1030ELNS1_3gpuE2ELNS1_3repE0EEENS1_30default_config_static_selectorELNS0_4arch9wavefront6targetE1EEEvT1_
	.p2align	8
	.type	_ZN7rocprim17ROCPRIM_400000_NS6detail17trampoline_kernelINS0_14default_configENS1_25partition_config_selectorILNS1_17partition_subalgoE8ExNS0_10empty_typeEbEEZZNS1_14partition_implILS5_8ELb0ES3_jN6thrust23THRUST_200600_302600_NS6detail15normal_iteratorINSA_10device_ptrIxEEEEPS6_PKS6_NS0_5tupleIJSF_S6_EEENSJ_IJSG_SG_EEENS0_18inequality_wrapperINSA_8equal_toIxEEEEPmJS6_EEE10hipError_tPvRmT3_T4_T5_T6_T7_T9_mT8_P12ihipStream_tbDpT10_ENKUlT_T0_E_clISt17integral_constantIbLb1EES1A_EEDaS15_S16_EUlS15_E_NS1_11comp_targetILNS1_3genE8ELNS1_11target_archE1030ELNS1_3gpuE2ELNS1_3repE0EEENS1_30default_config_static_selectorELNS0_4arch9wavefront6targetE1EEEvT1_,@function
_ZN7rocprim17ROCPRIM_400000_NS6detail17trampoline_kernelINS0_14default_configENS1_25partition_config_selectorILNS1_17partition_subalgoE8ExNS0_10empty_typeEbEEZZNS1_14partition_implILS5_8ELb0ES3_jN6thrust23THRUST_200600_302600_NS6detail15normal_iteratorINSA_10device_ptrIxEEEEPS6_PKS6_NS0_5tupleIJSF_S6_EEENSJ_IJSG_SG_EEENS0_18inequality_wrapperINSA_8equal_toIxEEEEPmJS6_EEE10hipError_tPvRmT3_T4_T5_T6_T7_T9_mT8_P12ihipStream_tbDpT10_ENKUlT_T0_E_clISt17integral_constantIbLb1EES1A_EEDaS15_S16_EUlS15_E_NS1_11comp_targetILNS1_3genE8ELNS1_11target_archE1030ELNS1_3gpuE2ELNS1_3repE0EEENS1_30default_config_static_selectorELNS0_4arch9wavefront6targetE1EEEvT1_: ; @_ZN7rocprim17ROCPRIM_400000_NS6detail17trampoline_kernelINS0_14default_configENS1_25partition_config_selectorILNS1_17partition_subalgoE8ExNS0_10empty_typeEbEEZZNS1_14partition_implILS5_8ELb0ES3_jN6thrust23THRUST_200600_302600_NS6detail15normal_iteratorINSA_10device_ptrIxEEEEPS6_PKS6_NS0_5tupleIJSF_S6_EEENSJ_IJSG_SG_EEENS0_18inequality_wrapperINSA_8equal_toIxEEEEPmJS6_EEE10hipError_tPvRmT3_T4_T5_T6_T7_T9_mT8_P12ihipStream_tbDpT10_ENKUlT_T0_E_clISt17integral_constantIbLb1EES1A_EEDaS15_S16_EUlS15_E_NS1_11comp_targetILNS1_3genE8ELNS1_11target_archE1030ELNS1_3gpuE2ELNS1_3repE0EEENS1_30default_config_static_selectorELNS0_4arch9wavefront6targetE1EEEvT1_
; %bb.0:
	.section	.rodata,"a",@progbits
	.p2align	6, 0x0
	.amdhsa_kernel _ZN7rocprim17ROCPRIM_400000_NS6detail17trampoline_kernelINS0_14default_configENS1_25partition_config_selectorILNS1_17partition_subalgoE8ExNS0_10empty_typeEbEEZZNS1_14partition_implILS5_8ELb0ES3_jN6thrust23THRUST_200600_302600_NS6detail15normal_iteratorINSA_10device_ptrIxEEEEPS6_PKS6_NS0_5tupleIJSF_S6_EEENSJ_IJSG_SG_EEENS0_18inequality_wrapperINSA_8equal_toIxEEEEPmJS6_EEE10hipError_tPvRmT3_T4_T5_T6_T7_T9_mT8_P12ihipStream_tbDpT10_ENKUlT_T0_E_clISt17integral_constantIbLb1EES1A_EEDaS15_S16_EUlS15_E_NS1_11comp_targetILNS1_3genE8ELNS1_11target_archE1030ELNS1_3gpuE2ELNS1_3repE0EEENS1_30default_config_static_selectorELNS0_4arch9wavefront6targetE1EEEvT1_
		.amdhsa_group_segment_fixed_size 0
		.amdhsa_private_segment_fixed_size 0
		.amdhsa_kernarg_size 128
		.amdhsa_user_sgpr_count 6
		.amdhsa_user_sgpr_private_segment_buffer 1
		.amdhsa_user_sgpr_dispatch_ptr 0
		.amdhsa_user_sgpr_queue_ptr 0
		.amdhsa_user_sgpr_kernarg_segment_ptr 1
		.amdhsa_user_sgpr_dispatch_id 0
		.amdhsa_user_sgpr_flat_scratch_init 0
		.amdhsa_user_sgpr_private_segment_size 0
		.amdhsa_uses_dynamic_stack 0
		.amdhsa_system_sgpr_private_segment_wavefront_offset 0
		.amdhsa_system_sgpr_workgroup_id_x 1
		.amdhsa_system_sgpr_workgroup_id_y 0
		.amdhsa_system_sgpr_workgroup_id_z 0
		.amdhsa_system_sgpr_workgroup_info 0
		.amdhsa_system_vgpr_workitem_id 0
		.amdhsa_next_free_vgpr 1
		.amdhsa_next_free_sgpr 0
		.amdhsa_reserve_vcc 0
		.amdhsa_reserve_flat_scratch 0
		.amdhsa_float_round_mode_32 0
		.amdhsa_float_round_mode_16_64 0
		.amdhsa_float_denorm_mode_32 3
		.amdhsa_float_denorm_mode_16_64 3
		.amdhsa_dx10_clamp 1
		.amdhsa_ieee_mode 1
		.amdhsa_fp16_overflow 0
		.amdhsa_exception_fp_ieee_invalid_op 0
		.amdhsa_exception_fp_denorm_src 0
		.amdhsa_exception_fp_ieee_div_zero 0
		.amdhsa_exception_fp_ieee_overflow 0
		.amdhsa_exception_fp_ieee_underflow 0
		.amdhsa_exception_fp_ieee_inexact 0
		.amdhsa_exception_int_div_zero 0
	.end_amdhsa_kernel
	.section	.text._ZN7rocprim17ROCPRIM_400000_NS6detail17trampoline_kernelINS0_14default_configENS1_25partition_config_selectorILNS1_17partition_subalgoE8ExNS0_10empty_typeEbEEZZNS1_14partition_implILS5_8ELb0ES3_jN6thrust23THRUST_200600_302600_NS6detail15normal_iteratorINSA_10device_ptrIxEEEEPS6_PKS6_NS0_5tupleIJSF_S6_EEENSJ_IJSG_SG_EEENS0_18inequality_wrapperINSA_8equal_toIxEEEEPmJS6_EEE10hipError_tPvRmT3_T4_T5_T6_T7_T9_mT8_P12ihipStream_tbDpT10_ENKUlT_T0_E_clISt17integral_constantIbLb1EES1A_EEDaS15_S16_EUlS15_E_NS1_11comp_targetILNS1_3genE8ELNS1_11target_archE1030ELNS1_3gpuE2ELNS1_3repE0EEENS1_30default_config_static_selectorELNS0_4arch9wavefront6targetE1EEEvT1_,"axG",@progbits,_ZN7rocprim17ROCPRIM_400000_NS6detail17trampoline_kernelINS0_14default_configENS1_25partition_config_selectorILNS1_17partition_subalgoE8ExNS0_10empty_typeEbEEZZNS1_14partition_implILS5_8ELb0ES3_jN6thrust23THRUST_200600_302600_NS6detail15normal_iteratorINSA_10device_ptrIxEEEEPS6_PKS6_NS0_5tupleIJSF_S6_EEENSJ_IJSG_SG_EEENS0_18inequality_wrapperINSA_8equal_toIxEEEEPmJS6_EEE10hipError_tPvRmT3_T4_T5_T6_T7_T9_mT8_P12ihipStream_tbDpT10_ENKUlT_T0_E_clISt17integral_constantIbLb1EES1A_EEDaS15_S16_EUlS15_E_NS1_11comp_targetILNS1_3genE8ELNS1_11target_archE1030ELNS1_3gpuE2ELNS1_3repE0EEENS1_30default_config_static_selectorELNS0_4arch9wavefront6targetE1EEEvT1_,comdat
.Lfunc_end355:
	.size	_ZN7rocprim17ROCPRIM_400000_NS6detail17trampoline_kernelINS0_14default_configENS1_25partition_config_selectorILNS1_17partition_subalgoE8ExNS0_10empty_typeEbEEZZNS1_14partition_implILS5_8ELb0ES3_jN6thrust23THRUST_200600_302600_NS6detail15normal_iteratorINSA_10device_ptrIxEEEEPS6_PKS6_NS0_5tupleIJSF_S6_EEENSJ_IJSG_SG_EEENS0_18inequality_wrapperINSA_8equal_toIxEEEEPmJS6_EEE10hipError_tPvRmT3_T4_T5_T6_T7_T9_mT8_P12ihipStream_tbDpT10_ENKUlT_T0_E_clISt17integral_constantIbLb1EES1A_EEDaS15_S16_EUlS15_E_NS1_11comp_targetILNS1_3genE8ELNS1_11target_archE1030ELNS1_3gpuE2ELNS1_3repE0EEENS1_30default_config_static_selectorELNS0_4arch9wavefront6targetE1EEEvT1_, .Lfunc_end355-_ZN7rocprim17ROCPRIM_400000_NS6detail17trampoline_kernelINS0_14default_configENS1_25partition_config_selectorILNS1_17partition_subalgoE8ExNS0_10empty_typeEbEEZZNS1_14partition_implILS5_8ELb0ES3_jN6thrust23THRUST_200600_302600_NS6detail15normal_iteratorINSA_10device_ptrIxEEEEPS6_PKS6_NS0_5tupleIJSF_S6_EEENSJ_IJSG_SG_EEENS0_18inequality_wrapperINSA_8equal_toIxEEEEPmJS6_EEE10hipError_tPvRmT3_T4_T5_T6_T7_T9_mT8_P12ihipStream_tbDpT10_ENKUlT_T0_E_clISt17integral_constantIbLb1EES1A_EEDaS15_S16_EUlS15_E_NS1_11comp_targetILNS1_3genE8ELNS1_11target_archE1030ELNS1_3gpuE2ELNS1_3repE0EEENS1_30default_config_static_selectorELNS0_4arch9wavefront6targetE1EEEvT1_
                                        ; -- End function
	.set _ZN7rocprim17ROCPRIM_400000_NS6detail17trampoline_kernelINS0_14default_configENS1_25partition_config_selectorILNS1_17partition_subalgoE8ExNS0_10empty_typeEbEEZZNS1_14partition_implILS5_8ELb0ES3_jN6thrust23THRUST_200600_302600_NS6detail15normal_iteratorINSA_10device_ptrIxEEEEPS6_PKS6_NS0_5tupleIJSF_S6_EEENSJ_IJSG_SG_EEENS0_18inequality_wrapperINSA_8equal_toIxEEEEPmJS6_EEE10hipError_tPvRmT3_T4_T5_T6_T7_T9_mT8_P12ihipStream_tbDpT10_ENKUlT_T0_E_clISt17integral_constantIbLb1EES1A_EEDaS15_S16_EUlS15_E_NS1_11comp_targetILNS1_3genE8ELNS1_11target_archE1030ELNS1_3gpuE2ELNS1_3repE0EEENS1_30default_config_static_selectorELNS0_4arch9wavefront6targetE1EEEvT1_.num_vgpr, 0
	.set _ZN7rocprim17ROCPRIM_400000_NS6detail17trampoline_kernelINS0_14default_configENS1_25partition_config_selectorILNS1_17partition_subalgoE8ExNS0_10empty_typeEbEEZZNS1_14partition_implILS5_8ELb0ES3_jN6thrust23THRUST_200600_302600_NS6detail15normal_iteratorINSA_10device_ptrIxEEEEPS6_PKS6_NS0_5tupleIJSF_S6_EEENSJ_IJSG_SG_EEENS0_18inequality_wrapperINSA_8equal_toIxEEEEPmJS6_EEE10hipError_tPvRmT3_T4_T5_T6_T7_T9_mT8_P12ihipStream_tbDpT10_ENKUlT_T0_E_clISt17integral_constantIbLb1EES1A_EEDaS15_S16_EUlS15_E_NS1_11comp_targetILNS1_3genE8ELNS1_11target_archE1030ELNS1_3gpuE2ELNS1_3repE0EEENS1_30default_config_static_selectorELNS0_4arch9wavefront6targetE1EEEvT1_.num_agpr, 0
	.set _ZN7rocprim17ROCPRIM_400000_NS6detail17trampoline_kernelINS0_14default_configENS1_25partition_config_selectorILNS1_17partition_subalgoE8ExNS0_10empty_typeEbEEZZNS1_14partition_implILS5_8ELb0ES3_jN6thrust23THRUST_200600_302600_NS6detail15normal_iteratorINSA_10device_ptrIxEEEEPS6_PKS6_NS0_5tupleIJSF_S6_EEENSJ_IJSG_SG_EEENS0_18inequality_wrapperINSA_8equal_toIxEEEEPmJS6_EEE10hipError_tPvRmT3_T4_T5_T6_T7_T9_mT8_P12ihipStream_tbDpT10_ENKUlT_T0_E_clISt17integral_constantIbLb1EES1A_EEDaS15_S16_EUlS15_E_NS1_11comp_targetILNS1_3genE8ELNS1_11target_archE1030ELNS1_3gpuE2ELNS1_3repE0EEENS1_30default_config_static_selectorELNS0_4arch9wavefront6targetE1EEEvT1_.numbered_sgpr, 0
	.set _ZN7rocprim17ROCPRIM_400000_NS6detail17trampoline_kernelINS0_14default_configENS1_25partition_config_selectorILNS1_17partition_subalgoE8ExNS0_10empty_typeEbEEZZNS1_14partition_implILS5_8ELb0ES3_jN6thrust23THRUST_200600_302600_NS6detail15normal_iteratorINSA_10device_ptrIxEEEEPS6_PKS6_NS0_5tupleIJSF_S6_EEENSJ_IJSG_SG_EEENS0_18inequality_wrapperINSA_8equal_toIxEEEEPmJS6_EEE10hipError_tPvRmT3_T4_T5_T6_T7_T9_mT8_P12ihipStream_tbDpT10_ENKUlT_T0_E_clISt17integral_constantIbLb1EES1A_EEDaS15_S16_EUlS15_E_NS1_11comp_targetILNS1_3genE8ELNS1_11target_archE1030ELNS1_3gpuE2ELNS1_3repE0EEENS1_30default_config_static_selectorELNS0_4arch9wavefront6targetE1EEEvT1_.num_named_barrier, 0
	.set _ZN7rocprim17ROCPRIM_400000_NS6detail17trampoline_kernelINS0_14default_configENS1_25partition_config_selectorILNS1_17partition_subalgoE8ExNS0_10empty_typeEbEEZZNS1_14partition_implILS5_8ELb0ES3_jN6thrust23THRUST_200600_302600_NS6detail15normal_iteratorINSA_10device_ptrIxEEEEPS6_PKS6_NS0_5tupleIJSF_S6_EEENSJ_IJSG_SG_EEENS0_18inequality_wrapperINSA_8equal_toIxEEEEPmJS6_EEE10hipError_tPvRmT3_T4_T5_T6_T7_T9_mT8_P12ihipStream_tbDpT10_ENKUlT_T0_E_clISt17integral_constantIbLb1EES1A_EEDaS15_S16_EUlS15_E_NS1_11comp_targetILNS1_3genE8ELNS1_11target_archE1030ELNS1_3gpuE2ELNS1_3repE0EEENS1_30default_config_static_selectorELNS0_4arch9wavefront6targetE1EEEvT1_.private_seg_size, 0
	.set _ZN7rocprim17ROCPRIM_400000_NS6detail17trampoline_kernelINS0_14default_configENS1_25partition_config_selectorILNS1_17partition_subalgoE8ExNS0_10empty_typeEbEEZZNS1_14partition_implILS5_8ELb0ES3_jN6thrust23THRUST_200600_302600_NS6detail15normal_iteratorINSA_10device_ptrIxEEEEPS6_PKS6_NS0_5tupleIJSF_S6_EEENSJ_IJSG_SG_EEENS0_18inequality_wrapperINSA_8equal_toIxEEEEPmJS6_EEE10hipError_tPvRmT3_T4_T5_T6_T7_T9_mT8_P12ihipStream_tbDpT10_ENKUlT_T0_E_clISt17integral_constantIbLb1EES1A_EEDaS15_S16_EUlS15_E_NS1_11comp_targetILNS1_3genE8ELNS1_11target_archE1030ELNS1_3gpuE2ELNS1_3repE0EEENS1_30default_config_static_selectorELNS0_4arch9wavefront6targetE1EEEvT1_.uses_vcc, 0
	.set _ZN7rocprim17ROCPRIM_400000_NS6detail17trampoline_kernelINS0_14default_configENS1_25partition_config_selectorILNS1_17partition_subalgoE8ExNS0_10empty_typeEbEEZZNS1_14partition_implILS5_8ELb0ES3_jN6thrust23THRUST_200600_302600_NS6detail15normal_iteratorINSA_10device_ptrIxEEEEPS6_PKS6_NS0_5tupleIJSF_S6_EEENSJ_IJSG_SG_EEENS0_18inequality_wrapperINSA_8equal_toIxEEEEPmJS6_EEE10hipError_tPvRmT3_T4_T5_T6_T7_T9_mT8_P12ihipStream_tbDpT10_ENKUlT_T0_E_clISt17integral_constantIbLb1EES1A_EEDaS15_S16_EUlS15_E_NS1_11comp_targetILNS1_3genE8ELNS1_11target_archE1030ELNS1_3gpuE2ELNS1_3repE0EEENS1_30default_config_static_selectorELNS0_4arch9wavefront6targetE1EEEvT1_.uses_flat_scratch, 0
	.set _ZN7rocprim17ROCPRIM_400000_NS6detail17trampoline_kernelINS0_14default_configENS1_25partition_config_selectorILNS1_17partition_subalgoE8ExNS0_10empty_typeEbEEZZNS1_14partition_implILS5_8ELb0ES3_jN6thrust23THRUST_200600_302600_NS6detail15normal_iteratorINSA_10device_ptrIxEEEEPS6_PKS6_NS0_5tupleIJSF_S6_EEENSJ_IJSG_SG_EEENS0_18inequality_wrapperINSA_8equal_toIxEEEEPmJS6_EEE10hipError_tPvRmT3_T4_T5_T6_T7_T9_mT8_P12ihipStream_tbDpT10_ENKUlT_T0_E_clISt17integral_constantIbLb1EES1A_EEDaS15_S16_EUlS15_E_NS1_11comp_targetILNS1_3genE8ELNS1_11target_archE1030ELNS1_3gpuE2ELNS1_3repE0EEENS1_30default_config_static_selectorELNS0_4arch9wavefront6targetE1EEEvT1_.has_dyn_sized_stack, 0
	.set _ZN7rocprim17ROCPRIM_400000_NS6detail17trampoline_kernelINS0_14default_configENS1_25partition_config_selectorILNS1_17partition_subalgoE8ExNS0_10empty_typeEbEEZZNS1_14partition_implILS5_8ELb0ES3_jN6thrust23THRUST_200600_302600_NS6detail15normal_iteratorINSA_10device_ptrIxEEEEPS6_PKS6_NS0_5tupleIJSF_S6_EEENSJ_IJSG_SG_EEENS0_18inequality_wrapperINSA_8equal_toIxEEEEPmJS6_EEE10hipError_tPvRmT3_T4_T5_T6_T7_T9_mT8_P12ihipStream_tbDpT10_ENKUlT_T0_E_clISt17integral_constantIbLb1EES1A_EEDaS15_S16_EUlS15_E_NS1_11comp_targetILNS1_3genE8ELNS1_11target_archE1030ELNS1_3gpuE2ELNS1_3repE0EEENS1_30default_config_static_selectorELNS0_4arch9wavefront6targetE1EEEvT1_.has_recursion, 0
	.set _ZN7rocprim17ROCPRIM_400000_NS6detail17trampoline_kernelINS0_14default_configENS1_25partition_config_selectorILNS1_17partition_subalgoE8ExNS0_10empty_typeEbEEZZNS1_14partition_implILS5_8ELb0ES3_jN6thrust23THRUST_200600_302600_NS6detail15normal_iteratorINSA_10device_ptrIxEEEEPS6_PKS6_NS0_5tupleIJSF_S6_EEENSJ_IJSG_SG_EEENS0_18inequality_wrapperINSA_8equal_toIxEEEEPmJS6_EEE10hipError_tPvRmT3_T4_T5_T6_T7_T9_mT8_P12ihipStream_tbDpT10_ENKUlT_T0_E_clISt17integral_constantIbLb1EES1A_EEDaS15_S16_EUlS15_E_NS1_11comp_targetILNS1_3genE8ELNS1_11target_archE1030ELNS1_3gpuE2ELNS1_3repE0EEENS1_30default_config_static_selectorELNS0_4arch9wavefront6targetE1EEEvT1_.has_indirect_call, 0
	.section	.AMDGPU.csdata,"",@progbits
; Kernel info:
; codeLenInByte = 0
; TotalNumSgprs: 4
; NumVgprs: 0
; ScratchSize: 0
; MemoryBound: 0
; FloatMode: 240
; IeeeMode: 1
; LDSByteSize: 0 bytes/workgroup (compile time only)
; SGPRBlocks: 0
; VGPRBlocks: 0
; NumSGPRsForWavesPerEU: 4
; NumVGPRsForWavesPerEU: 1
; Occupancy: 10
; WaveLimiterHint : 0
; COMPUTE_PGM_RSRC2:SCRATCH_EN: 0
; COMPUTE_PGM_RSRC2:USER_SGPR: 6
; COMPUTE_PGM_RSRC2:TRAP_HANDLER: 0
; COMPUTE_PGM_RSRC2:TGID_X_EN: 1
; COMPUTE_PGM_RSRC2:TGID_Y_EN: 0
; COMPUTE_PGM_RSRC2:TGID_Z_EN: 0
; COMPUTE_PGM_RSRC2:TIDIG_COMP_CNT: 0
	.section	.text._ZN7rocprim17ROCPRIM_400000_NS6detail17trampoline_kernelINS0_14default_configENS1_25partition_config_selectorILNS1_17partition_subalgoE8ExNS0_10empty_typeEbEEZZNS1_14partition_implILS5_8ELb0ES3_jN6thrust23THRUST_200600_302600_NS6detail15normal_iteratorINSA_10device_ptrIxEEEEPS6_PKS6_NS0_5tupleIJSF_S6_EEENSJ_IJSG_SG_EEENS0_18inequality_wrapperINSA_8equal_toIxEEEEPmJS6_EEE10hipError_tPvRmT3_T4_T5_T6_T7_T9_mT8_P12ihipStream_tbDpT10_ENKUlT_T0_E_clISt17integral_constantIbLb1EES19_IbLb0EEEEDaS15_S16_EUlS15_E_NS1_11comp_targetILNS1_3genE0ELNS1_11target_archE4294967295ELNS1_3gpuE0ELNS1_3repE0EEENS1_30default_config_static_selectorELNS0_4arch9wavefront6targetE1EEEvT1_,"axG",@progbits,_ZN7rocprim17ROCPRIM_400000_NS6detail17trampoline_kernelINS0_14default_configENS1_25partition_config_selectorILNS1_17partition_subalgoE8ExNS0_10empty_typeEbEEZZNS1_14partition_implILS5_8ELb0ES3_jN6thrust23THRUST_200600_302600_NS6detail15normal_iteratorINSA_10device_ptrIxEEEEPS6_PKS6_NS0_5tupleIJSF_S6_EEENSJ_IJSG_SG_EEENS0_18inequality_wrapperINSA_8equal_toIxEEEEPmJS6_EEE10hipError_tPvRmT3_T4_T5_T6_T7_T9_mT8_P12ihipStream_tbDpT10_ENKUlT_T0_E_clISt17integral_constantIbLb1EES19_IbLb0EEEEDaS15_S16_EUlS15_E_NS1_11comp_targetILNS1_3genE0ELNS1_11target_archE4294967295ELNS1_3gpuE0ELNS1_3repE0EEENS1_30default_config_static_selectorELNS0_4arch9wavefront6targetE1EEEvT1_,comdat
	.protected	_ZN7rocprim17ROCPRIM_400000_NS6detail17trampoline_kernelINS0_14default_configENS1_25partition_config_selectorILNS1_17partition_subalgoE8ExNS0_10empty_typeEbEEZZNS1_14partition_implILS5_8ELb0ES3_jN6thrust23THRUST_200600_302600_NS6detail15normal_iteratorINSA_10device_ptrIxEEEEPS6_PKS6_NS0_5tupleIJSF_S6_EEENSJ_IJSG_SG_EEENS0_18inequality_wrapperINSA_8equal_toIxEEEEPmJS6_EEE10hipError_tPvRmT3_T4_T5_T6_T7_T9_mT8_P12ihipStream_tbDpT10_ENKUlT_T0_E_clISt17integral_constantIbLb1EES19_IbLb0EEEEDaS15_S16_EUlS15_E_NS1_11comp_targetILNS1_3genE0ELNS1_11target_archE4294967295ELNS1_3gpuE0ELNS1_3repE0EEENS1_30default_config_static_selectorELNS0_4arch9wavefront6targetE1EEEvT1_ ; -- Begin function _ZN7rocprim17ROCPRIM_400000_NS6detail17trampoline_kernelINS0_14default_configENS1_25partition_config_selectorILNS1_17partition_subalgoE8ExNS0_10empty_typeEbEEZZNS1_14partition_implILS5_8ELb0ES3_jN6thrust23THRUST_200600_302600_NS6detail15normal_iteratorINSA_10device_ptrIxEEEEPS6_PKS6_NS0_5tupleIJSF_S6_EEENSJ_IJSG_SG_EEENS0_18inequality_wrapperINSA_8equal_toIxEEEEPmJS6_EEE10hipError_tPvRmT3_T4_T5_T6_T7_T9_mT8_P12ihipStream_tbDpT10_ENKUlT_T0_E_clISt17integral_constantIbLb1EES19_IbLb0EEEEDaS15_S16_EUlS15_E_NS1_11comp_targetILNS1_3genE0ELNS1_11target_archE4294967295ELNS1_3gpuE0ELNS1_3repE0EEENS1_30default_config_static_selectorELNS0_4arch9wavefront6targetE1EEEvT1_
	.globl	_ZN7rocprim17ROCPRIM_400000_NS6detail17trampoline_kernelINS0_14default_configENS1_25partition_config_selectorILNS1_17partition_subalgoE8ExNS0_10empty_typeEbEEZZNS1_14partition_implILS5_8ELb0ES3_jN6thrust23THRUST_200600_302600_NS6detail15normal_iteratorINSA_10device_ptrIxEEEEPS6_PKS6_NS0_5tupleIJSF_S6_EEENSJ_IJSG_SG_EEENS0_18inequality_wrapperINSA_8equal_toIxEEEEPmJS6_EEE10hipError_tPvRmT3_T4_T5_T6_T7_T9_mT8_P12ihipStream_tbDpT10_ENKUlT_T0_E_clISt17integral_constantIbLb1EES19_IbLb0EEEEDaS15_S16_EUlS15_E_NS1_11comp_targetILNS1_3genE0ELNS1_11target_archE4294967295ELNS1_3gpuE0ELNS1_3repE0EEENS1_30default_config_static_selectorELNS0_4arch9wavefront6targetE1EEEvT1_
	.p2align	8
	.type	_ZN7rocprim17ROCPRIM_400000_NS6detail17trampoline_kernelINS0_14default_configENS1_25partition_config_selectorILNS1_17partition_subalgoE8ExNS0_10empty_typeEbEEZZNS1_14partition_implILS5_8ELb0ES3_jN6thrust23THRUST_200600_302600_NS6detail15normal_iteratorINSA_10device_ptrIxEEEEPS6_PKS6_NS0_5tupleIJSF_S6_EEENSJ_IJSG_SG_EEENS0_18inequality_wrapperINSA_8equal_toIxEEEEPmJS6_EEE10hipError_tPvRmT3_T4_T5_T6_T7_T9_mT8_P12ihipStream_tbDpT10_ENKUlT_T0_E_clISt17integral_constantIbLb1EES19_IbLb0EEEEDaS15_S16_EUlS15_E_NS1_11comp_targetILNS1_3genE0ELNS1_11target_archE4294967295ELNS1_3gpuE0ELNS1_3repE0EEENS1_30default_config_static_selectorELNS0_4arch9wavefront6targetE1EEEvT1_,@function
_ZN7rocprim17ROCPRIM_400000_NS6detail17trampoline_kernelINS0_14default_configENS1_25partition_config_selectorILNS1_17partition_subalgoE8ExNS0_10empty_typeEbEEZZNS1_14partition_implILS5_8ELb0ES3_jN6thrust23THRUST_200600_302600_NS6detail15normal_iteratorINSA_10device_ptrIxEEEEPS6_PKS6_NS0_5tupleIJSF_S6_EEENSJ_IJSG_SG_EEENS0_18inequality_wrapperINSA_8equal_toIxEEEEPmJS6_EEE10hipError_tPvRmT3_T4_T5_T6_T7_T9_mT8_P12ihipStream_tbDpT10_ENKUlT_T0_E_clISt17integral_constantIbLb1EES19_IbLb0EEEEDaS15_S16_EUlS15_E_NS1_11comp_targetILNS1_3genE0ELNS1_11target_archE4294967295ELNS1_3gpuE0ELNS1_3repE0EEENS1_30default_config_static_selectorELNS0_4arch9wavefront6targetE1EEEvT1_: ; @_ZN7rocprim17ROCPRIM_400000_NS6detail17trampoline_kernelINS0_14default_configENS1_25partition_config_selectorILNS1_17partition_subalgoE8ExNS0_10empty_typeEbEEZZNS1_14partition_implILS5_8ELb0ES3_jN6thrust23THRUST_200600_302600_NS6detail15normal_iteratorINSA_10device_ptrIxEEEEPS6_PKS6_NS0_5tupleIJSF_S6_EEENSJ_IJSG_SG_EEENS0_18inequality_wrapperINSA_8equal_toIxEEEEPmJS6_EEE10hipError_tPvRmT3_T4_T5_T6_T7_T9_mT8_P12ihipStream_tbDpT10_ENKUlT_T0_E_clISt17integral_constantIbLb1EES19_IbLb0EEEEDaS15_S16_EUlS15_E_NS1_11comp_targetILNS1_3genE0ELNS1_11target_archE4294967295ELNS1_3gpuE0ELNS1_3repE0EEENS1_30default_config_static_selectorELNS0_4arch9wavefront6targetE1EEEvT1_
; %bb.0:
	.section	.rodata,"a",@progbits
	.p2align	6, 0x0
	.amdhsa_kernel _ZN7rocprim17ROCPRIM_400000_NS6detail17trampoline_kernelINS0_14default_configENS1_25partition_config_selectorILNS1_17partition_subalgoE8ExNS0_10empty_typeEbEEZZNS1_14partition_implILS5_8ELb0ES3_jN6thrust23THRUST_200600_302600_NS6detail15normal_iteratorINSA_10device_ptrIxEEEEPS6_PKS6_NS0_5tupleIJSF_S6_EEENSJ_IJSG_SG_EEENS0_18inequality_wrapperINSA_8equal_toIxEEEEPmJS6_EEE10hipError_tPvRmT3_T4_T5_T6_T7_T9_mT8_P12ihipStream_tbDpT10_ENKUlT_T0_E_clISt17integral_constantIbLb1EES19_IbLb0EEEEDaS15_S16_EUlS15_E_NS1_11comp_targetILNS1_3genE0ELNS1_11target_archE4294967295ELNS1_3gpuE0ELNS1_3repE0EEENS1_30default_config_static_selectorELNS0_4arch9wavefront6targetE1EEEvT1_
		.amdhsa_group_segment_fixed_size 0
		.amdhsa_private_segment_fixed_size 0
		.amdhsa_kernarg_size 112
		.amdhsa_user_sgpr_count 6
		.amdhsa_user_sgpr_private_segment_buffer 1
		.amdhsa_user_sgpr_dispatch_ptr 0
		.amdhsa_user_sgpr_queue_ptr 0
		.amdhsa_user_sgpr_kernarg_segment_ptr 1
		.amdhsa_user_sgpr_dispatch_id 0
		.amdhsa_user_sgpr_flat_scratch_init 0
		.amdhsa_user_sgpr_private_segment_size 0
		.amdhsa_uses_dynamic_stack 0
		.amdhsa_system_sgpr_private_segment_wavefront_offset 0
		.amdhsa_system_sgpr_workgroup_id_x 1
		.amdhsa_system_sgpr_workgroup_id_y 0
		.amdhsa_system_sgpr_workgroup_id_z 0
		.amdhsa_system_sgpr_workgroup_info 0
		.amdhsa_system_vgpr_workitem_id 0
		.amdhsa_next_free_vgpr 1
		.amdhsa_next_free_sgpr 0
		.amdhsa_reserve_vcc 0
		.amdhsa_reserve_flat_scratch 0
		.amdhsa_float_round_mode_32 0
		.amdhsa_float_round_mode_16_64 0
		.amdhsa_float_denorm_mode_32 3
		.amdhsa_float_denorm_mode_16_64 3
		.amdhsa_dx10_clamp 1
		.amdhsa_ieee_mode 1
		.amdhsa_fp16_overflow 0
		.amdhsa_exception_fp_ieee_invalid_op 0
		.amdhsa_exception_fp_denorm_src 0
		.amdhsa_exception_fp_ieee_div_zero 0
		.amdhsa_exception_fp_ieee_overflow 0
		.amdhsa_exception_fp_ieee_underflow 0
		.amdhsa_exception_fp_ieee_inexact 0
		.amdhsa_exception_int_div_zero 0
	.end_amdhsa_kernel
	.section	.text._ZN7rocprim17ROCPRIM_400000_NS6detail17trampoline_kernelINS0_14default_configENS1_25partition_config_selectorILNS1_17partition_subalgoE8ExNS0_10empty_typeEbEEZZNS1_14partition_implILS5_8ELb0ES3_jN6thrust23THRUST_200600_302600_NS6detail15normal_iteratorINSA_10device_ptrIxEEEEPS6_PKS6_NS0_5tupleIJSF_S6_EEENSJ_IJSG_SG_EEENS0_18inequality_wrapperINSA_8equal_toIxEEEEPmJS6_EEE10hipError_tPvRmT3_T4_T5_T6_T7_T9_mT8_P12ihipStream_tbDpT10_ENKUlT_T0_E_clISt17integral_constantIbLb1EES19_IbLb0EEEEDaS15_S16_EUlS15_E_NS1_11comp_targetILNS1_3genE0ELNS1_11target_archE4294967295ELNS1_3gpuE0ELNS1_3repE0EEENS1_30default_config_static_selectorELNS0_4arch9wavefront6targetE1EEEvT1_,"axG",@progbits,_ZN7rocprim17ROCPRIM_400000_NS6detail17trampoline_kernelINS0_14default_configENS1_25partition_config_selectorILNS1_17partition_subalgoE8ExNS0_10empty_typeEbEEZZNS1_14partition_implILS5_8ELb0ES3_jN6thrust23THRUST_200600_302600_NS6detail15normal_iteratorINSA_10device_ptrIxEEEEPS6_PKS6_NS0_5tupleIJSF_S6_EEENSJ_IJSG_SG_EEENS0_18inequality_wrapperINSA_8equal_toIxEEEEPmJS6_EEE10hipError_tPvRmT3_T4_T5_T6_T7_T9_mT8_P12ihipStream_tbDpT10_ENKUlT_T0_E_clISt17integral_constantIbLb1EES19_IbLb0EEEEDaS15_S16_EUlS15_E_NS1_11comp_targetILNS1_3genE0ELNS1_11target_archE4294967295ELNS1_3gpuE0ELNS1_3repE0EEENS1_30default_config_static_selectorELNS0_4arch9wavefront6targetE1EEEvT1_,comdat
.Lfunc_end356:
	.size	_ZN7rocprim17ROCPRIM_400000_NS6detail17trampoline_kernelINS0_14default_configENS1_25partition_config_selectorILNS1_17partition_subalgoE8ExNS0_10empty_typeEbEEZZNS1_14partition_implILS5_8ELb0ES3_jN6thrust23THRUST_200600_302600_NS6detail15normal_iteratorINSA_10device_ptrIxEEEEPS6_PKS6_NS0_5tupleIJSF_S6_EEENSJ_IJSG_SG_EEENS0_18inequality_wrapperINSA_8equal_toIxEEEEPmJS6_EEE10hipError_tPvRmT3_T4_T5_T6_T7_T9_mT8_P12ihipStream_tbDpT10_ENKUlT_T0_E_clISt17integral_constantIbLb1EES19_IbLb0EEEEDaS15_S16_EUlS15_E_NS1_11comp_targetILNS1_3genE0ELNS1_11target_archE4294967295ELNS1_3gpuE0ELNS1_3repE0EEENS1_30default_config_static_selectorELNS0_4arch9wavefront6targetE1EEEvT1_, .Lfunc_end356-_ZN7rocprim17ROCPRIM_400000_NS6detail17trampoline_kernelINS0_14default_configENS1_25partition_config_selectorILNS1_17partition_subalgoE8ExNS0_10empty_typeEbEEZZNS1_14partition_implILS5_8ELb0ES3_jN6thrust23THRUST_200600_302600_NS6detail15normal_iteratorINSA_10device_ptrIxEEEEPS6_PKS6_NS0_5tupleIJSF_S6_EEENSJ_IJSG_SG_EEENS0_18inequality_wrapperINSA_8equal_toIxEEEEPmJS6_EEE10hipError_tPvRmT3_T4_T5_T6_T7_T9_mT8_P12ihipStream_tbDpT10_ENKUlT_T0_E_clISt17integral_constantIbLb1EES19_IbLb0EEEEDaS15_S16_EUlS15_E_NS1_11comp_targetILNS1_3genE0ELNS1_11target_archE4294967295ELNS1_3gpuE0ELNS1_3repE0EEENS1_30default_config_static_selectorELNS0_4arch9wavefront6targetE1EEEvT1_
                                        ; -- End function
	.set _ZN7rocprim17ROCPRIM_400000_NS6detail17trampoline_kernelINS0_14default_configENS1_25partition_config_selectorILNS1_17partition_subalgoE8ExNS0_10empty_typeEbEEZZNS1_14partition_implILS5_8ELb0ES3_jN6thrust23THRUST_200600_302600_NS6detail15normal_iteratorINSA_10device_ptrIxEEEEPS6_PKS6_NS0_5tupleIJSF_S6_EEENSJ_IJSG_SG_EEENS0_18inequality_wrapperINSA_8equal_toIxEEEEPmJS6_EEE10hipError_tPvRmT3_T4_T5_T6_T7_T9_mT8_P12ihipStream_tbDpT10_ENKUlT_T0_E_clISt17integral_constantIbLb1EES19_IbLb0EEEEDaS15_S16_EUlS15_E_NS1_11comp_targetILNS1_3genE0ELNS1_11target_archE4294967295ELNS1_3gpuE0ELNS1_3repE0EEENS1_30default_config_static_selectorELNS0_4arch9wavefront6targetE1EEEvT1_.num_vgpr, 0
	.set _ZN7rocprim17ROCPRIM_400000_NS6detail17trampoline_kernelINS0_14default_configENS1_25partition_config_selectorILNS1_17partition_subalgoE8ExNS0_10empty_typeEbEEZZNS1_14partition_implILS5_8ELb0ES3_jN6thrust23THRUST_200600_302600_NS6detail15normal_iteratorINSA_10device_ptrIxEEEEPS6_PKS6_NS0_5tupleIJSF_S6_EEENSJ_IJSG_SG_EEENS0_18inequality_wrapperINSA_8equal_toIxEEEEPmJS6_EEE10hipError_tPvRmT3_T4_T5_T6_T7_T9_mT8_P12ihipStream_tbDpT10_ENKUlT_T0_E_clISt17integral_constantIbLb1EES19_IbLb0EEEEDaS15_S16_EUlS15_E_NS1_11comp_targetILNS1_3genE0ELNS1_11target_archE4294967295ELNS1_3gpuE0ELNS1_3repE0EEENS1_30default_config_static_selectorELNS0_4arch9wavefront6targetE1EEEvT1_.num_agpr, 0
	.set _ZN7rocprim17ROCPRIM_400000_NS6detail17trampoline_kernelINS0_14default_configENS1_25partition_config_selectorILNS1_17partition_subalgoE8ExNS0_10empty_typeEbEEZZNS1_14partition_implILS5_8ELb0ES3_jN6thrust23THRUST_200600_302600_NS6detail15normal_iteratorINSA_10device_ptrIxEEEEPS6_PKS6_NS0_5tupleIJSF_S6_EEENSJ_IJSG_SG_EEENS0_18inequality_wrapperINSA_8equal_toIxEEEEPmJS6_EEE10hipError_tPvRmT3_T4_T5_T6_T7_T9_mT8_P12ihipStream_tbDpT10_ENKUlT_T0_E_clISt17integral_constantIbLb1EES19_IbLb0EEEEDaS15_S16_EUlS15_E_NS1_11comp_targetILNS1_3genE0ELNS1_11target_archE4294967295ELNS1_3gpuE0ELNS1_3repE0EEENS1_30default_config_static_selectorELNS0_4arch9wavefront6targetE1EEEvT1_.numbered_sgpr, 0
	.set _ZN7rocprim17ROCPRIM_400000_NS6detail17trampoline_kernelINS0_14default_configENS1_25partition_config_selectorILNS1_17partition_subalgoE8ExNS0_10empty_typeEbEEZZNS1_14partition_implILS5_8ELb0ES3_jN6thrust23THRUST_200600_302600_NS6detail15normal_iteratorINSA_10device_ptrIxEEEEPS6_PKS6_NS0_5tupleIJSF_S6_EEENSJ_IJSG_SG_EEENS0_18inequality_wrapperINSA_8equal_toIxEEEEPmJS6_EEE10hipError_tPvRmT3_T4_T5_T6_T7_T9_mT8_P12ihipStream_tbDpT10_ENKUlT_T0_E_clISt17integral_constantIbLb1EES19_IbLb0EEEEDaS15_S16_EUlS15_E_NS1_11comp_targetILNS1_3genE0ELNS1_11target_archE4294967295ELNS1_3gpuE0ELNS1_3repE0EEENS1_30default_config_static_selectorELNS0_4arch9wavefront6targetE1EEEvT1_.num_named_barrier, 0
	.set _ZN7rocprim17ROCPRIM_400000_NS6detail17trampoline_kernelINS0_14default_configENS1_25partition_config_selectorILNS1_17partition_subalgoE8ExNS0_10empty_typeEbEEZZNS1_14partition_implILS5_8ELb0ES3_jN6thrust23THRUST_200600_302600_NS6detail15normal_iteratorINSA_10device_ptrIxEEEEPS6_PKS6_NS0_5tupleIJSF_S6_EEENSJ_IJSG_SG_EEENS0_18inequality_wrapperINSA_8equal_toIxEEEEPmJS6_EEE10hipError_tPvRmT3_T4_T5_T6_T7_T9_mT8_P12ihipStream_tbDpT10_ENKUlT_T0_E_clISt17integral_constantIbLb1EES19_IbLb0EEEEDaS15_S16_EUlS15_E_NS1_11comp_targetILNS1_3genE0ELNS1_11target_archE4294967295ELNS1_3gpuE0ELNS1_3repE0EEENS1_30default_config_static_selectorELNS0_4arch9wavefront6targetE1EEEvT1_.private_seg_size, 0
	.set _ZN7rocprim17ROCPRIM_400000_NS6detail17trampoline_kernelINS0_14default_configENS1_25partition_config_selectorILNS1_17partition_subalgoE8ExNS0_10empty_typeEbEEZZNS1_14partition_implILS5_8ELb0ES3_jN6thrust23THRUST_200600_302600_NS6detail15normal_iteratorINSA_10device_ptrIxEEEEPS6_PKS6_NS0_5tupleIJSF_S6_EEENSJ_IJSG_SG_EEENS0_18inequality_wrapperINSA_8equal_toIxEEEEPmJS6_EEE10hipError_tPvRmT3_T4_T5_T6_T7_T9_mT8_P12ihipStream_tbDpT10_ENKUlT_T0_E_clISt17integral_constantIbLb1EES19_IbLb0EEEEDaS15_S16_EUlS15_E_NS1_11comp_targetILNS1_3genE0ELNS1_11target_archE4294967295ELNS1_3gpuE0ELNS1_3repE0EEENS1_30default_config_static_selectorELNS0_4arch9wavefront6targetE1EEEvT1_.uses_vcc, 0
	.set _ZN7rocprim17ROCPRIM_400000_NS6detail17trampoline_kernelINS0_14default_configENS1_25partition_config_selectorILNS1_17partition_subalgoE8ExNS0_10empty_typeEbEEZZNS1_14partition_implILS5_8ELb0ES3_jN6thrust23THRUST_200600_302600_NS6detail15normal_iteratorINSA_10device_ptrIxEEEEPS6_PKS6_NS0_5tupleIJSF_S6_EEENSJ_IJSG_SG_EEENS0_18inequality_wrapperINSA_8equal_toIxEEEEPmJS6_EEE10hipError_tPvRmT3_T4_T5_T6_T7_T9_mT8_P12ihipStream_tbDpT10_ENKUlT_T0_E_clISt17integral_constantIbLb1EES19_IbLb0EEEEDaS15_S16_EUlS15_E_NS1_11comp_targetILNS1_3genE0ELNS1_11target_archE4294967295ELNS1_3gpuE0ELNS1_3repE0EEENS1_30default_config_static_selectorELNS0_4arch9wavefront6targetE1EEEvT1_.uses_flat_scratch, 0
	.set _ZN7rocprim17ROCPRIM_400000_NS6detail17trampoline_kernelINS0_14default_configENS1_25partition_config_selectorILNS1_17partition_subalgoE8ExNS0_10empty_typeEbEEZZNS1_14partition_implILS5_8ELb0ES3_jN6thrust23THRUST_200600_302600_NS6detail15normal_iteratorINSA_10device_ptrIxEEEEPS6_PKS6_NS0_5tupleIJSF_S6_EEENSJ_IJSG_SG_EEENS0_18inequality_wrapperINSA_8equal_toIxEEEEPmJS6_EEE10hipError_tPvRmT3_T4_T5_T6_T7_T9_mT8_P12ihipStream_tbDpT10_ENKUlT_T0_E_clISt17integral_constantIbLb1EES19_IbLb0EEEEDaS15_S16_EUlS15_E_NS1_11comp_targetILNS1_3genE0ELNS1_11target_archE4294967295ELNS1_3gpuE0ELNS1_3repE0EEENS1_30default_config_static_selectorELNS0_4arch9wavefront6targetE1EEEvT1_.has_dyn_sized_stack, 0
	.set _ZN7rocprim17ROCPRIM_400000_NS6detail17trampoline_kernelINS0_14default_configENS1_25partition_config_selectorILNS1_17partition_subalgoE8ExNS0_10empty_typeEbEEZZNS1_14partition_implILS5_8ELb0ES3_jN6thrust23THRUST_200600_302600_NS6detail15normal_iteratorINSA_10device_ptrIxEEEEPS6_PKS6_NS0_5tupleIJSF_S6_EEENSJ_IJSG_SG_EEENS0_18inequality_wrapperINSA_8equal_toIxEEEEPmJS6_EEE10hipError_tPvRmT3_T4_T5_T6_T7_T9_mT8_P12ihipStream_tbDpT10_ENKUlT_T0_E_clISt17integral_constantIbLb1EES19_IbLb0EEEEDaS15_S16_EUlS15_E_NS1_11comp_targetILNS1_3genE0ELNS1_11target_archE4294967295ELNS1_3gpuE0ELNS1_3repE0EEENS1_30default_config_static_selectorELNS0_4arch9wavefront6targetE1EEEvT1_.has_recursion, 0
	.set _ZN7rocprim17ROCPRIM_400000_NS6detail17trampoline_kernelINS0_14default_configENS1_25partition_config_selectorILNS1_17partition_subalgoE8ExNS0_10empty_typeEbEEZZNS1_14partition_implILS5_8ELb0ES3_jN6thrust23THRUST_200600_302600_NS6detail15normal_iteratorINSA_10device_ptrIxEEEEPS6_PKS6_NS0_5tupleIJSF_S6_EEENSJ_IJSG_SG_EEENS0_18inequality_wrapperINSA_8equal_toIxEEEEPmJS6_EEE10hipError_tPvRmT3_T4_T5_T6_T7_T9_mT8_P12ihipStream_tbDpT10_ENKUlT_T0_E_clISt17integral_constantIbLb1EES19_IbLb0EEEEDaS15_S16_EUlS15_E_NS1_11comp_targetILNS1_3genE0ELNS1_11target_archE4294967295ELNS1_3gpuE0ELNS1_3repE0EEENS1_30default_config_static_selectorELNS0_4arch9wavefront6targetE1EEEvT1_.has_indirect_call, 0
	.section	.AMDGPU.csdata,"",@progbits
; Kernel info:
; codeLenInByte = 0
; TotalNumSgprs: 4
; NumVgprs: 0
; ScratchSize: 0
; MemoryBound: 0
; FloatMode: 240
; IeeeMode: 1
; LDSByteSize: 0 bytes/workgroup (compile time only)
; SGPRBlocks: 0
; VGPRBlocks: 0
; NumSGPRsForWavesPerEU: 4
; NumVGPRsForWavesPerEU: 1
; Occupancy: 10
; WaveLimiterHint : 0
; COMPUTE_PGM_RSRC2:SCRATCH_EN: 0
; COMPUTE_PGM_RSRC2:USER_SGPR: 6
; COMPUTE_PGM_RSRC2:TRAP_HANDLER: 0
; COMPUTE_PGM_RSRC2:TGID_X_EN: 1
; COMPUTE_PGM_RSRC2:TGID_Y_EN: 0
; COMPUTE_PGM_RSRC2:TGID_Z_EN: 0
; COMPUTE_PGM_RSRC2:TIDIG_COMP_CNT: 0
	.section	.text._ZN7rocprim17ROCPRIM_400000_NS6detail17trampoline_kernelINS0_14default_configENS1_25partition_config_selectorILNS1_17partition_subalgoE8ExNS0_10empty_typeEbEEZZNS1_14partition_implILS5_8ELb0ES3_jN6thrust23THRUST_200600_302600_NS6detail15normal_iteratorINSA_10device_ptrIxEEEEPS6_PKS6_NS0_5tupleIJSF_S6_EEENSJ_IJSG_SG_EEENS0_18inequality_wrapperINSA_8equal_toIxEEEEPmJS6_EEE10hipError_tPvRmT3_T4_T5_T6_T7_T9_mT8_P12ihipStream_tbDpT10_ENKUlT_T0_E_clISt17integral_constantIbLb1EES19_IbLb0EEEEDaS15_S16_EUlS15_E_NS1_11comp_targetILNS1_3genE5ELNS1_11target_archE942ELNS1_3gpuE9ELNS1_3repE0EEENS1_30default_config_static_selectorELNS0_4arch9wavefront6targetE1EEEvT1_,"axG",@progbits,_ZN7rocprim17ROCPRIM_400000_NS6detail17trampoline_kernelINS0_14default_configENS1_25partition_config_selectorILNS1_17partition_subalgoE8ExNS0_10empty_typeEbEEZZNS1_14partition_implILS5_8ELb0ES3_jN6thrust23THRUST_200600_302600_NS6detail15normal_iteratorINSA_10device_ptrIxEEEEPS6_PKS6_NS0_5tupleIJSF_S6_EEENSJ_IJSG_SG_EEENS0_18inequality_wrapperINSA_8equal_toIxEEEEPmJS6_EEE10hipError_tPvRmT3_T4_T5_T6_T7_T9_mT8_P12ihipStream_tbDpT10_ENKUlT_T0_E_clISt17integral_constantIbLb1EES19_IbLb0EEEEDaS15_S16_EUlS15_E_NS1_11comp_targetILNS1_3genE5ELNS1_11target_archE942ELNS1_3gpuE9ELNS1_3repE0EEENS1_30default_config_static_selectorELNS0_4arch9wavefront6targetE1EEEvT1_,comdat
	.protected	_ZN7rocprim17ROCPRIM_400000_NS6detail17trampoline_kernelINS0_14default_configENS1_25partition_config_selectorILNS1_17partition_subalgoE8ExNS0_10empty_typeEbEEZZNS1_14partition_implILS5_8ELb0ES3_jN6thrust23THRUST_200600_302600_NS6detail15normal_iteratorINSA_10device_ptrIxEEEEPS6_PKS6_NS0_5tupleIJSF_S6_EEENSJ_IJSG_SG_EEENS0_18inequality_wrapperINSA_8equal_toIxEEEEPmJS6_EEE10hipError_tPvRmT3_T4_T5_T6_T7_T9_mT8_P12ihipStream_tbDpT10_ENKUlT_T0_E_clISt17integral_constantIbLb1EES19_IbLb0EEEEDaS15_S16_EUlS15_E_NS1_11comp_targetILNS1_3genE5ELNS1_11target_archE942ELNS1_3gpuE9ELNS1_3repE0EEENS1_30default_config_static_selectorELNS0_4arch9wavefront6targetE1EEEvT1_ ; -- Begin function _ZN7rocprim17ROCPRIM_400000_NS6detail17trampoline_kernelINS0_14default_configENS1_25partition_config_selectorILNS1_17partition_subalgoE8ExNS0_10empty_typeEbEEZZNS1_14partition_implILS5_8ELb0ES3_jN6thrust23THRUST_200600_302600_NS6detail15normal_iteratorINSA_10device_ptrIxEEEEPS6_PKS6_NS0_5tupleIJSF_S6_EEENSJ_IJSG_SG_EEENS0_18inequality_wrapperINSA_8equal_toIxEEEEPmJS6_EEE10hipError_tPvRmT3_T4_T5_T6_T7_T9_mT8_P12ihipStream_tbDpT10_ENKUlT_T0_E_clISt17integral_constantIbLb1EES19_IbLb0EEEEDaS15_S16_EUlS15_E_NS1_11comp_targetILNS1_3genE5ELNS1_11target_archE942ELNS1_3gpuE9ELNS1_3repE0EEENS1_30default_config_static_selectorELNS0_4arch9wavefront6targetE1EEEvT1_
	.globl	_ZN7rocprim17ROCPRIM_400000_NS6detail17trampoline_kernelINS0_14default_configENS1_25partition_config_selectorILNS1_17partition_subalgoE8ExNS0_10empty_typeEbEEZZNS1_14partition_implILS5_8ELb0ES3_jN6thrust23THRUST_200600_302600_NS6detail15normal_iteratorINSA_10device_ptrIxEEEEPS6_PKS6_NS0_5tupleIJSF_S6_EEENSJ_IJSG_SG_EEENS0_18inequality_wrapperINSA_8equal_toIxEEEEPmJS6_EEE10hipError_tPvRmT3_T4_T5_T6_T7_T9_mT8_P12ihipStream_tbDpT10_ENKUlT_T0_E_clISt17integral_constantIbLb1EES19_IbLb0EEEEDaS15_S16_EUlS15_E_NS1_11comp_targetILNS1_3genE5ELNS1_11target_archE942ELNS1_3gpuE9ELNS1_3repE0EEENS1_30default_config_static_selectorELNS0_4arch9wavefront6targetE1EEEvT1_
	.p2align	8
	.type	_ZN7rocprim17ROCPRIM_400000_NS6detail17trampoline_kernelINS0_14default_configENS1_25partition_config_selectorILNS1_17partition_subalgoE8ExNS0_10empty_typeEbEEZZNS1_14partition_implILS5_8ELb0ES3_jN6thrust23THRUST_200600_302600_NS6detail15normal_iteratorINSA_10device_ptrIxEEEEPS6_PKS6_NS0_5tupleIJSF_S6_EEENSJ_IJSG_SG_EEENS0_18inequality_wrapperINSA_8equal_toIxEEEEPmJS6_EEE10hipError_tPvRmT3_T4_T5_T6_T7_T9_mT8_P12ihipStream_tbDpT10_ENKUlT_T0_E_clISt17integral_constantIbLb1EES19_IbLb0EEEEDaS15_S16_EUlS15_E_NS1_11comp_targetILNS1_3genE5ELNS1_11target_archE942ELNS1_3gpuE9ELNS1_3repE0EEENS1_30default_config_static_selectorELNS0_4arch9wavefront6targetE1EEEvT1_,@function
_ZN7rocprim17ROCPRIM_400000_NS6detail17trampoline_kernelINS0_14default_configENS1_25partition_config_selectorILNS1_17partition_subalgoE8ExNS0_10empty_typeEbEEZZNS1_14partition_implILS5_8ELb0ES3_jN6thrust23THRUST_200600_302600_NS6detail15normal_iteratorINSA_10device_ptrIxEEEEPS6_PKS6_NS0_5tupleIJSF_S6_EEENSJ_IJSG_SG_EEENS0_18inequality_wrapperINSA_8equal_toIxEEEEPmJS6_EEE10hipError_tPvRmT3_T4_T5_T6_T7_T9_mT8_P12ihipStream_tbDpT10_ENKUlT_T0_E_clISt17integral_constantIbLb1EES19_IbLb0EEEEDaS15_S16_EUlS15_E_NS1_11comp_targetILNS1_3genE5ELNS1_11target_archE942ELNS1_3gpuE9ELNS1_3repE0EEENS1_30default_config_static_selectorELNS0_4arch9wavefront6targetE1EEEvT1_: ; @_ZN7rocprim17ROCPRIM_400000_NS6detail17trampoline_kernelINS0_14default_configENS1_25partition_config_selectorILNS1_17partition_subalgoE8ExNS0_10empty_typeEbEEZZNS1_14partition_implILS5_8ELb0ES3_jN6thrust23THRUST_200600_302600_NS6detail15normal_iteratorINSA_10device_ptrIxEEEEPS6_PKS6_NS0_5tupleIJSF_S6_EEENSJ_IJSG_SG_EEENS0_18inequality_wrapperINSA_8equal_toIxEEEEPmJS6_EEE10hipError_tPvRmT3_T4_T5_T6_T7_T9_mT8_P12ihipStream_tbDpT10_ENKUlT_T0_E_clISt17integral_constantIbLb1EES19_IbLb0EEEEDaS15_S16_EUlS15_E_NS1_11comp_targetILNS1_3genE5ELNS1_11target_archE942ELNS1_3gpuE9ELNS1_3repE0EEENS1_30default_config_static_selectorELNS0_4arch9wavefront6targetE1EEEvT1_
; %bb.0:
	.section	.rodata,"a",@progbits
	.p2align	6, 0x0
	.amdhsa_kernel _ZN7rocprim17ROCPRIM_400000_NS6detail17trampoline_kernelINS0_14default_configENS1_25partition_config_selectorILNS1_17partition_subalgoE8ExNS0_10empty_typeEbEEZZNS1_14partition_implILS5_8ELb0ES3_jN6thrust23THRUST_200600_302600_NS6detail15normal_iteratorINSA_10device_ptrIxEEEEPS6_PKS6_NS0_5tupleIJSF_S6_EEENSJ_IJSG_SG_EEENS0_18inequality_wrapperINSA_8equal_toIxEEEEPmJS6_EEE10hipError_tPvRmT3_T4_T5_T6_T7_T9_mT8_P12ihipStream_tbDpT10_ENKUlT_T0_E_clISt17integral_constantIbLb1EES19_IbLb0EEEEDaS15_S16_EUlS15_E_NS1_11comp_targetILNS1_3genE5ELNS1_11target_archE942ELNS1_3gpuE9ELNS1_3repE0EEENS1_30default_config_static_selectorELNS0_4arch9wavefront6targetE1EEEvT1_
		.amdhsa_group_segment_fixed_size 0
		.amdhsa_private_segment_fixed_size 0
		.amdhsa_kernarg_size 112
		.amdhsa_user_sgpr_count 6
		.amdhsa_user_sgpr_private_segment_buffer 1
		.amdhsa_user_sgpr_dispatch_ptr 0
		.amdhsa_user_sgpr_queue_ptr 0
		.amdhsa_user_sgpr_kernarg_segment_ptr 1
		.amdhsa_user_sgpr_dispatch_id 0
		.amdhsa_user_sgpr_flat_scratch_init 0
		.amdhsa_user_sgpr_private_segment_size 0
		.amdhsa_uses_dynamic_stack 0
		.amdhsa_system_sgpr_private_segment_wavefront_offset 0
		.amdhsa_system_sgpr_workgroup_id_x 1
		.amdhsa_system_sgpr_workgroup_id_y 0
		.amdhsa_system_sgpr_workgroup_id_z 0
		.amdhsa_system_sgpr_workgroup_info 0
		.amdhsa_system_vgpr_workitem_id 0
		.amdhsa_next_free_vgpr 1
		.amdhsa_next_free_sgpr 0
		.amdhsa_reserve_vcc 0
		.amdhsa_reserve_flat_scratch 0
		.amdhsa_float_round_mode_32 0
		.amdhsa_float_round_mode_16_64 0
		.amdhsa_float_denorm_mode_32 3
		.amdhsa_float_denorm_mode_16_64 3
		.amdhsa_dx10_clamp 1
		.amdhsa_ieee_mode 1
		.amdhsa_fp16_overflow 0
		.amdhsa_exception_fp_ieee_invalid_op 0
		.amdhsa_exception_fp_denorm_src 0
		.amdhsa_exception_fp_ieee_div_zero 0
		.amdhsa_exception_fp_ieee_overflow 0
		.amdhsa_exception_fp_ieee_underflow 0
		.amdhsa_exception_fp_ieee_inexact 0
		.amdhsa_exception_int_div_zero 0
	.end_amdhsa_kernel
	.section	.text._ZN7rocprim17ROCPRIM_400000_NS6detail17trampoline_kernelINS0_14default_configENS1_25partition_config_selectorILNS1_17partition_subalgoE8ExNS0_10empty_typeEbEEZZNS1_14partition_implILS5_8ELb0ES3_jN6thrust23THRUST_200600_302600_NS6detail15normal_iteratorINSA_10device_ptrIxEEEEPS6_PKS6_NS0_5tupleIJSF_S6_EEENSJ_IJSG_SG_EEENS0_18inequality_wrapperINSA_8equal_toIxEEEEPmJS6_EEE10hipError_tPvRmT3_T4_T5_T6_T7_T9_mT8_P12ihipStream_tbDpT10_ENKUlT_T0_E_clISt17integral_constantIbLb1EES19_IbLb0EEEEDaS15_S16_EUlS15_E_NS1_11comp_targetILNS1_3genE5ELNS1_11target_archE942ELNS1_3gpuE9ELNS1_3repE0EEENS1_30default_config_static_selectorELNS0_4arch9wavefront6targetE1EEEvT1_,"axG",@progbits,_ZN7rocprim17ROCPRIM_400000_NS6detail17trampoline_kernelINS0_14default_configENS1_25partition_config_selectorILNS1_17partition_subalgoE8ExNS0_10empty_typeEbEEZZNS1_14partition_implILS5_8ELb0ES3_jN6thrust23THRUST_200600_302600_NS6detail15normal_iteratorINSA_10device_ptrIxEEEEPS6_PKS6_NS0_5tupleIJSF_S6_EEENSJ_IJSG_SG_EEENS0_18inequality_wrapperINSA_8equal_toIxEEEEPmJS6_EEE10hipError_tPvRmT3_T4_T5_T6_T7_T9_mT8_P12ihipStream_tbDpT10_ENKUlT_T0_E_clISt17integral_constantIbLb1EES19_IbLb0EEEEDaS15_S16_EUlS15_E_NS1_11comp_targetILNS1_3genE5ELNS1_11target_archE942ELNS1_3gpuE9ELNS1_3repE0EEENS1_30default_config_static_selectorELNS0_4arch9wavefront6targetE1EEEvT1_,comdat
.Lfunc_end357:
	.size	_ZN7rocprim17ROCPRIM_400000_NS6detail17trampoline_kernelINS0_14default_configENS1_25partition_config_selectorILNS1_17partition_subalgoE8ExNS0_10empty_typeEbEEZZNS1_14partition_implILS5_8ELb0ES3_jN6thrust23THRUST_200600_302600_NS6detail15normal_iteratorINSA_10device_ptrIxEEEEPS6_PKS6_NS0_5tupleIJSF_S6_EEENSJ_IJSG_SG_EEENS0_18inequality_wrapperINSA_8equal_toIxEEEEPmJS6_EEE10hipError_tPvRmT3_T4_T5_T6_T7_T9_mT8_P12ihipStream_tbDpT10_ENKUlT_T0_E_clISt17integral_constantIbLb1EES19_IbLb0EEEEDaS15_S16_EUlS15_E_NS1_11comp_targetILNS1_3genE5ELNS1_11target_archE942ELNS1_3gpuE9ELNS1_3repE0EEENS1_30default_config_static_selectorELNS0_4arch9wavefront6targetE1EEEvT1_, .Lfunc_end357-_ZN7rocprim17ROCPRIM_400000_NS6detail17trampoline_kernelINS0_14default_configENS1_25partition_config_selectorILNS1_17partition_subalgoE8ExNS0_10empty_typeEbEEZZNS1_14partition_implILS5_8ELb0ES3_jN6thrust23THRUST_200600_302600_NS6detail15normal_iteratorINSA_10device_ptrIxEEEEPS6_PKS6_NS0_5tupleIJSF_S6_EEENSJ_IJSG_SG_EEENS0_18inequality_wrapperINSA_8equal_toIxEEEEPmJS6_EEE10hipError_tPvRmT3_T4_T5_T6_T7_T9_mT8_P12ihipStream_tbDpT10_ENKUlT_T0_E_clISt17integral_constantIbLb1EES19_IbLb0EEEEDaS15_S16_EUlS15_E_NS1_11comp_targetILNS1_3genE5ELNS1_11target_archE942ELNS1_3gpuE9ELNS1_3repE0EEENS1_30default_config_static_selectorELNS0_4arch9wavefront6targetE1EEEvT1_
                                        ; -- End function
	.set _ZN7rocprim17ROCPRIM_400000_NS6detail17trampoline_kernelINS0_14default_configENS1_25partition_config_selectorILNS1_17partition_subalgoE8ExNS0_10empty_typeEbEEZZNS1_14partition_implILS5_8ELb0ES3_jN6thrust23THRUST_200600_302600_NS6detail15normal_iteratorINSA_10device_ptrIxEEEEPS6_PKS6_NS0_5tupleIJSF_S6_EEENSJ_IJSG_SG_EEENS0_18inequality_wrapperINSA_8equal_toIxEEEEPmJS6_EEE10hipError_tPvRmT3_T4_T5_T6_T7_T9_mT8_P12ihipStream_tbDpT10_ENKUlT_T0_E_clISt17integral_constantIbLb1EES19_IbLb0EEEEDaS15_S16_EUlS15_E_NS1_11comp_targetILNS1_3genE5ELNS1_11target_archE942ELNS1_3gpuE9ELNS1_3repE0EEENS1_30default_config_static_selectorELNS0_4arch9wavefront6targetE1EEEvT1_.num_vgpr, 0
	.set _ZN7rocprim17ROCPRIM_400000_NS6detail17trampoline_kernelINS0_14default_configENS1_25partition_config_selectorILNS1_17partition_subalgoE8ExNS0_10empty_typeEbEEZZNS1_14partition_implILS5_8ELb0ES3_jN6thrust23THRUST_200600_302600_NS6detail15normal_iteratorINSA_10device_ptrIxEEEEPS6_PKS6_NS0_5tupleIJSF_S6_EEENSJ_IJSG_SG_EEENS0_18inequality_wrapperINSA_8equal_toIxEEEEPmJS6_EEE10hipError_tPvRmT3_T4_T5_T6_T7_T9_mT8_P12ihipStream_tbDpT10_ENKUlT_T0_E_clISt17integral_constantIbLb1EES19_IbLb0EEEEDaS15_S16_EUlS15_E_NS1_11comp_targetILNS1_3genE5ELNS1_11target_archE942ELNS1_3gpuE9ELNS1_3repE0EEENS1_30default_config_static_selectorELNS0_4arch9wavefront6targetE1EEEvT1_.num_agpr, 0
	.set _ZN7rocprim17ROCPRIM_400000_NS6detail17trampoline_kernelINS0_14default_configENS1_25partition_config_selectorILNS1_17partition_subalgoE8ExNS0_10empty_typeEbEEZZNS1_14partition_implILS5_8ELb0ES3_jN6thrust23THRUST_200600_302600_NS6detail15normal_iteratorINSA_10device_ptrIxEEEEPS6_PKS6_NS0_5tupleIJSF_S6_EEENSJ_IJSG_SG_EEENS0_18inequality_wrapperINSA_8equal_toIxEEEEPmJS6_EEE10hipError_tPvRmT3_T4_T5_T6_T7_T9_mT8_P12ihipStream_tbDpT10_ENKUlT_T0_E_clISt17integral_constantIbLb1EES19_IbLb0EEEEDaS15_S16_EUlS15_E_NS1_11comp_targetILNS1_3genE5ELNS1_11target_archE942ELNS1_3gpuE9ELNS1_3repE0EEENS1_30default_config_static_selectorELNS0_4arch9wavefront6targetE1EEEvT1_.numbered_sgpr, 0
	.set _ZN7rocprim17ROCPRIM_400000_NS6detail17trampoline_kernelINS0_14default_configENS1_25partition_config_selectorILNS1_17partition_subalgoE8ExNS0_10empty_typeEbEEZZNS1_14partition_implILS5_8ELb0ES3_jN6thrust23THRUST_200600_302600_NS6detail15normal_iteratorINSA_10device_ptrIxEEEEPS6_PKS6_NS0_5tupleIJSF_S6_EEENSJ_IJSG_SG_EEENS0_18inequality_wrapperINSA_8equal_toIxEEEEPmJS6_EEE10hipError_tPvRmT3_T4_T5_T6_T7_T9_mT8_P12ihipStream_tbDpT10_ENKUlT_T0_E_clISt17integral_constantIbLb1EES19_IbLb0EEEEDaS15_S16_EUlS15_E_NS1_11comp_targetILNS1_3genE5ELNS1_11target_archE942ELNS1_3gpuE9ELNS1_3repE0EEENS1_30default_config_static_selectorELNS0_4arch9wavefront6targetE1EEEvT1_.num_named_barrier, 0
	.set _ZN7rocprim17ROCPRIM_400000_NS6detail17trampoline_kernelINS0_14default_configENS1_25partition_config_selectorILNS1_17partition_subalgoE8ExNS0_10empty_typeEbEEZZNS1_14partition_implILS5_8ELb0ES3_jN6thrust23THRUST_200600_302600_NS6detail15normal_iteratorINSA_10device_ptrIxEEEEPS6_PKS6_NS0_5tupleIJSF_S6_EEENSJ_IJSG_SG_EEENS0_18inequality_wrapperINSA_8equal_toIxEEEEPmJS6_EEE10hipError_tPvRmT3_T4_T5_T6_T7_T9_mT8_P12ihipStream_tbDpT10_ENKUlT_T0_E_clISt17integral_constantIbLb1EES19_IbLb0EEEEDaS15_S16_EUlS15_E_NS1_11comp_targetILNS1_3genE5ELNS1_11target_archE942ELNS1_3gpuE9ELNS1_3repE0EEENS1_30default_config_static_selectorELNS0_4arch9wavefront6targetE1EEEvT1_.private_seg_size, 0
	.set _ZN7rocprim17ROCPRIM_400000_NS6detail17trampoline_kernelINS0_14default_configENS1_25partition_config_selectorILNS1_17partition_subalgoE8ExNS0_10empty_typeEbEEZZNS1_14partition_implILS5_8ELb0ES3_jN6thrust23THRUST_200600_302600_NS6detail15normal_iteratorINSA_10device_ptrIxEEEEPS6_PKS6_NS0_5tupleIJSF_S6_EEENSJ_IJSG_SG_EEENS0_18inequality_wrapperINSA_8equal_toIxEEEEPmJS6_EEE10hipError_tPvRmT3_T4_T5_T6_T7_T9_mT8_P12ihipStream_tbDpT10_ENKUlT_T0_E_clISt17integral_constantIbLb1EES19_IbLb0EEEEDaS15_S16_EUlS15_E_NS1_11comp_targetILNS1_3genE5ELNS1_11target_archE942ELNS1_3gpuE9ELNS1_3repE0EEENS1_30default_config_static_selectorELNS0_4arch9wavefront6targetE1EEEvT1_.uses_vcc, 0
	.set _ZN7rocprim17ROCPRIM_400000_NS6detail17trampoline_kernelINS0_14default_configENS1_25partition_config_selectorILNS1_17partition_subalgoE8ExNS0_10empty_typeEbEEZZNS1_14partition_implILS5_8ELb0ES3_jN6thrust23THRUST_200600_302600_NS6detail15normal_iteratorINSA_10device_ptrIxEEEEPS6_PKS6_NS0_5tupleIJSF_S6_EEENSJ_IJSG_SG_EEENS0_18inequality_wrapperINSA_8equal_toIxEEEEPmJS6_EEE10hipError_tPvRmT3_T4_T5_T6_T7_T9_mT8_P12ihipStream_tbDpT10_ENKUlT_T0_E_clISt17integral_constantIbLb1EES19_IbLb0EEEEDaS15_S16_EUlS15_E_NS1_11comp_targetILNS1_3genE5ELNS1_11target_archE942ELNS1_3gpuE9ELNS1_3repE0EEENS1_30default_config_static_selectorELNS0_4arch9wavefront6targetE1EEEvT1_.uses_flat_scratch, 0
	.set _ZN7rocprim17ROCPRIM_400000_NS6detail17trampoline_kernelINS0_14default_configENS1_25partition_config_selectorILNS1_17partition_subalgoE8ExNS0_10empty_typeEbEEZZNS1_14partition_implILS5_8ELb0ES3_jN6thrust23THRUST_200600_302600_NS6detail15normal_iteratorINSA_10device_ptrIxEEEEPS6_PKS6_NS0_5tupleIJSF_S6_EEENSJ_IJSG_SG_EEENS0_18inequality_wrapperINSA_8equal_toIxEEEEPmJS6_EEE10hipError_tPvRmT3_T4_T5_T6_T7_T9_mT8_P12ihipStream_tbDpT10_ENKUlT_T0_E_clISt17integral_constantIbLb1EES19_IbLb0EEEEDaS15_S16_EUlS15_E_NS1_11comp_targetILNS1_3genE5ELNS1_11target_archE942ELNS1_3gpuE9ELNS1_3repE0EEENS1_30default_config_static_selectorELNS0_4arch9wavefront6targetE1EEEvT1_.has_dyn_sized_stack, 0
	.set _ZN7rocprim17ROCPRIM_400000_NS6detail17trampoline_kernelINS0_14default_configENS1_25partition_config_selectorILNS1_17partition_subalgoE8ExNS0_10empty_typeEbEEZZNS1_14partition_implILS5_8ELb0ES3_jN6thrust23THRUST_200600_302600_NS6detail15normal_iteratorINSA_10device_ptrIxEEEEPS6_PKS6_NS0_5tupleIJSF_S6_EEENSJ_IJSG_SG_EEENS0_18inequality_wrapperINSA_8equal_toIxEEEEPmJS6_EEE10hipError_tPvRmT3_T4_T5_T6_T7_T9_mT8_P12ihipStream_tbDpT10_ENKUlT_T0_E_clISt17integral_constantIbLb1EES19_IbLb0EEEEDaS15_S16_EUlS15_E_NS1_11comp_targetILNS1_3genE5ELNS1_11target_archE942ELNS1_3gpuE9ELNS1_3repE0EEENS1_30default_config_static_selectorELNS0_4arch9wavefront6targetE1EEEvT1_.has_recursion, 0
	.set _ZN7rocprim17ROCPRIM_400000_NS6detail17trampoline_kernelINS0_14default_configENS1_25partition_config_selectorILNS1_17partition_subalgoE8ExNS0_10empty_typeEbEEZZNS1_14partition_implILS5_8ELb0ES3_jN6thrust23THRUST_200600_302600_NS6detail15normal_iteratorINSA_10device_ptrIxEEEEPS6_PKS6_NS0_5tupleIJSF_S6_EEENSJ_IJSG_SG_EEENS0_18inequality_wrapperINSA_8equal_toIxEEEEPmJS6_EEE10hipError_tPvRmT3_T4_T5_T6_T7_T9_mT8_P12ihipStream_tbDpT10_ENKUlT_T0_E_clISt17integral_constantIbLb1EES19_IbLb0EEEEDaS15_S16_EUlS15_E_NS1_11comp_targetILNS1_3genE5ELNS1_11target_archE942ELNS1_3gpuE9ELNS1_3repE0EEENS1_30default_config_static_selectorELNS0_4arch9wavefront6targetE1EEEvT1_.has_indirect_call, 0
	.section	.AMDGPU.csdata,"",@progbits
; Kernel info:
; codeLenInByte = 0
; TotalNumSgprs: 4
; NumVgprs: 0
; ScratchSize: 0
; MemoryBound: 0
; FloatMode: 240
; IeeeMode: 1
; LDSByteSize: 0 bytes/workgroup (compile time only)
; SGPRBlocks: 0
; VGPRBlocks: 0
; NumSGPRsForWavesPerEU: 4
; NumVGPRsForWavesPerEU: 1
; Occupancy: 10
; WaveLimiterHint : 0
; COMPUTE_PGM_RSRC2:SCRATCH_EN: 0
; COMPUTE_PGM_RSRC2:USER_SGPR: 6
; COMPUTE_PGM_RSRC2:TRAP_HANDLER: 0
; COMPUTE_PGM_RSRC2:TGID_X_EN: 1
; COMPUTE_PGM_RSRC2:TGID_Y_EN: 0
; COMPUTE_PGM_RSRC2:TGID_Z_EN: 0
; COMPUTE_PGM_RSRC2:TIDIG_COMP_CNT: 0
	.section	.text._ZN7rocprim17ROCPRIM_400000_NS6detail17trampoline_kernelINS0_14default_configENS1_25partition_config_selectorILNS1_17partition_subalgoE8ExNS0_10empty_typeEbEEZZNS1_14partition_implILS5_8ELb0ES3_jN6thrust23THRUST_200600_302600_NS6detail15normal_iteratorINSA_10device_ptrIxEEEEPS6_PKS6_NS0_5tupleIJSF_S6_EEENSJ_IJSG_SG_EEENS0_18inequality_wrapperINSA_8equal_toIxEEEEPmJS6_EEE10hipError_tPvRmT3_T4_T5_T6_T7_T9_mT8_P12ihipStream_tbDpT10_ENKUlT_T0_E_clISt17integral_constantIbLb1EES19_IbLb0EEEEDaS15_S16_EUlS15_E_NS1_11comp_targetILNS1_3genE4ELNS1_11target_archE910ELNS1_3gpuE8ELNS1_3repE0EEENS1_30default_config_static_selectorELNS0_4arch9wavefront6targetE1EEEvT1_,"axG",@progbits,_ZN7rocprim17ROCPRIM_400000_NS6detail17trampoline_kernelINS0_14default_configENS1_25partition_config_selectorILNS1_17partition_subalgoE8ExNS0_10empty_typeEbEEZZNS1_14partition_implILS5_8ELb0ES3_jN6thrust23THRUST_200600_302600_NS6detail15normal_iteratorINSA_10device_ptrIxEEEEPS6_PKS6_NS0_5tupleIJSF_S6_EEENSJ_IJSG_SG_EEENS0_18inequality_wrapperINSA_8equal_toIxEEEEPmJS6_EEE10hipError_tPvRmT3_T4_T5_T6_T7_T9_mT8_P12ihipStream_tbDpT10_ENKUlT_T0_E_clISt17integral_constantIbLb1EES19_IbLb0EEEEDaS15_S16_EUlS15_E_NS1_11comp_targetILNS1_3genE4ELNS1_11target_archE910ELNS1_3gpuE8ELNS1_3repE0EEENS1_30default_config_static_selectorELNS0_4arch9wavefront6targetE1EEEvT1_,comdat
	.protected	_ZN7rocprim17ROCPRIM_400000_NS6detail17trampoline_kernelINS0_14default_configENS1_25partition_config_selectorILNS1_17partition_subalgoE8ExNS0_10empty_typeEbEEZZNS1_14partition_implILS5_8ELb0ES3_jN6thrust23THRUST_200600_302600_NS6detail15normal_iteratorINSA_10device_ptrIxEEEEPS6_PKS6_NS0_5tupleIJSF_S6_EEENSJ_IJSG_SG_EEENS0_18inequality_wrapperINSA_8equal_toIxEEEEPmJS6_EEE10hipError_tPvRmT3_T4_T5_T6_T7_T9_mT8_P12ihipStream_tbDpT10_ENKUlT_T0_E_clISt17integral_constantIbLb1EES19_IbLb0EEEEDaS15_S16_EUlS15_E_NS1_11comp_targetILNS1_3genE4ELNS1_11target_archE910ELNS1_3gpuE8ELNS1_3repE0EEENS1_30default_config_static_selectorELNS0_4arch9wavefront6targetE1EEEvT1_ ; -- Begin function _ZN7rocprim17ROCPRIM_400000_NS6detail17trampoline_kernelINS0_14default_configENS1_25partition_config_selectorILNS1_17partition_subalgoE8ExNS0_10empty_typeEbEEZZNS1_14partition_implILS5_8ELb0ES3_jN6thrust23THRUST_200600_302600_NS6detail15normal_iteratorINSA_10device_ptrIxEEEEPS6_PKS6_NS0_5tupleIJSF_S6_EEENSJ_IJSG_SG_EEENS0_18inequality_wrapperINSA_8equal_toIxEEEEPmJS6_EEE10hipError_tPvRmT3_T4_T5_T6_T7_T9_mT8_P12ihipStream_tbDpT10_ENKUlT_T0_E_clISt17integral_constantIbLb1EES19_IbLb0EEEEDaS15_S16_EUlS15_E_NS1_11comp_targetILNS1_3genE4ELNS1_11target_archE910ELNS1_3gpuE8ELNS1_3repE0EEENS1_30default_config_static_selectorELNS0_4arch9wavefront6targetE1EEEvT1_
	.globl	_ZN7rocprim17ROCPRIM_400000_NS6detail17trampoline_kernelINS0_14default_configENS1_25partition_config_selectorILNS1_17partition_subalgoE8ExNS0_10empty_typeEbEEZZNS1_14partition_implILS5_8ELb0ES3_jN6thrust23THRUST_200600_302600_NS6detail15normal_iteratorINSA_10device_ptrIxEEEEPS6_PKS6_NS0_5tupleIJSF_S6_EEENSJ_IJSG_SG_EEENS0_18inequality_wrapperINSA_8equal_toIxEEEEPmJS6_EEE10hipError_tPvRmT3_T4_T5_T6_T7_T9_mT8_P12ihipStream_tbDpT10_ENKUlT_T0_E_clISt17integral_constantIbLb1EES19_IbLb0EEEEDaS15_S16_EUlS15_E_NS1_11comp_targetILNS1_3genE4ELNS1_11target_archE910ELNS1_3gpuE8ELNS1_3repE0EEENS1_30default_config_static_selectorELNS0_4arch9wavefront6targetE1EEEvT1_
	.p2align	8
	.type	_ZN7rocprim17ROCPRIM_400000_NS6detail17trampoline_kernelINS0_14default_configENS1_25partition_config_selectorILNS1_17partition_subalgoE8ExNS0_10empty_typeEbEEZZNS1_14partition_implILS5_8ELb0ES3_jN6thrust23THRUST_200600_302600_NS6detail15normal_iteratorINSA_10device_ptrIxEEEEPS6_PKS6_NS0_5tupleIJSF_S6_EEENSJ_IJSG_SG_EEENS0_18inequality_wrapperINSA_8equal_toIxEEEEPmJS6_EEE10hipError_tPvRmT3_T4_T5_T6_T7_T9_mT8_P12ihipStream_tbDpT10_ENKUlT_T0_E_clISt17integral_constantIbLb1EES19_IbLb0EEEEDaS15_S16_EUlS15_E_NS1_11comp_targetILNS1_3genE4ELNS1_11target_archE910ELNS1_3gpuE8ELNS1_3repE0EEENS1_30default_config_static_selectorELNS0_4arch9wavefront6targetE1EEEvT1_,@function
_ZN7rocprim17ROCPRIM_400000_NS6detail17trampoline_kernelINS0_14default_configENS1_25partition_config_selectorILNS1_17partition_subalgoE8ExNS0_10empty_typeEbEEZZNS1_14partition_implILS5_8ELb0ES3_jN6thrust23THRUST_200600_302600_NS6detail15normal_iteratorINSA_10device_ptrIxEEEEPS6_PKS6_NS0_5tupleIJSF_S6_EEENSJ_IJSG_SG_EEENS0_18inequality_wrapperINSA_8equal_toIxEEEEPmJS6_EEE10hipError_tPvRmT3_T4_T5_T6_T7_T9_mT8_P12ihipStream_tbDpT10_ENKUlT_T0_E_clISt17integral_constantIbLb1EES19_IbLb0EEEEDaS15_S16_EUlS15_E_NS1_11comp_targetILNS1_3genE4ELNS1_11target_archE910ELNS1_3gpuE8ELNS1_3repE0EEENS1_30default_config_static_selectorELNS0_4arch9wavefront6targetE1EEEvT1_: ; @_ZN7rocprim17ROCPRIM_400000_NS6detail17trampoline_kernelINS0_14default_configENS1_25partition_config_selectorILNS1_17partition_subalgoE8ExNS0_10empty_typeEbEEZZNS1_14partition_implILS5_8ELb0ES3_jN6thrust23THRUST_200600_302600_NS6detail15normal_iteratorINSA_10device_ptrIxEEEEPS6_PKS6_NS0_5tupleIJSF_S6_EEENSJ_IJSG_SG_EEENS0_18inequality_wrapperINSA_8equal_toIxEEEEPmJS6_EEE10hipError_tPvRmT3_T4_T5_T6_T7_T9_mT8_P12ihipStream_tbDpT10_ENKUlT_T0_E_clISt17integral_constantIbLb1EES19_IbLb0EEEEDaS15_S16_EUlS15_E_NS1_11comp_targetILNS1_3genE4ELNS1_11target_archE910ELNS1_3gpuE8ELNS1_3repE0EEENS1_30default_config_static_selectorELNS0_4arch9wavefront6targetE1EEEvT1_
; %bb.0:
	.section	.rodata,"a",@progbits
	.p2align	6, 0x0
	.amdhsa_kernel _ZN7rocprim17ROCPRIM_400000_NS6detail17trampoline_kernelINS0_14default_configENS1_25partition_config_selectorILNS1_17partition_subalgoE8ExNS0_10empty_typeEbEEZZNS1_14partition_implILS5_8ELb0ES3_jN6thrust23THRUST_200600_302600_NS6detail15normal_iteratorINSA_10device_ptrIxEEEEPS6_PKS6_NS0_5tupleIJSF_S6_EEENSJ_IJSG_SG_EEENS0_18inequality_wrapperINSA_8equal_toIxEEEEPmJS6_EEE10hipError_tPvRmT3_T4_T5_T6_T7_T9_mT8_P12ihipStream_tbDpT10_ENKUlT_T0_E_clISt17integral_constantIbLb1EES19_IbLb0EEEEDaS15_S16_EUlS15_E_NS1_11comp_targetILNS1_3genE4ELNS1_11target_archE910ELNS1_3gpuE8ELNS1_3repE0EEENS1_30default_config_static_selectorELNS0_4arch9wavefront6targetE1EEEvT1_
		.amdhsa_group_segment_fixed_size 0
		.amdhsa_private_segment_fixed_size 0
		.amdhsa_kernarg_size 112
		.amdhsa_user_sgpr_count 6
		.amdhsa_user_sgpr_private_segment_buffer 1
		.amdhsa_user_sgpr_dispatch_ptr 0
		.amdhsa_user_sgpr_queue_ptr 0
		.amdhsa_user_sgpr_kernarg_segment_ptr 1
		.amdhsa_user_sgpr_dispatch_id 0
		.amdhsa_user_sgpr_flat_scratch_init 0
		.amdhsa_user_sgpr_private_segment_size 0
		.amdhsa_uses_dynamic_stack 0
		.amdhsa_system_sgpr_private_segment_wavefront_offset 0
		.amdhsa_system_sgpr_workgroup_id_x 1
		.amdhsa_system_sgpr_workgroup_id_y 0
		.amdhsa_system_sgpr_workgroup_id_z 0
		.amdhsa_system_sgpr_workgroup_info 0
		.amdhsa_system_vgpr_workitem_id 0
		.amdhsa_next_free_vgpr 1
		.amdhsa_next_free_sgpr 0
		.amdhsa_reserve_vcc 0
		.amdhsa_reserve_flat_scratch 0
		.amdhsa_float_round_mode_32 0
		.amdhsa_float_round_mode_16_64 0
		.amdhsa_float_denorm_mode_32 3
		.amdhsa_float_denorm_mode_16_64 3
		.amdhsa_dx10_clamp 1
		.amdhsa_ieee_mode 1
		.amdhsa_fp16_overflow 0
		.amdhsa_exception_fp_ieee_invalid_op 0
		.amdhsa_exception_fp_denorm_src 0
		.amdhsa_exception_fp_ieee_div_zero 0
		.amdhsa_exception_fp_ieee_overflow 0
		.amdhsa_exception_fp_ieee_underflow 0
		.amdhsa_exception_fp_ieee_inexact 0
		.amdhsa_exception_int_div_zero 0
	.end_amdhsa_kernel
	.section	.text._ZN7rocprim17ROCPRIM_400000_NS6detail17trampoline_kernelINS0_14default_configENS1_25partition_config_selectorILNS1_17partition_subalgoE8ExNS0_10empty_typeEbEEZZNS1_14partition_implILS5_8ELb0ES3_jN6thrust23THRUST_200600_302600_NS6detail15normal_iteratorINSA_10device_ptrIxEEEEPS6_PKS6_NS0_5tupleIJSF_S6_EEENSJ_IJSG_SG_EEENS0_18inequality_wrapperINSA_8equal_toIxEEEEPmJS6_EEE10hipError_tPvRmT3_T4_T5_T6_T7_T9_mT8_P12ihipStream_tbDpT10_ENKUlT_T0_E_clISt17integral_constantIbLb1EES19_IbLb0EEEEDaS15_S16_EUlS15_E_NS1_11comp_targetILNS1_3genE4ELNS1_11target_archE910ELNS1_3gpuE8ELNS1_3repE0EEENS1_30default_config_static_selectorELNS0_4arch9wavefront6targetE1EEEvT1_,"axG",@progbits,_ZN7rocprim17ROCPRIM_400000_NS6detail17trampoline_kernelINS0_14default_configENS1_25partition_config_selectorILNS1_17partition_subalgoE8ExNS0_10empty_typeEbEEZZNS1_14partition_implILS5_8ELb0ES3_jN6thrust23THRUST_200600_302600_NS6detail15normal_iteratorINSA_10device_ptrIxEEEEPS6_PKS6_NS0_5tupleIJSF_S6_EEENSJ_IJSG_SG_EEENS0_18inequality_wrapperINSA_8equal_toIxEEEEPmJS6_EEE10hipError_tPvRmT3_T4_T5_T6_T7_T9_mT8_P12ihipStream_tbDpT10_ENKUlT_T0_E_clISt17integral_constantIbLb1EES19_IbLb0EEEEDaS15_S16_EUlS15_E_NS1_11comp_targetILNS1_3genE4ELNS1_11target_archE910ELNS1_3gpuE8ELNS1_3repE0EEENS1_30default_config_static_selectorELNS0_4arch9wavefront6targetE1EEEvT1_,comdat
.Lfunc_end358:
	.size	_ZN7rocprim17ROCPRIM_400000_NS6detail17trampoline_kernelINS0_14default_configENS1_25partition_config_selectorILNS1_17partition_subalgoE8ExNS0_10empty_typeEbEEZZNS1_14partition_implILS5_8ELb0ES3_jN6thrust23THRUST_200600_302600_NS6detail15normal_iteratorINSA_10device_ptrIxEEEEPS6_PKS6_NS0_5tupleIJSF_S6_EEENSJ_IJSG_SG_EEENS0_18inequality_wrapperINSA_8equal_toIxEEEEPmJS6_EEE10hipError_tPvRmT3_T4_T5_T6_T7_T9_mT8_P12ihipStream_tbDpT10_ENKUlT_T0_E_clISt17integral_constantIbLb1EES19_IbLb0EEEEDaS15_S16_EUlS15_E_NS1_11comp_targetILNS1_3genE4ELNS1_11target_archE910ELNS1_3gpuE8ELNS1_3repE0EEENS1_30default_config_static_selectorELNS0_4arch9wavefront6targetE1EEEvT1_, .Lfunc_end358-_ZN7rocprim17ROCPRIM_400000_NS6detail17trampoline_kernelINS0_14default_configENS1_25partition_config_selectorILNS1_17partition_subalgoE8ExNS0_10empty_typeEbEEZZNS1_14partition_implILS5_8ELb0ES3_jN6thrust23THRUST_200600_302600_NS6detail15normal_iteratorINSA_10device_ptrIxEEEEPS6_PKS6_NS0_5tupleIJSF_S6_EEENSJ_IJSG_SG_EEENS0_18inequality_wrapperINSA_8equal_toIxEEEEPmJS6_EEE10hipError_tPvRmT3_T4_T5_T6_T7_T9_mT8_P12ihipStream_tbDpT10_ENKUlT_T0_E_clISt17integral_constantIbLb1EES19_IbLb0EEEEDaS15_S16_EUlS15_E_NS1_11comp_targetILNS1_3genE4ELNS1_11target_archE910ELNS1_3gpuE8ELNS1_3repE0EEENS1_30default_config_static_selectorELNS0_4arch9wavefront6targetE1EEEvT1_
                                        ; -- End function
	.set _ZN7rocprim17ROCPRIM_400000_NS6detail17trampoline_kernelINS0_14default_configENS1_25partition_config_selectorILNS1_17partition_subalgoE8ExNS0_10empty_typeEbEEZZNS1_14partition_implILS5_8ELb0ES3_jN6thrust23THRUST_200600_302600_NS6detail15normal_iteratorINSA_10device_ptrIxEEEEPS6_PKS6_NS0_5tupleIJSF_S6_EEENSJ_IJSG_SG_EEENS0_18inequality_wrapperINSA_8equal_toIxEEEEPmJS6_EEE10hipError_tPvRmT3_T4_T5_T6_T7_T9_mT8_P12ihipStream_tbDpT10_ENKUlT_T0_E_clISt17integral_constantIbLb1EES19_IbLb0EEEEDaS15_S16_EUlS15_E_NS1_11comp_targetILNS1_3genE4ELNS1_11target_archE910ELNS1_3gpuE8ELNS1_3repE0EEENS1_30default_config_static_selectorELNS0_4arch9wavefront6targetE1EEEvT1_.num_vgpr, 0
	.set _ZN7rocprim17ROCPRIM_400000_NS6detail17trampoline_kernelINS0_14default_configENS1_25partition_config_selectorILNS1_17partition_subalgoE8ExNS0_10empty_typeEbEEZZNS1_14partition_implILS5_8ELb0ES3_jN6thrust23THRUST_200600_302600_NS6detail15normal_iteratorINSA_10device_ptrIxEEEEPS6_PKS6_NS0_5tupleIJSF_S6_EEENSJ_IJSG_SG_EEENS0_18inequality_wrapperINSA_8equal_toIxEEEEPmJS6_EEE10hipError_tPvRmT3_T4_T5_T6_T7_T9_mT8_P12ihipStream_tbDpT10_ENKUlT_T0_E_clISt17integral_constantIbLb1EES19_IbLb0EEEEDaS15_S16_EUlS15_E_NS1_11comp_targetILNS1_3genE4ELNS1_11target_archE910ELNS1_3gpuE8ELNS1_3repE0EEENS1_30default_config_static_selectorELNS0_4arch9wavefront6targetE1EEEvT1_.num_agpr, 0
	.set _ZN7rocprim17ROCPRIM_400000_NS6detail17trampoline_kernelINS0_14default_configENS1_25partition_config_selectorILNS1_17partition_subalgoE8ExNS0_10empty_typeEbEEZZNS1_14partition_implILS5_8ELb0ES3_jN6thrust23THRUST_200600_302600_NS6detail15normal_iteratorINSA_10device_ptrIxEEEEPS6_PKS6_NS0_5tupleIJSF_S6_EEENSJ_IJSG_SG_EEENS0_18inequality_wrapperINSA_8equal_toIxEEEEPmJS6_EEE10hipError_tPvRmT3_T4_T5_T6_T7_T9_mT8_P12ihipStream_tbDpT10_ENKUlT_T0_E_clISt17integral_constantIbLb1EES19_IbLb0EEEEDaS15_S16_EUlS15_E_NS1_11comp_targetILNS1_3genE4ELNS1_11target_archE910ELNS1_3gpuE8ELNS1_3repE0EEENS1_30default_config_static_selectorELNS0_4arch9wavefront6targetE1EEEvT1_.numbered_sgpr, 0
	.set _ZN7rocprim17ROCPRIM_400000_NS6detail17trampoline_kernelINS0_14default_configENS1_25partition_config_selectorILNS1_17partition_subalgoE8ExNS0_10empty_typeEbEEZZNS1_14partition_implILS5_8ELb0ES3_jN6thrust23THRUST_200600_302600_NS6detail15normal_iteratorINSA_10device_ptrIxEEEEPS6_PKS6_NS0_5tupleIJSF_S6_EEENSJ_IJSG_SG_EEENS0_18inequality_wrapperINSA_8equal_toIxEEEEPmJS6_EEE10hipError_tPvRmT3_T4_T5_T6_T7_T9_mT8_P12ihipStream_tbDpT10_ENKUlT_T0_E_clISt17integral_constantIbLb1EES19_IbLb0EEEEDaS15_S16_EUlS15_E_NS1_11comp_targetILNS1_3genE4ELNS1_11target_archE910ELNS1_3gpuE8ELNS1_3repE0EEENS1_30default_config_static_selectorELNS0_4arch9wavefront6targetE1EEEvT1_.num_named_barrier, 0
	.set _ZN7rocprim17ROCPRIM_400000_NS6detail17trampoline_kernelINS0_14default_configENS1_25partition_config_selectorILNS1_17partition_subalgoE8ExNS0_10empty_typeEbEEZZNS1_14partition_implILS5_8ELb0ES3_jN6thrust23THRUST_200600_302600_NS6detail15normal_iteratorINSA_10device_ptrIxEEEEPS6_PKS6_NS0_5tupleIJSF_S6_EEENSJ_IJSG_SG_EEENS0_18inequality_wrapperINSA_8equal_toIxEEEEPmJS6_EEE10hipError_tPvRmT3_T4_T5_T6_T7_T9_mT8_P12ihipStream_tbDpT10_ENKUlT_T0_E_clISt17integral_constantIbLb1EES19_IbLb0EEEEDaS15_S16_EUlS15_E_NS1_11comp_targetILNS1_3genE4ELNS1_11target_archE910ELNS1_3gpuE8ELNS1_3repE0EEENS1_30default_config_static_selectorELNS0_4arch9wavefront6targetE1EEEvT1_.private_seg_size, 0
	.set _ZN7rocprim17ROCPRIM_400000_NS6detail17trampoline_kernelINS0_14default_configENS1_25partition_config_selectorILNS1_17partition_subalgoE8ExNS0_10empty_typeEbEEZZNS1_14partition_implILS5_8ELb0ES3_jN6thrust23THRUST_200600_302600_NS6detail15normal_iteratorINSA_10device_ptrIxEEEEPS6_PKS6_NS0_5tupleIJSF_S6_EEENSJ_IJSG_SG_EEENS0_18inequality_wrapperINSA_8equal_toIxEEEEPmJS6_EEE10hipError_tPvRmT3_T4_T5_T6_T7_T9_mT8_P12ihipStream_tbDpT10_ENKUlT_T0_E_clISt17integral_constantIbLb1EES19_IbLb0EEEEDaS15_S16_EUlS15_E_NS1_11comp_targetILNS1_3genE4ELNS1_11target_archE910ELNS1_3gpuE8ELNS1_3repE0EEENS1_30default_config_static_selectorELNS0_4arch9wavefront6targetE1EEEvT1_.uses_vcc, 0
	.set _ZN7rocprim17ROCPRIM_400000_NS6detail17trampoline_kernelINS0_14default_configENS1_25partition_config_selectorILNS1_17partition_subalgoE8ExNS0_10empty_typeEbEEZZNS1_14partition_implILS5_8ELb0ES3_jN6thrust23THRUST_200600_302600_NS6detail15normal_iteratorINSA_10device_ptrIxEEEEPS6_PKS6_NS0_5tupleIJSF_S6_EEENSJ_IJSG_SG_EEENS0_18inequality_wrapperINSA_8equal_toIxEEEEPmJS6_EEE10hipError_tPvRmT3_T4_T5_T6_T7_T9_mT8_P12ihipStream_tbDpT10_ENKUlT_T0_E_clISt17integral_constantIbLb1EES19_IbLb0EEEEDaS15_S16_EUlS15_E_NS1_11comp_targetILNS1_3genE4ELNS1_11target_archE910ELNS1_3gpuE8ELNS1_3repE0EEENS1_30default_config_static_selectorELNS0_4arch9wavefront6targetE1EEEvT1_.uses_flat_scratch, 0
	.set _ZN7rocprim17ROCPRIM_400000_NS6detail17trampoline_kernelINS0_14default_configENS1_25partition_config_selectorILNS1_17partition_subalgoE8ExNS0_10empty_typeEbEEZZNS1_14partition_implILS5_8ELb0ES3_jN6thrust23THRUST_200600_302600_NS6detail15normal_iteratorINSA_10device_ptrIxEEEEPS6_PKS6_NS0_5tupleIJSF_S6_EEENSJ_IJSG_SG_EEENS0_18inequality_wrapperINSA_8equal_toIxEEEEPmJS6_EEE10hipError_tPvRmT3_T4_T5_T6_T7_T9_mT8_P12ihipStream_tbDpT10_ENKUlT_T0_E_clISt17integral_constantIbLb1EES19_IbLb0EEEEDaS15_S16_EUlS15_E_NS1_11comp_targetILNS1_3genE4ELNS1_11target_archE910ELNS1_3gpuE8ELNS1_3repE0EEENS1_30default_config_static_selectorELNS0_4arch9wavefront6targetE1EEEvT1_.has_dyn_sized_stack, 0
	.set _ZN7rocprim17ROCPRIM_400000_NS6detail17trampoline_kernelINS0_14default_configENS1_25partition_config_selectorILNS1_17partition_subalgoE8ExNS0_10empty_typeEbEEZZNS1_14partition_implILS5_8ELb0ES3_jN6thrust23THRUST_200600_302600_NS6detail15normal_iteratorINSA_10device_ptrIxEEEEPS6_PKS6_NS0_5tupleIJSF_S6_EEENSJ_IJSG_SG_EEENS0_18inequality_wrapperINSA_8equal_toIxEEEEPmJS6_EEE10hipError_tPvRmT3_T4_T5_T6_T7_T9_mT8_P12ihipStream_tbDpT10_ENKUlT_T0_E_clISt17integral_constantIbLb1EES19_IbLb0EEEEDaS15_S16_EUlS15_E_NS1_11comp_targetILNS1_3genE4ELNS1_11target_archE910ELNS1_3gpuE8ELNS1_3repE0EEENS1_30default_config_static_selectorELNS0_4arch9wavefront6targetE1EEEvT1_.has_recursion, 0
	.set _ZN7rocprim17ROCPRIM_400000_NS6detail17trampoline_kernelINS0_14default_configENS1_25partition_config_selectorILNS1_17partition_subalgoE8ExNS0_10empty_typeEbEEZZNS1_14partition_implILS5_8ELb0ES3_jN6thrust23THRUST_200600_302600_NS6detail15normal_iteratorINSA_10device_ptrIxEEEEPS6_PKS6_NS0_5tupleIJSF_S6_EEENSJ_IJSG_SG_EEENS0_18inequality_wrapperINSA_8equal_toIxEEEEPmJS6_EEE10hipError_tPvRmT3_T4_T5_T6_T7_T9_mT8_P12ihipStream_tbDpT10_ENKUlT_T0_E_clISt17integral_constantIbLb1EES19_IbLb0EEEEDaS15_S16_EUlS15_E_NS1_11comp_targetILNS1_3genE4ELNS1_11target_archE910ELNS1_3gpuE8ELNS1_3repE0EEENS1_30default_config_static_selectorELNS0_4arch9wavefront6targetE1EEEvT1_.has_indirect_call, 0
	.section	.AMDGPU.csdata,"",@progbits
; Kernel info:
; codeLenInByte = 0
; TotalNumSgprs: 4
; NumVgprs: 0
; ScratchSize: 0
; MemoryBound: 0
; FloatMode: 240
; IeeeMode: 1
; LDSByteSize: 0 bytes/workgroup (compile time only)
; SGPRBlocks: 0
; VGPRBlocks: 0
; NumSGPRsForWavesPerEU: 4
; NumVGPRsForWavesPerEU: 1
; Occupancy: 10
; WaveLimiterHint : 0
; COMPUTE_PGM_RSRC2:SCRATCH_EN: 0
; COMPUTE_PGM_RSRC2:USER_SGPR: 6
; COMPUTE_PGM_RSRC2:TRAP_HANDLER: 0
; COMPUTE_PGM_RSRC2:TGID_X_EN: 1
; COMPUTE_PGM_RSRC2:TGID_Y_EN: 0
; COMPUTE_PGM_RSRC2:TGID_Z_EN: 0
; COMPUTE_PGM_RSRC2:TIDIG_COMP_CNT: 0
	.section	.text._ZN7rocprim17ROCPRIM_400000_NS6detail17trampoline_kernelINS0_14default_configENS1_25partition_config_selectorILNS1_17partition_subalgoE8ExNS0_10empty_typeEbEEZZNS1_14partition_implILS5_8ELb0ES3_jN6thrust23THRUST_200600_302600_NS6detail15normal_iteratorINSA_10device_ptrIxEEEEPS6_PKS6_NS0_5tupleIJSF_S6_EEENSJ_IJSG_SG_EEENS0_18inequality_wrapperINSA_8equal_toIxEEEEPmJS6_EEE10hipError_tPvRmT3_T4_T5_T6_T7_T9_mT8_P12ihipStream_tbDpT10_ENKUlT_T0_E_clISt17integral_constantIbLb1EES19_IbLb0EEEEDaS15_S16_EUlS15_E_NS1_11comp_targetILNS1_3genE3ELNS1_11target_archE908ELNS1_3gpuE7ELNS1_3repE0EEENS1_30default_config_static_selectorELNS0_4arch9wavefront6targetE1EEEvT1_,"axG",@progbits,_ZN7rocprim17ROCPRIM_400000_NS6detail17trampoline_kernelINS0_14default_configENS1_25partition_config_selectorILNS1_17partition_subalgoE8ExNS0_10empty_typeEbEEZZNS1_14partition_implILS5_8ELb0ES3_jN6thrust23THRUST_200600_302600_NS6detail15normal_iteratorINSA_10device_ptrIxEEEEPS6_PKS6_NS0_5tupleIJSF_S6_EEENSJ_IJSG_SG_EEENS0_18inequality_wrapperINSA_8equal_toIxEEEEPmJS6_EEE10hipError_tPvRmT3_T4_T5_T6_T7_T9_mT8_P12ihipStream_tbDpT10_ENKUlT_T0_E_clISt17integral_constantIbLb1EES19_IbLb0EEEEDaS15_S16_EUlS15_E_NS1_11comp_targetILNS1_3genE3ELNS1_11target_archE908ELNS1_3gpuE7ELNS1_3repE0EEENS1_30default_config_static_selectorELNS0_4arch9wavefront6targetE1EEEvT1_,comdat
	.protected	_ZN7rocprim17ROCPRIM_400000_NS6detail17trampoline_kernelINS0_14default_configENS1_25partition_config_selectorILNS1_17partition_subalgoE8ExNS0_10empty_typeEbEEZZNS1_14partition_implILS5_8ELb0ES3_jN6thrust23THRUST_200600_302600_NS6detail15normal_iteratorINSA_10device_ptrIxEEEEPS6_PKS6_NS0_5tupleIJSF_S6_EEENSJ_IJSG_SG_EEENS0_18inequality_wrapperINSA_8equal_toIxEEEEPmJS6_EEE10hipError_tPvRmT3_T4_T5_T6_T7_T9_mT8_P12ihipStream_tbDpT10_ENKUlT_T0_E_clISt17integral_constantIbLb1EES19_IbLb0EEEEDaS15_S16_EUlS15_E_NS1_11comp_targetILNS1_3genE3ELNS1_11target_archE908ELNS1_3gpuE7ELNS1_3repE0EEENS1_30default_config_static_selectorELNS0_4arch9wavefront6targetE1EEEvT1_ ; -- Begin function _ZN7rocprim17ROCPRIM_400000_NS6detail17trampoline_kernelINS0_14default_configENS1_25partition_config_selectorILNS1_17partition_subalgoE8ExNS0_10empty_typeEbEEZZNS1_14partition_implILS5_8ELb0ES3_jN6thrust23THRUST_200600_302600_NS6detail15normal_iteratorINSA_10device_ptrIxEEEEPS6_PKS6_NS0_5tupleIJSF_S6_EEENSJ_IJSG_SG_EEENS0_18inequality_wrapperINSA_8equal_toIxEEEEPmJS6_EEE10hipError_tPvRmT3_T4_T5_T6_T7_T9_mT8_P12ihipStream_tbDpT10_ENKUlT_T0_E_clISt17integral_constantIbLb1EES19_IbLb0EEEEDaS15_S16_EUlS15_E_NS1_11comp_targetILNS1_3genE3ELNS1_11target_archE908ELNS1_3gpuE7ELNS1_3repE0EEENS1_30default_config_static_selectorELNS0_4arch9wavefront6targetE1EEEvT1_
	.globl	_ZN7rocprim17ROCPRIM_400000_NS6detail17trampoline_kernelINS0_14default_configENS1_25partition_config_selectorILNS1_17partition_subalgoE8ExNS0_10empty_typeEbEEZZNS1_14partition_implILS5_8ELb0ES3_jN6thrust23THRUST_200600_302600_NS6detail15normal_iteratorINSA_10device_ptrIxEEEEPS6_PKS6_NS0_5tupleIJSF_S6_EEENSJ_IJSG_SG_EEENS0_18inequality_wrapperINSA_8equal_toIxEEEEPmJS6_EEE10hipError_tPvRmT3_T4_T5_T6_T7_T9_mT8_P12ihipStream_tbDpT10_ENKUlT_T0_E_clISt17integral_constantIbLb1EES19_IbLb0EEEEDaS15_S16_EUlS15_E_NS1_11comp_targetILNS1_3genE3ELNS1_11target_archE908ELNS1_3gpuE7ELNS1_3repE0EEENS1_30default_config_static_selectorELNS0_4arch9wavefront6targetE1EEEvT1_
	.p2align	8
	.type	_ZN7rocprim17ROCPRIM_400000_NS6detail17trampoline_kernelINS0_14default_configENS1_25partition_config_selectorILNS1_17partition_subalgoE8ExNS0_10empty_typeEbEEZZNS1_14partition_implILS5_8ELb0ES3_jN6thrust23THRUST_200600_302600_NS6detail15normal_iteratorINSA_10device_ptrIxEEEEPS6_PKS6_NS0_5tupleIJSF_S6_EEENSJ_IJSG_SG_EEENS0_18inequality_wrapperINSA_8equal_toIxEEEEPmJS6_EEE10hipError_tPvRmT3_T4_T5_T6_T7_T9_mT8_P12ihipStream_tbDpT10_ENKUlT_T0_E_clISt17integral_constantIbLb1EES19_IbLb0EEEEDaS15_S16_EUlS15_E_NS1_11comp_targetILNS1_3genE3ELNS1_11target_archE908ELNS1_3gpuE7ELNS1_3repE0EEENS1_30default_config_static_selectorELNS0_4arch9wavefront6targetE1EEEvT1_,@function
_ZN7rocprim17ROCPRIM_400000_NS6detail17trampoline_kernelINS0_14default_configENS1_25partition_config_selectorILNS1_17partition_subalgoE8ExNS0_10empty_typeEbEEZZNS1_14partition_implILS5_8ELb0ES3_jN6thrust23THRUST_200600_302600_NS6detail15normal_iteratorINSA_10device_ptrIxEEEEPS6_PKS6_NS0_5tupleIJSF_S6_EEENSJ_IJSG_SG_EEENS0_18inequality_wrapperINSA_8equal_toIxEEEEPmJS6_EEE10hipError_tPvRmT3_T4_T5_T6_T7_T9_mT8_P12ihipStream_tbDpT10_ENKUlT_T0_E_clISt17integral_constantIbLb1EES19_IbLb0EEEEDaS15_S16_EUlS15_E_NS1_11comp_targetILNS1_3genE3ELNS1_11target_archE908ELNS1_3gpuE7ELNS1_3repE0EEENS1_30default_config_static_selectorELNS0_4arch9wavefront6targetE1EEEvT1_: ; @_ZN7rocprim17ROCPRIM_400000_NS6detail17trampoline_kernelINS0_14default_configENS1_25partition_config_selectorILNS1_17partition_subalgoE8ExNS0_10empty_typeEbEEZZNS1_14partition_implILS5_8ELb0ES3_jN6thrust23THRUST_200600_302600_NS6detail15normal_iteratorINSA_10device_ptrIxEEEEPS6_PKS6_NS0_5tupleIJSF_S6_EEENSJ_IJSG_SG_EEENS0_18inequality_wrapperINSA_8equal_toIxEEEEPmJS6_EEE10hipError_tPvRmT3_T4_T5_T6_T7_T9_mT8_P12ihipStream_tbDpT10_ENKUlT_T0_E_clISt17integral_constantIbLb1EES19_IbLb0EEEEDaS15_S16_EUlS15_E_NS1_11comp_targetILNS1_3genE3ELNS1_11target_archE908ELNS1_3gpuE7ELNS1_3repE0EEENS1_30default_config_static_selectorELNS0_4arch9wavefront6targetE1EEEvT1_
; %bb.0:
	.section	.rodata,"a",@progbits
	.p2align	6, 0x0
	.amdhsa_kernel _ZN7rocprim17ROCPRIM_400000_NS6detail17trampoline_kernelINS0_14default_configENS1_25partition_config_selectorILNS1_17partition_subalgoE8ExNS0_10empty_typeEbEEZZNS1_14partition_implILS5_8ELb0ES3_jN6thrust23THRUST_200600_302600_NS6detail15normal_iteratorINSA_10device_ptrIxEEEEPS6_PKS6_NS0_5tupleIJSF_S6_EEENSJ_IJSG_SG_EEENS0_18inequality_wrapperINSA_8equal_toIxEEEEPmJS6_EEE10hipError_tPvRmT3_T4_T5_T6_T7_T9_mT8_P12ihipStream_tbDpT10_ENKUlT_T0_E_clISt17integral_constantIbLb1EES19_IbLb0EEEEDaS15_S16_EUlS15_E_NS1_11comp_targetILNS1_3genE3ELNS1_11target_archE908ELNS1_3gpuE7ELNS1_3repE0EEENS1_30default_config_static_selectorELNS0_4arch9wavefront6targetE1EEEvT1_
		.amdhsa_group_segment_fixed_size 0
		.amdhsa_private_segment_fixed_size 0
		.amdhsa_kernarg_size 112
		.amdhsa_user_sgpr_count 6
		.amdhsa_user_sgpr_private_segment_buffer 1
		.amdhsa_user_sgpr_dispatch_ptr 0
		.amdhsa_user_sgpr_queue_ptr 0
		.amdhsa_user_sgpr_kernarg_segment_ptr 1
		.amdhsa_user_sgpr_dispatch_id 0
		.amdhsa_user_sgpr_flat_scratch_init 0
		.amdhsa_user_sgpr_private_segment_size 0
		.amdhsa_uses_dynamic_stack 0
		.amdhsa_system_sgpr_private_segment_wavefront_offset 0
		.amdhsa_system_sgpr_workgroup_id_x 1
		.amdhsa_system_sgpr_workgroup_id_y 0
		.amdhsa_system_sgpr_workgroup_id_z 0
		.amdhsa_system_sgpr_workgroup_info 0
		.amdhsa_system_vgpr_workitem_id 0
		.amdhsa_next_free_vgpr 1
		.amdhsa_next_free_sgpr 0
		.amdhsa_reserve_vcc 0
		.amdhsa_reserve_flat_scratch 0
		.amdhsa_float_round_mode_32 0
		.amdhsa_float_round_mode_16_64 0
		.amdhsa_float_denorm_mode_32 3
		.amdhsa_float_denorm_mode_16_64 3
		.amdhsa_dx10_clamp 1
		.amdhsa_ieee_mode 1
		.amdhsa_fp16_overflow 0
		.amdhsa_exception_fp_ieee_invalid_op 0
		.amdhsa_exception_fp_denorm_src 0
		.amdhsa_exception_fp_ieee_div_zero 0
		.amdhsa_exception_fp_ieee_overflow 0
		.amdhsa_exception_fp_ieee_underflow 0
		.amdhsa_exception_fp_ieee_inexact 0
		.amdhsa_exception_int_div_zero 0
	.end_amdhsa_kernel
	.section	.text._ZN7rocprim17ROCPRIM_400000_NS6detail17trampoline_kernelINS0_14default_configENS1_25partition_config_selectorILNS1_17partition_subalgoE8ExNS0_10empty_typeEbEEZZNS1_14partition_implILS5_8ELb0ES3_jN6thrust23THRUST_200600_302600_NS6detail15normal_iteratorINSA_10device_ptrIxEEEEPS6_PKS6_NS0_5tupleIJSF_S6_EEENSJ_IJSG_SG_EEENS0_18inequality_wrapperINSA_8equal_toIxEEEEPmJS6_EEE10hipError_tPvRmT3_T4_T5_T6_T7_T9_mT8_P12ihipStream_tbDpT10_ENKUlT_T0_E_clISt17integral_constantIbLb1EES19_IbLb0EEEEDaS15_S16_EUlS15_E_NS1_11comp_targetILNS1_3genE3ELNS1_11target_archE908ELNS1_3gpuE7ELNS1_3repE0EEENS1_30default_config_static_selectorELNS0_4arch9wavefront6targetE1EEEvT1_,"axG",@progbits,_ZN7rocprim17ROCPRIM_400000_NS6detail17trampoline_kernelINS0_14default_configENS1_25partition_config_selectorILNS1_17partition_subalgoE8ExNS0_10empty_typeEbEEZZNS1_14partition_implILS5_8ELb0ES3_jN6thrust23THRUST_200600_302600_NS6detail15normal_iteratorINSA_10device_ptrIxEEEEPS6_PKS6_NS0_5tupleIJSF_S6_EEENSJ_IJSG_SG_EEENS0_18inequality_wrapperINSA_8equal_toIxEEEEPmJS6_EEE10hipError_tPvRmT3_T4_T5_T6_T7_T9_mT8_P12ihipStream_tbDpT10_ENKUlT_T0_E_clISt17integral_constantIbLb1EES19_IbLb0EEEEDaS15_S16_EUlS15_E_NS1_11comp_targetILNS1_3genE3ELNS1_11target_archE908ELNS1_3gpuE7ELNS1_3repE0EEENS1_30default_config_static_selectorELNS0_4arch9wavefront6targetE1EEEvT1_,comdat
.Lfunc_end359:
	.size	_ZN7rocprim17ROCPRIM_400000_NS6detail17trampoline_kernelINS0_14default_configENS1_25partition_config_selectorILNS1_17partition_subalgoE8ExNS0_10empty_typeEbEEZZNS1_14partition_implILS5_8ELb0ES3_jN6thrust23THRUST_200600_302600_NS6detail15normal_iteratorINSA_10device_ptrIxEEEEPS6_PKS6_NS0_5tupleIJSF_S6_EEENSJ_IJSG_SG_EEENS0_18inequality_wrapperINSA_8equal_toIxEEEEPmJS6_EEE10hipError_tPvRmT3_T4_T5_T6_T7_T9_mT8_P12ihipStream_tbDpT10_ENKUlT_T0_E_clISt17integral_constantIbLb1EES19_IbLb0EEEEDaS15_S16_EUlS15_E_NS1_11comp_targetILNS1_3genE3ELNS1_11target_archE908ELNS1_3gpuE7ELNS1_3repE0EEENS1_30default_config_static_selectorELNS0_4arch9wavefront6targetE1EEEvT1_, .Lfunc_end359-_ZN7rocprim17ROCPRIM_400000_NS6detail17trampoline_kernelINS0_14default_configENS1_25partition_config_selectorILNS1_17partition_subalgoE8ExNS0_10empty_typeEbEEZZNS1_14partition_implILS5_8ELb0ES3_jN6thrust23THRUST_200600_302600_NS6detail15normal_iteratorINSA_10device_ptrIxEEEEPS6_PKS6_NS0_5tupleIJSF_S6_EEENSJ_IJSG_SG_EEENS0_18inequality_wrapperINSA_8equal_toIxEEEEPmJS6_EEE10hipError_tPvRmT3_T4_T5_T6_T7_T9_mT8_P12ihipStream_tbDpT10_ENKUlT_T0_E_clISt17integral_constantIbLb1EES19_IbLb0EEEEDaS15_S16_EUlS15_E_NS1_11comp_targetILNS1_3genE3ELNS1_11target_archE908ELNS1_3gpuE7ELNS1_3repE0EEENS1_30default_config_static_selectorELNS0_4arch9wavefront6targetE1EEEvT1_
                                        ; -- End function
	.set _ZN7rocprim17ROCPRIM_400000_NS6detail17trampoline_kernelINS0_14default_configENS1_25partition_config_selectorILNS1_17partition_subalgoE8ExNS0_10empty_typeEbEEZZNS1_14partition_implILS5_8ELb0ES3_jN6thrust23THRUST_200600_302600_NS6detail15normal_iteratorINSA_10device_ptrIxEEEEPS6_PKS6_NS0_5tupleIJSF_S6_EEENSJ_IJSG_SG_EEENS0_18inequality_wrapperINSA_8equal_toIxEEEEPmJS6_EEE10hipError_tPvRmT3_T4_T5_T6_T7_T9_mT8_P12ihipStream_tbDpT10_ENKUlT_T0_E_clISt17integral_constantIbLb1EES19_IbLb0EEEEDaS15_S16_EUlS15_E_NS1_11comp_targetILNS1_3genE3ELNS1_11target_archE908ELNS1_3gpuE7ELNS1_3repE0EEENS1_30default_config_static_selectorELNS0_4arch9wavefront6targetE1EEEvT1_.num_vgpr, 0
	.set _ZN7rocprim17ROCPRIM_400000_NS6detail17trampoline_kernelINS0_14default_configENS1_25partition_config_selectorILNS1_17partition_subalgoE8ExNS0_10empty_typeEbEEZZNS1_14partition_implILS5_8ELb0ES3_jN6thrust23THRUST_200600_302600_NS6detail15normal_iteratorINSA_10device_ptrIxEEEEPS6_PKS6_NS0_5tupleIJSF_S6_EEENSJ_IJSG_SG_EEENS0_18inequality_wrapperINSA_8equal_toIxEEEEPmJS6_EEE10hipError_tPvRmT3_T4_T5_T6_T7_T9_mT8_P12ihipStream_tbDpT10_ENKUlT_T0_E_clISt17integral_constantIbLb1EES19_IbLb0EEEEDaS15_S16_EUlS15_E_NS1_11comp_targetILNS1_3genE3ELNS1_11target_archE908ELNS1_3gpuE7ELNS1_3repE0EEENS1_30default_config_static_selectorELNS0_4arch9wavefront6targetE1EEEvT1_.num_agpr, 0
	.set _ZN7rocprim17ROCPRIM_400000_NS6detail17trampoline_kernelINS0_14default_configENS1_25partition_config_selectorILNS1_17partition_subalgoE8ExNS0_10empty_typeEbEEZZNS1_14partition_implILS5_8ELb0ES3_jN6thrust23THRUST_200600_302600_NS6detail15normal_iteratorINSA_10device_ptrIxEEEEPS6_PKS6_NS0_5tupleIJSF_S6_EEENSJ_IJSG_SG_EEENS0_18inequality_wrapperINSA_8equal_toIxEEEEPmJS6_EEE10hipError_tPvRmT3_T4_T5_T6_T7_T9_mT8_P12ihipStream_tbDpT10_ENKUlT_T0_E_clISt17integral_constantIbLb1EES19_IbLb0EEEEDaS15_S16_EUlS15_E_NS1_11comp_targetILNS1_3genE3ELNS1_11target_archE908ELNS1_3gpuE7ELNS1_3repE0EEENS1_30default_config_static_selectorELNS0_4arch9wavefront6targetE1EEEvT1_.numbered_sgpr, 0
	.set _ZN7rocprim17ROCPRIM_400000_NS6detail17trampoline_kernelINS0_14default_configENS1_25partition_config_selectorILNS1_17partition_subalgoE8ExNS0_10empty_typeEbEEZZNS1_14partition_implILS5_8ELb0ES3_jN6thrust23THRUST_200600_302600_NS6detail15normal_iteratorINSA_10device_ptrIxEEEEPS6_PKS6_NS0_5tupleIJSF_S6_EEENSJ_IJSG_SG_EEENS0_18inequality_wrapperINSA_8equal_toIxEEEEPmJS6_EEE10hipError_tPvRmT3_T4_T5_T6_T7_T9_mT8_P12ihipStream_tbDpT10_ENKUlT_T0_E_clISt17integral_constantIbLb1EES19_IbLb0EEEEDaS15_S16_EUlS15_E_NS1_11comp_targetILNS1_3genE3ELNS1_11target_archE908ELNS1_3gpuE7ELNS1_3repE0EEENS1_30default_config_static_selectorELNS0_4arch9wavefront6targetE1EEEvT1_.num_named_barrier, 0
	.set _ZN7rocprim17ROCPRIM_400000_NS6detail17trampoline_kernelINS0_14default_configENS1_25partition_config_selectorILNS1_17partition_subalgoE8ExNS0_10empty_typeEbEEZZNS1_14partition_implILS5_8ELb0ES3_jN6thrust23THRUST_200600_302600_NS6detail15normal_iteratorINSA_10device_ptrIxEEEEPS6_PKS6_NS0_5tupleIJSF_S6_EEENSJ_IJSG_SG_EEENS0_18inequality_wrapperINSA_8equal_toIxEEEEPmJS6_EEE10hipError_tPvRmT3_T4_T5_T6_T7_T9_mT8_P12ihipStream_tbDpT10_ENKUlT_T0_E_clISt17integral_constantIbLb1EES19_IbLb0EEEEDaS15_S16_EUlS15_E_NS1_11comp_targetILNS1_3genE3ELNS1_11target_archE908ELNS1_3gpuE7ELNS1_3repE0EEENS1_30default_config_static_selectorELNS0_4arch9wavefront6targetE1EEEvT1_.private_seg_size, 0
	.set _ZN7rocprim17ROCPRIM_400000_NS6detail17trampoline_kernelINS0_14default_configENS1_25partition_config_selectorILNS1_17partition_subalgoE8ExNS0_10empty_typeEbEEZZNS1_14partition_implILS5_8ELb0ES3_jN6thrust23THRUST_200600_302600_NS6detail15normal_iteratorINSA_10device_ptrIxEEEEPS6_PKS6_NS0_5tupleIJSF_S6_EEENSJ_IJSG_SG_EEENS0_18inequality_wrapperINSA_8equal_toIxEEEEPmJS6_EEE10hipError_tPvRmT3_T4_T5_T6_T7_T9_mT8_P12ihipStream_tbDpT10_ENKUlT_T0_E_clISt17integral_constantIbLb1EES19_IbLb0EEEEDaS15_S16_EUlS15_E_NS1_11comp_targetILNS1_3genE3ELNS1_11target_archE908ELNS1_3gpuE7ELNS1_3repE0EEENS1_30default_config_static_selectorELNS0_4arch9wavefront6targetE1EEEvT1_.uses_vcc, 0
	.set _ZN7rocprim17ROCPRIM_400000_NS6detail17trampoline_kernelINS0_14default_configENS1_25partition_config_selectorILNS1_17partition_subalgoE8ExNS0_10empty_typeEbEEZZNS1_14partition_implILS5_8ELb0ES3_jN6thrust23THRUST_200600_302600_NS6detail15normal_iteratorINSA_10device_ptrIxEEEEPS6_PKS6_NS0_5tupleIJSF_S6_EEENSJ_IJSG_SG_EEENS0_18inequality_wrapperINSA_8equal_toIxEEEEPmJS6_EEE10hipError_tPvRmT3_T4_T5_T6_T7_T9_mT8_P12ihipStream_tbDpT10_ENKUlT_T0_E_clISt17integral_constantIbLb1EES19_IbLb0EEEEDaS15_S16_EUlS15_E_NS1_11comp_targetILNS1_3genE3ELNS1_11target_archE908ELNS1_3gpuE7ELNS1_3repE0EEENS1_30default_config_static_selectorELNS0_4arch9wavefront6targetE1EEEvT1_.uses_flat_scratch, 0
	.set _ZN7rocprim17ROCPRIM_400000_NS6detail17trampoline_kernelINS0_14default_configENS1_25partition_config_selectorILNS1_17partition_subalgoE8ExNS0_10empty_typeEbEEZZNS1_14partition_implILS5_8ELb0ES3_jN6thrust23THRUST_200600_302600_NS6detail15normal_iteratorINSA_10device_ptrIxEEEEPS6_PKS6_NS0_5tupleIJSF_S6_EEENSJ_IJSG_SG_EEENS0_18inequality_wrapperINSA_8equal_toIxEEEEPmJS6_EEE10hipError_tPvRmT3_T4_T5_T6_T7_T9_mT8_P12ihipStream_tbDpT10_ENKUlT_T0_E_clISt17integral_constantIbLb1EES19_IbLb0EEEEDaS15_S16_EUlS15_E_NS1_11comp_targetILNS1_3genE3ELNS1_11target_archE908ELNS1_3gpuE7ELNS1_3repE0EEENS1_30default_config_static_selectorELNS0_4arch9wavefront6targetE1EEEvT1_.has_dyn_sized_stack, 0
	.set _ZN7rocprim17ROCPRIM_400000_NS6detail17trampoline_kernelINS0_14default_configENS1_25partition_config_selectorILNS1_17partition_subalgoE8ExNS0_10empty_typeEbEEZZNS1_14partition_implILS5_8ELb0ES3_jN6thrust23THRUST_200600_302600_NS6detail15normal_iteratorINSA_10device_ptrIxEEEEPS6_PKS6_NS0_5tupleIJSF_S6_EEENSJ_IJSG_SG_EEENS0_18inequality_wrapperINSA_8equal_toIxEEEEPmJS6_EEE10hipError_tPvRmT3_T4_T5_T6_T7_T9_mT8_P12ihipStream_tbDpT10_ENKUlT_T0_E_clISt17integral_constantIbLb1EES19_IbLb0EEEEDaS15_S16_EUlS15_E_NS1_11comp_targetILNS1_3genE3ELNS1_11target_archE908ELNS1_3gpuE7ELNS1_3repE0EEENS1_30default_config_static_selectorELNS0_4arch9wavefront6targetE1EEEvT1_.has_recursion, 0
	.set _ZN7rocprim17ROCPRIM_400000_NS6detail17trampoline_kernelINS0_14default_configENS1_25partition_config_selectorILNS1_17partition_subalgoE8ExNS0_10empty_typeEbEEZZNS1_14partition_implILS5_8ELb0ES3_jN6thrust23THRUST_200600_302600_NS6detail15normal_iteratorINSA_10device_ptrIxEEEEPS6_PKS6_NS0_5tupleIJSF_S6_EEENSJ_IJSG_SG_EEENS0_18inequality_wrapperINSA_8equal_toIxEEEEPmJS6_EEE10hipError_tPvRmT3_T4_T5_T6_T7_T9_mT8_P12ihipStream_tbDpT10_ENKUlT_T0_E_clISt17integral_constantIbLb1EES19_IbLb0EEEEDaS15_S16_EUlS15_E_NS1_11comp_targetILNS1_3genE3ELNS1_11target_archE908ELNS1_3gpuE7ELNS1_3repE0EEENS1_30default_config_static_selectorELNS0_4arch9wavefront6targetE1EEEvT1_.has_indirect_call, 0
	.section	.AMDGPU.csdata,"",@progbits
; Kernel info:
; codeLenInByte = 0
; TotalNumSgprs: 4
; NumVgprs: 0
; ScratchSize: 0
; MemoryBound: 0
; FloatMode: 240
; IeeeMode: 1
; LDSByteSize: 0 bytes/workgroup (compile time only)
; SGPRBlocks: 0
; VGPRBlocks: 0
; NumSGPRsForWavesPerEU: 4
; NumVGPRsForWavesPerEU: 1
; Occupancy: 10
; WaveLimiterHint : 0
; COMPUTE_PGM_RSRC2:SCRATCH_EN: 0
; COMPUTE_PGM_RSRC2:USER_SGPR: 6
; COMPUTE_PGM_RSRC2:TRAP_HANDLER: 0
; COMPUTE_PGM_RSRC2:TGID_X_EN: 1
; COMPUTE_PGM_RSRC2:TGID_Y_EN: 0
; COMPUTE_PGM_RSRC2:TGID_Z_EN: 0
; COMPUTE_PGM_RSRC2:TIDIG_COMP_CNT: 0
	.section	.text._ZN7rocprim17ROCPRIM_400000_NS6detail17trampoline_kernelINS0_14default_configENS1_25partition_config_selectorILNS1_17partition_subalgoE8ExNS0_10empty_typeEbEEZZNS1_14partition_implILS5_8ELb0ES3_jN6thrust23THRUST_200600_302600_NS6detail15normal_iteratorINSA_10device_ptrIxEEEEPS6_PKS6_NS0_5tupleIJSF_S6_EEENSJ_IJSG_SG_EEENS0_18inequality_wrapperINSA_8equal_toIxEEEEPmJS6_EEE10hipError_tPvRmT3_T4_T5_T6_T7_T9_mT8_P12ihipStream_tbDpT10_ENKUlT_T0_E_clISt17integral_constantIbLb1EES19_IbLb0EEEEDaS15_S16_EUlS15_E_NS1_11comp_targetILNS1_3genE2ELNS1_11target_archE906ELNS1_3gpuE6ELNS1_3repE0EEENS1_30default_config_static_selectorELNS0_4arch9wavefront6targetE1EEEvT1_,"axG",@progbits,_ZN7rocprim17ROCPRIM_400000_NS6detail17trampoline_kernelINS0_14default_configENS1_25partition_config_selectorILNS1_17partition_subalgoE8ExNS0_10empty_typeEbEEZZNS1_14partition_implILS5_8ELb0ES3_jN6thrust23THRUST_200600_302600_NS6detail15normal_iteratorINSA_10device_ptrIxEEEEPS6_PKS6_NS0_5tupleIJSF_S6_EEENSJ_IJSG_SG_EEENS0_18inequality_wrapperINSA_8equal_toIxEEEEPmJS6_EEE10hipError_tPvRmT3_T4_T5_T6_T7_T9_mT8_P12ihipStream_tbDpT10_ENKUlT_T0_E_clISt17integral_constantIbLb1EES19_IbLb0EEEEDaS15_S16_EUlS15_E_NS1_11comp_targetILNS1_3genE2ELNS1_11target_archE906ELNS1_3gpuE6ELNS1_3repE0EEENS1_30default_config_static_selectorELNS0_4arch9wavefront6targetE1EEEvT1_,comdat
	.protected	_ZN7rocprim17ROCPRIM_400000_NS6detail17trampoline_kernelINS0_14default_configENS1_25partition_config_selectorILNS1_17partition_subalgoE8ExNS0_10empty_typeEbEEZZNS1_14partition_implILS5_8ELb0ES3_jN6thrust23THRUST_200600_302600_NS6detail15normal_iteratorINSA_10device_ptrIxEEEEPS6_PKS6_NS0_5tupleIJSF_S6_EEENSJ_IJSG_SG_EEENS0_18inequality_wrapperINSA_8equal_toIxEEEEPmJS6_EEE10hipError_tPvRmT3_T4_T5_T6_T7_T9_mT8_P12ihipStream_tbDpT10_ENKUlT_T0_E_clISt17integral_constantIbLb1EES19_IbLb0EEEEDaS15_S16_EUlS15_E_NS1_11comp_targetILNS1_3genE2ELNS1_11target_archE906ELNS1_3gpuE6ELNS1_3repE0EEENS1_30default_config_static_selectorELNS0_4arch9wavefront6targetE1EEEvT1_ ; -- Begin function _ZN7rocprim17ROCPRIM_400000_NS6detail17trampoline_kernelINS0_14default_configENS1_25partition_config_selectorILNS1_17partition_subalgoE8ExNS0_10empty_typeEbEEZZNS1_14partition_implILS5_8ELb0ES3_jN6thrust23THRUST_200600_302600_NS6detail15normal_iteratorINSA_10device_ptrIxEEEEPS6_PKS6_NS0_5tupleIJSF_S6_EEENSJ_IJSG_SG_EEENS0_18inequality_wrapperINSA_8equal_toIxEEEEPmJS6_EEE10hipError_tPvRmT3_T4_T5_T6_T7_T9_mT8_P12ihipStream_tbDpT10_ENKUlT_T0_E_clISt17integral_constantIbLb1EES19_IbLb0EEEEDaS15_S16_EUlS15_E_NS1_11comp_targetILNS1_3genE2ELNS1_11target_archE906ELNS1_3gpuE6ELNS1_3repE0EEENS1_30default_config_static_selectorELNS0_4arch9wavefront6targetE1EEEvT1_
	.globl	_ZN7rocprim17ROCPRIM_400000_NS6detail17trampoline_kernelINS0_14default_configENS1_25partition_config_selectorILNS1_17partition_subalgoE8ExNS0_10empty_typeEbEEZZNS1_14partition_implILS5_8ELb0ES3_jN6thrust23THRUST_200600_302600_NS6detail15normal_iteratorINSA_10device_ptrIxEEEEPS6_PKS6_NS0_5tupleIJSF_S6_EEENSJ_IJSG_SG_EEENS0_18inequality_wrapperINSA_8equal_toIxEEEEPmJS6_EEE10hipError_tPvRmT3_T4_T5_T6_T7_T9_mT8_P12ihipStream_tbDpT10_ENKUlT_T0_E_clISt17integral_constantIbLb1EES19_IbLb0EEEEDaS15_S16_EUlS15_E_NS1_11comp_targetILNS1_3genE2ELNS1_11target_archE906ELNS1_3gpuE6ELNS1_3repE0EEENS1_30default_config_static_selectorELNS0_4arch9wavefront6targetE1EEEvT1_
	.p2align	8
	.type	_ZN7rocprim17ROCPRIM_400000_NS6detail17trampoline_kernelINS0_14default_configENS1_25partition_config_selectorILNS1_17partition_subalgoE8ExNS0_10empty_typeEbEEZZNS1_14partition_implILS5_8ELb0ES3_jN6thrust23THRUST_200600_302600_NS6detail15normal_iteratorINSA_10device_ptrIxEEEEPS6_PKS6_NS0_5tupleIJSF_S6_EEENSJ_IJSG_SG_EEENS0_18inequality_wrapperINSA_8equal_toIxEEEEPmJS6_EEE10hipError_tPvRmT3_T4_T5_T6_T7_T9_mT8_P12ihipStream_tbDpT10_ENKUlT_T0_E_clISt17integral_constantIbLb1EES19_IbLb0EEEEDaS15_S16_EUlS15_E_NS1_11comp_targetILNS1_3genE2ELNS1_11target_archE906ELNS1_3gpuE6ELNS1_3repE0EEENS1_30default_config_static_selectorELNS0_4arch9wavefront6targetE1EEEvT1_,@function
_ZN7rocprim17ROCPRIM_400000_NS6detail17trampoline_kernelINS0_14default_configENS1_25partition_config_selectorILNS1_17partition_subalgoE8ExNS0_10empty_typeEbEEZZNS1_14partition_implILS5_8ELb0ES3_jN6thrust23THRUST_200600_302600_NS6detail15normal_iteratorINSA_10device_ptrIxEEEEPS6_PKS6_NS0_5tupleIJSF_S6_EEENSJ_IJSG_SG_EEENS0_18inequality_wrapperINSA_8equal_toIxEEEEPmJS6_EEE10hipError_tPvRmT3_T4_T5_T6_T7_T9_mT8_P12ihipStream_tbDpT10_ENKUlT_T0_E_clISt17integral_constantIbLb1EES19_IbLb0EEEEDaS15_S16_EUlS15_E_NS1_11comp_targetILNS1_3genE2ELNS1_11target_archE906ELNS1_3gpuE6ELNS1_3repE0EEENS1_30default_config_static_selectorELNS0_4arch9wavefront6targetE1EEEvT1_: ; @_ZN7rocprim17ROCPRIM_400000_NS6detail17trampoline_kernelINS0_14default_configENS1_25partition_config_selectorILNS1_17partition_subalgoE8ExNS0_10empty_typeEbEEZZNS1_14partition_implILS5_8ELb0ES3_jN6thrust23THRUST_200600_302600_NS6detail15normal_iteratorINSA_10device_ptrIxEEEEPS6_PKS6_NS0_5tupleIJSF_S6_EEENSJ_IJSG_SG_EEENS0_18inequality_wrapperINSA_8equal_toIxEEEEPmJS6_EEE10hipError_tPvRmT3_T4_T5_T6_T7_T9_mT8_P12ihipStream_tbDpT10_ENKUlT_T0_E_clISt17integral_constantIbLb1EES19_IbLb0EEEEDaS15_S16_EUlS15_E_NS1_11comp_targetILNS1_3genE2ELNS1_11target_archE906ELNS1_3gpuE6ELNS1_3repE0EEENS1_30default_config_static_selectorELNS0_4arch9wavefront6targetE1EEEvT1_
; %bb.0:
	s_endpgm
	.section	.rodata,"a",@progbits
	.p2align	6, 0x0
	.amdhsa_kernel _ZN7rocprim17ROCPRIM_400000_NS6detail17trampoline_kernelINS0_14default_configENS1_25partition_config_selectorILNS1_17partition_subalgoE8ExNS0_10empty_typeEbEEZZNS1_14partition_implILS5_8ELb0ES3_jN6thrust23THRUST_200600_302600_NS6detail15normal_iteratorINSA_10device_ptrIxEEEEPS6_PKS6_NS0_5tupleIJSF_S6_EEENSJ_IJSG_SG_EEENS0_18inequality_wrapperINSA_8equal_toIxEEEEPmJS6_EEE10hipError_tPvRmT3_T4_T5_T6_T7_T9_mT8_P12ihipStream_tbDpT10_ENKUlT_T0_E_clISt17integral_constantIbLb1EES19_IbLb0EEEEDaS15_S16_EUlS15_E_NS1_11comp_targetILNS1_3genE2ELNS1_11target_archE906ELNS1_3gpuE6ELNS1_3repE0EEENS1_30default_config_static_selectorELNS0_4arch9wavefront6targetE1EEEvT1_
		.amdhsa_group_segment_fixed_size 0
		.amdhsa_private_segment_fixed_size 0
		.amdhsa_kernarg_size 112
		.amdhsa_user_sgpr_count 6
		.amdhsa_user_sgpr_private_segment_buffer 1
		.amdhsa_user_sgpr_dispatch_ptr 0
		.amdhsa_user_sgpr_queue_ptr 0
		.amdhsa_user_sgpr_kernarg_segment_ptr 1
		.amdhsa_user_sgpr_dispatch_id 0
		.amdhsa_user_sgpr_flat_scratch_init 0
		.amdhsa_user_sgpr_private_segment_size 0
		.amdhsa_uses_dynamic_stack 0
		.amdhsa_system_sgpr_private_segment_wavefront_offset 0
		.amdhsa_system_sgpr_workgroup_id_x 1
		.amdhsa_system_sgpr_workgroup_id_y 0
		.amdhsa_system_sgpr_workgroup_id_z 0
		.amdhsa_system_sgpr_workgroup_info 0
		.amdhsa_system_vgpr_workitem_id 0
		.amdhsa_next_free_vgpr 1
		.amdhsa_next_free_sgpr 0
		.amdhsa_reserve_vcc 0
		.amdhsa_reserve_flat_scratch 0
		.amdhsa_float_round_mode_32 0
		.amdhsa_float_round_mode_16_64 0
		.amdhsa_float_denorm_mode_32 3
		.amdhsa_float_denorm_mode_16_64 3
		.amdhsa_dx10_clamp 1
		.amdhsa_ieee_mode 1
		.amdhsa_fp16_overflow 0
		.amdhsa_exception_fp_ieee_invalid_op 0
		.amdhsa_exception_fp_denorm_src 0
		.amdhsa_exception_fp_ieee_div_zero 0
		.amdhsa_exception_fp_ieee_overflow 0
		.amdhsa_exception_fp_ieee_underflow 0
		.amdhsa_exception_fp_ieee_inexact 0
		.amdhsa_exception_int_div_zero 0
	.end_amdhsa_kernel
	.section	.text._ZN7rocprim17ROCPRIM_400000_NS6detail17trampoline_kernelINS0_14default_configENS1_25partition_config_selectorILNS1_17partition_subalgoE8ExNS0_10empty_typeEbEEZZNS1_14partition_implILS5_8ELb0ES3_jN6thrust23THRUST_200600_302600_NS6detail15normal_iteratorINSA_10device_ptrIxEEEEPS6_PKS6_NS0_5tupleIJSF_S6_EEENSJ_IJSG_SG_EEENS0_18inequality_wrapperINSA_8equal_toIxEEEEPmJS6_EEE10hipError_tPvRmT3_T4_T5_T6_T7_T9_mT8_P12ihipStream_tbDpT10_ENKUlT_T0_E_clISt17integral_constantIbLb1EES19_IbLb0EEEEDaS15_S16_EUlS15_E_NS1_11comp_targetILNS1_3genE2ELNS1_11target_archE906ELNS1_3gpuE6ELNS1_3repE0EEENS1_30default_config_static_selectorELNS0_4arch9wavefront6targetE1EEEvT1_,"axG",@progbits,_ZN7rocprim17ROCPRIM_400000_NS6detail17trampoline_kernelINS0_14default_configENS1_25partition_config_selectorILNS1_17partition_subalgoE8ExNS0_10empty_typeEbEEZZNS1_14partition_implILS5_8ELb0ES3_jN6thrust23THRUST_200600_302600_NS6detail15normal_iteratorINSA_10device_ptrIxEEEEPS6_PKS6_NS0_5tupleIJSF_S6_EEENSJ_IJSG_SG_EEENS0_18inequality_wrapperINSA_8equal_toIxEEEEPmJS6_EEE10hipError_tPvRmT3_T4_T5_T6_T7_T9_mT8_P12ihipStream_tbDpT10_ENKUlT_T0_E_clISt17integral_constantIbLb1EES19_IbLb0EEEEDaS15_S16_EUlS15_E_NS1_11comp_targetILNS1_3genE2ELNS1_11target_archE906ELNS1_3gpuE6ELNS1_3repE0EEENS1_30default_config_static_selectorELNS0_4arch9wavefront6targetE1EEEvT1_,comdat
.Lfunc_end360:
	.size	_ZN7rocprim17ROCPRIM_400000_NS6detail17trampoline_kernelINS0_14default_configENS1_25partition_config_selectorILNS1_17partition_subalgoE8ExNS0_10empty_typeEbEEZZNS1_14partition_implILS5_8ELb0ES3_jN6thrust23THRUST_200600_302600_NS6detail15normal_iteratorINSA_10device_ptrIxEEEEPS6_PKS6_NS0_5tupleIJSF_S6_EEENSJ_IJSG_SG_EEENS0_18inequality_wrapperINSA_8equal_toIxEEEEPmJS6_EEE10hipError_tPvRmT3_T4_T5_T6_T7_T9_mT8_P12ihipStream_tbDpT10_ENKUlT_T0_E_clISt17integral_constantIbLb1EES19_IbLb0EEEEDaS15_S16_EUlS15_E_NS1_11comp_targetILNS1_3genE2ELNS1_11target_archE906ELNS1_3gpuE6ELNS1_3repE0EEENS1_30default_config_static_selectorELNS0_4arch9wavefront6targetE1EEEvT1_, .Lfunc_end360-_ZN7rocprim17ROCPRIM_400000_NS6detail17trampoline_kernelINS0_14default_configENS1_25partition_config_selectorILNS1_17partition_subalgoE8ExNS0_10empty_typeEbEEZZNS1_14partition_implILS5_8ELb0ES3_jN6thrust23THRUST_200600_302600_NS6detail15normal_iteratorINSA_10device_ptrIxEEEEPS6_PKS6_NS0_5tupleIJSF_S6_EEENSJ_IJSG_SG_EEENS0_18inequality_wrapperINSA_8equal_toIxEEEEPmJS6_EEE10hipError_tPvRmT3_T4_T5_T6_T7_T9_mT8_P12ihipStream_tbDpT10_ENKUlT_T0_E_clISt17integral_constantIbLb1EES19_IbLb0EEEEDaS15_S16_EUlS15_E_NS1_11comp_targetILNS1_3genE2ELNS1_11target_archE906ELNS1_3gpuE6ELNS1_3repE0EEENS1_30default_config_static_selectorELNS0_4arch9wavefront6targetE1EEEvT1_
                                        ; -- End function
	.set _ZN7rocprim17ROCPRIM_400000_NS6detail17trampoline_kernelINS0_14default_configENS1_25partition_config_selectorILNS1_17partition_subalgoE8ExNS0_10empty_typeEbEEZZNS1_14partition_implILS5_8ELb0ES3_jN6thrust23THRUST_200600_302600_NS6detail15normal_iteratorINSA_10device_ptrIxEEEEPS6_PKS6_NS0_5tupleIJSF_S6_EEENSJ_IJSG_SG_EEENS0_18inequality_wrapperINSA_8equal_toIxEEEEPmJS6_EEE10hipError_tPvRmT3_T4_T5_T6_T7_T9_mT8_P12ihipStream_tbDpT10_ENKUlT_T0_E_clISt17integral_constantIbLb1EES19_IbLb0EEEEDaS15_S16_EUlS15_E_NS1_11comp_targetILNS1_3genE2ELNS1_11target_archE906ELNS1_3gpuE6ELNS1_3repE0EEENS1_30default_config_static_selectorELNS0_4arch9wavefront6targetE1EEEvT1_.num_vgpr, 0
	.set _ZN7rocprim17ROCPRIM_400000_NS6detail17trampoline_kernelINS0_14default_configENS1_25partition_config_selectorILNS1_17partition_subalgoE8ExNS0_10empty_typeEbEEZZNS1_14partition_implILS5_8ELb0ES3_jN6thrust23THRUST_200600_302600_NS6detail15normal_iteratorINSA_10device_ptrIxEEEEPS6_PKS6_NS0_5tupleIJSF_S6_EEENSJ_IJSG_SG_EEENS0_18inequality_wrapperINSA_8equal_toIxEEEEPmJS6_EEE10hipError_tPvRmT3_T4_T5_T6_T7_T9_mT8_P12ihipStream_tbDpT10_ENKUlT_T0_E_clISt17integral_constantIbLb1EES19_IbLb0EEEEDaS15_S16_EUlS15_E_NS1_11comp_targetILNS1_3genE2ELNS1_11target_archE906ELNS1_3gpuE6ELNS1_3repE0EEENS1_30default_config_static_selectorELNS0_4arch9wavefront6targetE1EEEvT1_.num_agpr, 0
	.set _ZN7rocprim17ROCPRIM_400000_NS6detail17trampoline_kernelINS0_14default_configENS1_25partition_config_selectorILNS1_17partition_subalgoE8ExNS0_10empty_typeEbEEZZNS1_14partition_implILS5_8ELb0ES3_jN6thrust23THRUST_200600_302600_NS6detail15normal_iteratorINSA_10device_ptrIxEEEEPS6_PKS6_NS0_5tupleIJSF_S6_EEENSJ_IJSG_SG_EEENS0_18inequality_wrapperINSA_8equal_toIxEEEEPmJS6_EEE10hipError_tPvRmT3_T4_T5_T6_T7_T9_mT8_P12ihipStream_tbDpT10_ENKUlT_T0_E_clISt17integral_constantIbLb1EES19_IbLb0EEEEDaS15_S16_EUlS15_E_NS1_11comp_targetILNS1_3genE2ELNS1_11target_archE906ELNS1_3gpuE6ELNS1_3repE0EEENS1_30default_config_static_selectorELNS0_4arch9wavefront6targetE1EEEvT1_.numbered_sgpr, 0
	.set _ZN7rocprim17ROCPRIM_400000_NS6detail17trampoline_kernelINS0_14default_configENS1_25partition_config_selectorILNS1_17partition_subalgoE8ExNS0_10empty_typeEbEEZZNS1_14partition_implILS5_8ELb0ES3_jN6thrust23THRUST_200600_302600_NS6detail15normal_iteratorINSA_10device_ptrIxEEEEPS6_PKS6_NS0_5tupleIJSF_S6_EEENSJ_IJSG_SG_EEENS0_18inequality_wrapperINSA_8equal_toIxEEEEPmJS6_EEE10hipError_tPvRmT3_T4_T5_T6_T7_T9_mT8_P12ihipStream_tbDpT10_ENKUlT_T0_E_clISt17integral_constantIbLb1EES19_IbLb0EEEEDaS15_S16_EUlS15_E_NS1_11comp_targetILNS1_3genE2ELNS1_11target_archE906ELNS1_3gpuE6ELNS1_3repE0EEENS1_30default_config_static_selectorELNS0_4arch9wavefront6targetE1EEEvT1_.num_named_barrier, 0
	.set _ZN7rocprim17ROCPRIM_400000_NS6detail17trampoline_kernelINS0_14default_configENS1_25partition_config_selectorILNS1_17partition_subalgoE8ExNS0_10empty_typeEbEEZZNS1_14partition_implILS5_8ELb0ES3_jN6thrust23THRUST_200600_302600_NS6detail15normal_iteratorINSA_10device_ptrIxEEEEPS6_PKS6_NS0_5tupleIJSF_S6_EEENSJ_IJSG_SG_EEENS0_18inequality_wrapperINSA_8equal_toIxEEEEPmJS6_EEE10hipError_tPvRmT3_T4_T5_T6_T7_T9_mT8_P12ihipStream_tbDpT10_ENKUlT_T0_E_clISt17integral_constantIbLb1EES19_IbLb0EEEEDaS15_S16_EUlS15_E_NS1_11comp_targetILNS1_3genE2ELNS1_11target_archE906ELNS1_3gpuE6ELNS1_3repE0EEENS1_30default_config_static_selectorELNS0_4arch9wavefront6targetE1EEEvT1_.private_seg_size, 0
	.set _ZN7rocprim17ROCPRIM_400000_NS6detail17trampoline_kernelINS0_14default_configENS1_25partition_config_selectorILNS1_17partition_subalgoE8ExNS0_10empty_typeEbEEZZNS1_14partition_implILS5_8ELb0ES3_jN6thrust23THRUST_200600_302600_NS6detail15normal_iteratorINSA_10device_ptrIxEEEEPS6_PKS6_NS0_5tupleIJSF_S6_EEENSJ_IJSG_SG_EEENS0_18inequality_wrapperINSA_8equal_toIxEEEEPmJS6_EEE10hipError_tPvRmT3_T4_T5_T6_T7_T9_mT8_P12ihipStream_tbDpT10_ENKUlT_T0_E_clISt17integral_constantIbLb1EES19_IbLb0EEEEDaS15_S16_EUlS15_E_NS1_11comp_targetILNS1_3genE2ELNS1_11target_archE906ELNS1_3gpuE6ELNS1_3repE0EEENS1_30default_config_static_selectorELNS0_4arch9wavefront6targetE1EEEvT1_.uses_vcc, 0
	.set _ZN7rocprim17ROCPRIM_400000_NS6detail17trampoline_kernelINS0_14default_configENS1_25partition_config_selectorILNS1_17partition_subalgoE8ExNS0_10empty_typeEbEEZZNS1_14partition_implILS5_8ELb0ES3_jN6thrust23THRUST_200600_302600_NS6detail15normal_iteratorINSA_10device_ptrIxEEEEPS6_PKS6_NS0_5tupleIJSF_S6_EEENSJ_IJSG_SG_EEENS0_18inequality_wrapperINSA_8equal_toIxEEEEPmJS6_EEE10hipError_tPvRmT3_T4_T5_T6_T7_T9_mT8_P12ihipStream_tbDpT10_ENKUlT_T0_E_clISt17integral_constantIbLb1EES19_IbLb0EEEEDaS15_S16_EUlS15_E_NS1_11comp_targetILNS1_3genE2ELNS1_11target_archE906ELNS1_3gpuE6ELNS1_3repE0EEENS1_30default_config_static_selectorELNS0_4arch9wavefront6targetE1EEEvT1_.uses_flat_scratch, 0
	.set _ZN7rocprim17ROCPRIM_400000_NS6detail17trampoline_kernelINS0_14default_configENS1_25partition_config_selectorILNS1_17partition_subalgoE8ExNS0_10empty_typeEbEEZZNS1_14partition_implILS5_8ELb0ES3_jN6thrust23THRUST_200600_302600_NS6detail15normal_iteratorINSA_10device_ptrIxEEEEPS6_PKS6_NS0_5tupleIJSF_S6_EEENSJ_IJSG_SG_EEENS0_18inequality_wrapperINSA_8equal_toIxEEEEPmJS6_EEE10hipError_tPvRmT3_T4_T5_T6_T7_T9_mT8_P12ihipStream_tbDpT10_ENKUlT_T0_E_clISt17integral_constantIbLb1EES19_IbLb0EEEEDaS15_S16_EUlS15_E_NS1_11comp_targetILNS1_3genE2ELNS1_11target_archE906ELNS1_3gpuE6ELNS1_3repE0EEENS1_30default_config_static_selectorELNS0_4arch9wavefront6targetE1EEEvT1_.has_dyn_sized_stack, 0
	.set _ZN7rocprim17ROCPRIM_400000_NS6detail17trampoline_kernelINS0_14default_configENS1_25partition_config_selectorILNS1_17partition_subalgoE8ExNS0_10empty_typeEbEEZZNS1_14partition_implILS5_8ELb0ES3_jN6thrust23THRUST_200600_302600_NS6detail15normal_iteratorINSA_10device_ptrIxEEEEPS6_PKS6_NS0_5tupleIJSF_S6_EEENSJ_IJSG_SG_EEENS0_18inequality_wrapperINSA_8equal_toIxEEEEPmJS6_EEE10hipError_tPvRmT3_T4_T5_T6_T7_T9_mT8_P12ihipStream_tbDpT10_ENKUlT_T0_E_clISt17integral_constantIbLb1EES19_IbLb0EEEEDaS15_S16_EUlS15_E_NS1_11comp_targetILNS1_3genE2ELNS1_11target_archE906ELNS1_3gpuE6ELNS1_3repE0EEENS1_30default_config_static_selectorELNS0_4arch9wavefront6targetE1EEEvT1_.has_recursion, 0
	.set _ZN7rocprim17ROCPRIM_400000_NS6detail17trampoline_kernelINS0_14default_configENS1_25partition_config_selectorILNS1_17partition_subalgoE8ExNS0_10empty_typeEbEEZZNS1_14partition_implILS5_8ELb0ES3_jN6thrust23THRUST_200600_302600_NS6detail15normal_iteratorINSA_10device_ptrIxEEEEPS6_PKS6_NS0_5tupleIJSF_S6_EEENSJ_IJSG_SG_EEENS0_18inequality_wrapperINSA_8equal_toIxEEEEPmJS6_EEE10hipError_tPvRmT3_T4_T5_T6_T7_T9_mT8_P12ihipStream_tbDpT10_ENKUlT_T0_E_clISt17integral_constantIbLb1EES19_IbLb0EEEEDaS15_S16_EUlS15_E_NS1_11comp_targetILNS1_3genE2ELNS1_11target_archE906ELNS1_3gpuE6ELNS1_3repE0EEENS1_30default_config_static_selectorELNS0_4arch9wavefront6targetE1EEEvT1_.has_indirect_call, 0
	.section	.AMDGPU.csdata,"",@progbits
; Kernel info:
; codeLenInByte = 4
; TotalNumSgprs: 4
; NumVgprs: 0
; ScratchSize: 0
; MemoryBound: 0
; FloatMode: 240
; IeeeMode: 1
; LDSByteSize: 0 bytes/workgroup (compile time only)
; SGPRBlocks: 0
; VGPRBlocks: 0
; NumSGPRsForWavesPerEU: 4
; NumVGPRsForWavesPerEU: 1
; Occupancy: 10
; WaveLimiterHint : 0
; COMPUTE_PGM_RSRC2:SCRATCH_EN: 0
; COMPUTE_PGM_RSRC2:USER_SGPR: 6
; COMPUTE_PGM_RSRC2:TRAP_HANDLER: 0
; COMPUTE_PGM_RSRC2:TGID_X_EN: 1
; COMPUTE_PGM_RSRC2:TGID_Y_EN: 0
; COMPUTE_PGM_RSRC2:TGID_Z_EN: 0
; COMPUTE_PGM_RSRC2:TIDIG_COMP_CNT: 0
	.section	.text._ZN7rocprim17ROCPRIM_400000_NS6detail17trampoline_kernelINS0_14default_configENS1_25partition_config_selectorILNS1_17partition_subalgoE8ExNS0_10empty_typeEbEEZZNS1_14partition_implILS5_8ELb0ES3_jN6thrust23THRUST_200600_302600_NS6detail15normal_iteratorINSA_10device_ptrIxEEEEPS6_PKS6_NS0_5tupleIJSF_S6_EEENSJ_IJSG_SG_EEENS0_18inequality_wrapperINSA_8equal_toIxEEEEPmJS6_EEE10hipError_tPvRmT3_T4_T5_T6_T7_T9_mT8_P12ihipStream_tbDpT10_ENKUlT_T0_E_clISt17integral_constantIbLb1EES19_IbLb0EEEEDaS15_S16_EUlS15_E_NS1_11comp_targetILNS1_3genE10ELNS1_11target_archE1200ELNS1_3gpuE4ELNS1_3repE0EEENS1_30default_config_static_selectorELNS0_4arch9wavefront6targetE1EEEvT1_,"axG",@progbits,_ZN7rocprim17ROCPRIM_400000_NS6detail17trampoline_kernelINS0_14default_configENS1_25partition_config_selectorILNS1_17partition_subalgoE8ExNS0_10empty_typeEbEEZZNS1_14partition_implILS5_8ELb0ES3_jN6thrust23THRUST_200600_302600_NS6detail15normal_iteratorINSA_10device_ptrIxEEEEPS6_PKS6_NS0_5tupleIJSF_S6_EEENSJ_IJSG_SG_EEENS0_18inequality_wrapperINSA_8equal_toIxEEEEPmJS6_EEE10hipError_tPvRmT3_T4_T5_T6_T7_T9_mT8_P12ihipStream_tbDpT10_ENKUlT_T0_E_clISt17integral_constantIbLb1EES19_IbLb0EEEEDaS15_S16_EUlS15_E_NS1_11comp_targetILNS1_3genE10ELNS1_11target_archE1200ELNS1_3gpuE4ELNS1_3repE0EEENS1_30default_config_static_selectorELNS0_4arch9wavefront6targetE1EEEvT1_,comdat
	.protected	_ZN7rocprim17ROCPRIM_400000_NS6detail17trampoline_kernelINS0_14default_configENS1_25partition_config_selectorILNS1_17partition_subalgoE8ExNS0_10empty_typeEbEEZZNS1_14partition_implILS5_8ELb0ES3_jN6thrust23THRUST_200600_302600_NS6detail15normal_iteratorINSA_10device_ptrIxEEEEPS6_PKS6_NS0_5tupleIJSF_S6_EEENSJ_IJSG_SG_EEENS0_18inequality_wrapperINSA_8equal_toIxEEEEPmJS6_EEE10hipError_tPvRmT3_T4_T5_T6_T7_T9_mT8_P12ihipStream_tbDpT10_ENKUlT_T0_E_clISt17integral_constantIbLb1EES19_IbLb0EEEEDaS15_S16_EUlS15_E_NS1_11comp_targetILNS1_3genE10ELNS1_11target_archE1200ELNS1_3gpuE4ELNS1_3repE0EEENS1_30default_config_static_selectorELNS0_4arch9wavefront6targetE1EEEvT1_ ; -- Begin function _ZN7rocprim17ROCPRIM_400000_NS6detail17trampoline_kernelINS0_14default_configENS1_25partition_config_selectorILNS1_17partition_subalgoE8ExNS0_10empty_typeEbEEZZNS1_14partition_implILS5_8ELb0ES3_jN6thrust23THRUST_200600_302600_NS6detail15normal_iteratorINSA_10device_ptrIxEEEEPS6_PKS6_NS0_5tupleIJSF_S6_EEENSJ_IJSG_SG_EEENS0_18inequality_wrapperINSA_8equal_toIxEEEEPmJS6_EEE10hipError_tPvRmT3_T4_T5_T6_T7_T9_mT8_P12ihipStream_tbDpT10_ENKUlT_T0_E_clISt17integral_constantIbLb1EES19_IbLb0EEEEDaS15_S16_EUlS15_E_NS1_11comp_targetILNS1_3genE10ELNS1_11target_archE1200ELNS1_3gpuE4ELNS1_3repE0EEENS1_30default_config_static_selectorELNS0_4arch9wavefront6targetE1EEEvT1_
	.globl	_ZN7rocprim17ROCPRIM_400000_NS6detail17trampoline_kernelINS0_14default_configENS1_25partition_config_selectorILNS1_17partition_subalgoE8ExNS0_10empty_typeEbEEZZNS1_14partition_implILS5_8ELb0ES3_jN6thrust23THRUST_200600_302600_NS6detail15normal_iteratorINSA_10device_ptrIxEEEEPS6_PKS6_NS0_5tupleIJSF_S6_EEENSJ_IJSG_SG_EEENS0_18inequality_wrapperINSA_8equal_toIxEEEEPmJS6_EEE10hipError_tPvRmT3_T4_T5_T6_T7_T9_mT8_P12ihipStream_tbDpT10_ENKUlT_T0_E_clISt17integral_constantIbLb1EES19_IbLb0EEEEDaS15_S16_EUlS15_E_NS1_11comp_targetILNS1_3genE10ELNS1_11target_archE1200ELNS1_3gpuE4ELNS1_3repE0EEENS1_30default_config_static_selectorELNS0_4arch9wavefront6targetE1EEEvT1_
	.p2align	8
	.type	_ZN7rocprim17ROCPRIM_400000_NS6detail17trampoline_kernelINS0_14default_configENS1_25partition_config_selectorILNS1_17partition_subalgoE8ExNS0_10empty_typeEbEEZZNS1_14partition_implILS5_8ELb0ES3_jN6thrust23THRUST_200600_302600_NS6detail15normal_iteratorINSA_10device_ptrIxEEEEPS6_PKS6_NS0_5tupleIJSF_S6_EEENSJ_IJSG_SG_EEENS0_18inequality_wrapperINSA_8equal_toIxEEEEPmJS6_EEE10hipError_tPvRmT3_T4_T5_T6_T7_T9_mT8_P12ihipStream_tbDpT10_ENKUlT_T0_E_clISt17integral_constantIbLb1EES19_IbLb0EEEEDaS15_S16_EUlS15_E_NS1_11comp_targetILNS1_3genE10ELNS1_11target_archE1200ELNS1_3gpuE4ELNS1_3repE0EEENS1_30default_config_static_selectorELNS0_4arch9wavefront6targetE1EEEvT1_,@function
_ZN7rocprim17ROCPRIM_400000_NS6detail17trampoline_kernelINS0_14default_configENS1_25partition_config_selectorILNS1_17partition_subalgoE8ExNS0_10empty_typeEbEEZZNS1_14partition_implILS5_8ELb0ES3_jN6thrust23THRUST_200600_302600_NS6detail15normal_iteratorINSA_10device_ptrIxEEEEPS6_PKS6_NS0_5tupleIJSF_S6_EEENSJ_IJSG_SG_EEENS0_18inequality_wrapperINSA_8equal_toIxEEEEPmJS6_EEE10hipError_tPvRmT3_T4_T5_T6_T7_T9_mT8_P12ihipStream_tbDpT10_ENKUlT_T0_E_clISt17integral_constantIbLb1EES19_IbLb0EEEEDaS15_S16_EUlS15_E_NS1_11comp_targetILNS1_3genE10ELNS1_11target_archE1200ELNS1_3gpuE4ELNS1_3repE0EEENS1_30default_config_static_selectorELNS0_4arch9wavefront6targetE1EEEvT1_: ; @_ZN7rocprim17ROCPRIM_400000_NS6detail17trampoline_kernelINS0_14default_configENS1_25partition_config_selectorILNS1_17partition_subalgoE8ExNS0_10empty_typeEbEEZZNS1_14partition_implILS5_8ELb0ES3_jN6thrust23THRUST_200600_302600_NS6detail15normal_iteratorINSA_10device_ptrIxEEEEPS6_PKS6_NS0_5tupleIJSF_S6_EEENSJ_IJSG_SG_EEENS0_18inequality_wrapperINSA_8equal_toIxEEEEPmJS6_EEE10hipError_tPvRmT3_T4_T5_T6_T7_T9_mT8_P12ihipStream_tbDpT10_ENKUlT_T0_E_clISt17integral_constantIbLb1EES19_IbLb0EEEEDaS15_S16_EUlS15_E_NS1_11comp_targetILNS1_3genE10ELNS1_11target_archE1200ELNS1_3gpuE4ELNS1_3repE0EEENS1_30default_config_static_selectorELNS0_4arch9wavefront6targetE1EEEvT1_
; %bb.0:
	.section	.rodata,"a",@progbits
	.p2align	6, 0x0
	.amdhsa_kernel _ZN7rocprim17ROCPRIM_400000_NS6detail17trampoline_kernelINS0_14default_configENS1_25partition_config_selectorILNS1_17partition_subalgoE8ExNS0_10empty_typeEbEEZZNS1_14partition_implILS5_8ELb0ES3_jN6thrust23THRUST_200600_302600_NS6detail15normal_iteratorINSA_10device_ptrIxEEEEPS6_PKS6_NS0_5tupleIJSF_S6_EEENSJ_IJSG_SG_EEENS0_18inequality_wrapperINSA_8equal_toIxEEEEPmJS6_EEE10hipError_tPvRmT3_T4_T5_T6_T7_T9_mT8_P12ihipStream_tbDpT10_ENKUlT_T0_E_clISt17integral_constantIbLb1EES19_IbLb0EEEEDaS15_S16_EUlS15_E_NS1_11comp_targetILNS1_3genE10ELNS1_11target_archE1200ELNS1_3gpuE4ELNS1_3repE0EEENS1_30default_config_static_selectorELNS0_4arch9wavefront6targetE1EEEvT1_
		.amdhsa_group_segment_fixed_size 0
		.amdhsa_private_segment_fixed_size 0
		.amdhsa_kernarg_size 112
		.amdhsa_user_sgpr_count 6
		.amdhsa_user_sgpr_private_segment_buffer 1
		.amdhsa_user_sgpr_dispatch_ptr 0
		.amdhsa_user_sgpr_queue_ptr 0
		.amdhsa_user_sgpr_kernarg_segment_ptr 1
		.amdhsa_user_sgpr_dispatch_id 0
		.amdhsa_user_sgpr_flat_scratch_init 0
		.amdhsa_user_sgpr_private_segment_size 0
		.amdhsa_uses_dynamic_stack 0
		.amdhsa_system_sgpr_private_segment_wavefront_offset 0
		.amdhsa_system_sgpr_workgroup_id_x 1
		.amdhsa_system_sgpr_workgroup_id_y 0
		.amdhsa_system_sgpr_workgroup_id_z 0
		.amdhsa_system_sgpr_workgroup_info 0
		.amdhsa_system_vgpr_workitem_id 0
		.amdhsa_next_free_vgpr 1
		.amdhsa_next_free_sgpr 0
		.amdhsa_reserve_vcc 0
		.amdhsa_reserve_flat_scratch 0
		.amdhsa_float_round_mode_32 0
		.amdhsa_float_round_mode_16_64 0
		.amdhsa_float_denorm_mode_32 3
		.amdhsa_float_denorm_mode_16_64 3
		.amdhsa_dx10_clamp 1
		.amdhsa_ieee_mode 1
		.amdhsa_fp16_overflow 0
		.amdhsa_exception_fp_ieee_invalid_op 0
		.amdhsa_exception_fp_denorm_src 0
		.amdhsa_exception_fp_ieee_div_zero 0
		.amdhsa_exception_fp_ieee_overflow 0
		.amdhsa_exception_fp_ieee_underflow 0
		.amdhsa_exception_fp_ieee_inexact 0
		.amdhsa_exception_int_div_zero 0
	.end_amdhsa_kernel
	.section	.text._ZN7rocprim17ROCPRIM_400000_NS6detail17trampoline_kernelINS0_14default_configENS1_25partition_config_selectorILNS1_17partition_subalgoE8ExNS0_10empty_typeEbEEZZNS1_14partition_implILS5_8ELb0ES3_jN6thrust23THRUST_200600_302600_NS6detail15normal_iteratorINSA_10device_ptrIxEEEEPS6_PKS6_NS0_5tupleIJSF_S6_EEENSJ_IJSG_SG_EEENS0_18inequality_wrapperINSA_8equal_toIxEEEEPmJS6_EEE10hipError_tPvRmT3_T4_T5_T6_T7_T9_mT8_P12ihipStream_tbDpT10_ENKUlT_T0_E_clISt17integral_constantIbLb1EES19_IbLb0EEEEDaS15_S16_EUlS15_E_NS1_11comp_targetILNS1_3genE10ELNS1_11target_archE1200ELNS1_3gpuE4ELNS1_3repE0EEENS1_30default_config_static_selectorELNS0_4arch9wavefront6targetE1EEEvT1_,"axG",@progbits,_ZN7rocprim17ROCPRIM_400000_NS6detail17trampoline_kernelINS0_14default_configENS1_25partition_config_selectorILNS1_17partition_subalgoE8ExNS0_10empty_typeEbEEZZNS1_14partition_implILS5_8ELb0ES3_jN6thrust23THRUST_200600_302600_NS6detail15normal_iteratorINSA_10device_ptrIxEEEEPS6_PKS6_NS0_5tupleIJSF_S6_EEENSJ_IJSG_SG_EEENS0_18inequality_wrapperINSA_8equal_toIxEEEEPmJS6_EEE10hipError_tPvRmT3_T4_T5_T6_T7_T9_mT8_P12ihipStream_tbDpT10_ENKUlT_T0_E_clISt17integral_constantIbLb1EES19_IbLb0EEEEDaS15_S16_EUlS15_E_NS1_11comp_targetILNS1_3genE10ELNS1_11target_archE1200ELNS1_3gpuE4ELNS1_3repE0EEENS1_30default_config_static_selectorELNS0_4arch9wavefront6targetE1EEEvT1_,comdat
.Lfunc_end361:
	.size	_ZN7rocprim17ROCPRIM_400000_NS6detail17trampoline_kernelINS0_14default_configENS1_25partition_config_selectorILNS1_17partition_subalgoE8ExNS0_10empty_typeEbEEZZNS1_14partition_implILS5_8ELb0ES3_jN6thrust23THRUST_200600_302600_NS6detail15normal_iteratorINSA_10device_ptrIxEEEEPS6_PKS6_NS0_5tupleIJSF_S6_EEENSJ_IJSG_SG_EEENS0_18inequality_wrapperINSA_8equal_toIxEEEEPmJS6_EEE10hipError_tPvRmT3_T4_T5_T6_T7_T9_mT8_P12ihipStream_tbDpT10_ENKUlT_T0_E_clISt17integral_constantIbLb1EES19_IbLb0EEEEDaS15_S16_EUlS15_E_NS1_11comp_targetILNS1_3genE10ELNS1_11target_archE1200ELNS1_3gpuE4ELNS1_3repE0EEENS1_30default_config_static_selectorELNS0_4arch9wavefront6targetE1EEEvT1_, .Lfunc_end361-_ZN7rocprim17ROCPRIM_400000_NS6detail17trampoline_kernelINS0_14default_configENS1_25partition_config_selectorILNS1_17partition_subalgoE8ExNS0_10empty_typeEbEEZZNS1_14partition_implILS5_8ELb0ES3_jN6thrust23THRUST_200600_302600_NS6detail15normal_iteratorINSA_10device_ptrIxEEEEPS6_PKS6_NS0_5tupleIJSF_S6_EEENSJ_IJSG_SG_EEENS0_18inequality_wrapperINSA_8equal_toIxEEEEPmJS6_EEE10hipError_tPvRmT3_T4_T5_T6_T7_T9_mT8_P12ihipStream_tbDpT10_ENKUlT_T0_E_clISt17integral_constantIbLb1EES19_IbLb0EEEEDaS15_S16_EUlS15_E_NS1_11comp_targetILNS1_3genE10ELNS1_11target_archE1200ELNS1_3gpuE4ELNS1_3repE0EEENS1_30default_config_static_selectorELNS0_4arch9wavefront6targetE1EEEvT1_
                                        ; -- End function
	.set _ZN7rocprim17ROCPRIM_400000_NS6detail17trampoline_kernelINS0_14default_configENS1_25partition_config_selectorILNS1_17partition_subalgoE8ExNS0_10empty_typeEbEEZZNS1_14partition_implILS5_8ELb0ES3_jN6thrust23THRUST_200600_302600_NS6detail15normal_iteratorINSA_10device_ptrIxEEEEPS6_PKS6_NS0_5tupleIJSF_S6_EEENSJ_IJSG_SG_EEENS0_18inequality_wrapperINSA_8equal_toIxEEEEPmJS6_EEE10hipError_tPvRmT3_T4_T5_T6_T7_T9_mT8_P12ihipStream_tbDpT10_ENKUlT_T0_E_clISt17integral_constantIbLb1EES19_IbLb0EEEEDaS15_S16_EUlS15_E_NS1_11comp_targetILNS1_3genE10ELNS1_11target_archE1200ELNS1_3gpuE4ELNS1_3repE0EEENS1_30default_config_static_selectorELNS0_4arch9wavefront6targetE1EEEvT1_.num_vgpr, 0
	.set _ZN7rocprim17ROCPRIM_400000_NS6detail17trampoline_kernelINS0_14default_configENS1_25partition_config_selectorILNS1_17partition_subalgoE8ExNS0_10empty_typeEbEEZZNS1_14partition_implILS5_8ELb0ES3_jN6thrust23THRUST_200600_302600_NS6detail15normal_iteratorINSA_10device_ptrIxEEEEPS6_PKS6_NS0_5tupleIJSF_S6_EEENSJ_IJSG_SG_EEENS0_18inequality_wrapperINSA_8equal_toIxEEEEPmJS6_EEE10hipError_tPvRmT3_T4_T5_T6_T7_T9_mT8_P12ihipStream_tbDpT10_ENKUlT_T0_E_clISt17integral_constantIbLb1EES19_IbLb0EEEEDaS15_S16_EUlS15_E_NS1_11comp_targetILNS1_3genE10ELNS1_11target_archE1200ELNS1_3gpuE4ELNS1_3repE0EEENS1_30default_config_static_selectorELNS0_4arch9wavefront6targetE1EEEvT1_.num_agpr, 0
	.set _ZN7rocprim17ROCPRIM_400000_NS6detail17trampoline_kernelINS0_14default_configENS1_25partition_config_selectorILNS1_17partition_subalgoE8ExNS0_10empty_typeEbEEZZNS1_14partition_implILS5_8ELb0ES3_jN6thrust23THRUST_200600_302600_NS6detail15normal_iteratorINSA_10device_ptrIxEEEEPS6_PKS6_NS0_5tupleIJSF_S6_EEENSJ_IJSG_SG_EEENS0_18inequality_wrapperINSA_8equal_toIxEEEEPmJS6_EEE10hipError_tPvRmT3_T4_T5_T6_T7_T9_mT8_P12ihipStream_tbDpT10_ENKUlT_T0_E_clISt17integral_constantIbLb1EES19_IbLb0EEEEDaS15_S16_EUlS15_E_NS1_11comp_targetILNS1_3genE10ELNS1_11target_archE1200ELNS1_3gpuE4ELNS1_3repE0EEENS1_30default_config_static_selectorELNS0_4arch9wavefront6targetE1EEEvT1_.numbered_sgpr, 0
	.set _ZN7rocprim17ROCPRIM_400000_NS6detail17trampoline_kernelINS0_14default_configENS1_25partition_config_selectorILNS1_17partition_subalgoE8ExNS0_10empty_typeEbEEZZNS1_14partition_implILS5_8ELb0ES3_jN6thrust23THRUST_200600_302600_NS6detail15normal_iteratorINSA_10device_ptrIxEEEEPS6_PKS6_NS0_5tupleIJSF_S6_EEENSJ_IJSG_SG_EEENS0_18inequality_wrapperINSA_8equal_toIxEEEEPmJS6_EEE10hipError_tPvRmT3_T4_T5_T6_T7_T9_mT8_P12ihipStream_tbDpT10_ENKUlT_T0_E_clISt17integral_constantIbLb1EES19_IbLb0EEEEDaS15_S16_EUlS15_E_NS1_11comp_targetILNS1_3genE10ELNS1_11target_archE1200ELNS1_3gpuE4ELNS1_3repE0EEENS1_30default_config_static_selectorELNS0_4arch9wavefront6targetE1EEEvT1_.num_named_barrier, 0
	.set _ZN7rocprim17ROCPRIM_400000_NS6detail17trampoline_kernelINS0_14default_configENS1_25partition_config_selectorILNS1_17partition_subalgoE8ExNS0_10empty_typeEbEEZZNS1_14partition_implILS5_8ELb0ES3_jN6thrust23THRUST_200600_302600_NS6detail15normal_iteratorINSA_10device_ptrIxEEEEPS6_PKS6_NS0_5tupleIJSF_S6_EEENSJ_IJSG_SG_EEENS0_18inequality_wrapperINSA_8equal_toIxEEEEPmJS6_EEE10hipError_tPvRmT3_T4_T5_T6_T7_T9_mT8_P12ihipStream_tbDpT10_ENKUlT_T0_E_clISt17integral_constantIbLb1EES19_IbLb0EEEEDaS15_S16_EUlS15_E_NS1_11comp_targetILNS1_3genE10ELNS1_11target_archE1200ELNS1_3gpuE4ELNS1_3repE0EEENS1_30default_config_static_selectorELNS0_4arch9wavefront6targetE1EEEvT1_.private_seg_size, 0
	.set _ZN7rocprim17ROCPRIM_400000_NS6detail17trampoline_kernelINS0_14default_configENS1_25partition_config_selectorILNS1_17partition_subalgoE8ExNS0_10empty_typeEbEEZZNS1_14partition_implILS5_8ELb0ES3_jN6thrust23THRUST_200600_302600_NS6detail15normal_iteratorINSA_10device_ptrIxEEEEPS6_PKS6_NS0_5tupleIJSF_S6_EEENSJ_IJSG_SG_EEENS0_18inequality_wrapperINSA_8equal_toIxEEEEPmJS6_EEE10hipError_tPvRmT3_T4_T5_T6_T7_T9_mT8_P12ihipStream_tbDpT10_ENKUlT_T0_E_clISt17integral_constantIbLb1EES19_IbLb0EEEEDaS15_S16_EUlS15_E_NS1_11comp_targetILNS1_3genE10ELNS1_11target_archE1200ELNS1_3gpuE4ELNS1_3repE0EEENS1_30default_config_static_selectorELNS0_4arch9wavefront6targetE1EEEvT1_.uses_vcc, 0
	.set _ZN7rocprim17ROCPRIM_400000_NS6detail17trampoline_kernelINS0_14default_configENS1_25partition_config_selectorILNS1_17partition_subalgoE8ExNS0_10empty_typeEbEEZZNS1_14partition_implILS5_8ELb0ES3_jN6thrust23THRUST_200600_302600_NS6detail15normal_iteratorINSA_10device_ptrIxEEEEPS6_PKS6_NS0_5tupleIJSF_S6_EEENSJ_IJSG_SG_EEENS0_18inequality_wrapperINSA_8equal_toIxEEEEPmJS6_EEE10hipError_tPvRmT3_T4_T5_T6_T7_T9_mT8_P12ihipStream_tbDpT10_ENKUlT_T0_E_clISt17integral_constantIbLb1EES19_IbLb0EEEEDaS15_S16_EUlS15_E_NS1_11comp_targetILNS1_3genE10ELNS1_11target_archE1200ELNS1_3gpuE4ELNS1_3repE0EEENS1_30default_config_static_selectorELNS0_4arch9wavefront6targetE1EEEvT1_.uses_flat_scratch, 0
	.set _ZN7rocprim17ROCPRIM_400000_NS6detail17trampoline_kernelINS0_14default_configENS1_25partition_config_selectorILNS1_17partition_subalgoE8ExNS0_10empty_typeEbEEZZNS1_14partition_implILS5_8ELb0ES3_jN6thrust23THRUST_200600_302600_NS6detail15normal_iteratorINSA_10device_ptrIxEEEEPS6_PKS6_NS0_5tupleIJSF_S6_EEENSJ_IJSG_SG_EEENS0_18inequality_wrapperINSA_8equal_toIxEEEEPmJS6_EEE10hipError_tPvRmT3_T4_T5_T6_T7_T9_mT8_P12ihipStream_tbDpT10_ENKUlT_T0_E_clISt17integral_constantIbLb1EES19_IbLb0EEEEDaS15_S16_EUlS15_E_NS1_11comp_targetILNS1_3genE10ELNS1_11target_archE1200ELNS1_3gpuE4ELNS1_3repE0EEENS1_30default_config_static_selectorELNS0_4arch9wavefront6targetE1EEEvT1_.has_dyn_sized_stack, 0
	.set _ZN7rocprim17ROCPRIM_400000_NS6detail17trampoline_kernelINS0_14default_configENS1_25partition_config_selectorILNS1_17partition_subalgoE8ExNS0_10empty_typeEbEEZZNS1_14partition_implILS5_8ELb0ES3_jN6thrust23THRUST_200600_302600_NS6detail15normal_iteratorINSA_10device_ptrIxEEEEPS6_PKS6_NS0_5tupleIJSF_S6_EEENSJ_IJSG_SG_EEENS0_18inequality_wrapperINSA_8equal_toIxEEEEPmJS6_EEE10hipError_tPvRmT3_T4_T5_T6_T7_T9_mT8_P12ihipStream_tbDpT10_ENKUlT_T0_E_clISt17integral_constantIbLb1EES19_IbLb0EEEEDaS15_S16_EUlS15_E_NS1_11comp_targetILNS1_3genE10ELNS1_11target_archE1200ELNS1_3gpuE4ELNS1_3repE0EEENS1_30default_config_static_selectorELNS0_4arch9wavefront6targetE1EEEvT1_.has_recursion, 0
	.set _ZN7rocprim17ROCPRIM_400000_NS6detail17trampoline_kernelINS0_14default_configENS1_25partition_config_selectorILNS1_17partition_subalgoE8ExNS0_10empty_typeEbEEZZNS1_14partition_implILS5_8ELb0ES3_jN6thrust23THRUST_200600_302600_NS6detail15normal_iteratorINSA_10device_ptrIxEEEEPS6_PKS6_NS0_5tupleIJSF_S6_EEENSJ_IJSG_SG_EEENS0_18inequality_wrapperINSA_8equal_toIxEEEEPmJS6_EEE10hipError_tPvRmT3_T4_T5_T6_T7_T9_mT8_P12ihipStream_tbDpT10_ENKUlT_T0_E_clISt17integral_constantIbLb1EES19_IbLb0EEEEDaS15_S16_EUlS15_E_NS1_11comp_targetILNS1_3genE10ELNS1_11target_archE1200ELNS1_3gpuE4ELNS1_3repE0EEENS1_30default_config_static_selectorELNS0_4arch9wavefront6targetE1EEEvT1_.has_indirect_call, 0
	.section	.AMDGPU.csdata,"",@progbits
; Kernel info:
; codeLenInByte = 0
; TotalNumSgprs: 4
; NumVgprs: 0
; ScratchSize: 0
; MemoryBound: 0
; FloatMode: 240
; IeeeMode: 1
; LDSByteSize: 0 bytes/workgroup (compile time only)
; SGPRBlocks: 0
; VGPRBlocks: 0
; NumSGPRsForWavesPerEU: 4
; NumVGPRsForWavesPerEU: 1
; Occupancy: 10
; WaveLimiterHint : 0
; COMPUTE_PGM_RSRC2:SCRATCH_EN: 0
; COMPUTE_PGM_RSRC2:USER_SGPR: 6
; COMPUTE_PGM_RSRC2:TRAP_HANDLER: 0
; COMPUTE_PGM_RSRC2:TGID_X_EN: 1
; COMPUTE_PGM_RSRC2:TGID_Y_EN: 0
; COMPUTE_PGM_RSRC2:TGID_Z_EN: 0
; COMPUTE_PGM_RSRC2:TIDIG_COMP_CNT: 0
	.section	.text._ZN7rocprim17ROCPRIM_400000_NS6detail17trampoline_kernelINS0_14default_configENS1_25partition_config_selectorILNS1_17partition_subalgoE8ExNS0_10empty_typeEbEEZZNS1_14partition_implILS5_8ELb0ES3_jN6thrust23THRUST_200600_302600_NS6detail15normal_iteratorINSA_10device_ptrIxEEEEPS6_PKS6_NS0_5tupleIJSF_S6_EEENSJ_IJSG_SG_EEENS0_18inequality_wrapperINSA_8equal_toIxEEEEPmJS6_EEE10hipError_tPvRmT3_T4_T5_T6_T7_T9_mT8_P12ihipStream_tbDpT10_ENKUlT_T0_E_clISt17integral_constantIbLb1EES19_IbLb0EEEEDaS15_S16_EUlS15_E_NS1_11comp_targetILNS1_3genE9ELNS1_11target_archE1100ELNS1_3gpuE3ELNS1_3repE0EEENS1_30default_config_static_selectorELNS0_4arch9wavefront6targetE1EEEvT1_,"axG",@progbits,_ZN7rocprim17ROCPRIM_400000_NS6detail17trampoline_kernelINS0_14default_configENS1_25partition_config_selectorILNS1_17partition_subalgoE8ExNS0_10empty_typeEbEEZZNS1_14partition_implILS5_8ELb0ES3_jN6thrust23THRUST_200600_302600_NS6detail15normal_iteratorINSA_10device_ptrIxEEEEPS6_PKS6_NS0_5tupleIJSF_S6_EEENSJ_IJSG_SG_EEENS0_18inequality_wrapperINSA_8equal_toIxEEEEPmJS6_EEE10hipError_tPvRmT3_T4_T5_T6_T7_T9_mT8_P12ihipStream_tbDpT10_ENKUlT_T0_E_clISt17integral_constantIbLb1EES19_IbLb0EEEEDaS15_S16_EUlS15_E_NS1_11comp_targetILNS1_3genE9ELNS1_11target_archE1100ELNS1_3gpuE3ELNS1_3repE0EEENS1_30default_config_static_selectorELNS0_4arch9wavefront6targetE1EEEvT1_,comdat
	.protected	_ZN7rocprim17ROCPRIM_400000_NS6detail17trampoline_kernelINS0_14default_configENS1_25partition_config_selectorILNS1_17partition_subalgoE8ExNS0_10empty_typeEbEEZZNS1_14partition_implILS5_8ELb0ES3_jN6thrust23THRUST_200600_302600_NS6detail15normal_iteratorINSA_10device_ptrIxEEEEPS6_PKS6_NS0_5tupleIJSF_S6_EEENSJ_IJSG_SG_EEENS0_18inequality_wrapperINSA_8equal_toIxEEEEPmJS6_EEE10hipError_tPvRmT3_T4_T5_T6_T7_T9_mT8_P12ihipStream_tbDpT10_ENKUlT_T0_E_clISt17integral_constantIbLb1EES19_IbLb0EEEEDaS15_S16_EUlS15_E_NS1_11comp_targetILNS1_3genE9ELNS1_11target_archE1100ELNS1_3gpuE3ELNS1_3repE0EEENS1_30default_config_static_selectorELNS0_4arch9wavefront6targetE1EEEvT1_ ; -- Begin function _ZN7rocprim17ROCPRIM_400000_NS6detail17trampoline_kernelINS0_14default_configENS1_25partition_config_selectorILNS1_17partition_subalgoE8ExNS0_10empty_typeEbEEZZNS1_14partition_implILS5_8ELb0ES3_jN6thrust23THRUST_200600_302600_NS6detail15normal_iteratorINSA_10device_ptrIxEEEEPS6_PKS6_NS0_5tupleIJSF_S6_EEENSJ_IJSG_SG_EEENS0_18inequality_wrapperINSA_8equal_toIxEEEEPmJS6_EEE10hipError_tPvRmT3_T4_T5_T6_T7_T9_mT8_P12ihipStream_tbDpT10_ENKUlT_T0_E_clISt17integral_constantIbLb1EES19_IbLb0EEEEDaS15_S16_EUlS15_E_NS1_11comp_targetILNS1_3genE9ELNS1_11target_archE1100ELNS1_3gpuE3ELNS1_3repE0EEENS1_30default_config_static_selectorELNS0_4arch9wavefront6targetE1EEEvT1_
	.globl	_ZN7rocprim17ROCPRIM_400000_NS6detail17trampoline_kernelINS0_14default_configENS1_25partition_config_selectorILNS1_17partition_subalgoE8ExNS0_10empty_typeEbEEZZNS1_14partition_implILS5_8ELb0ES3_jN6thrust23THRUST_200600_302600_NS6detail15normal_iteratorINSA_10device_ptrIxEEEEPS6_PKS6_NS0_5tupleIJSF_S6_EEENSJ_IJSG_SG_EEENS0_18inequality_wrapperINSA_8equal_toIxEEEEPmJS6_EEE10hipError_tPvRmT3_T4_T5_T6_T7_T9_mT8_P12ihipStream_tbDpT10_ENKUlT_T0_E_clISt17integral_constantIbLb1EES19_IbLb0EEEEDaS15_S16_EUlS15_E_NS1_11comp_targetILNS1_3genE9ELNS1_11target_archE1100ELNS1_3gpuE3ELNS1_3repE0EEENS1_30default_config_static_selectorELNS0_4arch9wavefront6targetE1EEEvT1_
	.p2align	8
	.type	_ZN7rocprim17ROCPRIM_400000_NS6detail17trampoline_kernelINS0_14default_configENS1_25partition_config_selectorILNS1_17partition_subalgoE8ExNS0_10empty_typeEbEEZZNS1_14partition_implILS5_8ELb0ES3_jN6thrust23THRUST_200600_302600_NS6detail15normal_iteratorINSA_10device_ptrIxEEEEPS6_PKS6_NS0_5tupleIJSF_S6_EEENSJ_IJSG_SG_EEENS0_18inequality_wrapperINSA_8equal_toIxEEEEPmJS6_EEE10hipError_tPvRmT3_T4_T5_T6_T7_T9_mT8_P12ihipStream_tbDpT10_ENKUlT_T0_E_clISt17integral_constantIbLb1EES19_IbLb0EEEEDaS15_S16_EUlS15_E_NS1_11comp_targetILNS1_3genE9ELNS1_11target_archE1100ELNS1_3gpuE3ELNS1_3repE0EEENS1_30default_config_static_selectorELNS0_4arch9wavefront6targetE1EEEvT1_,@function
_ZN7rocprim17ROCPRIM_400000_NS6detail17trampoline_kernelINS0_14default_configENS1_25partition_config_selectorILNS1_17partition_subalgoE8ExNS0_10empty_typeEbEEZZNS1_14partition_implILS5_8ELb0ES3_jN6thrust23THRUST_200600_302600_NS6detail15normal_iteratorINSA_10device_ptrIxEEEEPS6_PKS6_NS0_5tupleIJSF_S6_EEENSJ_IJSG_SG_EEENS0_18inequality_wrapperINSA_8equal_toIxEEEEPmJS6_EEE10hipError_tPvRmT3_T4_T5_T6_T7_T9_mT8_P12ihipStream_tbDpT10_ENKUlT_T0_E_clISt17integral_constantIbLb1EES19_IbLb0EEEEDaS15_S16_EUlS15_E_NS1_11comp_targetILNS1_3genE9ELNS1_11target_archE1100ELNS1_3gpuE3ELNS1_3repE0EEENS1_30default_config_static_selectorELNS0_4arch9wavefront6targetE1EEEvT1_: ; @_ZN7rocprim17ROCPRIM_400000_NS6detail17trampoline_kernelINS0_14default_configENS1_25partition_config_selectorILNS1_17partition_subalgoE8ExNS0_10empty_typeEbEEZZNS1_14partition_implILS5_8ELb0ES3_jN6thrust23THRUST_200600_302600_NS6detail15normal_iteratorINSA_10device_ptrIxEEEEPS6_PKS6_NS0_5tupleIJSF_S6_EEENSJ_IJSG_SG_EEENS0_18inequality_wrapperINSA_8equal_toIxEEEEPmJS6_EEE10hipError_tPvRmT3_T4_T5_T6_T7_T9_mT8_P12ihipStream_tbDpT10_ENKUlT_T0_E_clISt17integral_constantIbLb1EES19_IbLb0EEEEDaS15_S16_EUlS15_E_NS1_11comp_targetILNS1_3genE9ELNS1_11target_archE1100ELNS1_3gpuE3ELNS1_3repE0EEENS1_30default_config_static_selectorELNS0_4arch9wavefront6targetE1EEEvT1_
; %bb.0:
	.section	.rodata,"a",@progbits
	.p2align	6, 0x0
	.amdhsa_kernel _ZN7rocprim17ROCPRIM_400000_NS6detail17trampoline_kernelINS0_14default_configENS1_25partition_config_selectorILNS1_17partition_subalgoE8ExNS0_10empty_typeEbEEZZNS1_14partition_implILS5_8ELb0ES3_jN6thrust23THRUST_200600_302600_NS6detail15normal_iteratorINSA_10device_ptrIxEEEEPS6_PKS6_NS0_5tupleIJSF_S6_EEENSJ_IJSG_SG_EEENS0_18inequality_wrapperINSA_8equal_toIxEEEEPmJS6_EEE10hipError_tPvRmT3_T4_T5_T6_T7_T9_mT8_P12ihipStream_tbDpT10_ENKUlT_T0_E_clISt17integral_constantIbLb1EES19_IbLb0EEEEDaS15_S16_EUlS15_E_NS1_11comp_targetILNS1_3genE9ELNS1_11target_archE1100ELNS1_3gpuE3ELNS1_3repE0EEENS1_30default_config_static_selectorELNS0_4arch9wavefront6targetE1EEEvT1_
		.amdhsa_group_segment_fixed_size 0
		.amdhsa_private_segment_fixed_size 0
		.amdhsa_kernarg_size 112
		.amdhsa_user_sgpr_count 6
		.amdhsa_user_sgpr_private_segment_buffer 1
		.amdhsa_user_sgpr_dispatch_ptr 0
		.amdhsa_user_sgpr_queue_ptr 0
		.amdhsa_user_sgpr_kernarg_segment_ptr 1
		.amdhsa_user_sgpr_dispatch_id 0
		.amdhsa_user_sgpr_flat_scratch_init 0
		.amdhsa_user_sgpr_private_segment_size 0
		.amdhsa_uses_dynamic_stack 0
		.amdhsa_system_sgpr_private_segment_wavefront_offset 0
		.amdhsa_system_sgpr_workgroup_id_x 1
		.amdhsa_system_sgpr_workgroup_id_y 0
		.amdhsa_system_sgpr_workgroup_id_z 0
		.amdhsa_system_sgpr_workgroup_info 0
		.amdhsa_system_vgpr_workitem_id 0
		.amdhsa_next_free_vgpr 1
		.amdhsa_next_free_sgpr 0
		.amdhsa_reserve_vcc 0
		.amdhsa_reserve_flat_scratch 0
		.amdhsa_float_round_mode_32 0
		.amdhsa_float_round_mode_16_64 0
		.amdhsa_float_denorm_mode_32 3
		.amdhsa_float_denorm_mode_16_64 3
		.amdhsa_dx10_clamp 1
		.amdhsa_ieee_mode 1
		.amdhsa_fp16_overflow 0
		.amdhsa_exception_fp_ieee_invalid_op 0
		.amdhsa_exception_fp_denorm_src 0
		.amdhsa_exception_fp_ieee_div_zero 0
		.amdhsa_exception_fp_ieee_overflow 0
		.amdhsa_exception_fp_ieee_underflow 0
		.amdhsa_exception_fp_ieee_inexact 0
		.amdhsa_exception_int_div_zero 0
	.end_amdhsa_kernel
	.section	.text._ZN7rocprim17ROCPRIM_400000_NS6detail17trampoline_kernelINS0_14default_configENS1_25partition_config_selectorILNS1_17partition_subalgoE8ExNS0_10empty_typeEbEEZZNS1_14partition_implILS5_8ELb0ES3_jN6thrust23THRUST_200600_302600_NS6detail15normal_iteratorINSA_10device_ptrIxEEEEPS6_PKS6_NS0_5tupleIJSF_S6_EEENSJ_IJSG_SG_EEENS0_18inequality_wrapperINSA_8equal_toIxEEEEPmJS6_EEE10hipError_tPvRmT3_T4_T5_T6_T7_T9_mT8_P12ihipStream_tbDpT10_ENKUlT_T0_E_clISt17integral_constantIbLb1EES19_IbLb0EEEEDaS15_S16_EUlS15_E_NS1_11comp_targetILNS1_3genE9ELNS1_11target_archE1100ELNS1_3gpuE3ELNS1_3repE0EEENS1_30default_config_static_selectorELNS0_4arch9wavefront6targetE1EEEvT1_,"axG",@progbits,_ZN7rocprim17ROCPRIM_400000_NS6detail17trampoline_kernelINS0_14default_configENS1_25partition_config_selectorILNS1_17partition_subalgoE8ExNS0_10empty_typeEbEEZZNS1_14partition_implILS5_8ELb0ES3_jN6thrust23THRUST_200600_302600_NS6detail15normal_iteratorINSA_10device_ptrIxEEEEPS6_PKS6_NS0_5tupleIJSF_S6_EEENSJ_IJSG_SG_EEENS0_18inequality_wrapperINSA_8equal_toIxEEEEPmJS6_EEE10hipError_tPvRmT3_T4_T5_T6_T7_T9_mT8_P12ihipStream_tbDpT10_ENKUlT_T0_E_clISt17integral_constantIbLb1EES19_IbLb0EEEEDaS15_S16_EUlS15_E_NS1_11comp_targetILNS1_3genE9ELNS1_11target_archE1100ELNS1_3gpuE3ELNS1_3repE0EEENS1_30default_config_static_selectorELNS0_4arch9wavefront6targetE1EEEvT1_,comdat
.Lfunc_end362:
	.size	_ZN7rocprim17ROCPRIM_400000_NS6detail17trampoline_kernelINS0_14default_configENS1_25partition_config_selectorILNS1_17partition_subalgoE8ExNS0_10empty_typeEbEEZZNS1_14partition_implILS5_8ELb0ES3_jN6thrust23THRUST_200600_302600_NS6detail15normal_iteratorINSA_10device_ptrIxEEEEPS6_PKS6_NS0_5tupleIJSF_S6_EEENSJ_IJSG_SG_EEENS0_18inequality_wrapperINSA_8equal_toIxEEEEPmJS6_EEE10hipError_tPvRmT3_T4_T5_T6_T7_T9_mT8_P12ihipStream_tbDpT10_ENKUlT_T0_E_clISt17integral_constantIbLb1EES19_IbLb0EEEEDaS15_S16_EUlS15_E_NS1_11comp_targetILNS1_3genE9ELNS1_11target_archE1100ELNS1_3gpuE3ELNS1_3repE0EEENS1_30default_config_static_selectorELNS0_4arch9wavefront6targetE1EEEvT1_, .Lfunc_end362-_ZN7rocprim17ROCPRIM_400000_NS6detail17trampoline_kernelINS0_14default_configENS1_25partition_config_selectorILNS1_17partition_subalgoE8ExNS0_10empty_typeEbEEZZNS1_14partition_implILS5_8ELb0ES3_jN6thrust23THRUST_200600_302600_NS6detail15normal_iteratorINSA_10device_ptrIxEEEEPS6_PKS6_NS0_5tupleIJSF_S6_EEENSJ_IJSG_SG_EEENS0_18inequality_wrapperINSA_8equal_toIxEEEEPmJS6_EEE10hipError_tPvRmT3_T4_T5_T6_T7_T9_mT8_P12ihipStream_tbDpT10_ENKUlT_T0_E_clISt17integral_constantIbLb1EES19_IbLb0EEEEDaS15_S16_EUlS15_E_NS1_11comp_targetILNS1_3genE9ELNS1_11target_archE1100ELNS1_3gpuE3ELNS1_3repE0EEENS1_30default_config_static_selectorELNS0_4arch9wavefront6targetE1EEEvT1_
                                        ; -- End function
	.set _ZN7rocprim17ROCPRIM_400000_NS6detail17trampoline_kernelINS0_14default_configENS1_25partition_config_selectorILNS1_17partition_subalgoE8ExNS0_10empty_typeEbEEZZNS1_14partition_implILS5_8ELb0ES3_jN6thrust23THRUST_200600_302600_NS6detail15normal_iteratorINSA_10device_ptrIxEEEEPS6_PKS6_NS0_5tupleIJSF_S6_EEENSJ_IJSG_SG_EEENS0_18inequality_wrapperINSA_8equal_toIxEEEEPmJS6_EEE10hipError_tPvRmT3_T4_T5_T6_T7_T9_mT8_P12ihipStream_tbDpT10_ENKUlT_T0_E_clISt17integral_constantIbLb1EES19_IbLb0EEEEDaS15_S16_EUlS15_E_NS1_11comp_targetILNS1_3genE9ELNS1_11target_archE1100ELNS1_3gpuE3ELNS1_3repE0EEENS1_30default_config_static_selectorELNS0_4arch9wavefront6targetE1EEEvT1_.num_vgpr, 0
	.set _ZN7rocprim17ROCPRIM_400000_NS6detail17trampoline_kernelINS0_14default_configENS1_25partition_config_selectorILNS1_17partition_subalgoE8ExNS0_10empty_typeEbEEZZNS1_14partition_implILS5_8ELb0ES3_jN6thrust23THRUST_200600_302600_NS6detail15normal_iteratorINSA_10device_ptrIxEEEEPS6_PKS6_NS0_5tupleIJSF_S6_EEENSJ_IJSG_SG_EEENS0_18inequality_wrapperINSA_8equal_toIxEEEEPmJS6_EEE10hipError_tPvRmT3_T4_T5_T6_T7_T9_mT8_P12ihipStream_tbDpT10_ENKUlT_T0_E_clISt17integral_constantIbLb1EES19_IbLb0EEEEDaS15_S16_EUlS15_E_NS1_11comp_targetILNS1_3genE9ELNS1_11target_archE1100ELNS1_3gpuE3ELNS1_3repE0EEENS1_30default_config_static_selectorELNS0_4arch9wavefront6targetE1EEEvT1_.num_agpr, 0
	.set _ZN7rocprim17ROCPRIM_400000_NS6detail17trampoline_kernelINS0_14default_configENS1_25partition_config_selectorILNS1_17partition_subalgoE8ExNS0_10empty_typeEbEEZZNS1_14partition_implILS5_8ELb0ES3_jN6thrust23THRUST_200600_302600_NS6detail15normal_iteratorINSA_10device_ptrIxEEEEPS6_PKS6_NS0_5tupleIJSF_S6_EEENSJ_IJSG_SG_EEENS0_18inequality_wrapperINSA_8equal_toIxEEEEPmJS6_EEE10hipError_tPvRmT3_T4_T5_T6_T7_T9_mT8_P12ihipStream_tbDpT10_ENKUlT_T0_E_clISt17integral_constantIbLb1EES19_IbLb0EEEEDaS15_S16_EUlS15_E_NS1_11comp_targetILNS1_3genE9ELNS1_11target_archE1100ELNS1_3gpuE3ELNS1_3repE0EEENS1_30default_config_static_selectorELNS0_4arch9wavefront6targetE1EEEvT1_.numbered_sgpr, 0
	.set _ZN7rocprim17ROCPRIM_400000_NS6detail17trampoline_kernelINS0_14default_configENS1_25partition_config_selectorILNS1_17partition_subalgoE8ExNS0_10empty_typeEbEEZZNS1_14partition_implILS5_8ELb0ES3_jN6thrust23THRUST_200600_302600_NS6detail15normal_iteratorINSA_10device_ptrIxEEEEPS6_PKS6_NS0_5tupleIJSF_S6_EEENSJ_IJSG_SG_EEENS0_18inequality_wrapperINSA_8equal_toIxEEEEPmJS6_EEE10hipError_tPvRmT3_T4_T5_T6_T7_T9_mT8_P12ihipStream_tbDpT10_ENKUlT_T0_E_clISt17integral_constantIbLb1EES19_IbLb0EEEEDaS15_S16_EUlS15_E_NS1_11comp_targetILNS1_3genE9ELNS1_11target_archE1100ELNS1_3gpuE3ELNS1_3repE0EEENS1_30default_config_static_selectorELNS0_4arch9wavefront6targetE1EEEvT1_.num_named_barrier, 0
	.set _ZN7rocprim17ROCPRIM_400000_NS6detail17trampoline_kernelINS0_14default_configENS1_25partition_config_selectorILNS1_17partition_subalgoE8ExNS0_10empty_typeEbEEZZNS1_14partition_implILS5_8ELb0ES3_jN6thrust23THRUST_200600_302600_NS6detail15normal_iteratorINSA_10device_ptrIxEEEEPS6_PKS6_NS0_5tupleIJSF_S6_EEENSJ_IJSG_SG_EEENS0_18inequality_wrapperINSA_8equal_toIxEEEEPmJS6_EEE10hipError_tPvRmT3_T4_T5_T6_T7_T9_mT8_P12ihipStream_tbDpT10_ENKUlT_T0_E_clISt17integral_constantIbLb1EES19_IbLb0EEEEDaS15_S16_EUlS15_E_NS1_11comp_targetILNS1_3genE9ELNS1_11target_archE1100ELNS1_3gpuE3ELNS1_3repE0EEENS1_30default_config_static_selectorELNS0_4arch9wavefront6targetE1EEEvT1_.private_seg_size, 0
	.set _ZN7rocprim17ROCPRIM_400000_NS6detail17trampoline_kernelINS0_14default_configENS1_25partition_config_selectorILNS1_17partition_subalgoE8ExNS0_10empty_typeEbEEZZNS1_14partition_implILS5_8ELb0ES3_jN6thrust23THRUST_200600_302600_NS6detail15normal_iteratorINSA_10device_ptrIxEEEEPS6_PKS6_NS0_5tupleIJSF_S6_EEENSJ_IJSG_SG_EEENS0_18inequality_wrapperINSA_8equal_toIxEEEEPmJS6_EEE10hipError_tPvRmT3_T4_T5_T6_T7_T9_mT8_P12ihipStream_tbDpT10_ENKUlT_T0_E_clISt17integral_constantIbLb1EES19_IbLb0EEEEDaS15_S16_EUlS15_E_NS1_11comp_targetILNS1_3genE9ELNS1_11target_archE1100ELNS1_3gpuE3ELNS1_3repE0EEENS1_30default_config_static_selectorELNS0_4arch9wavefront6targetE1EEEvT1_.uses_vcc, 0
	.set _ZN7rocprim17ROCPRIM_400000_NS6detail17trampoline_kernelINS0_14default_configENS1_25partition_config_selectorILNS1_17partition_subalgoE8ExNS0_10empty_typeEbEEZZNS1_14partition_implILS5_8ELb0ES3_jN6thrust23THRUST_200600_302600_NS6detail15normal_iteratorINSA_10device_ptrIxEEEEPS6_PKS6_NS0_5tupleIJSF_S6_EEENSJ_IJSG_SG_EEENS0_18inequality_wrapperINSA_8equal_toIxEEEEPmJS6_EEE10hipError_tPvRmT3_T4_T5_T6_T7_T9_mT8_P12ihipStream_tbDpT10_ENKUlT_T0_E_clISt17integral_constantIbLb1EES19_IbLb0EEEEDaS15_S16_EUlS15_E_NS1_11comp_targetILNS1_3genE9ELNS1_11target_archE1100ELNS1_3gpuE3ELNS1_3repE0EEENS1_30default_config_static_selectorELNS0_4arch9wavefront6targetE1EEEvT1_.uses_flat_scratch, 0
	.set _ZN7rocprim17ROCPRIM_400000_NS6detail17trampoline_kernelINS0_14default_configENS1_25partition_config_selectorILNS1_17partition_subalgoE8ExNS0_10empty_typeEbEEZZNS1_14partition_implILS5_8ELb0ES3_jN6thrust23THRUST_200600_302600_NS6detail15normal_iteratorINSA_10device_ptrIxEEEEPS6_PKS6_NS0_5tupleIJSF_S6_EEENSJ_IJSG_SG_EEENS0_18inequality_wrapperINSA_8equal_toIxEEEEPmJS6_EEE10hipError_tPvRmT3_T4_T5_T6_T7_T9_mT8_P12ihipStream_tbDpT10_ENKUlT_T0_E_clISt17integral_constantIbLb1EES19_IbLb0EEEEDaS15_S16_EUlS15_E_NS1_11comp_targetILNS1_3genE9ELNS1_11target_archE1100ELNS1_3gpuE3ELNS1_3repE0EEENS1_30default_config_static_selectorELNS0_4arch9wavefront6targetE1EEEvT1_.has_dyn_sized_stack, 0
	.set _ZN7rocprim17ROCPRIM_400000_NS6detail17trampoline_kernelINS0_14default_configENS1_25partition_config_selectorILNS1_17partition_subalgoE8ExNS0_10empty_typeEbEEZZNS1_14partition_implILS5_8ELb0ES3_jN6thrust23THRUST_200600_302600_NS6detail15normal_iteratorINSA_10device_ptrIxEEEEPS6_PKS6_NS0_5tupleIJSF_S6_EEENSJ_IJSG_SG_EEENS0_18inequality_wrapperINSA_8equal_toIxEEEEPmJS6_EEE10hipError_tPvRmT3_T4_T5_T6_T7_T9_mT8_P12ihipStream_tbDpT10_ENKUlT_T0_E_clISt17integral_constantIbLb1EES19_IbLb0EEEEDaS15_S16_EUlS15_E_NS1_11comp_targetILNS1_3genE9ELNS1_11target_archE1100ELNS1_3gpuE3ELNS1_3repE0EEENS1_30default_config_static_selectorELNS0_4arch9wavefront6targetE1EEEvT1_.has_recursion, 0
	.set _ZN7rocprim17ROCPRIM_400000_NS6detail17trampoline_kernelINS0_14default_configENS1_25partition_config_selectorILNS1_17partition_subalgoE8ExNS0_10empty_typeEbEEZZNS1_14partition_implILS5_8ELb0ES3_jN6thrust23THRUST_200600_302600_NS6detail15normal_iteratorINSA_10device_ptrIxEEEEPS6_PKS6_NS0_5tupleIJSF_S6_EEENSJ_IJSG_SG_EEENS0_18inequality_wrapperINSA_8equal_toIxEEEEPmJS6_EEE10hipError_tPvRmT3_T4_T5_T6_T7_T9_mT8_P12ihipStream_tbDpT10_ENKUlT_T0_E_clISt17integral_constantIbLb1EES19_IbLb0EEEEDaS15_S16_EUlS15_E_NS1_11comp_targetILNS1_3genE9ELNS1_11target_archE1100ELNS1_3gpuE3ELNS1_3repE0EEENS1_30default_config_static_selectorELNS0_4arch9wavefront6targetE1EEEvT1_.has_indirect_call, 0
	.section	.AMDGPU.csdata,"",@progbits
; Kernel info:
; codeLenInByte = 0
; TotalNumSgprs: 4
; NumVgprs: 0
; ScratchSize: 0
; MemoryBound: 0
; FloatMode: 240
; IeeeMode: 1
; LDSByteSize: 0 bytes/workgroup (compile time only)
; SGPRBlocks: 0
; VGPRBlocks: 0
; NumSGPRsForWavesPerEU: 4
; NumVGPRsForWavesPerEU: 1
; Occupancy: 10
; WaveLimiterHint : 0
; COMPUTE_PGM_RSRC2:SCRATCH_EN: 0
; COMPUTE_PGM_RSRC2:USER_SGPR: 6
; COMPUTE_PGM_RSRC2:TRAP_HANDLER: 0
; COMPUTE_PGM_RSRC2:TGID_X_EN: 1
; COMPUTE_PGM_RSRC2:TGID_Y_EN: 0
; COMPUTE_PGM_RSRC2:TGID_Z_EN: 0
; COMPUTE_PGM_RSRC2:TIDIG_COMP_CNT: 0
	.section	.text._ZN7rocprim17ROCPRIM_400000_NS6detail17trampoline_kernelINS0_14default_configENS1_25partition_config_selectorILNS1_17partition_subalgoE8ExNS0_10empty_typeEbEEZZNS1_14partition_implILS5_8ELb0ES3_jN6thrust23THRUST_200600_302600_NS6detail15normal_iteratorINSA_10device_ptrIxEEEEPS6_PKS6_NS0_5tupleIJSF_S6_EEENSJ_IJSG_SG_EEENS0_18inequality_wrapperINSA_8equal_toIxEEEEPmJS6_EEE10hipError_tPvRmT3_T4_T5_T6_T7_T9_mT8_P12ihipStream_tbDpT10_ENKUlT_T0_E_clISt17integral_constantIbLb1EES19_IbLb0EEEEDaS15_S16_EUlS15_E_NS1_11comp_targetILNS1_3genE8ELNS1_11target_archE1030ELNS1_3gpuE2ELNS1_3repE0EEENS1_30default_config_static_selectorELNS0_4arch9wavefront6targetE1EEEvT1_,"axG",@progbits,_ZN7rocprim17ROCPRIM_400000_NS6detail17trampoline_kernelINS0_14default_configENS1_25partition_config_selectorILNS1_17partition_subalgoE8ExNS0_10empty_typeEbEEZZNS1_14partition_implILS5_8ELb0ES3_jN6thrust23THRUST_200600_302600_NS6detail15normal_iteratorINSA_10device_ptrIxEEEEPS6_PKS6_NS0_5tupleIJSF_S6_EEENSJ_IJSG_SG_EEENS0_18inequality_wrapperINSA_8equal_toIxEEEEPmJS6_EEE10hipError_tPvRmT3_T4_T5_T6_T7_T9_mT8_P12ihipStream_tbDpT10_ENKUlT_T0_E_clISt17integral_constantIbLb1EES19_IbLb0EEEEDaS15_S16_EUlS15_E_NS1_11comp_targetILNS1_3genE8ELNS1_11target_archE1030ELNS1_3gpuE2ELNS1_3repE0EEENS1_30default_config_static_selectorELNS0_4arch9wavefront6targetE1EEEvT1_,comdat
	.protected	_ZN7rocprim17ROCPRIM_400000_NS6detail17trampoline_kernelINS0_14default_configENS1_25partition_config_selectorILNS1_17partition_subalgoE8ExNS0_10empty_typeEbEEZZNS1_14partition_implILS5_8ELb0ES3_jN6thrust23THRUST_200600_302600_NS6detail15normal_iteratorINSA_10device_ptrIxEEEEPS6_PKS6_NS0_5tupleIJSF_S6_EEENSJ_IJSG_SG_EEENS0_18inequality_wrapperINSA_8equal_toIxEEEEPmJS6_EEE10hipError_tPvRmT3_T4_T5_T6_T7_T9_mT8_P12ihipStream_tbDpT10_ENKUlT_T0_E_clISt17integral_constantIbLb1EES19_IbLb0EEEEDaS15_S16_EUlS15_E_NS1_11comp_targetILNS1_3genE8ELNS1_11target_archE1030ELNS1_3gpuE2ELNS1_3repE0EEENS1_30default_config_static_selectorELNS0_4arch9wavefront6targetE1EEEvT1_ ; -- Begin function _ZN7rocprim17ROCPRIM_400000_NS6detail17trampoline_kernelINS0_14default_configENS1_25partition_config_selectorILNS1_17partition_subalgoE8ExNS0_10empty_typeEbEEZZNS1_14partition_implILS5_8ELb0ES3_jN6thrust23THRUST_200600_302600_NS6detail15normal_iteratorINSA_10device_ptrIxEEEEPS6_PKS6_NS0_5tupleIJSF_S6_EEENSJ_IJSG_SG_EEENS0_18inequality_wrapperINSA_8equal_toIxEEEEPmJS6_EEE10hipError_tPvRmT3_T4_T5_T6_T7_T9_mT8_P12ihipStream_tbDpT10_ENKUlT_T0_E_clISt17integral_constantIbLb1EES19_IbLb0EEEEDaS15_S16_EUlS15_E_NS1_11comp_targetILNS1_3genE8ELNS1_11target_archE1030ELNS1_3gpuE2ELNS1_3repE0EEENS1_30default_config_static_selectorELNS0_4arch9wavefront6targetE1EEEvT1_
	.globl	_ZN7rocprim17ROCPRIM_400000_NS6detail17trampoline_kernelINS0_14default_configENS1_25partition_config_selectorILNS1_17partition_subalgoE8ExNS0_10empty_typeEbEEZZNS1_14partition_implILS5_8ELb0ES3_jN6thrust23THRUST_200600_302600_NS6detail15normal_iteratorINSA_10device_ptrIxEEEEPS6_PKS6_NS0_5tupleIJSF_S6_EEENSJ_IJSG_SG_EEENS0_18inequality_wrapperINSA_8equal_toIxEEEEPmJS6_EEE10hipError_tPvRmT3_T4_T5_T6_T7_T9_mT8_P12ihipStream_tbDpT10_ENKUlT_T0_E_clISt17integral_constantIbLb1EES19_IbLb0EEEEDaS15_S16_EUlS15_E_NS1_11comp_targetILNS1_3genE8ELNS1_11target_archE1030ELNS1_3gpuE2ELNS1_3repE0EEENS1_30default_config_static_selectorELNS0_4arch9wavefront6targetE1EEEvT1_
	.p2align	8
	.type	_ZN7rocprim17ROCPRIM_400000_NS6detail17trampoline_kernelINS0_14default_configENS1_25partition_config_selectorILNS1_17partition_subalgoE8ExNS0_10empty_typeEbEEZZNS1_14partition_implILS5_8ELb0ES3_jN6thrust23THRUST_200600_302600_NS6detail15normal_iteratorINSA_10device_ptrIxEEEEPS6_PKS6_NS0_5tupleIJSF_S6_EEENSJ_IJSG_SG_EEENS0_18inequality_wrapperINSA_8equal_toIxEEEEPmJS6_EEE10hipError_tPvRmT3_T4_T5_T6_T7_T9_mT8_P12ihipStream_tbDpT10_ENKUlT_T0_E_clISt17integral_constantIbLb1EES19_IbLb0EEEEDaS15_S16_EUlS15_E_NS1_11comp_targetILNS1_3genE8ELNS1_11target_archE1030ELNS1_3gpuE2ELNS1_3repE0EEENS1_30default_config_static_selectorELNS0_4arch9wavefront6targetE1EEEvT1_,@function
_ZN7rocprim17ROCPRIM_400000_NS6detail17trampoline_kernelINS0_14default_configENS1_25partition_config_selectorILNS1_17partition_subalgoE8ExNS0_10empty_typeEbEEZZNS1_14partition_implILS5_8ELb0ES3_jN6thrust23THRUST_200600_302600_NS6detail15normal_iteratorINSA_10device_ptrIxEEEEPS6_PKS6_NS0_5tupleIJSF_S6_EEENSJ_IJSG_SG_EEENS0_18inequality_wrapperINSA_8equal_toIxEEEEPmJS6_EEE10hipError_tPvRmT3_T4_T5_T6_T7_T9_mT8_P12ihipStream_tbDpT10_ENKUlT_T0_E_clISt17integral_constantIbLb1EES19_IbLb0EEEEDaS15_S16_EUlS15_E_NS1_11comp_targetILNS1_3genE8ELNS1_11target_archE1030ELNS1_3gpuE2ELNS1_3repE0EEENS1_30default_config_static_selectorELNS0_4arch9wavefront6targetE1EEEvT1_: ; @_ZN7rocprim17ROCPRIM_400000_NS6detail17trampoline_kernelINS0_14default_configENS1_25partition_config_selectorILNS1_17partition_subalgoE8ExNS0_10empty_typeEbEEZZNS1_14partition_implILS5_8ELb0ES3_jN6thrust23THRUST_200600_302600_NS6detail15normal_iteratorINSA_10device_ptrIxEEEEPS6_PKS6_NS0_5tupleIJSF_S6_EEENSJ_IJSG_SG_EEENS0_18inequality_wrapperINSA_8equal_toIxEEEEPmJS6_EEE10hipError_tPvRmT3_T4_T5_T6_T7_T9_mT8_P12ihipStream_tbDpT10_ENKUlT_T0_E_clISt17integral_constantIbLb1EES19_IbLb0EEEEDaS15_S16_EUlS15_E_NS1_11comp_targetILNS1_3genE8ELNS1_11target_archE1030ELNS1_3gpuE2ELNS1_3repE0EEENS1_30default_config_static_selectorELNS0_4arch9wavefront6targetE1EEEvT1_
; %bb.0:
	.section	.rodata,"a",@progbits
	.p2align	6, 0x0
	.amdhsa_kernel _ZN7rocprim17ROCPRIM_400000_NS6detail17trampoline_kernelINS0_14default_configENS1_25partition_config_selectorILNS1_17partition_subalgoE8ExNS0_10empty_typeEbEEZZNS1_14partition_implILS5_8ELb0ES3_jN6thrust23THRUST_200600_302600_NS6detail15normal_iteratorINSA_10device_ptrIxEEEEPS6_PKS6_NS0_5tupleIJSF_S6_EEENSJ_IJSG_SG_EEENS0_18inequality_wrapperINSA_8equal_toIxEEEEPmJS6_EEE10hipError_tPvRmT3_T4_T5_T6_T7_T9_mT8_P12ihipStream_tbDpT10_ENKUlT_T0_E_clISt17integral_constantIbLb1EES19_IbLb0EEEEDaS15_S16_EUlS15_E_NS1_11comp_targetILNS1_3genE8ELNS1_11target_archE1030ELNS1_3gpuE2ELNS1_3repE0EEENS1_30default_config_static_selectorELNS0_4arch9wavefront6targetE1EEEvT1_
		.amdhsa_group_segment_fixed_size 0
		.amdhsa_private_segment_fixed_size 0
		.amdhsa_kernarg_size 112
		.amdhsa_user_sgpr_count 6
		.amdhsa_user_sgpr_private_segment_buffer 1
		.amdhsa_user_sgpr_dispatch_ptr 0
		.amdhsa_user_sgpr_queue_ptr 0
		.amdhsa_user_sgpr_kernarg_segment_ptr 1
		.amdhsa_user_sgpr_dispatch_id 0
		.amdhsa_user_sgpr_flat_scratch_init 0
		.amdhsa_user_sgpr_private_segment_size 0
		.amdhsa_uses_dynamic_stack 0
		.amdhsa_system_sgpr_private_segment_wavefront_offset 0
		.amdhsa_system_sgpr_workgroup_id_x 1
		.amdhsa_system_sgpr_workgroup_id_y 0
		.amdhsa_system_sgpr_workgroup_id_z 0
		.amdhsa_system_sgpr_workgroup_info 0
		.amdhsa_system_vgpr_workitem_id 0
		.amdhsa_next_free_vgpr 1
		.amdhsa_next_free_sgpr 0
		.amdhsa_reserve_vcc 0
		.amdhsa_reserve_flat_scratch 0
		.amdhsa_float_round_mode_32 0
		.amdhsa_float_round_mode_16_64 0
		.amdhsa_float_denorm_mode_32 3
		.amdhsa_float_denorm_mode_16_64 3
		.amdhsa_dx10_clamp 1
		.amdhsa_ieee_mode 1
		.amdhsa_fp16_overflow 0
		.amdhsa_exception_fp_ieee_invalid_op 0
		.amdhsa_exception_fp_denorm_src 0
		.amdhsa_exception_fp_ieee_div_zero 0
		.amdhsa_exception_fp_ieee_overflow 0
		.amdhsa_exception_fp_ieee_underflow 0
		.amdhsa_exception_fp_ieee_inexact 0
		.amdhsa_exception_int_div_zero 0
	.end_amdhsa_kernel
	.section	.text._ZN7rocprim17ROCPRIM_400000_NS6detail17trampoline_kernelINS0_14default_configENS1_25partition_config_selectorILNS1_17partition_subalgoE8ExNS0_10empty_typeEbEEZZNS1_14partition_implILS5_8ELb0ES3_jN6thrust23THRUST_200600_302600_NS6detail15normal_iteratorINSA_10device_ptrIxEEEEPS6_PKS6_NS0_5tupleIJSF_S6_EEENSJ_IJSG_SG_EEENS0_18inequality_wrapperINSA_8equal_toIxEEEEPmJS6_EEE10hipError_tPvRmT3_T4_T5_T6_T7_T9_mT8_P12ihipStream_tbDpT10_ENKUlT_T0_E_clISt17integral_constantIbLb1EES19_IbLb0EEEEDaS15_S16_EUlS15_E_NS1_11comp_targetILNS1_3genE8ELNS1_11target_archE1030ELNS1_3gpuE2ELNS1_3repE0EEENS1_30default_config_static_selectorELNS0_4arch9wavefront6targetE1EEEvT1_,"axG",@progbits,_ZN7rocprim17ROCPRIM_400000_NS6detail17trampoline_kernelINS0_14default_configENS1_25partition_config_selectorILNS1_17partition_subalgoE8ExNS0_10empty_typeEbEEZZNS1_14partition_implILS5_8ELb0ES3_jN6thrust23THRUST_200600_302600_NS6detail15normal_iteratorINSA_10device_ptrIxEEEEPS6_PKS6_NS0_5tupleIJSF_S6_EEENSJ_IJSG_SG_EEENS0_18inequality_wrapperINSA_8equal_toIxEEEEPmJS6_EEE10hipError_tPvRmT3_T4_T5_T6_T7_T9_mT8_P12ihipStream_tbDpT10_ENKUlT_T0_E_clISt17integral_constantIbLb1EES19_IbLb0EEEEDaS15_S16_EUlS15_E_NS1_11comp_targetILNS1_3genE8ELNS1_11target_archE1030ELNS1_3gpuE2ELNS1_3repE0EEENS1_30default_config_static_selectorELNS0_4arch9wavefront6targetE1EEEvT1_,comdat
.Lfunc_end363:
	.size	_ZN7rocprim17ROCPRIM_400000_NS6detail17trampoline_kernelINS0_14default_configENS1_25partition_config_selectorILNS1_17partition_subalgoE8ExNS0_10empty_typeEbEEZZNS1_14partition_implILS5_8ELb0ES3_jN6thrust23THRUST_200600_302600_NS6detail15normal_iteratorINSA_10device_ptrIxEEEEPS6_PKS6_NS0_5tupleIJSF_S6_EEENSJ_IJSG_SG_EEENS0_18inequality_wrapperINSA_8equal_toIxEEEEPmJS6_EEE10hipError_tPvRmT3_T4_T5_T6_T7_T9_mT8_P12ihipStream_tbDpT10_ENKUlT_T0_E_clISt17integral_constantIbLb1EES19_IbLb0EEEEDaS15_S16_EUlS15_E_NS1_11comp_targetILNS1_3genE8ELNS1_11target_archE1030ELNS1_3gpuE2ELNS1_3repE0EEENS1_30default_config_static_selectorELNS0_4arch9wavefront6targetE1EEEvT1_, .Lfunc_end363-_ZN7rocprim17ROCPRIM_400000_NS6detail17trampoline_kernelINS0_14default_configENS1_25partition_config_selectorILNS1_17partition_subalgoE8ExNS0_10empty_typeEbEEZZNS1_14partition_implILS5_8ELb0ES3_jN6thrust23THRUST_200600_302600_NS6detail15normal_iteratorINSA_10device_ptrIxEEEEPS6_PKS6_NS0_5tupleIJSF_S6_EEENSJ_IJSG_SG_EEENS0_18inequality_wrapperINSA_8equal_toIxEEEEPmJS6_EEE10hipError_tPvRmT3_T4_T5_T6_T7_T9_mT8_P12ihipStream_tbDpT10_ENKUlT_T0_E_clISt17integral_constantIbLb1EES19_IbLb0EEEEDaS15_S16_EUlS15_E_NS1_11comp_targetILNS1_3genE8ELNS1_11target_archE1030ELNS1_3gpuE2ELNS1_3repE0EEENS1_30default_config_static_selectorELNS0_4arch9wavefront6targetE1EEEvT1_
                                        ; -- End function
	.set _ZN7rocprim17ROCPRIM_400000_NS6detail17trampoline_kernelINS0_14default_configENS1_25partition_config_selectorILNS1_17partition_subalgoE8ExNS0_10empty_typeEbEEZZNS1_14partition_implILS5_8ELb0ES3_jN6thrust23THRUST_200600_302600_NS6detail15normal_iteratorINSA_10device_ptrIxEEEEPS6_PKS6_NS0_5tupleIJSF_S6_EEENSJ_IJSG_SG_EEENS0_18inequality_wrapperINSA_8equal_toIxEEEEPmJS6_EEE10hipError_tPvRmT3_T4_T5_T6_T7_T9_mT8_P12ihipStream_tbDpT10_ENKUlT_T0_E_clISt17integral_constantIbLb1EES19_IbLb0EEEEDaS15_S16_EUlS15_E_NS1_11comp_targetILNS1_3genE8ELNS1_11target_archE1030ELNS1_3gpuE2ELNS1_3repE0EEENS1_30default_config_static_selectorELNS0_4arch9wavefront6targetE1EEEvT1_.num_vgpr, 0
	.set _ZN7rocprim17ROCPRIM_400000_NS6detail17trampoline_kernelINS0_14default_configENS1_25partition_config_selectorILNS1_17partition_subalgoE8ExNS0_10empty_typeEbEEZZNS1_14partition_implILS5_8ELb0ES3_jN6thrust23THRUST_200600_302600_NS6detail15normal_iteratorINSA_10device_ptrIxEEEEPS6_PKS6_NS0_5tupleIJSF_S6_EEENSJ_IJSG_SG_EEENS0_18inequality_wrapperINSA_8equal_toIxEEEEPmJS6_EEE10hipError_tPvRmT3_T4_T5_T6_T7_T9_mT8_P12ihipStream_tbDpT10_ENKUlT_T0_E_clISt17integral_constantIbLb1EES19_IbLb0EEEEDaS15_S16_EUlS15_E_NS1_11comp_targetILNS1_3genE8ELNS1_11target_archE1030ELNS1_3gpuE2ELNS1_3repE0EEENS1_30default_config_static_selectorELNS0_4arch9wavefront6targetE1EEEvT1_.num_agpr, 0
	.set _ZN7rocprim17ROCPRIM_400000_NS6detail17trampoline_kernelINS0_14default_configENS1_25partition_config_selectorILNS1_17partition_subalgoE8ExNS0_10empty_typeEbEEZZNS1_14partition_implILS5_8ELb0ES3_jN6thrust23THRUST_200600_302600_NS6detail15normal_iteratorINSA_10device_ptrIxEEEEPS6_PKS6_NS0_5tupleIJSF_S6_EEENSJ_IJSG_SG_EEENS0_18inequality_wrapperINSA_8equal_toIxEEEEPmJS6_EEE10hipError_tPvRmT3_T4_T5_T6_T7_T9_mT8_P12ihipStream_tbDpT10_ENKUlT_T0_E_clISt17integral_constantIbLb1EES19_IbLb0EEEEDaS15_S16_EUlS15_E_NS1_11comp_targetILNS1_3genE8ELNS1_11target_archE1030ELNS1_3gpuE2ELNS1_3repE0EEENS1_30default_config_static_selectorELNS0_4arch9wavefront6targetE1EEEvT1_.numbered_sgpr, 0
	.set _ZN7rocprim17ROCPRIM_400000_NS6detail17trampoline_kernelINS0_14default_configENS1_25partition_config_selectorILNS1_17partition_subalgoE8ExNS0_10empty_typeEbEEZZNS1_14partition_implILS5_8ELb0ES3_jN6thrust23THRUST_200600_302600_NS6detail15normal_iteratorINSA_10device_ptrIxEEEEPS6_PKS6_NS0_5tupleIJSF_S6_EEENSJ_IJSG_SG_EEENS0_18inequality_wrapperINSA_8equal_toIxEEEEPmJS6_EEE10hipError_tPvRmT3_T4_T5_T6_T7_T9_mT8_P12ihipStream_tbDpT10_ENKUlT_T0_E_clISt17integral_constantIbLb1EES19_IbLb0EEEEDaS15_S16_EUlS15_E_NS1_11comp_targetILNS1_3genE8ELNS1_11target_archE1030ELNS1_3gpuE2ELNS1_3repE0EEENS1_30default_config_static_selectorELNS0_4arch9wavefront6targetE1EEEvT1_.num_named_barrier, 0
	.set _ZN7rocprim17ROCPRIM_400000_NS6detail17trampoline_kernelINS0_14default_configENS1_25partition_config_selectorILNS1_17partition_subalgoE8ExNS0_10empty_typeEbEEZZNS1_14partition_implILS5_8ELb0ES3_jN6thrust23THRUST_200600_302600_NS6detail15normal_iteratorINSA_10device_ptrIxEEEEPS6_PKS6_NS0_5tupleIJSF_S6_EEENSJ_IJSG_SG_EEENS0_18inequality_wrapperINSA_8equal_toIxEEEEPmJS6_EEE10hipError_tPvRmT3_T4_T5_T6_T7_T9_mT8_P12ihipStream_tbDpT10_ENKUlT_T0_E_clISt17integral_constantIbLb1EES19_IbLb0EEEEDaS15_S16_EUlS15_E_NS1_11comp_targetILNS1_3genE8ELNS1_11target_archE1030ELNS1_3gpuE2ELNS1_3repE0EEENS1_30default_config_static_selectorELNS0_4arch9wavefront6targetE1EEEvT1_.private_seg_size, 0
	.set _ZN7rocprim17ROCPRIM_400000_NS6detail17trampoline_kernelINS0_14default_configENS1_25partition_config_selectorILNS1_17partition_subalgoE8ExNS0_10empty_typeEbEEZZNS1_14partition_implILS5_8ELb0ES3_jN6thrust23THRUST_200600_302600_NS6detail15normal_iteratorINSA_10device_ptrIxEEEEPS6_PKS6_NS0_5tupleIJSF_S6_EEENSJ_IJSG_SG_EEENS0_18inequality_wrapperINSA_8equal_toIxEEEEPmJS6_EEE10hipError_tPvRmT3_T4_T5_T6_T7_T9_mT8_P12ihipStream_tbDpT10_ENKUlT_T0_E_clISt17integral_constantIbLb1EES19_IbLb0EEEEDaS15_S16_EUlS15_E_NS1_11comp_targetILNS1_3genE8ELNS1_11target_archE1030ELNS1_3gpuE2ELNS1_3repE0EEENS1_30default_config_static_selectorELNS0_4arch9wavefront6targetE1EEEvT1_.uses_vcc, 0
	.set _ZN7rocprim17ROCPRIM_400000_NS6detail17trampoline_kernelINS0_14default_configENS1_25partition_config_selectorILNS1_17partition_subalgoE8ExNS0_10empty_typeEbEEZZNS1_14partition_implILS5_8ELb0ES3_jN6thrust23THRUST_200600_302600_NS6detail15normal_iteratorINSA_10device_ptrIxEEEEPS6_PKS6_NS0_5tupleIJSF_S6_EEENSJ_IJSG_SG_EEENS0_18inequality_wrapperINSA_8equal_toIxEEEEPmJS6_EEE10hipError_tPvRmT3_T4_T5_T6_T7_T9_mT8_P12ihipStream_tbDpT10_ENKUlT_T0_E_clISt17integral_constantIbLb1EES19_IbLb0EEEEDaS15_S16_EUlS15_E_NS1_11comp_targetILNS1_3genE8ELNS1_11target_archE1030ELNS1_3gpuE2ELNS1_3repE0EEENS1_30default_config_static_selectorELNS0_4arch9wavefront6targetE1EEEvT1_.uses_flat_scratch, 0
	.set _ZN7rocprim17ROCPRIM_400000_NS6detail17trampoline_kernelINS0_14default_configENS1_25partition_config_selectorILNS1_17partition_subalgoE8ExNS0_10empty_typeEbEEZZNS1_14partition_implILS5_8ELb0ES3_jN6thrust23THRUST_200600_302600_NS6detail15normal_iteratorINSA_10device_ptrIxEEEEPS6_PKS6_NS0_5tupleIJSF_S6_EEENSJ_IJSG_SG_EEENS0_18inequality_wrapperINSA_8equal_toIxEEEEPmJS6_EEE10hipError_tPvRmT3_T4_T5_T6_T7_T9_mT8_P12ihipStream_tbDpT10_ENKUlT_T0_E_clISt17integral_constantIbLb1EES19_IbLb0EEEEDaS15_S16_EUlS15_E_NS1_11comp_targetILNS1_3genE8ELNS1_11target_archE1030ELNS1_3gpuE2ELNS1_3repE0EEENS1_30default_config_static_selectorELNS0_4arch9wavefront6targetE1EEEvT1_.has_dyn_sized_stack, 0
	.set _ZN7rocprim17ROCPRIM_400000_NS6detail17trampoline_kernelINS0_14default_configENS1_25partition_config_selectorILNS1_17partition_subalgoE8ExNS0_10empty_typeEbEEZZNS1_14partition_implILS5_8ELb0ES3_jN6thrust23THRUST_200600_302600_NS6detail15normal_iteratorINSA_10device_ptrIxEEEEPS6_PKS6_NS0_5tupleIJSF_S6_EEENSJ_IJSG_SG_EEENS0_18inequality_wrapperINSA_8equal_toIxEEEEPmJS6_EEE10hipError_tPvRmT3_T4_T5_T6_T7_T9_mT8_P12ihipStream_tbDpT10_ENKUlT_T0_E_clISt17integral_constantIbLb1EES19_IbLb0EEEEDaS15_S16_EUlS15_E_NS1_11comp_targetILNS1_3genE8ELNS1_11target_archE1030ELNS1_3gpuE2ELNS1_3repE0EEENS1_30default_config_static_selectorELNS0_4arch9wavefront6targetE1EEEvT1_.has_recursion, 0
	.set _ZN7rocprim17ROCPRIM_400000_NS6detail17trampoline_kernelINS0_14default_configENS1_25partition_config_selectorILNS1_17partition_subalgoE8ExNS0_10empty_typeEbEEZZNS1_14partition_implILS5_8ELb0ES3_jN6thrust23THRUST_200600_302600_NS6detail15normal_iteratorINSA_10device_ptrIxEEEEPS6_PKS6_NS0_5tupleIJSF_S6_EEENSJ_IJSG_SG_EEENS0_18inequality_wrapperINSA_8equal_toIxEEEEPmJS6_EEE10hipError_tPvRmT3_T4_T5_T6_T7_T9_mT8_P12ihipStream_tbDpT10_ENKUlT_T0_E_clISt17integral_constantIbLb1EES19_IbLb0EEEEDaS15_S16_EUlS15_E_NS1_11comp_targetILNS1_3genE8ELNS1_11target_archE1030ELNS1_3gpuE2ELNS1_3repE0EEENS1_30default_config_static_selectorELNS0_4arch9wavefront6targetE1EEEvT1_.has_indirect_call, 0
	.section	.AMDGPU.csdata,"",@progbits
; Kernel info:
; codeLenInByte = 0
; TotalNumSgprs: 4
; NumVgprs: 0
; ScratchSize: 0
; MemoryBound: 0
; FloatMode: 240
; IeeeMode: 1
; LDSByteSize: 0 bytes/workgroup (compile time only)
; SGPRBlocks: 0
; VGPRBlocks: 0
; NumSGPRsForWavesPerEU: 4
; NumVGPRsForWavesPerEU: 1
; Occupancy: 10
; WaveLimiterHint : 0
; COMPUTE_PGM_RSRC2:SCRATCH_EN: 0
; COMPUTE_PGM_RSRC2:USER_SGPR: 6
; COMPUTE_PGM_RSRC2:TRAP_HANDLER: 0
; COMPUTE_PGM_RSRC2:TGID_X_EN: 1
; COMPUTE_PGM_RSRC2:TGID_Y_EN: 0
; COMPUTE_PGM_RSRC2:TGID_Z_EN: 0
; COMPUTE_PGM_RSRC2:TIDIG_COMP_CNT: 0
	.section	.text._ZN7rocprim17ROCPRIM_400000_NS6detail17trampoline_kernelINS0_14default_configENS1_25partition_config_selectorILNS1_17partition_subalgoE8ExNS0_10empty_typeEbEEZZNS1_14partition_implILS5_8ELb0ES3_jN6thrust23THRUST_200600_302600_NS6detail15normal_iteratorINSA_10device_ptrIxEEEEPS6_PKS6_NS0_5tupleIJSF_S6_EEENSJ_IJSG_SG_EEENS0_18inequality_wrapperINSA_8equal_toIxEEEEPmJS6_EEE10hipError_tPvRmT3_T4_T5_T6_T7_T9_mT8_P12ihipStream_tbDpT10_ENKUlT_T0_E_clISt17integral_constantIbLb0EES19_IbLb1EEEEDaS15_S16_EUlS15_E_NS1_11comp_targetILNS1_3genE0ELNS1_11target_archE4294967295ELNS1_3gpuE0ELNS1_3repE0EEENS1_30default_config_static_selectorELNS0_4arch9wavefront6targetE1EEEvT1_,"axG",@progbits,_ZN7rocprim17ROCPRIM_400000_NS6detail17trampoline_kernelINS0_14default_configENS1_25partition_config_selectorILNS1_17partition_subalgoE8ExNS0_10empty_typeEbEEZZNS1_14partition_implILS5_8ELb0ES3_jN6thrust23THRUST_200600_302600_NS6detail15normal_iteratorINSA_10device_ptrIxEEEEPS6_PKS6_NS0_5tupleIJSF_S6_EEENSJ_IJSG_SG_EEENS0_18inequality_wrapperINSA_8equal_toIxEEEEPmJS6_EEE10hipError_tPvRmT3_T4_T5_T6_T7_T9_mT8_P12ihipStream_tbDpT10_ENKUlT_T0_E_clISt17integral_constantIbLb0EES19_IbLb1EEEEDaS15_S16_EUlS15_E_NS1_11comp_targetILNS1_3genE0ELNS1_11target_archE4294967295ELNS1_3gpuE0ELNS1_3repE0EEENS1_30default_config_static_selectorELNS0_4arch9wavefront6targetE1EEEvT1_,comdat
	.protected	_ZN7rocprim17ROCPRIM_400000_NS6detail17trampoline_kernelINS0_14default_configENS1_25partition_config_selectorILNS1_17partition_subalgoE8ExNS0_10empty_typeEbEEZZNS1_14partition_implILS5_8ELb0ES3_jN6thrust23THRUST_200600_302600_NS6detail15normal_iteratorINSA_10device_ptrIxEEEEPS6_PKS6_NS0_5tupleIJSF_S6_EEENSJ_IJSG_SG_EEENS0_18inequality_wrapperINSA_8equal_toIxEEEEPmJS6_EEE10hipError_tPvRmT3_T4_T5_T6_T7_T9_mT8_P12ihipStream_tbDpT10_ENKUlT_T0_E_clISt17integral_constantIbLb0EES19_IbLb1EEEEDaS15_S16_EUlS15_E_NS1_11comp_targetILNS1_3genE0ELNS1_11target_archE4294967295ELNS1_3gpuE0ELNS1_3repE0EEENS1_30default_config_static_selectorELNS0_4arch9wavefront6targetE1EEEvT1_ ; -- Begin function _ZN7rocprim17ROCPRIM_400000_NS6detail17trampoline_kernelINS0_14default_configENS1_25partition_config_selectorILNS1_17partition_subalgoE8ExNS0_10empty_typeEbEEZZNS1_14partition_implILS5_8ELb0ES3_jN6thrust23THRUST_200600_302600_NS6detail15normal_iteratorINSA_10device_ptrIxEEEEPS6_PKS6_NS0_5tupleIJSF_S6_EEENSJ_IJSG_SG_EEENS0_18inequality_wrapperINSA_8equal_toIxEEEEPmJS6_EEE10hipError_tPvRmT3_T4_T5_T6_T7_T9_mT8_P12ihipStream_tbDpT10_ENKUlT_T0_E_clISt17integral_constantIbLb0EES19_IbLb1EEEEDaS15_S16_EUlS15_E_NS1_11comp_targetILNS1_3genE0ELNS1_11target_archE4294967295ELNS1_3gpuE0ELNS1_3repE0EEENS1_30default_config_static_selectorELNS0_4arch9wavefront6targetE1EEEvT1_
	.globl	_ZN7rocprim17ROCPRIM_400000_NS6detail17trampoline_kernelINS0_14default_configENS1_25partition_config_selectorILNS1_17partition_subalgoE8ExNS0_10empty_typeEbEEZZNS1_14partition_implILS5_8ELb0ES3_jN6thrust23THRUST_200600_302600_NS6detail15normal_iteratorINSA_10device_ptrIxEEEEPS6_PKS6_NS0_5tupleIJSF_S6_EEENSJ_IJSG_SG_EEENS0_18inequality_wrapperINSA_8equal_toIxEEEEPmJS6_EEE10hipError_tPvRmT3_T4_T5_T6_T7_T9_mT8_P12ihipStream_tbDpT10_ENKUlT_T0_E_clISt17integral_constantIbLb0EES19_IbLb1EEEEDaS15_S16_EUlS15_E_NS1_11comp_targetILNS1_3genE0ELNS1_11target_archE4294967295ELNS1_3gpuE0ELNS1_3repE0EEENS1_30default_config_static_selectorELNS0_4arch9wavefront6targetE1EEEvT1_
	.p2align	8
	.type	_ZN7rocprim17ROCPRIM_400000_NS6detail17trampoline_kernelINS0_14default_configENS1_25partition_config_selectorILNS1_17partition_subalgoE8ExNS0_10empty_typeEbEEZZNS1_14partition_implILS5_8ELb0ES3_jN6thrust23THRUST_200600_302600_NS6detail15normal_iteratorINSA_10device_ptrIxEEEEPS6_PKS6_NS0_5tupleIJSF_S6_EEENSJ_IJSG_SG_EEENS0_18inequality_wrapperINSA_8equal_toIxEEEEPmJS6_EEE10hipError_tPvRmT3_T4_T5_T6_T7_T9_mT8_P12ihipStream_tbDpT10_ENKUlT_T0_E_clISt17integral_constantIbLb0EES19_IbLb1EEEEDaS15_S16_EUlS15_E_NS1_11comp_targetILNS1_3genE0ELNS1_11target_archE4294967295ELNS1_3gpuE0ELNS1_3repE0EEENS1_30default_config_static_selectorELNS0_4arch9wavefront6targetE1EEEvT1_,@function
_ZN7rocprim17ROCPRIM_400000_NS6detail17trampoline_kernelINS0_14default_configENS1_25partition_config_selectorILNS1_17partition_subalgoE8ExNS0_10empty_typeEbEEZZNS1_14partition_implILS5_8ELb0ES3_jN6thrust23THRUST_200600_302600_NS6detail15normal_iteratorINSA_10device_ptrIxEEEEPS6_PKS6_NS0_5tupleIJSF_S6_EEENSJ_IJSG_SG_EEENS0_18inequality_wrapperINSA_8equal_toIxEEEEPmJS6_EEE10hipError_tPvRmT3_T4_T5_T6_T7_T9_mT8_P12ihipStream_tbDpT10_ENKUlT_T0_E_clISt17integral_constantIbLb0EES19_IbLb1EEEEDaS15_S16_EUlS15_E_NS1_11comp_targetILNS1_3genE0ELNS1_11target_archE4294967295ELNS1_3gpuE0ELNS1_3repE0EEENS1_30default_config_static_selectorELNS0_4arch9wavefront6targetE1EEEvT1_: ; @_ZN7rocprim17ROCPRIM_400000_NS6detail17trampoline_kernelINS0_14default_configENS1_25partition_config_selectorILNS1_17partition_subalgoE8ExNS0_10empty_typeEbEEZZNS1_14partition_implILS5_8ELb0ES3_jN6thrust23THRUST_200600_302600_NS6detail15normal_iteratorINSA_10device_ptrIxEEEEPS6_PKS6_NS0_5tupleIJSF_S6_EEENSJ_IJSG_SG_EEENS0_18inequality_wrapperINSA_8equal_toIxEEEEPmJS6_EEE10hipError_tPvRmT3_T4_T5_T6_T7_T9_mT8_P12ihipStream_tbDpT10_ENKUlT_T0_E_clISt17integral_constantIbLb0EES19_IbLb1EEEEDaS15_S16_EUlS15_E_NS1_11comp_targetILNS1_3genE0ELNS1_11target_archE4294967295ELNS1_3gpuE0ELNS1_3repE0EEENS1_30default_config_static_selectorELNS0_4arch9wavefront6targetE1EEEvT1_
; %bb.0:
	.section	.rodata,"a",@progbits
	.p2align	6, 0x0
	.amdhsa_kernel _ZN7rocprim17ROCPRIM_400000_NS6detail17trampoline_kernelINS0_14default_configENS1_25partition_config_selectorILNS1_17partition_subalgoE8ExNS0_10empty_typeEbEEZZNS1_14partition_implILS5_8ELb0ES3_jN6thrust23THRUST_200600_302600_NS6detail15normal_iteratorINSA_10device_ptrIxEEEEPS6_PKS6_NS0_5tupleIJSF_S6_EEENSJ_IJSG_SG_EEENS0_18inequality_wrapperINSA_8equal_toIxEEEEPmJS6_EEE10hipError_tPvRmT3_T4_T5_T6_T7_T9_mT8_P12ihipStream_tbDpT10_ENKUlT_T0_E_clISt17integral_constantIbLb0EES19_IbLb1EEEEDaS15_S16_EUlS15_E_NS1_11comp_targetILNS1_3genE0ELNS1_11target_archE4294967295ELNS1_3gpuE0ELNS1_3repE0EEENS1_30default_config_static_selectorELNS0_4arch9wavefront6targetE1EEEvT1_
		.amdhsa_group_segment_fixed_size 0
		.amdhsa_private_segment_fixed_size 0
		.amdhsa_kernarg_size 128
		.amdhsa_user_sgpr_count 6
		.amdhsa_user_sgpr_private_segment_buffer 1
		.amdhsa_user_sgpr_dispatch_ptr 0
		.amdhsa_user_sgpr_queue_ptr 0
		.amdhsa_user_sgpr_kernarg_segment_ptr 1
		.amdhsa_user_sgpr_dispatch_id 0
		.amdhsa_user_sgpr_flat_scratch_init 0
		.amdhsa_user_sgpr_private_segment_size 0
		.amdhsa_uses_dynamic_stack 0
		.amdhsa_system_sgpr_private_segment_wavefront_offset 0
		.amdhsa_system_sgpr_workgroup_id_x 1
		.amdhsa_system_sgpr_workgroup_id_y 0
		.amdhsa_system_sgpr_workgroup_id_z 0
		.amdhsa_system_sgpr_workgroup_info 0
		.amdhsa_system_vgpr_workitem_id 0
		.amdhsa_next_free_vgpr 1
		.amdhsa_next_free_sgpr 0
		.amdhsa_reserve_vcc 0
		.amdhsa_reserve_flat_scratch 0
		.amdhsa_float_round_mode_32 0
		.amdhsa_float_round_mode_16_64 0
		.amdhsa_float_denorm_mode_32 3
		.amdhsa_float_denorm_mode_16_64 3
		.amdhsa_dx10_clamp 1
		.amdhsa_ieee_mode 1
		.amdhsa_fp16_overflow 0
		.amdhsa_exception_fp_ieee_invalid_op 0
		.amdhsa_exception_fp_denorm_src 0
		.amdhsa_exception_fp_ieee_div_zero 0
		.amdhsa_exception_fp_ieee_overflow 0
		.amdhsa_exception_fp_ieee_underflow 0
		.amdhsa_exception_fp_ieee_inexact 0
		.amdhsa_exception_int_div_zero 0
	.end_amdhsa_kernel
	.section	.text._ZN7rocprim17ROCPRIM_400000_NS6detail17trampoline_kernelINS0_14default_configENS1_25partition_config_selectorILNS1_17partition_subalgoE8ExNS0_10empty_typeEbEEZZNS1_14partition_implILS5_8ELb0ES3_jN6thrust23THRUST_200600_302600_NS6detail15normal_iteratorINSA_10device_ptrIxEEEEPS6_PKS6_NS0_5tupleIJSF_S6_EEENSJ_IJSG_SG_EEENS0_18inequality_wrapperINSA_8equal_toIxEEEEPmJS6_EEE10hipError_tPvRmT3_T4_T5_T6_T7_T9_mT8_P12ihipStream_tbDpT10_ENKUlT_T0_E_clISt17integral_constantIbLb0EES19_IbLb1EEEEDaS15_S16_EUlS15_E_NS1_11comp_targetILNS1_3genE0ELNS1_11target_archE4294967295ELNS1_3gpuE0ELNS1_3repE0EEENS1_30default_config_static_selectorELNS0_4arch9wavefront6targetE1EEEvT1_,"axG",@progbits,_ZN7rocprim17ROCPRIM_400000_NS6detail17trampoline_kernelINS0_14default_configENS1_25partition_config_selectorILNS1_17partition_subalgoE8ExNS0_10empty_typeEbEEZZNS1_14partition_implILS5_8ELb0ES3_jN6thrust23THRUST_200600_302600_NS6detail15normal_iteratorINSA_10device_ptrIxEEEEPS6_PKS6_NS0_5tupleIJSF_S6_EEENSJ_IJSG_SG_EEENS0_18inequality_wrapperINSA_8equal_toIxEEEEPmJS6_EEE10hipError_tPvRmT3_T4_T5_T6_T7_T9_mT8_P12ihipStream_tbDpT10_ENKUlT_T0_E_clISt17integral_constantIbLb0EES19_IbLb1EEEEDaS15_S16_EUlS15_E_NS1_11comp_targetILNS1_3genE0ELNS1_11target_archE4294967295ELNS1_3gpuE0ELNS1_3repE0EEENS1_30default_config_static_selectorELNS0_4arch9wavefront6targetE1EEEvT1_,comdat
.Lfunc_end364:
	.size	_ZN7rocprim17ROCPRIM_400000_NS6detail17trampoline_kernelINS0_14default_configENS1_25partition_config_selectorILNS1_17partition_subalgoE8ExNS0_10empty_typeEbEEZZNS1_14partition_implILS5_8ELb0ES3_jN6thrust23THRUST_200600_302600_NS6detail15normal_iteratorINSA_10device_ptrIxEEEEPS6_PKS6_NS0_5tupleIJSF_S6_EEENSJ_IJSG_SG_EEENS0_18inequality_wrapperINSA_8equal_toIxEEEEPmJS6_EEE10hipError_tPvRmT3_T4_T5_T6_T7_T9_mT8_P12ihipStream_tbDpT10_ENKUlT_T0_E_clISt17integral_constantIbLb0EES19_IbLb1EEEEDaS15_S16_EUlS15_E_NS1_11comp_targetILNS1_3genE0ELNS1_11target_archE4294967295ELNS1_3gpuE0ELNS1_3repE0EEENS1_30default_config_static_selectorELNS0_4arch9wavefront6targetE1EEEvT1_, .Lfunc_end364-_ZN7rocprim17ROCPRIM_400000_NS6detail17trampoline_kernelINS0_14default_configENS1_25partition_config_selectorILNS1_17partition_subalgoE8ExNS0_10empty_typeEbEEZZNS1_14partition_implILS5_8ELb0ES3_jN6thrust23THRUST_200600_302600_NS6detail15normal_iteratorINSA_10device_ptrIxEEEEPS6_PKS6_NS0_5tupleIJSF_S6_EEENSJ_IJSG_SG_EEENS0_18inequality_wrapperINSA_8equal_toIxEEEEPmJS6_EEE10hipError_tPvRmT3_T4_T5_T6_T7_T9_mT8_P12ihipStream_tbDpT10_ENKUlT_T0_E_clISt17integral_constantIbLb0EES19_IbLb1EEEEDaS15_S16_EUlS15_E_NS1_11comp_targetILNS1_3genE0ELNS1_11target_archE4294967295ELNS1_3gpuE0ELNS1_3repE0EEENS1_30default_config_static_selectorELNS0_4arch9wavefront6targetE1EEEvT1_
                                        ; -- End function
	.set _ZN7rocprim17ROCPRIM_400000_NS6detail17trampoline_kernelINS0_14default_configENS1_25partition_config_selectorILNS1_17partition_subalgoE8ExNS0_10empty_typeEbEEZZNS1_14partition_implILS5_8ELb0ES3_jN6thrust23THRUST_200600_302600_NS6detail15normal_iteratorINSA_10device_ptrIxEEEEPS6_PKS6_NS0_5tupleIJSF_S6_EEENSJ_IJSG_SG_EEENS0_18inequality_wrapperINSA_8equal_toIxEEEEPmJS6_EEE10hipError_tPvRmT3_T4_T5_T6_T7_T9_mT8_P12ihipStream_tbDpT10_ENKUlT_T0_E_clISt17integral_constantIbLb0EES19_IbLb1EEEEDaS15_S16_EUlS15_E_NS1_11comp_targetILNS1_3genE0ELNS1_11target_archE4294967295ELNS1_3gpuE0ELNS1_3repE0EEENS1_30default_config_static_selectorELNS0_4arch9wavefront6targetE1EEEvT1_.num_vgpr, 0
	.set _ZN7rocprim17ROCPRIM_400000_NS6detail17trampoline_kernelINS0_14default_configENS1_25partition_config_selectorILNS1_17partition_subalgoE8ExNS0_10empty_typeEbEEZZNS1_14partition_implILS5_8ELb0ES3_jN6thrust23THRUST_200600_302600_NS6detail15normal_iteratorINSA_10device_ptrIxEEEEPS6_PKS6_NS0_5tupleIJSF_S6_EEENSJ_IJSG_SG_EEENS0_18inequality_wrapperINSA_8equal_toIxEEEEPmJS6_EEE10hipError_tPvRmT3_T4_T5_T6_T7_T9_mT8_P12ihipStream_tbDpT10_ENKUlT_T0_E_clISt17integral_constantIbLb0EES19_IbLb1EEEEDaS15_S16_EUlS15_E_NS1_11comp_targetILNS1_3genE0ELNS1_11target_archE4294967295ELNS1_3gpuE0ELNS1_3repE0EEENS1_30default_config_static_selectorELNS0_4arch9wavefront6targetE1EEEvT1_.num_agpr, 0
	.set _ZN7rocprim17ROCPRIM_400000_NS6detail17trampoline_kernelINS0_14default_configENS1_25partition_config_selectorILNS1_17partition_subalgoE8ExNS0_10empty_typeEbEEZZNS1_14partition_implILS5_8ELb0ES3_jN6thrust23THRUST_200600_302600_NS6detail15normal_iteratorINSA_10device_ptrIxEEEEPS6_PKS6_NS0_5tupleIJSF_S6_EEENSJ_IJSG_SG_EEENS0_18inequality_wrapperINSA_8equal_toIxEEEEPmJS6_EEE10hipError_tPvRmT3_T4_T5_T6_T7_T9_mT8_P12ihipStream_tbDpT10_ENKUlT_T0_E_clISt17integral_constantIbLb0EES19_IbLb1EEEEDaS15_S16_EUlS15_E_NS1_11comp_targetILNS1_3genE0ELNS1_11target_archE4294967295ELNS1_3gpuE0ELNS1_3repE0EEENS1_30default_config_static_selectorELNS0_4arch9wavefront6targetE1EEEvT1_.numbered_sgpr, 0
	.set _ZN7rocprim17ROCPRIM_400000_NS6detail17trampoline_kernelINS0_14default_configENS1_25partition_config_selectorILNS1_17partition_subalgoE8ExNS0_10empty_typeEbEEZZNS1_14partition_implILS5_8ELb0ES3_jN6thrust23THRUST_200600_302600_NS6detail15normal_iteratorINSA_10device_ptrIxEEEEPS6_PKS6_NS0_5tupleIJSF_S6_EEENSJ_IJSG_SG_EEENS0_18inequality_wrapperINSA_8equal_toIxEEEEPmJS6_EEE10hipError_tPvRmT3_T4_T5_T6_T7_T9_mT8_P12ihipStream_tbDpT10_ENKUlT_T0_E_clISt17integral_constantIbLb0EES19_IbLb1EEEEDaS15_S16_EUlS15_E_NS1_11comp_targetILNS1_3genE0ELNS1_11target_archE4294967295ELNS1_3gpuE0ELNS1_3repE0EEENS1_30default_config_static_selectorELNS0_4arch9wavefront6targetE1EEEvT1_.num_named_barrier, 0
	.set _ZN7rocprim17ROCPRIM_400000_NS6detail17trampoline_kernelINS0_14default_configENS1_25partition_config_selectorILNS1_17partition_subalgoE8ExNS0_10empty_typeEbEEZZNS1_14partition_implILS5_8ELb0ES3_jN6thrust23THRUST_200600_302600_NS6detail15normal_iteratorINSA_10device_ptrIxEEEEPS6_PKS6_NS0_5tupleIJSF_S6_EEENSJ_IJSG_SG_EEENS0_18inequality_wrapperINSA_8equal_toIxEEEEPmJS6_EEE10hipError_tPvRmT3_T4_T5_T6_T7_T9_mT8_P12ihipStream_tbDpT10_ENKUlT_T0_E_clISt17integral_constantIbLb0EES19_IbLb1EEEEDaS15_S16_EUlS15_E_NS1_11comp_targetILNS1_3genE0ELNS1_11target_archE4294967295ELNS1_3gpuE0ELNS1_3repE0EEENS1_30default_config_static_selectorELNS0_4arch9wavefront6targetE1EEEvT1_.private_seg_size, 0
	.set _ZN7rocprim17ROCPRIM_400000_NS6detail17trampoline_kernelINS0_14default_configENS1_25partition_config_selectorILNS1_17partition_subalgoE8ExNS0_10empty_typeEbEEZZNS1_14partition_implILS5_8ELb0ES3_jN6thrust23THRUST_200600_302600_NS6detail15normal_iteratorINSA_10device_ptrIxEEEEPS6_PKS6_NS0_5tupleIJSF_S6_EEENSJ_IJSG_SG_EEENS0_18inequality_wrapperINSA_8equal_toIxEEEEPmJS6_EEE10hipError_tPvRmT3_T4_T5_T6_T7_T9_mT8_P12ihipStream_tbDpT10_ENKUlT_T0_E_clISt17integral_constantIbLb0EES19_IbLb1EEEEDaS15_S16_EUlS15_E_NS1_11comp_targetILNS1_3genE0ELNS1_11target_archE4294967295ELNS1_3gpuE0ELNS1_3repE0EEENS1_30default_config_static_selectorELNS0_4arch9wavefront6targetE1EEEvT1_.uses_vcc, 0
	.set _ZN7rocprim17ROCPRIM_400000_NS6detail17trampoline_kernelINS0_14default_configENS1_25partition_config_selectorILNS1_17partition_subalgoE8ExNS0_10empty_typeEbEEZZNS1_14partition_implILS5_8ELb0ES3_jN6thrust23THRUST_200600_302600_NS6detail15normal_iteratorINSA_10device_ptrIxEEEEPS6_PKS6_NS0_5tupleIJSF_S6_EEENSJ_IJSG_SG_EEENS0_18inequality_wrapperINSA_8equal_toIxEEEEPmJS6_EEE10hipError_tPvRmT3_T4_T5_T6_T7_T9_mT8_P12ihipStream_tbDpT10_ENKUlT_T0_E_clISt17integral_constantIbLb0EES19_IbLb1EEEEDaS15_S16_EUlS15_E_NS1_11comp_targetILNS1_3genE0ELNS1_11target_archE4294967295ELNS1_3gpuE0ELNS1_3repE0EEENS1_30default_config_static_selectorELNS0_4arch9wavefront6targetE1EEEvT1_.uses_flat_scratch, 0
	.set _ZN7rocprim17ROCPRIM_400000_NS6detail17trampoline_kernelINS0_14default_configENS1_25partition_config_selectorILNS1_17partition_subalgoE8ExNS0_10empty_typeEbEEZZNS1_14partition_implILS5_8ELb0ES3_jN6thrust23THRUST_200600_302600_NS6detail15normal_iteratorINSA_10device_ptrIxEEEEPS6_PKS6_NS0_5tupleIJSF_S6_EEENSJ_IJSG_SG_EEENS0_18inequality_wrapperINSA_8equal_toIxEEEEPmJS6_EEE10hipError_tPvRmT3_T4_T5_T6_T7_T9_mT8_P12ihipStream_tbDpT10_ENKUlT_T0_E_clISt17integral_constantIbLb0EES19_IbLb1EEEEDaS15_S16_EUlS15_E_NS1_11comp_targetILNS1_3genE0ELNS1_11target_archE4294967295ELNS1_3gpuE0ELNS1_3repE0EEENS1_30default_config_static_selectorELNS0_4arch9wavefront6targetE1EEEvT1_.has_dyn_sized_stack, 0
	.set _ZN7rocprim17ROCPRIM_400000_NS6detail17trampoline_kernelINS0_14default_configENS1_25partition_config_selectorILNS1_17partition_subalgoE8ExNS0_10empty_typeEbEEZZNS1_14partition_implILS5_8ELb0ES3_jN6thrust23THRUST_200600_302600_NS6detail15normal_iteratorINSA_10device_ptrIxEEEEPS6_PKS6_NS0_5tupleIJSF_S6_EEENSJ_IJSG_SG_EEENS0_18inequality_wrapperINSA_8equal_toIxEEEEPmJS6_EEE10hipError_tPvRmT3_T4_T5_T6_T7_T9_mT8_P12ihipStream_tbDpT10_ENKUlT_T0_E_clISt17integral_constantIbLb0EES19_IbLb1EEEEDaS15_S16_EUlS15_E_NS1_11comp_targetILNS1_3genE0ELNS1_11target_archE4294967295ELNS1_3gpuE0ELNS1_3repE0EEENS1_30default_config_static_selectorELNS0_4arch9wavefront6targetE1EEEvT1_.has_recursion, 0
	.set _ZN7rocprim17ROCPRIM_400000_NS6detail17trampoline_kernelINS0_14default_configENS1_25partition_config_selectorILNS1_17partition_subalgoE8ExNS0_10empty_typeEbEEZZNS1_14partition_implILS5_8ELb0ES3_jN6thrust23THRUST_200600_302600_NS6detail15normal_iteratorINSA_10device_ptrIxEEEEPS6_PKS6_NS0_5tupleIJSF_S6_EEENSJ_IJSG_SG_EEENS0_18inequality_wrapperINSA_8equal_toIxEEEEPmJS6_EEE10hipError_tPvRmT3_T4_T5_T6_T7_T9_mT8_P12ihipStream_tbDpT10_ENKUlT_T0_E_clISt17integral_constantIbLb0EES19_IbLb1EEEEDaS15_S16_EUlS15_E_NS1_11comp_targetILNS1_3genE0ELNS1_11target_archE4294967295ELNS1_3gpuE0ELNS1_3repE0EEENS1_30default_config_static_selectorELNS0_4arch9wavefront6targetE1EEEvT1_.has_indirect_call, 0
	.section	.AMDGPU.csdata,"",@progbits
; Kernel info:
; codeLenInByte = 0
; TotalNumSgprs: 4
; NumVgprs: 0
; ScratchSize: 0
; MemoryBound: 0
; FloatMode: 240
; IeeeMode: 1
; LDSByteSize: 0 bytes/workgroup (compile time only)
; SGPRBlocks: 0
; VGPRBlocks: 0
; NumSGPRsForWavesPerEU: 4
; NumVGPRsForWavesPerEU: 1
; Occupancy: 10
; WaveLimiterHint : 0
; COMPUTE_PGM_RSRC2:SCRATCH_EN: 0
; COMPUTE_PGM_RSRC2:USER_SGPR: 6
; COMPUTE_PGM_RSRC2:TRAP_HANDLER: 0
; COMPUTE_PGM_RSRC2:TGID_X_EN: 1
; COMPUTE_PGM_RSRC2:TGID_Y_EN: 0
; COMPUTE_PGM_RSRC2:TGID_Z_EN: 0
; COMPUTE_PGM_RSRC2:TIDIG_COMP_CNT: 0
	.section	.text._ZN7rocprim17ROCPRIM_400000_NS6detail17trampoline_kernelINS0_14default_configENS1_25partition_config_selectorILNS1_17partition_subalgoE8ExNS0_10empty_typeEbEEZZNS1_14partition_implILS5_8ELb0ES3_jN6thrust23THRUST_200600_302600_NS6detail15normal_iteratorINSA_10device_ptrIxEEEEPS6_PKS6_NS0_5tupleIJSF_S6_EEENSJ_IJSG_SG_EEENS0_18inequality_wrapperINSA_8equal_toIxEEEEPmJS6_EEE10hipError_tPvRmT3_T4_T5_T6_T7_T9_mT8_P12ihipStream_tbDpT10_ENKUlT_T0_E_clISt17integral_constantIbLb0EES19_IbLb1EEEEDaS15_S16_EUlS15_E_NS1_11comp_targetILNS1_3genE5ELNS1_11target_archE942ELNS1_3gpuE9ELNS1_3repE0EEENS1_30default_config_static_selectorELNS0_4arch9wavefront6targetE1EEEvT1_,"axG",@progbits,_ZN7rocprim17ROCPRIM_400000_NS6detail17trampoline_kernelINS0_14default_configENS1_25partition_config_selectorILNS1_17partition_subalgoE8ExNS0_10empty_typeEbEEZZNS1_14partition_implILS5_8ELb0ES3_jN6thrust23THRUST_200600_302600_NS6detail15normal_iteratorINSA_10device_ptrIxEEEEPS6_PKS6_NS0_5tupleIJSF_S6_EEENSJ_IJSG_SG_EEENS0_18inequality_wrapperINSA_8equal_toIxEEEEPmJS6_EEE10hipError_tPvRmT3_T4_T5_T6_T7_T9_mT8_P12ihipStream_tbDpT10_ENKUlT_T0_E_clISt17integral_constantIbLb0EES19_IbLb1EEEEDaS15_S16_EUlS15_E_NS1_11comp_targetILNS1_3genE5ELNS1_11target_archE942ELNS1_3gpuE9ELNS1_3repE0EEENS1_30default_config_static_selectorELNS0_4arch9wavefront6targetE1EEEvT1_,comdat
	.protected	_ZN7rocprim17ROCPRIM_400000_NS6detail17trampoline_kernelINS0_14default_configENS1_25partition_config_selectorILNS1_17partition_subalgoE8ExNS0_10empty_typeEbEEZZNS1_14partition_implILS5_8ELb0ES3_jN6thrust23THRUST_200600_302600_NS6detail15normal_iteratorINSA_10device_ptrIxEEEEPS6_PKS6_NS0_5tupleIJSF_S6_EEENSJ_IJSG_SG_EEENS0_18inequality_wrapperINSA_8equal_toIxEEEEPmJS6_EEE10hipError_tPvRmT3_T4_T5_T6_T7_T9_mT8_P12ihipStream_tbDpT10_ENKUlT_T0_E_clISt17integral_constantIbLb0EES19_IbLb1EEEEDaS15_S16_EUlS15_E_NS1_11comp_targetILNS1_3genE5ELNS1_11target_archE942ELNS1_3gpuE9ELNS1_3repE0EEENS1_30default_config_static_selectorELNS0_4arch9wavefront6targetE1EEEvT1_ ; -- Begin function _ZN7rocprim17ROCPRIM_400000_NS6detail17trampoline_kernelINS0_14default_configENS1_25partition_config_selectorILNS1_17partition_subalgoE8ExNS0_10empty_typeEbEEZZNS1_14partition_implILS5_8ELb0ES3_jN6thrust23THRUST_200600_302600_NS6detail15normal_iteratorINSA_10device_ptrIxEEEEPS6_PKS6_NS0_5tupleIJSF_S6_EEENSJ_IJSG_SG_EEENS0_18inequality_wrapperINSA_8equal_toIxEEEEPmJS6_EEE10hipError_tPvRmT3_T4_T5_T6_T7_T9_mT8_P12ihipStream_tbDpT10_ENKUlT_T0_E_clISt17integral_constantIbLb0EES19_IbLb1EEEEDaS15_S16_EUlS15_E_NS1_11comp_targetILNS1_3genE5ELNS1_11target_archE942ELNS1_3gpuE9ELNS1_3repE0EEENS1_30default_config_static_selectorELNS0_4arch9wavefront6targetE1EEEvT1_
	.globl	_ZN7rocprim17ROCPRIM_400000_NS6detail17trampoline_kernelINS0_14default_configENS1_25partition_config_selectorILNS1_17partition_subalgoE8ExNS0_10empty_typeEbEEZZNS1_14partition_implILS5_8ELb0ES3_jN6thrust23THRUST_200600_302600_NS6detail15normal_iteratorINSA_10device_ptrIxEEEEPS6_PKS6_NS0_5tupleIJSF_S6_EEENSJ_IJSG_SG_EEENS0_18inequality_wrapperINSA_8equal_toIxEEEEPmJS6_EEE10hipError_tPvRmT3_T4_T5_T6_T7_T9_mT8_P12ihipStream_tbDpT10_ENKUlT_T0_E_clISt17integral_constantIbLb0EES19_IbLb1EEEEDaS15_S16_EUlS15_E_NS1_11comp_targetILNS1_3genE5ELNS1_11target_archE942ELNS1_3gpuE9ELNS1_3repE0EEENS1_30default_config_static_selectorELNS0_4arch9wavefront6targetE1EEEvT1_
	.p2align	8
	.type	_ZN7rocprim17ROCPRIM_400000_NS6detail17trampoline_kernelINS0_14default_configENS1_25partition_config_selectorILNS1_17partition_subalgoE8ExNS0_10empty_typeEbEEZZNS1_14partition_implILS5_8ELb0ES3_jN6thrust23THRUST_200600_302600_NS6detail15normal_iteratorINSA_10device_ptrIxEEEEPS6_PKS6_NS0_5tupleIJSF_S6_EEENSJ_IJSG_SG_EEENS0_18inequality_wrapperINSA_8equal_toIxEEEEPmJS6_EEE10hipError_tPvRmT3_T4_T5_T6_T7_T9_mT8_P12ihipStream_tbDpT10_ENKUlT_T0_E_clISt17integral_constantIbLb0EES19_IbLb1EEEEDaS15_S16_EUlS15_E_NS1_11comp_targetILNS1_3genE5ELNS1_11target_archE942ELNS1_3gpuE9ELNS1_3repE0EEENS1_30default_config_static_selectorELNS0_4arch9wavefront6targetE1EEEvT1_,@function
_ZN7rocprim17ROCPRIM_400000_NS6detail17trampoline_kernelINS0_14default_configENS1_25partition_config_selectorILNS1_17partition_subalgoE8ExNS0_10empty_typeEbEEZZNS1_14partition_implILS5_8ELb0ES3_jN6thrust23THRUST_200600_302600_NS6detail15normal_iteratorINSA_10device_ptrIxEEEEPS6_PKS6_NS0_5tupleIJSF_S6_EEENSJ_IJSG_SG_EEENS0_18inequality_wrapperINSA_8equal_toIxEEEEPmJS6_EEE10hipError_tPvRmT3_T4_T5_T6_T7_T9_mT8_P12ihipStream_tbDpT10_ENKUlT_T0_E_clISt17integral_constantIbLb0EES19_IbLb1EEEEDaS15_S16_EUlS15_E_NS1_11comp_targetILNS1_3genE5ELNS1_11target_archE942ELNS1_3gpuE9ELNS1_3repE0EEENS1_30default_config_static_selectorELNS0_4arch9wavefront6targetE1EEEvT1_: ; @_ZN7rocprim17ROCPRIM_400000_NS6detail17trampoline_kernelINS0_14default_configENS1_25partition_config_selectorILNS1_17partition_subalgoE8ExNS0_10empty_typeEbEEZZNS1_14partition_implILS5_8ELb0ES3_jN6thrust23THRUST_200600_302600_NS6detail15normal_iteratorINSA_10device_ptrIxEEEEPS6_PKS6_NS0_5tupleIJSF_S6_EEENSJ_IJSG_SG_EEENS0_18inequality_wrapperINSA_8equal_toIxEEEEPmJS6_EEE10hipError_tPvRmT3_T4_T5_T6_T7_T9_mT8_P12ihipStream_tbDpT10_ENKUlT_T0_E_clISt17integral_constantIbLb0EES19_IbLb1EEEEDaS15_S16_EUlS15_E_NS1_11comp_targetILNS1_3genE5ELNS1_11target_archE942ELNS1_3gpuE9ELNS1_3repE0EEENS1_30default_config_static_selectorELNS0_4arch9wavefront6targetE1EEEvT1_
; %bb.0:
	.section	.rodata,"a",@progbits
	.p2align	6, 0x0
	.amdhsa_kernel _ZN7rocprim17ROCPRIM_400000_NS6detail17trampoline_kernelINS0_14default_configENS1_25partition_config_selectorILNS1_17partition_subalgoE8ExNS0_10empty_typeEbEEZZNS1_14partition_implILS5_8ELb0ES3_jN6thrust23THRUST_200600_302600_NS6detail15normal_iteratorINSA_10device_ptrIxEEEEPS6_PKS6_NS0_5tupleIJSF_S6_EEENSJ_IJSG_SG_EEENS0_18inequality_wrapperINSA_8equal_toIxEEEEPmJS6_EEE10hipError_tPvRmT3_T4_T5_T6_T7_T9_mT8_P12ihipStream_tbDpT10_ENKUlT_T0_E_clISt17integral_constantIbLb0EES19_IbLb1EEEEDaS15_S16_EUlS15_E_NS1_11comp_targetILNS1_3genE5ELNS1_11target_archE942ELNS1_3gpuE9ELNS1_3repE0EEENS1_30default_config_static_selectorELNS0_4arch9wavefront6targetE1EEEvT1_
		.amdhsa_group_segment_fixed_size 0
		.amdhsa_private_segment_fixed_size 0
		.amdhsa_kernarg_size 128
		.amdhsa_user_sgpr_count 6
		.amdhsa_user_sgpr_private_segment_buffer 1
		.amdhsa_user_sgpr_dispatch_ptr 0
		.amdhsa_user_sgpr_queue_ptr 0
		.amdhsa_user_sgpr_kernarg_segment_ptr 1
		.amdhsa_user_sgpr_dispatch_id 0
		.amdhsa_user_sgpr_flat_scratch_init 0
		.amdhsa_user_sgpr_private_segment_size 0
		.amdhsa_uses_dynamic_stack 0
		.amdhsa_system_sgpr_private_segment_wavefront_offset 0
		.amdhsa_system_sgpr_workgroup_id_x 1
		.amdhsa_system_sgpr_workgroup_id_y 0
		.amdhsa_system_sgpr_workgroup_id_z 0
		.amdhsa_system_sgpr_workgroup_info 0
		.amdhsa_system_vgpr_workitem_id 0
		.amdhsa_next_free_vgpr 1
		.amdhsa_next_free_sgpr 0
		.amdhsa_reserve_vcc 0
		.amdhsa_reserve_flat_scratch 0
		.amdhsa_float_round_mode_32 0
		.amdhsa_float_round_mode_16_64 0
		.amdhsa_float_denorm_mode_32 3
		.amdhsa_float_denorm_mode_16_64 3
		.amdhsa_dx10_clamp 1
		.amdhsa_ieee_mode 1
		.amdhsa_fp16_overflow 0
		.amdhsa_exception_fp_ieee_invalid_op 0
		.amdhsa_exception_fp_denorm_src 0
		.amdhsa_exception_fp_ieee_div_zero 0
		.amdhsa_exception_fp_ieee_overflow 0
		.amdhsa_exception_fp_ieee_underflow 0
		.amdhsa_exception_fp_ieee_inexact 0
		.amdhsa_exception_int_div_zero 0
	.end_amdhsa_kernel
	.section	.text._ZN7rocprim17ROCPRIM_400000_NS6detail17trampoline_kernelINS0_14default_configENS1_25partition_config_selectorILNS1_17partition_subalgoE8ExNS0_10empty_typeEbEEZZNS1_14partition_implILS5_8ELb0ES3_jN6thrust23THRUST_200600_302600_NS6detail15normal_iteratorINSA_10device_ptrIxEEEEPS6_PKS6_NS0_5tupleIJSF_S6_EEENSJ_IJSG_SG_EEENS0_18inequality_wrapperINSA_8equal_toIxEEEEPmJS6_EEE10hipError_tPvRmT3_T4_T5_T6_T7_T9_mT8_P12ihipStream_tbDpT10_ENKUlT_T0_E_clISt17integral_constantIbLb0EES19_IbLb1EEEEDaS15_S16_EUlS15_E_NS1_11comp_targetILNS1_3genE5ELNS1_11target_archE942ELNS1_3gpuE9ELNS1_3repE0EEENS1_30default_config_static_selectorELNS0_4arch9wavefront6targetE1EEEvT1_,"axG",@progbits,_ZN7rocprim17ROCPRIM_400000_NS6detail17trampoline_kernelINS0_14default_configENS1_25partition_config_selectorILNS1_17partition_subalgoE8ExNS0_10empty_typeEbEEZZNS1_14partition_implILS5_8ELb0ES3_jN6thrust23THRUST_200600_302600_NS6detail15normal_iteratorINSA_10device_ptrIxEEEEPS6_PKS6_NS0_5tupleIJSF_S6_EEENSJ_IJSG_SG_EEENS0_18inequality_wrapperINSA_8equal_toIxEEEEPmJS6_EEE10hipError_tPvRmT3_T4_T5_T6_T7_T9_mT8_P12ihipStream_tbDpT10_ENKUlT_T0_E_clISt17integral_constantIbLb0EES19_IbLb1EEEEDaS15_S16_EUlS15_E_NS1_11comp_targetILNS1_3genE5ELNS1_11target_archE942ELNS1_3gpuE9ELNS1_3repE0EEENS1_30default_config_static_selectorELNS0_4arch9wavefront6targetE1EEEvT1_,comdat
.Lfunc_end365:
	.size	_ZN7rocprim17ROCPRIM_400000_NS6detail17trampoline_kernelINS0_14default_configENS1_25partition_config_selectorILNS1_17partition_subalgoE8ExNS0_10empty_typeEbEEZZNS1_14partition_implILS5_8ELb0ES3_jN6thrust23THRUST_200600_302600_NS6detail15normal_iteratorINSA_10device_ptrIxEEEEPS6_PKS6_NS0_5tupleIJSF_S6_EEENSJ_IJSG_SG_EEENS0_18inequality_wrapperINSA_8equal_toIxEEEEPmJS6_EEE10hipError_tPvRmT3_T4_T5_T6_T7_T9_mT8_P12ihipStream_tbDpT10_ENKUlT_T0_E_clISt17integral_constantIbLb0EES19_IbLb1EEEEDaS15_S16_EUlS15_E_NS1_11comp_targetILNS1_3genE5ELNS1_11target_archE942ELNS1_3gpuE9ELNS1_3repE0EEENS1_30default_config_static_selectorELNS0_4arch9wavefront6targetE1EEEvT1_, .Lfunc_end365-_ZN7rocprim17ROCPRIM_400000_NS6detail17trampoline_kernelINS0_14default_configENS1_25partition_config_selectorILNS1_17partition_subalgoE8ExNS0_10empty_typeEbEEZZNS1_14partition_implILS5_8ELb0ES3_jN6thrust23THRUST_200600_302600_NS6detail15normal_iteratorINSA_10device_ptrIxEEEEPS6_PKS6_NS0_5tupleIJSF_S6_EEENSJ_IJSG_SG_EEENS0_18inequality_wrapperINSA_8equal_toIxEEEEPmJS6_EEE10hipError_tPvRmT3_T4_T5_T6_T7_T9_mT8_P12ihipStream_tbDpT10_ENKUlT_T0_E_clISt17integral_constantIbLb0EES19_IbLb1EEEEDaS15_S16_EUlS15_E_NS1_11comp_targetILNS1_3genE5ELNS1_11target_archE942ELNS1_3gpuE9ELNS1_3repE0EEENS1_30default_config_static_selectorELNS0_4arch9wavefront6targetE1EEEvT1_
                                        ; -- End function
	.set _ZN7rocprim17ROCPRIM_400000_NS6detail17trampoline_kernelINS0_14default_configENS1_25partition_config_selectorILNS1_17partition_subalgoE8ExNS0_10empty_typeEbEEZZNS1_14partition_implILS5_8ELb0ES3_jN6thrust23THRUST_200600_302600_NS6detail15normal_iteratorINSA_10device_ptrIxEEEEPS6_PKS6_NS0_5tupleIJSF_S6_EEENSJ_IJSG_SG_EEENS0_18inequality_wrapperINSA_8equal_toIxEEEEPmJS6_EEE10hipError_tPvRmT3_T4_T5_T6_T7_T9_mT8_P12ihipStream_tbDpT10_ENKUlT_T0_E_clISt17integral_constantIbLb0EES19_IbLb1EEEEDaS15_S16_EUlS15_E_NS1_11comp_targetILNS1_3genE5ELNS1_11target_archE942ELNS1_3gpuE9ELNS1_3repE0EEENS1_30default_config_static_selectorELNS0_4arch9wavefront6targetE1EEEvT1_.num_vgpr, 0
	.set _ZN7rocprim17ROCPRIM_400000_NS6detail17trampoline_kernelINS0_14default_configENS1_25partition_config_selectorILNS1_17partition_subalgoE8ExNS0_10empty_typeEbEEZZNS1_14partition_implILS5_8ELb0ES3_jN6thrust23THRUST_200600_302600_NS6detail15normal_iteratorINSA_10device_ptrIxEEEEPS6_PKS6_NS0_5tupleIJSF_S6_EEENSJ_IJSG_SG_EEENS0_18inequality_wrapperINSA_8equal_toIxEEEEPmJS6_EEE10hipError_tPvRmT3_T4_T5_T6_T7_T9_mT8_P12ihipStream_tbDpT10_ENKUlT_T0_E_clISt17integral_constantIbLb0EES19_IbLb1EEEEDaS15_S16_EUlS15_E_NS1_11comp_targetILNS1_3genE5ELNS1_11target_archE942ELNS1_3gpuE9ELNS1_3repE0EEENS1_30default_config_static_selectorELNS0_4arch9wavefront6targetE1EEEvT1_.num_agpr, 0
	.set _ZN7rocprim17ROCPRIM_400000_NS6detail17trampoline_kernelINS0_14default_configENS1_25partition_config_selectorILNS1_17partition_subalgoE8ExNS0_10empty_typeEbEEZZNS1_14partition_implILS5_8ELb0ES3_jN6thrust23THRUST_200600_302600_NS6detail15normal_iteratorINSA_10device_ptrIxEEEEPS6_PKS6_NS0_5tupleIJSF_S6_EEENSJ_IJSG_SG_EEENS0_18inequality_wrapperINSA_8equal_toIxEEEEPmJS6_EEE10hipError_tPvRmT3_T4_T5_T6_T7_T9_mT8_P12ihipStream_tbDpT10_ENKUlT_T0_E_clISt17integral_constantIbLb0EES19_IbLb1EEEEDaS15_S16_EUlS15_E_NS1_11comp_targetILNS1_3genE5ELNS1_11target_archE942ELNS1_3gpuE9ELNS1_3repE0EEENS1_30default_config_static_selectorELNS0_4arch9wavefront6targetE1EEEvT1_.numbered_sgpr, 0
	.set _ZN7rocprim17ROCPRIM_400000_NS6detail17trampoline_kernelINS0_14default_configENS1_25partition_config_selectorILNS1_17partition_subalgoE8ExNS0_10empty_typeEbEEZZNS1_14partition_implILS5_8ELb0ES3_jN6thrust23THRUST_200600_302600_NS6detail15normal_iteratorINSA_10device_ptrIxEEEEPS6_PKS6_NS0_5tupleIJSF_S6_EEENSJ_IJSG_SG_EEENS0_18inequality_wrapperINSA_8equal_toIxEEEEPmJS6_EEE10hipError_tPvRmT3_T4_T5_T6_T7_T9_mT8_P12ihipStream_tbDpT10_ENKUlT_T0_E_clISt17integral_constantIbLb0EES19_IbLb1EEEEDaS15_S16_EUlS15_E_NS1_11comp_targetILNS1_3genE5ELNS1_11target_archE942ELNS1_3gpuE9ELNS1_3repE0EEENS1_30default_config_static_selectorELNS0_4arch9wavefront6targetE1EEEvT1_.num_named_barrier, 0
	.set _ZN7rocprim17ROCPRIM_400000_NS6detail17trampoline_kernelINS0_14default_configENS1_25partition_config_selectorILNS1_17partition_subalgoE8ExNS0_10empty_typeEbEEZZNS1_14partition_implILS5_8ELb0ES3_jN6thrust23THRUST_200600_302600_NS6detail15normal_iteratorINSA_10device_ptrIxEEEEPS6_PKS6_NS0_5tupleIJSF_S6_EEENSJ_IJSG_SG_EEENS0_18inequality_wrapperINSA_8equal_toIxEEEEPmJS6_EEE10hipError_tPvRmT3_T4_T5_T6_T7_T9_mT8_P12ihipStream_tbDpT10_ENKUlT_T0_E_clISt17integral_constantIbLb0EES19_IbLb1EEEEDaS15_S16_EUlS15_E_NS1_11comp_targetILNS1_3genE5ELNS1_11target_archE942ELNS1_3gpuE9ELNS1_3repE0EEENS1_30default_config_static_selectorELNS0_4arch9wavefront6targetE1EEEvT1_.private_seg_size, 0
	.set _ZN7rocprim17ROCPRIM_400000_NS6detail17trampoline_kernelINS0_14default_configENS1_25partition_config_selectorILNS1_17partition_subalgoE8ExNS0_10empty_typeEbEEZZNS1_14partition_implILS5_8ELb0ES3_jN6thrust23THRUST_200600_302600_NS6detail15normal_iteratorINSA_10device_ptrIxEEEEPS6_PKS6_NS0_5tupleIJSF_S6_EEENSJ_IJSG_SG_EEENS0_18inequality_wrapperINSA_8equal_toIxEEEEPmJS6_EEE10hipError_tPvRmT3_T4_T5_T6_T7_T9_mT8_P12ihipStream_tbDpT10_ENKUlT_T0_E_clISt17integral_constantIbLb0EES19_IbLb1EEEEDaS15_S16_EUlS15_E_NS1_11comp_targetILNS1_3genE5ELNS1_11target_archE942ELNS1_3gpuE9ELNS1_3repE0EEENS1_30default_config_static_selectorELNS0_4arch9wavefront6targetE1EEEvT1_.uses_vcc, 0
	.set _ZN7rocprim17ROCPRIM_400000_NS6detail17trampoline_kernelINS0_14default_configENS1_25partition_config_selectorILNS1_17partition_subalgoE8ExNS0_10empty_typeEbEEZZNS1_14partition_implILS5_8ELb0ES3_jN6thrust23THRUST_200600_302600_NS6detail15normal_iteratorINSA_10device_ptrIxEEEEPS6_PKS6_NS0_5tupleIJSF_S6_EEENSJ_IJSG_SG_EEENS0_18inequality_wrapperINSA_8equal_toIxEEEEPmJS6_EEE10hipError_tPvRmT3_T4_T5_T6_T7_T9_mT8_P12ihipStream_tbDpT10_ENKUlT_T0_E_clISt17integral_constantIbLb0EES19_IbLb1EEEEDaS15_S16_EUlS15_E_NS1_11comp_targetILNS1_3genE5ELNS1_11target_archE942ELNS1_3gpuE9ELNS1_3repE0EEENS1_30default_config_static_selectorELNS0_4arch9wavefront6targetE1EEEvT1_.uses_flat_scratch, 0
	.set _ZN7rocprim17ROCPRIM_400000_NS6detail17trampoline_kernelINS0_14default_configENS1_25partition_config_selectorILNS1_17partition_subalgoE8ExNS0_10empty_typeEbEEZZNS1_14partition_implILS5_8ELb0ES3_jN6thrust23THRUST_200600_302600_NS6detail15normal_iteratorINSA_10device_ptrIxEEEEPS6_PKS6_NS0_5tupleIJSF_S6_EEENSJ_IJSG_SG_EEENS0_18inequality_wrapperINSA_8equal_toIxEEEEPmJS6_EEE10hipError_tPvRmT3_T4_T5_T6_T7_T9_mT8_P12ihipStream_tbDpT10_ENKUlT_T0_E_clISt17integral_constantIbLb0EES19_IbLb1EEEEDaS15_S16_EUlS15_E_NS1_11comp_targetILNS1_3genE5ELNS1_11target_archE942ELNS1_3gpuE9ELNS1_3repE0EEENS1_30default_config_static_selectorELNS0_4arch9wavefront6targetE1EEEvT1_.has_dyn_sized_stack, 0
	.set _ZN7rocprim17ROCPRIM_400000_NS6detail17trampoline_kernelINS0_14default_configENS1_25partition_config_selectorILNS1_17partition_subalgoE8ExNS0_10empty_typeEbEEZZNS1_14partition_implILS5_8ELb0ES3_jN6thrust23THRUST_200600_302600_NS6detail15normal_iteratorINSA_10device_ptrIxEEEEPS6_PKS6_NS0_5tupleIJSF_S6_EEENSJ_IJSG_SG_EEENS0_18inequality_wrapperINSA_8equal_toIxEEEEPmJS6_EEE10hipError_tPvRmT3_T4_T5_T6_T7_T9_mT8_P12ihipStream_tbDpT10_ENKUlT_T0_E_clISt17integral_constantIbLb0EES19_IbLb1EEEEDaS15_S16_EUlS15_E_NS1_11comp_targetILNS1_3genE5ELNS1_11target_archE942ELNS1_3gpuE9ELNS1_3repE0EEENS1_30default_config_static_selectorELNS0_4arch9wavefront6targetE1EEEvT1_.has_recursion, 0
	.set _ZN7rocprim17ROCPRIM_400000_NS6detail17trampoline_kernelINS0_14default_configENS1_25partition_config_selectorILNS1_17partition_subalgoE8ExNS0_10empty_typeEbEEZZNS1_14partition_implILS5_8ELb0ES3_jN6thrust23THRUST_200600_302600_NS6detail15normal_iteratorINSA_10device_ptrIxEEEEPS6_PKS6_NS0_5tupleIJSF_S6_EEENSJ_IJSG_SG_EEENS0_18inequality_wrapperINSA_8equal_toIxEEEEPmJS6_EEE10hipError_tPvRmT3_T4_T5_T6_T7_T9_mT8_P12ihipStream_tbDpT10_ENKUlT_T0_E_clISt17integral_constantIbLb0EES19_IbLb1EEEEDaS15_S16_EUlS15_E_NS1_11comp_targetILNS1_3genE5ELNS1_11target_archE942ELNS1_3gpuE9ELNS1_3repE0EEENS1_30default_config_static_selectorELNS0_4arch9wavefront6targetE1EEEvT1_.has_indirect_call, 0
	.section	.AMDGPU.csdata,"",@progbits
; Kernel info:
; codeLenInByte = 0
; TotalNumSgprs: 4
; NumVgprs: 0
; ScratchSize: 0
; MemoryBound: 0
; FloatMode: 240
; IeeeMode: 1
; LDSByteSize: 0 bytes/workgroup (compile time only)
; SGPRBlocks: 0
; VGPRBlocks: 0
; NumSGPRsForWavesPerEU: 4
; NumVGPRsForWavesPerEU: 1
; Occupancy: 10
; WaveLimiterHint : 0
; COMPUTE_PGM_RSRC2:SCRATCH_EN: 0
; COMPUTE_PGM_RSRC2:USER_SGPR: 6
; COMPUTE_PGM_RSRC2:TRAP_HANDLER: 0
; COMPUTE_PGM_RSRC2:TGID_X_EN: 1
; COMPUTE_PGM_RSRC2:TGID_Y_EN: 0
; COMPUTE_PGM_RSRC2:TGID_Z_EN: 0
; COMPUTE_PGM_RSRC2:TIDIG_COMP_CNT: 0
	.section	.text._ZN7rocprim17ROCPRIM_400000_NS6detail17trampoline_kernelINS0_14default_configENS1_25partition_config_selectorILNS1_17partition_subalgoE8ExNS0_10empty_typeEbEEZZNS1_14partition_implILS5_8ELb0ES3_jN6thrust23THRUST_200600_302600_NS6detail15normal_iteratorINSA_10device_ptrIxEEEEPS6_PKS6_NS0_5tupleIJSF_S6_EEENSJ_IJSG_SG_EEENS0_18inequality_wrapperINSA_8equal_toIxEEEEPmJS6_EEE10hipError_tPvRmT3_T4_T5_T6_T7_T9_mT8_P12ihipStream_tbDpT10_ENKUlT_T0_E_clISt17integral_constantIbLb0EES19_IbLb1EEEEDaS15_S16_EUlS15_E_NS1_11comp_targetILNS1_3genE4ELNS1_11target_archE910ELNS1_3gpuE8ELNS1_3repE0EEENS1_30default_config_static_selectorELNS0_4arch9wavefront6targetE1EEEvT1_,"axG",@progbits,_ZN7rocprim17ROCPRIM_400000_NS6detail17trampoline_kernelINS0_14default_configENS1_25partition_config_selectorILNS1_17partition_subalgoE8ExNS0_10empty_typeEbEEZZNS1_14partition_implILS5_8ELb0ES3_jN6thrust23THRUST_200600_302600_NS6detail15normal_iteratorINSA_10device_ptrIxEEEEPS6_PKS6_NS0_5tupleIJSF_S6_EEENSJ_IJSG_SG_EEENS0_18inequality_wrapperINSA_8equal_toIxEEEEPmJS6_EEE10hipError_tPvRmT3_T4_T5_T6_T7_T9_mT8_P12ihipStream_tbDpT10_ENKUlT_T0_E_clISt17integral_constantIbLb0EES19_IbLb1EEEEDaS15_S16_EUlS15_E_NS1_11comp_targetILNS1_3genE4ELNS1_11target_archE910ELNS1_3gpuE8ELNS1_3repE0EEENS1_30default_config_static_selectorELNS0_4arch9wavefront6targetE1EEEvT1_,comdat
	.protected	_ZN7rocprim17ROCPRIM_400000_NS6detail17trampoline_kernelINS0_14default_configENS1_25partition_config_selectorILNS1_17partition_subalgoE8ExNS0_10empty_typeEbEEZZNS1_14partition_implILS5_8ELb0ES3_jN6thrust23THRUST_200600_302600_NS6detail15normal_iteratorINSA_10device_ptrIxEEEEPS6_PKS6_NS0_5tupleIJSF_S6_EEENSJ_IJSG_SG_EEENS0_18inequality_wrapperINSA_8equal_toIxEEEEPmJS6_EEE10hipError_tPvRmT3_T4_T5_T6_T7_T9_mT8_P12ihipStream_tbDpT10_ENKUlT_T0_E_clISt17integral_constantIbLb0EES19_IbLb1EEEEDaS15_S16_EUlS15_E_NS1_11comp_targetILNS1_3genE4ELNS1_11target_archE910ELNS1_3gpuE8ELNS1_3repE0EEENS1_30default_config_static_selectorELNS0_4arch9wavefront6targetE1EEEvT1_ ; -- Begin function _ZN7rocprim17ROCPRIM_400000_NS6detail17trampoline_kernelINS0_14default_configENS1_25partition_config_selectorILNS1_17partition_subalgoE8ExNS0_10empty_typeEbEEZZNS1_14partition_implILS5_8ELb0ES3_jN6thrust23THRUST_200600_302600_NS6detail15normal_iteratorINSA_10device_ptrIxEEEEPS6_PKS6_NS0_5tupleIJSF_S6_EEENSJ_IJSG_SG_EEENS0_18inequality_wrapperINSA_8equal_toIxEEEEPmJS6_EEE10hipError_tPvRmT3_T4_T5_T6_T7_T9_mT8_P12ihipStream_tbDpT10_ENKUlT_T0_E_clISt17integral_constantIbLb0EES19_IbLb1EEEEDaS15_S16_EUlS15_E_NS1_11comp_targetILNS1_3genE4ELNS1_11target_archE910ELNS1_3gpuE8ELNS1_3repE0EEENS1_30default_config_static_selectorELNS0_4arch9wavefront6targetE1EEEvT1_
	.globl	_ZN7rocprim17ROCPRIM_400000_NS6detail17trampoline_kernelINS0_14default_configENS1_25partition_config_selectorILNS1_17partition_subalgoE8ExNS0_10empty_typeEbEEZZNS1_14partition_implILS5_8ELb0ES3_jN6thrust23THRUST_200600_302600_NS6detail15normal_iteratorINSA_10device_ptrIxEEEEPS6_PKS6_NS0_5tupleIJSF_S6_EEENSJ_IJSG_SG_EEENS0_18inequality_wrapperINSA_8equal_toIxEEEEPmJS6_EEE10hipError_tPvRmT3_T4_T5_T6_T7_T9_mT8_P12ihipStream_tbDpT10_ENKUlT_T0_E_clISt17integral_constantIbLb0EES19_IbLb1EEEEDaS15_S16_EUlS15_E_NS1_11comp_targetILNS1_3genE4ELNS1_11target_archE910ELNS1_3gpuE8ELNS1_3repE0EEENS1_30default_config_static_selectorELNS0_4arch9wavefront6targetE1EEEvT1_
	.p2align	8
	.type	_ZN7rocprim17ROCPRIM_400000_NS6detail17trampoline_kernelINS0_14default_configENS1_25partition_config_selectorILNS1_17partition_subalgoE8ExNS0_10empty_typeEbEEZZNS1_14partition_implILS5_8ELb0ES3_jN6thrust23THRUST_200600_302600_NS6detail15normal_iteratorINSA_10device_ptrIxEEEEPS6_PKS6_NS0_5tupleIJSF_S6_EEENSJ_IJSG_SG_EEENS0_18inequality_wrapperINSA_8equal_toIxEEEEPmJS6_EEE10hipError_tPvRmT3_T4_T5_T6_T7_T9_mT8_P12ihipStream_tbDpT10_ENKUlT_T0_E_clISt17integral_constantIbLb0EES19_IbLb1EEEEDaS15_S16_EUlS15_E_NS1_11comp_targetILNS1_3genE4ELNS1_11target_archE910ELNS1_3gpuE8ELNS1_3repE0EEENS1_30default_config_static_selectorELNS0_4arch9wavefront6targetE1EEEvT1_,@function
_ZN7rocprim17ROCPRIM_400000_NS6detail17trampoline_kernelINS0_14default_configENS1_25partition_config_selectorILNS1_17partition_subalgoE8ExNS0_10empty_typeEbEEZZNS1_14partition_implILS5_8ELb0ES3_jN6thrust23THRUST_200600_302600_NS6detail15normal_iteratorINSA_10device_ptrIxEEEEPS6_PKS6_NS0_5tupleIJSF_S6_EEENSJ_IJSG_SG_EEENS0_18inequality_wrapperINSA_8equal_toIxEEEEPmJS6_EEE10hipError_tPvRmT3_T4_T5_T6_T7_T9_mT8_P12ihipStream_tbDpT10_ENKUlT_T0_E_clISt17integral_constantIbLb0EES19_IbLb1EEEEDaS15_S16_EUlS15_E_NS1_11comp_targetILNS1_3genE4ELNS1_11target_archE910ELNS1_3gpuE8ELNS1_3repE0EEENS1_30default_config_static_selectorELNS0_4arch9wavefront6targetE1EEEvT1_: ; @_ZN7rocprim17ROCPRIM_400000_NS6detail17trampoline_kernelINS0_14default_configENS1_25partition_config_selectorILNS1_17partition_subalgoE8ExNS0_10empty_typeEbEEZZNS1_14partition_implILS5_8ELb0ES3_jN6thrust23THRUST_200600_302600_NS6detail15normal_iteratorINSA_10device_ptrIxEEEEPS6_PKS6_NS0_5tupleIJSF_S6_EEENSJ_IJSG_SG_EEENS0_18inequality_wrapperINSA_8equal_toIxEEEEPmJS6_EEE10hipError_tPvRmT3_T4_T5_T6_T7_T9_mT8_P12ihipStream_tbDpT10_ENKUlT_T0_E_clISt17integral_constantIbLb0EES19_IbLb1EEEEDaS15_S16_EUlS15_E_NS1_11comp_targetILNS1_3genE4ELNS1_11target_archE910ELNS1_3gpuE8ELNS1_3repE0EEENS1_30default_config_static_selectorELNS0_4arch9wavefront6targetE1EEEvT1_
; %bb.0:
	.section	.rodata,"a",@progbits
	.p2align	6, 0x0
	.amdhsa_kernel _ZN7rocprim17ROCPRIM_400000_NS6detail17trampoline_kernelINS0_14default_configENS1_25partition_config_selectorILNS1_17partition_subalgoE8ExNS0_10empty_typeEbEEZZNS1_14partition_implILS5_8ELb0ES3_jN6thrust23THRUST_200600_302600_NS6detail15normal_iteratorINSA_10device_ptrIxEEEEPS6_PKS6_NS0_5tupleIJSF_S6_EEENSJ_IJSG_SG_EEENS0_18inequality_wrapperINSA_8equal_toIxEEEEPmJS6_EEE10hipError_tPvRmT3_T4_T5_T6_T7_T9_mT8_P12ihipStream_tbDpT10_ENKUlT_T0_E_clISt17integral_constantIbLb0EES19_IbLb1EEEEDaS15_S16_EUlS15_E_NS1_11comp_targetILNS1_3genE4ELNS1_11target_archE910ELNS1_3gpuE8ELNS1_3repE0EEENS1_30default_config_static_selectorELNS0_4arch9wavefront6targetE1EEEvT1_
		.amdhsa_group_segment_fixed_size 0
		.amdhsa_private_segment_fixed_size 0
		.amdhsa_kernarg_size 128
		.amdhsa_user_sgpr_count 6
		.amdhsa_user_sgpr_private_segment_buffer 1
		.amdhsa_user_sgpr_dispatch_ptr 0
		.amdhsa_user_sgpr_queue_ptr 0
		.amdhsa_user_sgpr_kernarg_segment_ptr 1
		.amdhsa_user_sgpr_dispatch_id 0
		.amdhsa_user_sgpr_flat_scratch_init 0
		.amdhsa_user_sgpr_private_segment_size 0
		.amdhsa_uses_dynamic_stack 0
		.amdhsa_system_sgpr_private_segment_wavefront_offset 0
		.amdhsa_system_sgpr_workgroup_id_x 1
		.amdhsa_system_sgpr_workgroup_id_y 0
		.amdhsa_system_sgpr_workgroup_id_z 0
		.amdhsa_system_sgpr_workgroup_info 0
		.amdhsa_system_vgpr_workitem_id 0
		.amdhsa_next_free_vgpr 1
		.amdhsa_next_free_sgpr 0
		.amdhsa_reserve_vcc 0
		.amdhsa_reserve_flat_scratch 0
		.amdhsa_float_round_mode_32 0
		.amdhsa_float_round_mode_16_64 0
		.amdhsa_float_denorm_mode_32 3
		.amdhsa_float_denorm_mode_16_64 3
		.amdhsa_dx10_clamp 1
		.amdhsa_ieee_mode 1
		.amdhsa_fp16_overflow 0
		.amdhsa_exception_fp_ieee_invalid_op 0
		.amdhsa_exception_fp_denorm_src 0
		.amdhsa_exception_fp_ieee_div_zero 0
		.amdhsa_exception_fp_ieee_overflow 0
		.amdhsa_exception_fp_ieee_underflow 0
		.amdhsa_exception_fp_ieee_inexact 0
		.amdhsa_exception_int_div_zero 0
	.end_amdhsa_kernel
	.section	.text._ZN7rocprim17ROCPRIM_400000_NS6detail17trampoline_kernelINS0_14default_configENS1_25partition_config_selectorILNS1_17partition_subalgoE8ExNS0_10empty_typeEbEEZZNS1_14partition_implILS5_8ELb0ES3_jN6thrust23THRUST_200600_302600_NS6detail15normal_iteratorINSA_10device_ptrIxEEEEPS6_PKS6_NS0_5tupleIJSF_S6_EEENSJ_IJSG_SG_EEENS0_18inequality_wrapperINSA_8equal_toIxEEEEPmJS6_EEE10hipError_tPvRmT3_T4_T5_T6_T7_T9_mT8_P12ihipStream_tbDpT10_ENKUlT_T0_E_clISt17integral_constantIbLb0EES19_IbLb1EEEEDaS15_S16_EUlS15_E_NS1_11comp_targetILNS1_3genE4ELNS1_11target_archE910ELNS1_3gpuE8ELNS1_3repE0EEENS1_30default_config_static_selectorELNS0_4arch9wavefront6targetE1EEEvT1_,"axG",@progbits,_ZN7rocprim17ROCPRIM_400000_NS6detail17trampoline_kernelINS0_14default_configENS1_25partition_config_selectorILNS1_17partition_subalgoE8ExNS0_10empty_typeEbEEZZNS1_14partition_implILS5_8ELb0ES3_jN6thrust23THRUST_200600_302600_NS6detail15normal_iteratorINSA_10device_ptrIxEEEEPS6_PKS6_NS0_5tupleIJSF_S6_EEENSJ_IJSG_SG_EEENS0_18inequality_wrapperINSA_8equal_toIxEEEEPmJS6_EEE10hipError_tPvRmT3_T4_T5_T6_T7_T9_mT8_P12ihipStream_tbDpT10_ENKUlT_T0_E_clISt17integral_constantIbLb0EES19_IbLb1EEEEDaS15_S16_EUlS15_E_NS1_11comp_targetILNS1_3genE4ELNS1_11target_archE910ELNS1_3gpuE8ELNS1_3repE0EEENS1_30default_config_static_selectorELNS0_4arch9wavefront6targetE1EEEvT1_,comdat
.Lfunc_end366:
	.size	_ZN7rocprim17ROCPRIM_400000_NS6detail17trampoline_kernelINS0_14default_configENS1_25partition_config_selectorILNS1_17partition_subalgoE8ExNS0_10empty_typeEbEEZZNS1_14partition_implILS5_8ELb0ES3_jN6thrust23THRUST_200600_302600_NS6detail15normal_iteratorINSA_10device_ptrIxEEEEPS6_PKS6_NS0_5tupleIJSF_S6_EEENSJ_IJSG_SG_EEENS0_18inequality_wrapperINSA_8equal_toIxEEEEPmJS6_EEE10hipError_tPvRmT3_T4_T5_T6_T7_T9_mT8_P12ihipStream_tbDpT10_ENKUlT_T0_E_clISt17integral_constantIbLb0EES19_IbLb1EEEEDaS15_S16_EUlS15_E_NS1_11comp_targetILNS1_3genE4ELNS1_11target_archE910ELNS1_3gpuE8ELNS1_3repE0EEENS1_30default_config_static_selectorELNS0_4arch9wavefront6targetE1EEEvT1_, .Lfunc_end366-_ZN7rocprim17ROCPRIM_400000_NS6detail17trampoline_kernelINS0_14default_configENS1_25partition_config_selectorILNS1_17partition_subalgoE8ExNS0_10empty_typeEbEEZZNS1_14partition_implILS5_8ELb0ES3_jN6thrust23THRUST_200600_302600_NS6detail15normal_iteratorINSA_10device_ptrIxEEEEPS6_PKS6_NS0_5tupleIJSF_S6_EEENSJ_IJSG_SG_EEENS0_18inequality_wrapperINSA_8equal_toIxEEEEPmJS6_EEE10hipError_tPvRmT3_T4_T5_T6_T7_T9_mT8_P12ihipStream_tbDpT10_ENKUlT_T0_E_clISt17integral_constantIbLb0EES19_IbLb1EEEEDaS15_S16_EUlS15_E_NS1_11comp_targetILNS1_3genE4ELNS1_11target_archE910ELNS1_3gpuE8ELNS1_3repE0EEENS1_30default_config_static_selectorELNS0_4arch9wavefront6targetE1EEEvT1_
                                        ; -- End function
	.set _ZN7rocprim17ROCPRIM_400000_NS6detail17trampoline_kernelINS0_14default_configENS1_25partition_config_selectorILNS1_17partition_subalgoE8ExNS0_10empty_typeEbEEZZNS1_14partition_implILS5_8ELb0ES3_jN6thrust23THRUST_200600_302600_NS6detail15normal_iteratorINSA_10device_ptrIxEEEEPS6_PKS6_NS0_5tupleIJSF_S6_EEENSJ_IJSG_SG_EEENS0_18inequality_wrapperINSA_8equal_toIxEEEEPmJS6_EEE10hipError_tPvRmT3_T4_T5_T6_T7_T9_mT8_P12ihipStream_tbDpT10_ENKUlT_T0_E_clISt17integral_constantIbLb0EES19_IbLb1EEEEDaS15_S16_EUlS15_E_NS1_11comp_targetILNS1_3genE4ELNS1_11target_archE910ELNS1_3gpuE8ELNS1_3repE0EEENS1_30default_config_static_selectorELNS0_4arch9wavefront6targetE1EEEvT1_.num_vgpr, 0
	.set _ZN7rocprim17ROCPRIM_400000_NS6detail17trampoline_kernelINS0_14default_configENS1_25partition_config_selectorILNS1_17partition_subalgoE8ExNS0_10empty_typeEbEEZZNS1_14partition_implILS5_8ELb0ES3_jN6thrust23THRUST_200600_302600_NS6detail15normal_iteratorINSA_10device_ptrIxEEEEPS6_PKS6_NS0_5tupleIJSF_S6_EEENSJ_IJSG_SG_EEENS0_18inequality_wrapperINSA_8equal_toIxEEEEPmJS6_EEE10hipError_tPvRmT3_T4_T5_T6_T7_T9_mT8_P12ihipStream_tbDpT10_ENKUlT_T0_E_clISt17integral_constantIbLb0EES19_IbLb1EEEEDaS15_S16_EUlS15_E_NS1_11comp_targetILNS1_3genE4ELNS1_11target_archE910ELNS1_3gpuE8ELNS1_3repE0EEENS1_30default_config_static_selectorELNS0_4arch9wavefront6targetE1EEEvT1_.num_agpr, 0
	.set _ZN7rocprim17ROCPRIM_400000_NS6detail17trampoline_kernelINS0_14default_configENS1_25partition_config_selectorILNS1_17partition_subalgoE8ExNS0_10empty_typeEbEEZZNS1_14partition_implILS5_8ELb0ES3_jN6thrust23THRUST_200600_302600_NS6detail15normal_iteratorINSA_10device_ptrIxEEEEPS6_PKS6_NS0_5tupleIJSF_S6_EEENSJ_IJSG_SG_EEENS0_18inequality_wrapperINSA_8equal_toIxEEEEPmJS6_EEE10hipError_tPvRmT3_T4_T5_T6_T7_T9_mT8_P12ihipStream_tbDpT10_ENKUlT_T0_E_clISt17integral_constantIbLb0EES19_IbLb1EEEEDaS15_S16_EUlS15_E_NS1_11comp_targetILNS1_3genE4ELNS1_11target_archE910ELNS1_3gpuE8ELNS1_3repE0EEENS1_30default_config_static_selectorELNS0_4arch9wavefront6targetE1EEEvT1_.numbered_sgpr, 0
	.set _ZN7rocprim17ROCPRIM_400000_NS6detail17trampoline_kernelINS0_14default_configENS1_25partition_config_selectorILNS1_17partition_subalgoE8ExNS0_10empty_typeEbEEZZNS1_14partition_implILS5_8ELb0ES3_jN6thrust23THRUST_200600_302600_NS6detail15normal_iteratorINSA_10device_ptrIxEEEEPS6_PKS6_NS0_5tupleIJSF_S6_EEENSJ_IJSG_SG_EEENS0_18inequality_wrapperINSA_8equal_toIxEEEEPmJS6_EEE10hipError_tPvRmT3_T4_T5_T6_T7_T9_mT8_P12ihipStream_tbDpT10_ENKUlT_T0_E_clISt17integral_constantIbLb0EES19_IbLb1EEEEDaS15_S16_EUlS15_E_NS1_11comp_targetILNS1_3genE4ELNS1_11target_archE910ELNS1_3gpuE8ELNS1_3repE0EEENS1_30default_config_static_selectorELNS0_4arch9wavefront6targetE1EEEvT1_.num_named_barrier, 0
	.set _ZN7rocprim17ROCPRIM_400000_NS6detail17trampoline_kernelINS0_14default_configENS1_25partition_config_selectorILNS1_17partition_subalgoE8ExNS0_10empty_typeEbEEZZNS1_14partition_implILS5_8ELb0ES3_jN6thrust23THRUST_200600_302600_NS6detail15normal_iteratorINSA_10device_ptrIxEEEEPS6_PKS6_NS0_5tupleIJSF_S6_EEENSJ_IJSG_SG_EEENS0_18inequality_wrapperINSA_8equal_toIxEEEEPmJS6_EEE10hipError_tPvRmT3_T4_T5_T6_T7_T9_mT8_P12ihipStream_tbDpT10_ENKUlT_T0_E_clISt17integral_constantIbLb0EES19_IbLb1EEEEDaS15_S16_EUlS15_E_NS1_11comp_targetILNS1_3genE4ELNS1_11target_archE910ELNS1_3gpuE8ELNS1_3repE0EEENS1_30default_config_static_selectorELNS0_4arch9wavefront6targetE1EEEvT1_.private_seg_size, 0
	.set _ZN7rocprim17ROCPRIM_400000_NS6detail17trampoline_kernelINS0_14default_configENS1_25partition_config_selectorILNS1_17partition_subalgoE8ExNS0_10empty_typeEbEEZZNS1_14partition_implILS5_8ELb0ES3_jN6thrust23THRUST_200600_302600_NS6detail15normal_iteratorINSA_10device_ptrIxEEEEPS6_PKS6_NS0_5tupleIJSF_S6_EEENSJ_IJSG_SG_EEENS0_18inequality_wrapperINSA_8equal_toIxEEEEPmJS6_EEE10hipError_tPvRmT3_T4_T5_T6_T7_T9_mT8_P12ihipStream_tbDpT10_ENKUlT_T0_E_clISt17integral_constantIbLb0EES19_IbLb1EEEEDaS15_S16_EUlS15_E_NS1_11comp_targetILNS1_3genE4ELNS1_11target_archE910ELNS1_3gpuE8ELNS1_3repE0EEENS1_30default_config_static_selectorELNS0_4arch9wavefront6targetE1EEEvT1_.uses_vcc, 0
	.set _ZN7rocprim17ROCPRIM_400000_NS6detail17trampoline_kernelINS0_14default_configENS1_25partition_config_selectorILNS1_17partition_subalgoE8ExNS0_10empty_typeEbEEZZNS1_14partition_implILS5_8ELb0ES3_jN6thrust23THRUST_200600_302600_NS6detail15normal_iteratorINSA_10device_ptrIxEEEEPS6_PKS6_NS0_5tupleIJSF_S6_EEENSJ_IJSG_SG_EEENS0_18inequality_wrapperINSA_8equal_toIxEEEEPmJS6_EEE10hipError_tPvRmT3_T4_T5_T6_T7_T9_mT8_P12ihipStream_tbDpT10_ENKUlT_T0_E_clISt17integral_constantIbLb0EES19_IbLb1EEEEDaS15_S16_EUlS15_E_NS1_11comp_targetILNS1_3genE4ELNS1_11target_archE910ELNS1_3gpuE8ELNS1_3repE0EEENS1_30default_config_static_selectorELNS0_4arch9wavefront6targetE1EEEvT1_.uses_flat_scratch, 0
	.set _ZN7rocprim17ROCPRIM_400000_NS6detail17trampoline_kernelINS0_14default_configENS1_25partition_config_selectorILNS1_17partition_subalgoE8ExNS0_10empty_typeEbEEZZNS1_14partition_implILS5_8ELb0ES3_jN6thrust23THRUST_200600_302600_NS6detail15normal_iteratorINSA_10device_ptrIxEEEEPS6_PKS6_NS0_5tupleIJSF_S6_EEENSJ_IJSG_SG_EEENS0_18inequality_wrapperINSA_8equal_toIxEEEEPmJS6_EEE10hipError_tPvRmT3_T4_T5_T6_T7_T9_mT8_P12ihipStream_tbDpT10_ENKUlT_T0_E_clISt17integral_constantIbLb0EES19_IbLb1EEEEDaS15_S16_EUlS15_E_NS1_11comp_targetILNS1_3genE4ELNS1_11target_archE910ELNS1_3gpuE8ELNS1_3repE0EEENS1_30default_config_static_selectorELNS0_4arch9wavefront6targetE1EEEvT1_.has_dyn_sized_stack, 0
	.set _ZN7rocprim17ROCPRIM_400000_NS6detail17trampoline_kernelINS0_14default_configENS1_25partition_config_selectorILNS1_17partition_subalgoE8ExNS0_10empty_typeEbEEZZNS1_14partition_implILS5_8ELb0ES3_jN6thrust23THRUST_200600_302600_NS6detail15normal_iteratorINSA_10device_ptrIxEEEEPS6_PKS6_NS0_5tupleIJSF_S6_EEENSJ_IJSG_SG_EEENS0_18inequality_wrapperINSA_8equal_toIxEEEEPmJS6_EEE10hipError_tPvRmT3_T4_T5_T6_T7_T9_mT8_P12ihipStream_tbDpT10_ENKUlT_T0_E_clISt17integral_constantIbLb0EES19_IbLb1EEEEDaS15_S16_EUlS15_E_NS1_11comp_targetILNS1_3genE4ELNS1_11target_archE910ELNS1_3gpuE8ELNS1_3repE0EEENS1_30default_config_static_selectorELNS0_4arch9wavefront6targetE1EEEvT1_.has_recursion, 0
	.set _ZN7rocprim17ROCPRIM_400000_NS6detail17trampoline_kernelINS0_14default_configENS1_25partition_config_selectorILNS1_17partition_subalgoE8ExNS0_10empty_typeEbEEZZNS1_14partition_implILS5_8ELb0ES3_jN6thrust23THRUST_200600_302600_NS6detail15normal_iteratorINSA_10device_ptrIxEEEEPS6_PKS6_NS0_5tupleIJSF_S6_EEENSJ_IJSG_SG_EEENS0_18inequality_wrapperINSA_8equal_toIxEEEEPmJS6_EEE10hipError_tPvRmT3_T4_T5_T6_T7_T9_mT8_P12ihipStream_tbDpT10_ENKUlT_T0_E_clISt17integral_constantIbLb0EES19_IbLb1EEEEDaS15_S16_EUlS15_E_NS1_11comp_targetILNS1_3genE4ELNS1_11target_archE910ELNS1_3gpuE8ELNS1_3repE0EEENS1_30default_config_static_selectorELNS0_4arch9wavefront6targetE1EEEvT1_.has_indirect_call, 0
	.section	.AMDGPU.csdata,"",@progbits
; Kernel info:
; codeLenInByte = 0
; TotalNumSgprs: 4
; NumVgprs: 0
; ScratchSize: 0
; MemoryBound: 0
; FloatMode: 240
; IeeeMode: 1
; LDSByteSize: 0 bytes/workgroup (compile time only)
; SGPRBlocks: 0
; VGPRBlocks: 0
; NumSGPRsForWavesPerEU: 4
; NumVGPRsForWavesPerEU: 1
; Occupancy: 10
; WaveLimiterHint : 0
; COMPUTE_PGM_RSRC2:SCRATCH_EN: 0
; COMPUTE_PGM_RSRC2:USER_SGPR: 6
; COMPUTE_PGM_RSRC2:TRAP_HANDLER: 0
; COMPUTE_PGM_RSRC2:TGID_X_EN: 1
; COMPUTE_PGM_RSRC2:TGID_Y_EN: 0
; COMPUTE_PGM_RSRC2:TGID_Z_EN: 0
; COMPUTE_PGM_RSRC2:TIDIG_COMP_CNT: 0
	.section	.text._ZN7rocprim17ROCPRIM_400000_NS6detail17trampoline_kernelINS0_14default_configENS1_25partition_config_selectorILNS1_17partition_subalgoE8ExNS0_10empty_typeEbEEZZNS1_14partition_implILS5_8ELb0ES3_jN6thrust23THRUST_200600_302600_NS6detail15normal_iteratorINSA_10device_ptrIxEEEEPS6_PKS6_NS0_5tupleIJSF_S6_EEENSJ_IJSG_SG_EEENS0_18inequality_wrapperINSA_8equal_toIxEEEEPmJS6_EEE10hipError_tPvRmT3_T4_T5_T6_T7_T9_mT8_P12ihipStream_tbDpT10_ENKUlT_T0_E_clISt17integral_constantIbLb0EES19_IbLb1EEEEDaS15_S16_EUlS15_E_NS1_11comp_targetILNS1_3genE3ELNS1_11target_archE908ELNS1_3gpuE7ELNS1_3repE0EEENS1_30default_config_static_selectorELNS0_4arch9wavefront6targetE1EEEvT1_,"axG",@progbits,_ZN7rocprim17ROCPRIM_400000_NS6detail17trampoline_kernelINS0_14default_configENS1_25partition_config_selectorILNS1_17partition_subalgoE8ExNS0_10empty_typeEbEEZZNS1_14partition_implILS5_8ELb0ES3_jN6thrust23THRUST_200600_302600_NS6detail15normal_iteratorINSA_10device_ptrIxEEEEPS6_PKS6_NS0_5tupleIJSF_S6_EEENSJ_IJSG_SG_EEENS0_18inequality_wrapperINSA_8equal_toIxEEEEPmJS6_EEE10hipError_tPvRmT3_T4_T5_T6_T7_T9_mT8_P12ihipStream_tbDpT10_ENKUlT_T0_E_clISt17integral_constantIbLb0EES19_IbLb1EEEEDaS15_S16_EUlS15_E_NS1_11comp_targetILNS1_3genE3ELNS1_11target_archE908ELNS1_3gpuE7ELNS1_3repE0EEENS1_30default_config_static_selectorELNS0_4arch9wavefront6targetE1EEEvT1_,comdat
	.protected	_ZN7rocprim17ROCPRIM_400000_NS6detail17trampoline_kernelINS0_14default_configENS1_25partition_config_selectorILNS1_17partition_subalgoE8ExNS0_10empty_typeEbEEZZNS1_14partition_implILS5_8ELb0ES3_jN6thrust23THRUST_200600_302600_NS6detail15normal_iteratorINSA_10device_ptrIxEEEEPS6_PKS6_NS0_5tupleIJSF_S6_EEENSJ_IJSG_SG_EEENS0_18inequality_wrapperINSA_8equal_toIxEEEEPmJS6_EEE10hipError_tPvRmT3_T4_T5_T6_T7_T9_mT8_P12ihipStream_tbDpT10_ENKUlT_T0_E_clISt17integral_constantIbLb0EES19_IbLb1EEEEDaS15_S16_EUlS15_E_NS1_11comp_targetILNS1_3genE3ELNS1_11target_archE908ELNS1_3gpuE7ELNS1_3repE0EEENS1_30default_config_static_selectorELNS0_4arch9wavefront6targetE1EEEvT1_ ; -- Begin function _ZN7rocprim17ROCPRIM_400000_NS6detail17trampoline_kernelINS0_14default_configENS1_25partition_config_selectorILNS1_17partition_subalgoE8ExNS0_10empty_typeEbEEZZNS1_14partition_implILS5_8ELb0ES3_jN6thrust23THRUST_200600_302600_NS6detail15normal_iteratorINSA_10device_ptrIxEEEEPS6_PKS6_NS0_5tupleIJSF_S6_EEENSJ_IJSG_SG_EEENS0_18inequality_wrapperINSA_8equal_toIxEEEEPmJS6_EEE10hipError_tPvRmT3_T4_T5_T6_T7_T9_mT8_P12ihipStream_tbDpT10_ENKUlT_T0_E_clISt17integral_constantIbLb0EES19_IbLb1EEEEDaS15_S16_EUlS15_E_NS1_11comp_targetILNS1_3genE3ELNS1_11target_archE908ELNS1_3gpuE7ELNS1_3repE0EEENS1_30default_config_static_selectorELNS0_4arch9wavefront6targetE1EEEvT1_
	.globl	_ZN7rocprim17ROCPRIM_400000_NS6detail17trampoline_kernelINS0_14default_configENS1_25partition_config_selectorILNS1_17partition_subalgoE8ExNS0_10empty_typeEbEEZZNS1_14partition_implILS5_8ELb0ES3_jN6thrust23THRUST_200600_302600_NS6detail15normal_iteratorINSA_10device_ptrIxEEEEPS6_PKS6_NS0_5tupleIJSF_S6_EEENSJ_IJSG_SG_EEENS0_18inequality_wrapperINSA_8equal_toIxEEEEPmJS6_EEE10hipError_tPvRmT3_T4_T5_T6_T7_T9_mT8_P12ihipStream_tbDpT10_ENKUlT_T0_E_clISt17integral_constantIbLb0EES19_IbLb1EEEEDaS15_S16_EUlS15_E_NS1_11comp_targetILNS1_3genE3ELNS1_11target_archE908ELNS1_3gpuE7ELNS1_3repE0EEENS1_30default_config_static_selectorELNS0_4arch9wavefront6targetE1EEEvT1_
	.p2align	8
	.type	_ZN7rocprim17ROCPRIM_400000_NS6detail17trampoline_kernelINS0_14default_configENS1_25partition_config_selectorILNS1_17partition_subalgoE8ExNS0_10empty_typeEbEEZZNS1_14partition_implILS5_8ELb0ES3_jN6thrust23THRUST_200600_302600_NS6detail15normal_iteratorINSA_10device_ptrIxEEEEPS6_PKS6_NS0_5tupleIJSF_S6_EEENSJ_IJSG_SG_EEENS0_18inequality_wrapperINSA_8equal_toIxEEEEPmJS6_EEE10hipError_tPvRmT3_T4_T5_T6_T7_T9_mT8_P12ihipStream_tbDpT10_ENKUlT_T0_E_clISt17integral_constantIbLb0EES19_IbLb1EEEEDaS15_S16_EUlS15_E_NS1_11comp_targetILNS1_3genE3ELNS1_11target_archE908ELNS1_3gpuE7ELNS1_3repE0EEENS1_30default_config_static_selectorELNS0_4arch9wavefront6targetE1EEEvT1_,@function
_ZN7rocprim17ROCPRIM_400000_NS6detail17trampoline_kernelINS0_14default_configENS1_25partition_config_selectorILNS1_17partition_subalgoE8ExNS0_10empty_typeEbEEZZNS1_14partition_implILS5_8ELb0ES3_jN6thrust23THRUST_200600_302600_NS6detail15normal_iteratorINSA_10device_ptrIxEEEEPS6_PKS6_NS0_5tupleIJSF_S6_EEENSJ_IJSG_SG_EEENS0_18inequality_wrapperINSA_8equal_toIxEEEEPmJS6_EEE10hipError_tPvRmT3_T4_T5_T6_T7_T9_mT8_P12ihipStream_tbDpT10_ENKUlT_T0_E_clISt17integral_constantIbLb0EES19_IbLb1EEEEDaS15_S16_EUlS15_E_NS1_11comp_targetILNS1_3genE3ELNS1_11target_archE908ELNS1_3gpuE7ELNS1_3repE0EEENS1_30default_config_static_selectorELNS0_4arch9wavefront6targetE1EEEvT1_: ; @_ZN7rocprim17ROCPRIM_400000_NS6detail17trampoline_kernelINS0_14default_configENS1_25partition_config_selectorILNS1_17partition_subalgoE8ExNS0_10empty_typeEbEEZZNS1_14partition_implILS5_8ELb0ES3_jN6thrust23THRUST_200600_302600_NS6detail15normal_iteratorINSA_10device_ptrIxEEEEPS6_PKS6_NS0_5tupleIJSF_S6_EEENSJ_IJSG_SG_EEENS0_18inequality_wrapperINSA_8equal_toIxEEEEPmJS6_EEE10hipError_tPvRmT3_T4_T5_T6_T7_T9_mT8_P12ihipStream_tbDpT10_ENKUlT_T0_E_clISt17integral_constantIbLb0EES19_IbLb1EEEEDaS15_S16_EUlS15_E_NS1_11comp_targetILNS1_3genE3ELNS1_11target_archE908ELNS1_3gpuE7ELNS1_3repE0EEENS1_30default_config_static_selectorELNS0_4arch9wavefront6targetE1EEEvT1_
; %bb.0:
	.section	.rodata,"a",@progbits
	.p2align	6, 0x0
	.amdhsa_kernel _ZN7rocprim17ROCPRIM_400000_NS6detail17trampoline_kernelINS0_14default_configENS1_25partition_config_selectorILNS1_17partition_subalgoE8ExNS0_10empty_typeEbEEZZNS1_14partition_implILS5_8ELb0ES3_jN6thrust23THRUST_200600_302600_NS6detail15normal_iteratorINSA_10device_ptrIxEEEEPS6_PKS6_NS0_5tupleIJSF_S6_EEENSJ_IJSG_SG_EEENS0_18inequality_wrapperINSA_8equal_toIxEEEEPmJS6_EEE10hipError_tPvRmT3_T4_T5_T6_T7_T9_mT8_P12ihipStream_tbDpT10_ENKUlT_T0_E_clISt17integral_constantIbLb0EES19_IbLb1EEEEDaS15_S16_EUlS15_E_NS1_11comp_targetILNS1_3genE3ELNS1_11target_archE908ELNS1_3gpuE7ELNS1_3repE0EEENS1_30default_config_static_selectorELNS0_4arch9wavefront6targetE1EEEvT1_
		.amdhsa_group_segment_fixed_size 0
		.amdhsa_private_segment_fixed_size 0
		.amdhsa_kernarg_size 128
		.amdhsa_user_sgpr_count 6
		.amdhsa_user_sgpr_private_segment_buffer 1
		.amdhsa_user_sgpr_dispatch_ptr 0
		.amdhsa_user_sgpr_queue_ptr 0
		.amdhsa_user_sgpr_kernarg_segment_ptr 1
		.amdhsa_user_sgpr_dispatch_id 0
		.amdhsa_user_sgpr_flat_scratch_init 0
		.amdhsa_user_sgpr_private_segment_size 0
		.amdhsa_uses_dynamic_stack 0
		.amdhsa_system_sgpr_private_segment_wavefront_offset 0
		.amdhsa_system_sgpr_workgroup_id_x 1
		.amdhsa_system_sgpr_workgroup_id_y 0
		.amdhsa_system_sgpr_workgroup_id_z 0
		.amdhsa_system_sgpr_workgroup_info 0
		.amdhsa_system_vgpr_workitem_id 0
		.amdhsa_next_free_vgpr 1
		.amdhsa_next_free_sgpr 0
		.amdhsa_reserve_vcc 0
		.amdhsa_reserve_flat_scratch 0
		.amdhsa_float_round_mode_32 0
		.amdhsa_float_round_mode_16_64 0
		.amdhsa_float_denorm_mode_32 3
		.amdhsa_float_denorm_mode_16_64 3
		.amdhsa_dx10_clamp 1
		.amdhsa_ieee_mode 1
		.amdhsa_fp16_overflow 0
		.amdhsa_exception_fp_ieee_invalid_op 0
		.amdhsa_exception_fp_denorm_src 0
		.amdhsa_exception_fp_ieee_div_zero 0
		.amdhsa_exception_fp_ieee_overflow 0
		.amdhsa_exception_fp_ieee_underflow 0
		.amdhsa_exception_fp_ieee_inexact 0
		.amdhsa_exception_int_div_zero 0
	.end_amdhsa_kernel
	.section	.text._ZN7rocprim17ROCPRIM_400000_NS6detail17trampoline_kernelINS0_14default_configENS1_25partition_config_selectorILNS1_17partition_subalgoE8ExNS0_10empty_typeEbEEZZNS1_14partition_implILS5_8ELb0ES3_jN6thrust23THRUST_200600_302600_NS6detail15normal_iteratorINSA_10device_ptrIxEEEEPS6_PKS6_NS0_5tupleIJSF_S6_EEENSJ_IJSG_SG_EEENS0_18inequality_wrapperINSA_8equal_toIxEEEEPmJS6_EEE10hipError_tPvRmT3_T4_T5_T6_T7_T9_mT8_P12ihipStream_tbDpT10_ENKUlT_T0_E_clISt17integral_constantIbLb0EES19_IbLb1EEEEDaS15_S16_EUlS15_E_NS1_11comp_targetILNS1_3genE3ELNS1_11target_archE908ELNS1_3gpuE7ELNS1_3repE0EEENS1_30default_config_static_selectorELNS0_4arch9wavefront6targetE1EEEvT1_,"axG",@progbits,_ZN7rocprim17ROCPRIM_400000_NS6detail17trampoline_kernelINS0_14default_configENS1_25partition_config_selectorILNS1_17partition_subalgoE8ExNS0_10empty_typeEbEEZZNS1_14partition_implILS5_8ELb0ES3_jN6thrust23THRUST_200600_302600_NS6detail15normal_iteratorINSA_10device_ptrIxEEEEPS6_PKS6_NS0_5tupleIJSF_S6_EEENSJ_IJSG_SG_EEENS0_18inequality_wrapperINSA_8equal_toIxEEEEPmJS6_EEE10hipError_tPvRmT3_T4_T5_T6_T7_T9_mT8_P12ihipStream_tbDpT10_ENKUlT_T0_E_clISt17integral_constantIbLb0EES19_IbLb1EEEEDaS15_S16_EUlS15_E_NS1_11comp_targetILNS1_3genE3ELNS1_11target_archE908ELNS1_3gpuE7ELNS1_3repE0EEENS1_30default_config_static_selectorELNS0_4arch9wavefront6targetE1EEEvT1_,comdat
.Lfunc_end367:
	.size	_ZN7rocprim17ROCPRIM_400000_NS6detail17trampoline_kernelINS0_14default_configENS1_25partition_config_selectorILNS1_17partition_subalgoE8ExNS0_10empty_typeEbEEZZNS1_14partition_implILS5_8ELb0ES3_jN6thrust23THRUST_200600_302600_NS6detail15normal_iteratorINSA_10device_ptrIxEEEEPS6_PKS6_NS0_5tupleIJSF_S6_EEENSJ_IJSG_SG_EEENS0_18inequality_wrapperINSA_8equal_toIxEEEEPmJS6_EEE10hipError_tPvRmT3_T4_T5_T6_T7_T9_mT8_P12ihipStream_tbDpT10_ENKUlT_T0_E_clISt17integral_constantIbLb0EES19_IbLb1EEEEDaS15_S16_EUlS15_E_NS1_11comp_targetILNS1_3genE3ELNS1_11target_archE908ELNS1_3gpuE7ELNS1_3repE0EEENS1_30default_config_static_selectorELNS0_4arch9wavefront6targetE1EEEvT1_, .Lfunc_end367-_ZN7rocprim17ROCPRIM_400000_NS6detail17trampoline_kernelINS0_14default_configENS1_25partition_config_selectorILNS1_17partition_subalgoE8ExNS0_10empty_typeEbEEZZNS1_14partition_implILS5_8ELb0ES3_jN6thrust23THRUST_200600_302600_NS6detail15normal_iteratorINSA_10device_ptrIxEEEEPS6_PKS6_NS0_5tupleIJSF_S6_EEENSJ_IJSG_SG_EEENS0_18inequality_wrapperINSA_8equal_toIxEEEEPmJS6_EEE10hipError_tPvRmT3_T4_T5_T6_T7_T9_mT8_P12ihipStream_tbDpT10_ENKUlT_T0_E_clISt17integral_constantIbLb0EES19_IbLb1EEEEDaS15_S16_EUlS15_E_NS1_11comp_targetILNS1_3genE3ELNS1_11target_archE908ELNS1_3gpuE7ELNS1_3repE0EEENS1_30default_config_static_selectorELNS0_4arch9wavefront6targetE1EEEvT1_
                                        ; -- End function
	.set _ZN7rocprim17ROCPRIM_400000_NS6detail17trampoline_kernelINS0_14default_configENS1_25partition_config_selectorILNS1_17partition_subalgoE8ExNS0_10empty_typeEbEEZZNS1_14partition_implILS5_8ELb0ES3_jN6thrust23THRUST_200600_302600_NS6detail15normal_iteratorINSA_10device_ptrIxEEEEPS6_PKS6_NS0_5tupleIJSF_S6_EEENSJ_IJSG_SG_EEENS0_18inequality_wrapperINSA_8equal_toIxEEEEPmJS6_EEE10hipError_tPvRmT3_T4_T5_T6_T7_T9_mT8_P12ihipStream_tbDpT10_ENKUlT_T0_E_clISt17integral_constantIbLb0EES19_IbLb1EEEEDaS15_S16_EUlS15_E_NS1_11comp_targetILNS1_3genE3ELNS1_11target_archE908ELNS1_3gpuE7ELNS1_3repE0EEENS1_30default_config_static_selectorELNS0_4arch9wavefront6targetE1EEEvT1_.num_vgpr, 0
	.set _ZN7rocprim17ROCPRIM_400000_NS6detail17trampoline_kernelINS0_14default_configENS1_25partition_config_selectorILNS1_17partition_subalgoE8ExNS0_10empty_typeEbEEZZNS1_14partition_implILS5_8ELb0ES3_jN6thrust23THRUST_200600_302600_NS6detail15normal_iteratorINSA_10device_ptrIxEEEEPS6_PKS6_NS0_5tupleIJSF_S6_EEENSJ_IJSG_SG_EEENS0_18inequality_wrapperINSA_8equal_toIxEEEEPmJS6_EEE10hipError_tPvRmT3_T4_T5_T6_T7_T9_mT8_P12ihipStream_tbDpT10_ENKUlT_T0_E_clISt17integral_constantIbLb0EES19_IbLb1EEEEDaS15_S16_EUlS15_E_NS1_11comp_targetILNS1_3genE3ELNS1_11target_archE908ELNS1_3gpuE7ELNS1_3repE0EEENS1_30default_config_static_selectorELNS0_4arch9wavefront6targetE1EEEvT1_.num_agpr, 0
	.set _ZN7rocprim17ROCPRIM_400000_NS6detail17trampoline_kernelINS0_14default_configENS1_25partition_config_selectorILNS1_17partition_subalgoE8ExNS0_10empty_typeEbEEZZNS1_14partition_implILS5_8ELb0ES3_jN6thrust23THRUST_200600_302600_NS6detail15normal_iteratorINSA_10device_ptrIxEEEEPS6_PKS6_NS0_5tupleIJSF_S6_EEENSJ_IJSG_SG_EEENS0_18inequality_wrapperINSA_8equal_toIxEEEEPmJS6_EEE10hipError_tPvRmT3_T4_T5_T6_T7_T9_mT8_P12ihipStream_tbDpT10_ENKUlT_T0_E_clISt17integral_constantIbLb0EES19_IbLb1EEEEDaS15_S16_EUlS15_E_NS1_11comp_targetILNS1_3genE3ELNS1_11target_archE908ELNS1_3gpuE7ELNS1_3repE0EEENS1_30default_config_static_selectorELNS0_4arch9wavefront6targetE1EEEvT1_.numbered_sgpr, 0
	.set _ZN7rocprim17ROCPRIM_400000_NS6detail17trampoline_kernelINS0_14default_configENS1_25partition_config_selectorILNS1_17partition_subalgoE8ExNS0_10empty_typeEbEEZZNS1_14partition_implILS5_8ELb0ES3_jN6thrust23THRUST_200600_302600_NS6detail15normal_iteratorINSA_10device_ptrIxEEEEPS6_PKS6_NS0_5tupleIJSF_S6_EEENSJ_IJSG_SG_EEENS0_18inequality_wrapperINSA_8equal_toIxEEEEPmJS6_EEE10hipError_tPvRmT3_T4_T5_T6_T7_T9_mT8_P12ihipStream_tbDpT10_ENKUlT_T0_E_clISt17integral_constantIbLb0EES19_IbLb1EEEEDaS15_S16_EUlS15_E_NS1_11comp_targetILNS1_3genE3ELNS1_11target_archE908ELNS1_3gpuE7ELNS1_3repE0EEENS1_30default_config_static_selectorELNS0_4arch9wavefront6targetE1EEEvT1_.num_named_barrier, 0
	.set _ZN7rocprim17ROCPRIM_400000_NS6detail17trampoline_kernelINS0_14default_configENS1_25partition_config_selectorILNS1_17partition_subalgoE8ExNS0_10empty_typeEbEEZZNS1_14partition_implILS5_8ELb0ES3_jN6thrust23THRUST_200600_302600_NS6detail15normal_iteratorINSA_10device_ptrIxEEEEPS6_PKS6_NS0_5tupleIJSF_S6_EEENSJ_IJSG_SG_EEENS0_18inequality_wrapperINSA_8equal_toIxEEEEPmJS6_EEE10hipError_tPvRmT3_T4_T5_T6_T7_T9_mT8_P12ihipStream_tbDpT10_ENKUlT_T0_E_clISt17integral_constantIbLb0EES19_IbLb1EEEEDaS15_S16_EUlS15_E_NS1_11comp_targetILNS1_3genE3ELNS1_11target_archE908ELNS1_3gpuE7ELNS1_3repE0EEENS1_30default_config_static_selectorELNS0_4arch9wavefront6targetE1EEEvT1_.private_seg_size, 0
	.set _ZN7rocprim17ROCPRIM_400000_NS6detail17trampoline_kernelINS0_14default_configENS1_25partition_config_selectorILNS1_17partition_subalgoE8ExNS0_10empty_typeEbEEZZNS1_14partition_implILS5_8ELb0ES3_jN6thrust23THRUST_200600_302600_NS6detail15normal_iteratorINSA_10device_ptrIxEEEEPS6_PKS6_NS0_5tupleIJSF_S6_EEENSJ_IJSG_SG_EEENS0_18inequality_wrapperINSA_8equal_toIxEEEEPmJS6_EEE10hipError_tPvRmT3_T4_T5_T6_T7_T9_mT8_P12ihipStream_tbDpT10_ENKUlT_T0_E_clISt17integral_constantIbLb0EES19_IbLb1EEEEDaS15_S16_EUlS15_E_NS1_11comp_targetILNS1_3genE3ELNS1_11target_archE908ELNS1_3gpuE7ELNS1_3repE0EEENS1_30default_config_static_selectorELNS0_4arch9wavefront6targetE1EEEvT1_.uses_vcc, 0
	.set _ZN7rocprim17ROCPRIM_400000_NS6detail17trampoline_kernelINS0_14default_configENS1_25partition_config_selectorILNS1_17partition_subalgoE8ExNS0_10empty_typeEbEEZZNS1_14partition_implILS5_8ELb0ES3_jN6thrust23THRUST_200600_302600_NS6detail15normal_iteratorINSA_10device_ptrIxEEEEPS6_PKS6_NS0_5tupleIJSF_S6_EEENSJ_IJSG_SG_EEENS0_18inequality_wrapperINSA_8equal_toIxEEEEPmJS6_EEE10hipError_tPvRmT3_T4_T5_T6_T7_T9_mT8_P12ihipStream_tbDpT10_ENKUlT_T0_E_clISt17integral_constantIbLb0EES19_IbLb1EEEEDaS15_S16_EUlS15_E_NS1_11comp_targetILNS1_3genE3ELNS1_11target_archE908ELNS1_3gpuE7ELNS1_3repE0EEENS1_30default_config_static_selectorELNS0_4arch9wavefront6targetE1EEEvT1_.uses_flat_scratch, 0
	.set _ZN7rocprim17ROCPRIM_400000_NS6detail17trampoline_kernelINS0_14default_configENS1_25partition_config_selectorILNS1_17partition_subalgoE8ExNS0_10empty_typeEbEEZZNS1_14partition_implILS5_8ELb0ES3_jN6thrust23THRUST_200600_302600_NS6detail15normal_iteratorINSA_10device_ptrIxEEEEPS6_PKS6_NS0_5tupleIJSF_S6_EEENSJ_IJSG_SG_EEENS0_18inequality_wrapperINSA_8equal_toIxEEEEPmJS6_EEE10hipError_tPvRmT3_T4_T5_T6_T7_T9_mT8_P12ihipStream_tbDpT10_ENKUlT_T0_E_clISt17integral_constantIbLb0EES19_IbLb1EEEEDaS15_S16_EUlS15_E_NS1_11comp_targetILNS1_3genE3ELNS1_11target_archE908ELNS1_3gpuE7ELNS1_3repE0EEENS1_30default_config_static_selectorELNS0_4arch9wavefront6targetE1EEEvT1_.has_dyn_sized_stack, 0
	.set _ZN7rocprim17ROCPRIM_400000_NS6detail17trampoline_kernelINS0_14default_configENS1_25partition_config_selectorILNS1_17partition_subalgoE8ExNS0_10empty_typeEbEEZZNS1_14partition_implILS5_8ELb0ES3_jN6thrust23THRUST_200600_302600_NS6detail15normal_iteratorINSA_10device_ptrIxEEEEPS6_PKS6_NS0_5tupleIJSF_S6_EEENSJ_IJSG_SG_EEENS0_18inequality_wrapperINSA_8equal_toIxEEEEPmJS6_EEE10hipError_tPvRmT3_T4_T5_T6_T7_T9_mT8_P12ihipStream_tbDpT10_ENKUlT_T0_E_clISt17integral_constantIbLb0EES19_IbLb1EEEEDaS15_S16_EUlS15_E_NS1_11comp_targetILNS1_3genE3ELNS1_11target_archE908ELNS1_3gpuE7ELNS1_3repE0EEENS1_30default_config_static_selectorELNS0_4arch9wavefront6targetE1EEEvT1_.has_recursion, 0
	.set _ZN7rocprim17ROCPRIM_400000_NS6detail17trampoline_kernelINS0_14default_configENS1_25partition_config_selectorILNS1_17partition_subalgoE8ExNS0_10empty_typeEbEEZZNS1_14partition_implILS5_8ELb0ES3_jN6thrust23THRUST_200600_302600_NS6detail15normal_iteratorINSA_10device_ptrIxEEEEPS6_PKS6_NS0_5tupleIJSF_S6_EEENSJ_IJSG_SG_EEENS0_18inequality_wrapperINSA_8equal_toIxEEEEPmJS6_EEE10hipError_tPvRmT3_T4_T5_T6_T7_T9_mT8_P12ihipStream_tbDpT10_ENKUlT_T0_E_clISt17integral_constantIbLb0EES19_IbLb1EEEEDaS15_S16_EUlS15_E_NS1_11comp_targetILNS1_3genE3ELNS1_11target_archE908ELNS1_3gpuE7ELNS1_3repE0EEENS1_30default_config_static_selectorELNS0_4arch9wavefront6targetE1EEEvT1_.has_indirect_call, 0
	.section	.AMDGPU.csdata,"",@progbits
; Kernel info:
; codeLenInByte = 0
; TotalNumSgprs: 4
; NumVgprs: 0
; ScratchSize: 0
; MemoryBound: 0
; FloatMode: 240
; IeeeMode: 1
; LDSByteSize: 0 bytes/workgroup (compile time only)
; SGPRBlocks: 0
; VGPRBlocks: 0
; NumSGPRsForWavesPerEU: 4
; NumVGPRsForWavesPerEU: 1
; Occupancy: 10
; WaveLimiterHint : 0
; COMPUTE_PGM_RSRC2:SCRATCH_EN: 0
; COMPUTE_PGM_RSRC2:USER_SGPR: 6
; COMPUTE_PGM_RSRC2:TRAP_HANDLER: 0
; COMPUTE_PGM_RSRC2:TGID_X_EN: 1
; COMPUTE_PGM_RSRC2:TGID_Y_EN: 0
; COMPUTE_PGM_RSRC2:TGID_Z_EN: 0
; COMPUTE_PGM_RSRC2:TIDIG_COMP_CNT: 0
	.section	.text._ZN7rocprim17ROCPRIM_400000_NS6detail17trampoline_kernelINS0_14default_configENS1_25partition_config_selectorILNS1_17partition_subalgoE8ExNS0_10empty_typeEbEEZZNS1_14partition_implILS5_8ELb0ES3_jN6thrust23THRUST_200600_302600_NS6detail15normal_iteratorINSA_10device_ptrIxEEEEPS6_PKS6_NS0_5tupleIJSF_S6_EEENSJ_IJSG_SG_EEENS0_18inequality_wrapperINSA_8equal_toIxEEEEPmJS6_EEE10hipError_tPvRmT3_T4_T5_T6_T7_T9_mT8_P12ihipStream_tbDpT10_ENKUlT_T0_E_clISt17integral_constantIbLb0EES19_IbLb1EEEEDaS15_S16_EUlS15_E_NS1_11comp_targetILNS1_3genE2ELNS1_11target_archE906ELNS1_3gpuE6ELNS1_3repE0EEENS1_30default_config_static_selectorELNS0_4arch9wavefront6targetE1EEEvT1_,"axG",@progbits,_ZN7rocprim17ROCPRIM_400000_NS6detail17trampoline_kernelINS0_14default_configENS1_25partition_config_selectorILNS1_17partition_subalgoE8ExNS0_10empty_typeEbEEZZNS1_14partition_implILS5_8ELb0ES3_jN6thrust23THRUST_200600_302600_NS6detail15normal_iteratorINSA_10device_ptrIxEEEEPS6_PKS6_NS0_5tupleIJSF_S6_EEENSJ_IJSG_SG_EEENS0_18inequality_wrapperINSA_8equal_toIxEEEEPmJS6_EEE10hipError_tPvRmT3_T4_T5_T6_T7_T9_mT8_P12ihipStream_tbDpT10_ENKUlT_T0_E_clISt17integral_constantIbLb0EES19_IbLb1EEEEDaS15_S16_EUlS15_E_NS1_11comp_targetILNS1_3genE2ELNS1_11target_archE906ELNS1_3gpuE6ELNS1_3repE0EEENS1_30default_config_static_selectorELNS0_4arch9wavefront6targetE1EEEvT1_,comdat
	.protected	_ZN7rocprim17ROCPRIM_400000_NS6detail17trampoline_kernelINS0_14default_configENS1_25partition_config_selectorILNS1_17partition_subalgoE8ExNS0_10empty_typeEbEEZZNS1_14partition_implILS5_8ELb0ES3_jN6thrust23THRUST_200600_302600_NS6detail15normal_iteratorINSA_10device_ptrIxEEEEPS6_PKS6_NS0_5tupleIJSF_S6_EEENSJ_IJSG_SG_EEENS0_18inequality_wrapperINSA_8equal_toIxEEEEPmJS6_EEE10hipError_tPvRmT3_T4_T5_T6_T7_T9_mT8_P12ihipStream_tbDpT10_ENKUlT_T0_E_clISt17integral_constantIbLb0EES19_IbLb1EEEEDaS15_S16_EUlS15_E_NS1_11comp_targetILNS1_3genE2ELNS1_11target_archE906ELNS1_3gpuE6ELNS1_3repE0EEENS1_30default_config_static_selectorELNS0_4arch9wavefront6targetE1EEEvT1_ ; -- Begin function _ZN7rocprim17ROCPRIM_400000_NS6detail17trampoline_kernelINS0_14default_configENS1_25partition_config_selectorILNS1_17partition_subalgoE8ExNS0_10empty_typeEbEEZZNS1_14partition_implILS5_8ELb0ES3_jN6thrust23THRUST_200600_302600_NS6detail15normal_iteratorINSA_10device_ptrIxEEEEPS6_PKS6_NS0_5tupleIJSF_S6_EEENSJ_IJSG_SG_EEENS0_18inequality_wrapperINSA_8equal_toIxEEEEPmJS6_EEE10hipError_tPvRmT3_T4_T5_T6_T7_T9_mT8_P12ihipStream_tbDpT10_ENKUlT_T0_E_clISt17integral_constantIbLb0EES19_IbLb1EEEEDaS15_S16_EUlS15_E_NS1_11comp_targetILNS1_3genE2ELNS1_11target_archE906ELNS1_3gpuE6ELNS1_3repE0EEENS1_30default_config_static_selectorELNS0_4arch9wavefront6targetE1EEEvT1_
	.globl	_ZN7rocprim17ROCPRIM_400000_NS6detail17trampoline_kernelINS0_14default_configENS1_25partition_config_selectorILNS1_17partition_subalgoE8ExNS0_10empty_typeEbEEZZNS1_14partition_implILS5_8ELb0ES3_jN6thrust23THRUST_200600_302600_NS6detail15normal_iteratorINSA_10device_ptrIxEEEEPS6_PKS6_NS0_5tupleIJSF_S6_EEENSJ_IJSG_SG_EEENS0_18inequality_wrapperINSA_8equal_toIxEEEEPmJS6_EEE10hipError_tPvRmT3_T4_T5_T6_T7_T9_mT8_P12ihipStream_tbDpT10_ENKUlT_T0_E_clISt17integral_constantIbLb0EES19_IbLb1EEEEDaS15_S16_EUlS15_E_NS1_11comp_targetILNS1_3genE2ELNS1_11target_archE906ELNS1_3gpuE6ELNS1_3repE0EEENS1_30default_config_static_selectorELNS0_4arch9wavefront6targetE1EEEvT1_
	.p2align	8
	.type	_ZN7rocprim17ROCPRIM_400000_NS6detail17trampoline_kernelINS0_14default_configENS1_25partition_config_selectorILNS1_17partition_subalgoE8ExNS0_10empty_typeEbEEZZNS1_14partition_implILS5_8ELb0ES3_jN6thrust23THRUST_200600_302600_NS6detail15normal_iteratorINSA_10device_ptrIxEEEEPS6_PKS6_NS0_5tupleIJSF_S6_EEENSJ_IJSG_SG_EEENS0_18inequality_wrapperINSA_8equal_toIxEEEEPmJS6_EEE10hipError_tPvRmT3_T4_T5_T6_T7_T9_mT8_P12ihipStream_tbDpT10_ENKUlT_T0_E_clISt17integral_constantIbLb0EES19_IbLb1EEEEDaS15_S16_EUlS15_E_NS1_11comp_targetILNS1_3genE2ELNS1_11target_archE906ELNS1_3gpuE6ELNS1_3repE0EEENS1_30default_config_static_selectorELNS0_4arch9wavefront6targetE1EEEvT1_,@function
_ZN7rocprim17ROCPRIM_400000_NS6detail17trampoline_kernelINS0_14default_configENS1_25partition_config_selectorILNS1_17partition_subalgoE8ExNS0_10empty_typeEbEEZZNS1_14partition_implILS5_8ELb0ES3_jN6thrust23THRUST_200600_302600_NS6detail15normal_iteratorINSA_10device_ptrIxEEEEPS6_PKS6_NS0_5tupleIJSF_S6_EEENSJ_IJSG_SG_EEENS0_18inequality_wrapperINSA_8equal_toIxEEEEPmJS6_EEE10hipError_tPvRmT3_T4_T5_T6_T7_T9_mT8_P12ihipStream_tbDpT10_ENKUlT_T0_E_clISt17integral_constantIbLb0EES19_IbLb1EEEEDaS15_S16_EUlS15_E_NS1_11comp_targetILNS1_3genE2ELNS1_11target_archE906ELNS1_3gpuE6ELNS1_3repE0EEENS1_30default_config_static_selectorELNS0_4arch9wavefront6targetE1EEEvT1_: ; @_ZN7rocprim17ROCPRIM_400000_NS6detail17trampoline_kernelINS0_14default_configENS1_25partition_config_selectorILNS1_17partition_subalgoE8ExNS0_10empty_typeEbEEZZNS1_14partition_implILS5_8ELb0ES3_jN6thrust23THRUST_200600_302600_NS6detail15normal_iteratorINSA_10device_ptrIxEEEEPS6_PKS6_NS0_5tupleIJSF_S6_EEENSJ_IJSG_SG_EEENS0_18inequality_wrapperINSA_8equal_toIxEEEEPmJS6_EEE10hipError_tPvRmT3_T4_T5_T6_T7_T9_mT8_P12ihipStream_tbDpT10_ENKUlT_T0_E_clISt17integral_constantIbLb0EES19_IbLb1EEEEDaS15_S16_EUlS15_E_NS1_11comp_targetILNS1_3genE2ELNS1_11target_archE906ELNS1_3gpuE6ELNS1_3repE0EEENS1_30default_config_static_selectorELNS0_4arch9wavefront6targetE1EEEvT1_
; %bb.0:
	s_load_dwordx2 s[24:25], s[4:5], 0x28
	s_load_dwordx4 s[20:23], s[4:5], 0x40
	s_load_dwordx2 s[6:7], s[4:5], 0x50
	s_load_dwordx2 s[28:29], s[4:5], 0x60
	v_cmp_ne_u32_e64 s[2:3], 0, v0
	v_cmp_eq_u32_e64 s[0:1], 0, v0
	s_and_saveexec_b64 s[8:9], s[0:1]
	s_cbranch_execz .LBB368_4
; %bb.1:
	s_mov_b64 s[12:13], exec
	v_mbcnt_lo_u32_b32 v1, s12, 0
	v_mbcnt_hi_u32_b32 v1, s13, v1
	v_cmp_eq_u32_e32 vcc, 0, v1
                                        ; implicit-def: $vgpr2
	s_and_saveexec_b64 s[10:11], vcc
	s_cbranch_execz .LBB368_3
; %bb.2:
	s_load_dwordx2 s[14:15], s[4:5], 0x70
	s_bcnt1_i32_b64 s12, s[12:13]
	v_mov_b32_e32 v2, 0
	v_mov_b32_e32 v3, s12
	s_waitcnt lgkmcnt(0)
	global_atomic_add v2, v2, v3, s[14:15] glc
.LBB368_3:
	s_or_b64 exec, exec, s[10:11]
	s_waitcnt vmcnt(0)
	v_readfirstlane_b32 s10, v2
	v_add_u32_e32 v1, s10, v1
	v_mov_b32_e32 v2, 0
	ds_write_b32 v2, v1
.LBB368_4:
	s_or_b64 exec, exec, s[8:9]
	v_mov_b32_e32 v2, 0
	s_load_dwordx4 s[8:11], s[4:5], 0x8
	s_load_dword s12, s[4:5], 0x68
	s_waitcnt lgkmcnt(0)
	s_barrier
	ds_read_b32 v1, v2
	s_waitcnt lgkmcnt(0)
	s_barrier
	global_load_dwordx2 v[17:18], v2, s[22:23]
	s_lshl_b64 s[4:5], s[10:11], 3
	s_add_u32 s8, s8, s4
	s_movk_i32 s4, 0x700
	v_readfirstlane_b32 s33, v1
	v_mul_lo_u32 v1, v1, s4
	s_mul_i32 s4, s12, 0x700
	s_addc_u32 s9, s9, s5
	s_add_i32 s5, s4, s10
	s_add_i32 s13, s12, -1
	s_sub_i32 s38, s6, s5
	s_add_u32 s4, s10, s4
	s_addc_u32 s5, s11, 0
	v_mov_b32_e32 v3, s4
	v_mov_b32_e32 v4, s5
	v_cmp_le_u64_e32 vcc, s[6:7], v[3:4]
	s_cmp_eq_u32 s33, s13
	v_lshlrev_b64 v[1:2], 3, v[1:2]
	s_cselect_b64 s[22:23], -1, 0
	s_and_b64 s[16:17], vcc, s[22:23]
	v_mov_b32_e32 v3, s9
	v_add_co_u32_e32 v19, vcc, s8, v1
	s_xor_b64 s[26:27], s[16:17], -1
	v_addc_co_u32_e32 v20, vcc, v3, v2, vcc
	s_mov_b64 s[4:5], -1
	s_and_b64 vcc, exec, s[26:27]
	v_lshlrev_b32_e32 v37, 3, v0
	s_cbranch_vccz .LBB368_6
; %bb.5:
	v_lshlrev_b32_e32 v23, 3, v0
	v_add_co_u32_e32 v1, vcc, v19, v23
	v_addc_co_u32_e32 v2, vcc, 0, v20, vcc
	v_add_co_u32_e32 v3, vcc, 0x1000, v1
	v_addc_co_u32_e32 v4, vcc, 0, v2, vcc
	flat_load_dwordx2 v[5:6], v[1:2]
	flat_load_dwordx2 v[7:8], v[1:2] offset:2048
	flat_load_dwordx2 v[9:10], v[3:4]
	flat_load_dwordx2 v[11:12], v[3:4] offset:2048
	v_add_co_u32_e32 v3, vcc, 0x2000, v1
	v_addc_co_u32_e32 v4, vcc, 0, v2, vcc
	v_add_co_u32_e32 v1, vcc, 0x3000, v1
	v_addc_co_u32_e32 v2, vcc, 0, v2, vcc
	flat_load_dwordx2 v[13:14], v[3:4]
	flat_load_dwordx2 v[15:16], v[3:4] offset:2048
	flat_load_dwordx2 v[21:22], v[1:2]
	s_mov_b64 s[4:5], 0
	s_waitcnt vmcnt(0) lgkmcnt(0)
	ds_write2st64_b64 v23, v[5:6], v[7:8] offset1:4
	ds_write2st64_b64 v23, v[9:10], v[11:12] offset0:8 offset1:12
	ds_write2st64_b64 v23, v[13:14], v[15:16] offset0:16 offset1:20
	ds_write_b64 v23, v[21:22] offset:12288
	s_waitcnt lgkmcnt(0)
	s_barrier
.LBB368_6:
	s_andn2_b64 vcc, exec, s[4:5]
	s_addk_i32 s38, 0x700
	s_cbranch_vccnz .LBB368_22
; %bb.7:
	v_mov_b32_e32 v1, 0
	v_cmp_gt_u32_e32 vcc, s38, v0
	v_mov_b32_e32 v2, v1
	v_mov_b32_e32 v3, v1
	v_mov_b32_e32 v4, v1
	v_mov_b32_e32 v5, v1
	v_mov_b32_e32 v6, v1
	v_mov_b32_e32 v7, v1
	v_mov_b32_e32 v8, v1
	v_mov_b32_e32 v9, v1
	v_mov_b32_e32 v10, v1
	v_mov_b32_e32 v11, v1
	v_mov_b32_e32 v12, v1
	v_mov_b32_e32 v13, v1
	v_mov_b32_e32 v14, v1
	s_and_saveexec_b64 s[4:5], vcc
	s_cbranch_execz .LBB368_9
; %bb.8:
	v_lshlrev_b32_e32 v2, 3, v0
	v_add_co_u32_e32 v2, vcc, v19, v2
	v_addc_co_u32_e32 v3, vcc, 0, v20, vcc
	flat_load_dwordx2 v[2:3], v[2:3]
	v_mov_b32_e32 v4, v1
	v_mov_b32_e32 v5, v1
	;; [unrolled: 1-line block ×12, first 2 shown]
	s_waitcnt vmcnt(0) lgkmcnt(0)
	v_mov_b32_e32 v1, v2
	v_mov_b32_e32 v2, v3
	;; [unrolled: 1-line block ×16, first 2 shown]
.LBB368_9:
	s_or_b64 exec, exec, s[4:5]
	v_or_b32_e32 v15, 0x100, v0
	v_cmp_gt_u32_e32 vcc, s38, v15
	s_and_saveexec_b64 s[4:5], vcc
	s_cbranch_execz .LBB368_11
; %bb.10:
	v_lshlrev_b32_e32 v3, 3, v0
	v_add_co_u32_e32 v3, vcc, v19, v3
	v_addc_co_u32_e32 v4, vcc, 0, v20, vcc
	flat_load_dwordx2 v[3:4], v[3:4] offset:2048
.LBB368_11:
	s_or_b64 exec, exec, s[4:5]
	v_or_b32_e32 v15, 0x200, v0
	v_cmp_gt_u32_e32 vcc, s38, v15
	s_and_saveexec_b64 s[4:5], vcc
	s_cbranch_execz .LBB368_13
; %bb.12:
	v_lshlrev_b32_e32 v5, 3, v15
	v_add_co_u32_e32 v5, vcc, v19, v5
	v_addc_co_u32_e32 v6, vcc, 0, v20, vcc
	flat_load_dwordx2 v[5:6], v[5:6]
.LBB368_13:
	s_or_b64 exec, exec, s[4:5]
	v_or_b32_e32 v15, 0x300, v0
	v_cmp_gt_u32_e32 vcc, s38, v15
	s_and_saveexec_b64 s[4:5], vcc
	s_cbranch_execz .LBB368_15
; %bb.14:
	v_lshlrev_b32_e32 v7, 3, v15
	v_add_co_u32_e32 v7, vcc, v19, v7
	v_addc_co_u32_e32 v8, vcc, 0, v20, vcc
	flat_load_dwordx2 v[7:8], v[7:8]
.LBB368_15:
	;; [unrolled: 11-line block ×5, first 2 shown]
	s_or_b64 exec, exec, s[4:5]
	v_lshlrev_b32_e32 v15, 3, v0
	s_waitcnt vmcnt(0) lgkmcnt(0)
	ds_write2st64_b64 v15, v[1:2], v[3:4] offset1:4
	ds_write2st64_b64 v15, v[5:6], v[7:8] offset0:8 offset1:12
	ds_write2st64_b64 v15, v[9:10], v[11:12] offset0:16 offset1:20
	ds_write_b64 v15, v[13:14] offset:12288
	s_waitcnt lgkmcnt(0)
	s_barrier
.LBB368_22:
	v_mul_u32_u24_e32 v21, 7, v0
	v_lshlrev_b32_e32 v22, 3, v21
	ds_read2_b64 v[9:12], v22 offset1:1
	ds_read2_b64 v[5:8], v22 offset0:2 offset1:3
	ds_read2_b64 v[1:4], v22 offset0:4 offset1:5
	ds_read_b64 v[13:14], v22 offset:48
	s_cmp_lg_u32 s33, 0
	s_cselect_b64 s[18:19], -1, 0
	s_cmp_lg_u64 s[10:11], 0
	s_cselect_b64 s[4:5], -1, 0
	s_or_b64 s[4:5], s[4:5], s[18:19]
	s_mov_b64 s[30:31], 0
	s_and_b64 vcc, exec, s[4:5]
	s_waitcnt vmcnt(0) lgkmcnt(0)
	s_barrier
	s_cbranch_vccz .LBB368_27
; %bb.23:
	v_add_co_u32_e32 v15, vcc, -8, v19
	v_addc_co_u32_e32 v16, vcc, -1, v20, vcc
	flat_load_dwordx2 v[15:16], v[15:16]
	v_lshlrev_b32_e32 v23, 3, v0
	s_and_b64 vcc, exec, s[26:27]
	ds_write_b64 v23, v[13:14]
	s_cbranch_vccz .LBB368_28
; %bb.24:
	s_waitcnt vmcnt(0) lgkmcnt(0)
	v_mov_b32_e32 v20, v16
	v_mov_b32_e32 v19, v15
	s_barrier
	s_and_saveexec_b64 s[4:5], s[2:3]
; %bb.25:
	v_add_u32_e32 v19, -8, v23
	ds_read_b64 v[19:20], v19
; %bb.26:
	s_or_b64 exec, exec, s[4:5]
	v_cmp_ne_u64_e32 vcc, v[3:4], v[13:14]
	s_waitcnt lgkmcnt(0)
	v_cmp_ne_u64_e64 s[34:35], v[19:20], v[9:10]
	v_cndmask_b32_e64 v38, 0, 1, vcc
	v_cmp_ne_u64_e32 vcc, v[1:2], v[3:4]
	v_cndmask_b32_e64 v39, 0, 1, vcc
	v_cmp_ne_u64_e32 vcc, v[7:8], v[1:2]
	;; [unrolled: 2-line block ×5, first 2 shown]
	v_cndmask_b32_e64 v43, 0, 1, vcc
	s_branch .LBB368_32
.LBB368_27:
                                        ; implicit-def: $sgpr34_sgpr35
                                        ; implicit-def: $vgpr38
                                        ; implicit-def: $vgpr39
                                        ; implicit-def: $vgpr40
                                        ; implicit-def: $vgpr41
                                        ; implicit-def: $vgpr42
                                        ; implicit-def: $vgpr43
	s_branch .LBB368_33
.LBB368_28:
                                        ; implicit-def: $sgpr34_sgpr35
                                        ; implicit-def: $vgpr38
                                        ; implicit-def: $vgpr39
                                        ; implicit-def: $vgpr40
                                        ; implicit-def: $vgpr41
                                        ; implicit-def: $vgpr42
                                        ; implicit-def: $vgpr43
	s_cbranch_execz .LBB368_32
; %bb.29:
	s_waitcnt vmcnt(0) lgkmcnt(0)
	s_barrier
	s_and_saveexec_b64 s[4:5], s[2:3]
; %bb.30:
	v_add_u32_e32 v15, -8, v23
	ds_read_b64 v[15:16], v15
; %bb.31:
	s_or_b64 exec, exec, s[4:5]
	v_add_u32_e32 v19, 6, v21
	v_cmp_ne_u64_e32 vcc, v[3:4], v[13:14]
	v_cmp_gt_u32_e64 s[4:5], s38, v19
	s_and_b64 s[4:5], s[4:5], vcc
	v_add_u32_e32 v19, 5, v21
	v_cmp_ne_u64_e32 vcc, v[1:2], v[3:4]
	v_cndmask_b32_e64 v38, 0, 1, s[4:5]
	v_cmp_gt_u32_e64 s[4:5], s38, v19
	s_and_b64 s[4:5], s[4:5], vcc
	v_add_u32_e32 v19, 4, v21
	v_cmp_ne_u64_e32 vcc, v[7:8], v[1:2]
	v_cndmask_b32_e64 v39, 0, 1, s[4:5]
	v_cmp_gt_u32_e64 s[4:5], s38, v19
	s_and_b64 s[4:5], s[4:5], vcc
	v_add_u32_e32 v19, 3, v21
	v_cmp_ne_u64_e32 vcc, v[5:6], v[7:8]
	v_cndmask_b32_e64 v40, 0, 1, s[4:5]
	v_cmp_gt_u32_e64 s[4:5], s38, v19
	s_and_b64 s[4:5], s[4:5], vcc
	v_add_u32_e32 v19, 2, v21
	v_cmp_ne_u64_e32 vcc, v[11:12], v[5:6]
	v_cndmask_b32_e64 v41, 0, 1, s[4:5]
	v_cmp_gt_u32_e64 s[4:5], s38, v19
	s_and_b64 s[4:5], s[4:5], vcc
	v_add_u32_e32 v19, 1, v21
	v_cmp_ne_u64_e32 vcc, v[9:10], v[11:12]
	v_cndmask_b32_e64 v42, 0, 1, s[4:5]
	v_cmp_gt_u32_e64 s[4:5], s38, v19
	s_and_b64 s[4:5], s[4:5], vcc
	s_waitcnt lgkmcnt(0)
	v_cmp_ne_u64_e32 vcc, v[15:16], v[9:10]
	v_cndmask_b32_e64 v43, 0, 1, s[4:5]
	v_cmp_gt_u32_e64 s[4:5], s38, v21
	s_and_b64 s[34:35], s[4:5], vcc
.LBB368_32:
	s_mov_b64 s[30:31], -1
	s_cbranch_execnz .LBB368_41
.LBB368_33:
	s_movk_i32 s4, 0xffd0
	s_waitcnt vmcnt(0) lgkmcnt(0)
	v_mad_i32_i24 v15, v0, s4, v22
	v_cmp_ne_u64_e64 s[4:5], v[3:4], v[13:14]
	v_cmp_ne_u64_e64 s[6:7], v[1:2], v[3:4]
	;; [unrolled: 1-line block ×6, first 2 shown]
	s_and_b64 vcc, exec, s[26:27]
	ds_write_b64 v15, v[13:14]
	s_cbranch_vccz .LBB368_37
; %bb.34:
	s_waitcnt lgkmcnt(0)
	s_barrier
                                        ; implicit-def: $sgpr34_sgpr35
	s_and_saveexec_b64 s[36:37], s[2:3]
	s_xor_b64 s[36:37], exec, s[36:37]
	s_cbranch_execz .LBB368_36
; %bb.35:
	v_add_u32_e32 v16, -8, v15
	ds_read_b64 v[19:20], v16
	s_or_b64 s[30:31], s[30:31], exec
	s_waitcnt lgkmcnt(0)
	v_cmp_ne_u64_e64 s[34:35], v[19:20], v[9:10]
.LBB368_36:
	s_or_b64 exec, exec, s[36:37]
	v_cndmask_b32_e64 v38, 0, 1, s[4:5]
	v_cndmask_b32_e64 v39, 0, 1, s[6:7]
	;; [unrolled: 1-line block ×6, first 2 shown]
	s_branch .LBB368_41
.LBB368_37:
                                        ; implicit-def: $sgpr34_sgpr35
                                        ; implicit-def: $vgpr38
                                        ; implicit-def: $vgpr39
                                        ; implicit-def: $vgpr40
                                        ; implicit-def: $vgpr41
                                        ; implicit-def: $vgpr42
                                        ; implicit-def: $vgpr43
	s_cbranch_execz .LBB368_41
; %bb.38:
	v_add_u32_e32 v16, 6, v21
	v_cmp_ne_u64_e32 vcc, v[3:4], v[13:14]
	v_cmp_gt_u32_e64 s[4:5], s38, v16
	s_and_b64 s[6:7], s[4:5], vcc
	v_add_u32_e32 v16, 5, v21
	v_cmp_ne_u64_e32 vcc, v[1:2], v[3:4]
	v_cmp_gt_u32_e64 s[4:5], s38, v16
	s_and_b64 s[8:9], s[4:5], vcc
	v_add_u32_e32 v16, 4, v21
	v_cmp_ne_u64_e32 vcc, v[7:8], v[1:2]
	v_cmp_gt_u32_e64 s[4:5], s38, v16
	s_and_b64 s[10:11], s[4:5], vcc
	v_add_u32_e32 v16, 3, v21
	v_cmp_ne_u64_e32 vcc, v[5:6], v[7:8]
	v_cmp_gt_u32_e64 s[4:5], s38, v16
	s_and_b64 s[12:13], s[4:5], vcc
	v_add_u32_e32 v16, 2, v21
	v_cmp_ne_u64_e32 vcc, v[11:12], v[5:6]
	v_cmp_gt_u32_e64 s[4:5], s38, v16
	s_and_b64 s[14:15], s[4:5], vcc
	v_add_u32_e32 v16, 1, v21
	v_cmp_ne_u64_e32 vcc, v[9:10], v[11:12]
	v_cmp_gt_u32_e64 s[4:5], s38, v16
	s_and_b64 s[4:5], s[4:5], vcc
	s_waitcnt lgkmcnt(0)
	s_barrier
                                        ; implicit-def: $sgpr34_sgpr35
	s_and_saveexec_b64 s[36:37], s[2:3]
	s_cbranch_execz .LBB368_40
; %bb.39:
	v_add_u32_e32 v15, -8, v15
	ds_read_b64 v[15:16], v15
	v_cmp_gt_u32_e64 s[2:3], s38, v21
	s_or_b64 s[30:31], s[30:31], exec
	s_waitcnt lgkmcnt(0)
	v_cmp_ne_u64_e32 vcc, v[15:16], v[9:10]
	s_and_b64 s[34:35], s[2:3], vcc
.LBB368_40:
	s_or_b64 exec, exec, s[36:37]
	v_cndmask_b32_e64 v38, 0, 1, s[6:7]
	v_cndmask_b32_e64 v39, 0, 1, s[8:9]
	;; [unrolled: 1-line block ×6, first 2 shown]
.LBB368_41:
	v_mov_b32_e32 v28, 1
	s_and_saveexec_b64 s[2:3], s[30:31]
; %bb.42:
	v_cndmask_b32_e64 v28, 0, 1, s[34:35]
; %bb.43:
	s_or_b64 exec, exec, s[2:3]
	s_andn2_b64 vcc, exec, s[16:17]
	s_cbranch_vccnz .LBB368_45
; %bb.44:
	v_cmp_gt_u32_e32 vcc, s38, v21
	s_waitcnt vmcnt(0) lgkmcnt(0)
	v_add_u32_e32 v15, 1, v21
	v_cndmask_b32_e32 v28, 0, v28, vcc
	v_cmp_gt_u32_e32 vcc, s38, v15
	v_add_u32_e32 v15, 2, v21
	v_cndmask_b32_e32 v43, 0, v43, vcc
	v_cmp_gt_u32_e32 vcc, s38, v15
	;; [unrolled: 3-line block ×6, first 2 shown]
	v_cndmask_b32_e32 v38, 0, v38, vcc
.LBB368_45:
	v_and_b32_e32 v27, 0xffff, v28
	v_and_b32_e32 v30, 0xff, v43
	;; [unrolled: 1-line block ×5, first 2 shown]
	s_waitcnt vmcnt(0) lgkmcnt(0)
	v_add3_u32 v16, v30, v27, v31
	v_and_b32_e32 v36, 0xff, v39
	v_and_b32_e32 v15, 0xff, v38
	v_add3_u32 v16, v16, v32, v34
	v_add3_u32 v44, v16, v36, v15
	v_mbcnt_lo_u32_b32 v15, -1, 0
	v_mbcnt_hi_u32_b32 v33, -1, v15
	v_and_b32_e32 v15, 15, v33
	v_cmp_eq_u32_e64 s[14:15], 0, v15
	v_cmp_lt_u32_e64 s[12:13], 1, v15
	v_cmp_lt_u32_e64 s[10:11], 3, v15
	;; [unrolled: 1-line block ×3, first 2 shown]
	v_and_b32_e32 v15, 16, v33
	v_cmp_eq_u32_e64 s[6:7], 0, v15
	v_or_b32_e32 v15, 63, v0
	v_cmp_lt_u32_e64 s[2:3], 31, v33
	v_lshrrev_b32_e32 v35, 6, v0
	v_cmp_eq_u32_e64 s[4:5], v0, v15
	s_and_b64 vcc, exec, s[18:19]
	s_barrier
	s_cbranch_vccz .LBB368_67
; %bb.46:
	v_mov_b32_dpp v15, v44 row_shr:1 row_mask:0xf bank_mask:0xf
	v_cndmask_b32_e64 v15, v15, 0, s[14:15]
	v_add_u32_e32 v15, v15, v44
	s_nop 1
	v_mov_b32_dpp v16, v15 row_shr:2 row_mask:0xf bank_mask:0xf
	v_cndmask_b32_e64 v16, 0, v16, s[12:13]
	v_add_u32_e32 v15, v15, v16
	s_nop 1
	;; [unrolled: 4-line block ×4, first 2 shown]
	v_mov_b32_dpp v16, v15 row_bcast:15 row_mask:0xf bank_mask:0xf
	v_cndmask_b32_e64 v16, v16, 0, s[6:7]
	v_add_u32_e32 v15, v15, v16
	s_nop 1
	v_mov_b32_dpp v16, v15 row_bcast:31 row_mask:0xf bank_mask:0xf
	v_cndmask_b32_e64 v16, 0, v16, s[2:3]
	v_add_u32_e32 v15, v15, v16
	s_and_saveexec_b64 s[16:17], s[4:5]
; %bb.47:
	v_lshlrev_b32_e32 v16, 2, v35
	ds_write_b32 v16, v15
; %bb.48:
	s_or_b64 exec, exec, s[16:17]
	v_cmp_gt_u32_e32 vcc, 4, v0
	s_waitcnt lgkmcnt(0)
	s_barrier
	s_and_saveexec_b64 s[16:17], vcc
	s_cbranch_execz .LBB368_50
; %bb.49:
	v_lshlrev_b32_e32 v16, 2, v0
	ds_read_b32 v19, v16
	v_and_b32_e32 v20, 3, v33
	v_cmp_ne_u32_e32 vcc, 0, v20
	s_waitcnt lgkmcnt(0)
	v_mov_b32_dpp v21, v19 row_shr:1 row_mask:0xf bank_mask:0xf
	v_cndmask_b32_e32 v21, 0, v21, vcc
	v_add_u32_e32 v19, v21, v19
	v_cmp_lt_u32_e32 vcc, 1, v20
	s_nop 0
	v_mov_b32_dpp v21, v19 row_shr:2 row_mask:0xf bank_mask:0xf
	v_cndmask_b32_e32 v20, 0, v21, vcc
	v_add_u32_e32 v19, v19, v20
	ds_write_b32 v16, v19
.LBB368_50:
	s_or_b64 exec, exec, s[16:17]
	v_cmp_gt_u32_e32 vcc, 64, v0
	v_cmp_lt_u32_e64 s[16:17], 63, v0
	s_waitcnt lgkmcnt(0)
	s_barrier
                                        ; implicit-def: $vgpr29
	s_and_saveexec_b64 s[18:19], s[16:17]
	s_cbranch_execz .LBB368_52
; %bb.51:
	v_lshl_add_u32 v16, v35, 2, -4
	ds_read_b32 v29, v16
	s_waitcnt lgkmcnt(0)
	v_add_u32_e32 v15, v29, v15
.LBB368_52:
	s_or_b64 exec, exec, s[18:19]
	v_subrev_co_u32_e64 v16, s[16:17], 1, v33
	v_and_b32_e32 v19, 64, v33
	v_cmp_lt_i32_e64 s[18:19], v16, v19
	v_cndmask_b32_e64 v16, v16, v33, s[18:19]
	v_lshlrev_b32_e32 v16, 2, v16
	ds_bpermute_b32 v45, v16, v15
	s_and_saveexec_b64 s[18:19], vcc
	s_cbranch_execz .LBB368_72
; %bb.53:
	v_mov_b32_e32 v23, 0
	ds_read_b32 v15, v23 offset:12
	s_and_saveexec_b64 s[30:31], s[16:17]
	s_cbranch_execz .LBB368_55
; %bb.54:
	s_add_i32 s34, s33, 64
	s_mov_b32 s35, 0
	s_lshl_b64 s[34:35], s[34:35], 3
	s_add_u32 s34, s28, s34
	v_mov_b32_e32 v16, 1
	s_addc_u32 s35, s29, s35
	s_waitcnt lgkmcnt(0)
	global_store_dwordx2 v23, v[15:16], s[34:35]
.LBB368_55:
	s_or_b64 exec, exec, s[30:31]
	v_xad_u32 v19, v33, -1, s33
	v_add_u32_e32 v22, 64, v19
	v_lshlrev_b64 v[20:21], 3, v[22:23]
	v_mov_b32_e32 v16, s29
	v_add_co_u32_e32 v24, vcc, s28, v20
	v_addc_co_u32_e32 v25, vcc, v16, v21, vcc
	global_load_dwordx2 v[21:22], v[24:25], off glc
	s_waitcnt vmcnt(0)
	v_cmp_eq_u16_sdwa s[34:35], v22, v23 src0_sel:BYTE_0 src1_sel:DWORD
	s_and_saveexec_b64 s[30:31], s[34:35]
	s_cbranch_execz .LBB368_59
; %bb.56:
	s_mov_b64 s[34:35], 0
	v_mov_b32_e32 v16, 0
.LBB368_57:                             ; =>This Inner Loop Header: Depth=1
	global_load_dwordx2 v[21:22], v[24:25], off glc
	s_waitcnt vmcnt(0)
	v_cmp_ne_u16_sdwa s[36:37], v22, v16 src0_sel:BYTE_0 src1_sel:DWORD
	s_or_b64 s[34:35], s[36:37], s[34:35]
	s_andn2_b64 exec, exec, s[34:35]
	s_cbranch_execnz .LBB368_57
; %bb.58:
	s_or_b64 exec, exec, s[34:35]
.LBB368_59:
	s_or_b64 exec, exec, s[30:31]
	v_and_b32_e32 v47, 63, v33
	v_mov_b32_e32 v46, 2
	v_lshlrev_b64 v[23:24], v33, -1
	v_cmp_ne_u32_e32 vcc, 63, v47
	v_cmp_eq_u16_sdwa s[30:31], v22, v46 src0_sel:BYTE_0 src1_sel:DWORD
	v_addc_co_u32_e32 v25, vcc, 0, v33, vcc
	v_and_b32_e32 v16, s31, v24
	v_lshlrev_b32_e32 v48, 2, v25
	v_or_b32_e32 v16, 0x80000000, v16
	ds_bpermute_b32 v25, v48, v21
	v_and_b32_e32 v20, s30, v23
	v_ffbl_b32_e32 v16, v16
	v_add_u32_e32 v16, 32, v16
	v_ffbl_b32_e32 v20, v20
	v_min_u32_e32 v16, v20, v16
	v_cmp_lt_u32_e32 vcc, v47, v16
	s_waitcnt lgkmcnt(0)
	v_cndmask_b32_e32 v20, 0, v25, vcc
	v_cmp_gt_u32_e32 vcc, 62, v47
	v_add_u32_e32 v20, v20, v21
	v_cndmask_b32_e64 v21, 0, 2, vcc
	v_add_lshl_u32 v49, v21, v33, 2
	ds_bpermute_b32 v21, v49, v20
	v_add_u32_e32 v50, 2, v47
	v_cmp_le_u32_e32 vcc, v50, v16
	v_add_u32_e32 v52, 4, v47
	v_add_u32_e32 v54, 8, v47
	s_waitcnt lgkmcnt(0)
	v_cndmask_b32_e32 v21, 0, v21, vcc
	v_cmp_gt_u32_e32 vcc, 60, v47
	v_add_u32_e32 v20, v20, v21
	v_cndmask_b32_e64 v21, 0, 4, vcc
	v_add_lshl_u32 v51, v21, v33, 2
	ds_bpermute_b32 v21, v51, v20
	v_cmp_le_u32_e32 vcc, v52, v16
	v_add_u32_e32 v56, 16, v47
	v_add_u32_e32 v58, 32, v47
	s_waitcnt lgkmcnt(0)
	v_cndmask_b32_e32 v21, 0, v21, vcc
	v_cmp_gt_u32_e32 vcc, 56, v47
	v_add_u32_e32 v20, v20, v21
	v_cndmask_b32_e64 v21, 0, 8, vcc
	v_add_lshl_u32 v53, v21, v33, 2
	ds_bpermute_b32 v21, v53, v20
	v_cmp_le_u32_e32 vcc, v54, v16
	s_waitcnt lgkmcnt(0)
	v_cndmask_b32_e32 v21, 0, v21, vcc
	v_cmp_gt_u32_e32 vcc, 48, v47
	v_add_u32_e32 v20, v20, v21
	v_cndmask_b32_e64 v21, 0, 16, vcc
	v_add_lshl_u32 v55, v21, v33, 2
	ds_bpermute_b32 v21, v55, v20
	v_cmp_le_u32_e32 vcc, v56, v16
	s_waitcnt lgkmcnt(0)
	v_cndmask_b32_e32 v21, 0, v21, vcc
	v_add_u32_e32 v20, v20, v21
	v_mov_b32_e32 v21, 0x80
	v_lshl_or_b32 v57, v33, 2, v21
	ds_bpermute_b32 v21, v57, v20
	v_cmp_le_u32_e32 vcc, v58, v16
	s_waitcnt lgkmcnt(0)
	v_cndmask_b32_e32 v16, 0, v21, vcc
	v_add_u32_e32 v21, v20, v16
	v_mov_b32_e32 v20, 0
	s_branch .LBB368_62
.LBB368_60:                             ;   in Loop: Header=BB368_62 Depth=1
	s_or_b64 exec, exec, s[30:31]
	v_cmp_eq_u16_sdwa s[30:31], v22, v46 src0_sel:BYTE_0 src1_sel:DWORD
	v_and_b32_e32 v25, s31, v24
	v_or_b32_e32 v25, 0x80000000, v25
	ds_bpermute_b32 v59, v48, v21
	v_and_b32_e32 v26, s30, v23
	v_ffbl_b32_e32 v25, v25
	v_add_u32_e32 v25, 32, v25
	v_ffbl_b32_e32 v26, v26
	v_min_u32_e32 v25, v26, v25
	v_cmp_lt_u32_e32 vcc, v47, v25
	s_waitcnt lgkmcnt(0)
	v_cndmask_b32_e32 v26, 0, v59, vcc
	v_add_u32_e32 v21, v26, v21
	ds_bpermute_b32 v26, v49, v21
	v_cmp_le_u32_e32 vcc, v50, v25
	v_subrev_u32_e32 v19, 64, v19
	s_mov_b64 s[30:31], 0
	s_waitcnt lgkmcnt(0)
	v_cndmask_b32_e32 v26, 0, v26, vcc
	v_add_u32_e32 v21, v21, v26
	ds_bpermute_b32 v26, v51, v21
	v_cmp_le_u32_e32 vcc, v52, v25
	s_waitcnt lgkmcnt(0)
	v_cndmask_b32_e32 v26, 0, v26, vcc
	v_add_u32_e32 v21, v21, v26
	ds_bpermute_b32 v26, v53, v21
	v_cmp_le_u32_e32 vcc, v54, v25
	;; [unrolled: 5-line block ×4, first 2 shown]
	s_waitcnt lgkmcnt(0)
	v_cndmask_b32_e32 v25, 0, v26, vcc
	v_add3_u32 v21, v25, v16, v21
.LBB368_61:                             ;   in Loop: Header=BB368_62 Depth=1
	s_and_b64 vcc, exec, s[30:31]
	s_cbranch_vccnz .LBB368_68
.LBB368_62:                             ; =>This Loop Header: Depth=1
                                        ;     Child Loop BB368_65 Depth 2
	v_cmp_ne_u16_sdwa s[30:31], v22, v46 src0_sel:BYTE_0 src1_sel:DWORD
	v_mov_b32_e32 v16, v21
	s_cmp_lg_u64 s[30:31], exec
	s_mov_b64 s[30:31], -1
                                        ; implicit-def: $vgpr21
                                        ; implicit-def: $vgpr22
	s_cbranch_scc1 .LBB368_61
; %bb.63:                               ;   in Loop: Header=BB368_62 Depth=1
	v_lshlrev_b64 v[21:22], 3, v[19:20]
	v_mov_b32_e32 v26, s29
	v_add_co_u32_e32 v25, vcc, s28, v21
	v_addc_co_u32_e32 v26, vcc, v26, v22, vcc
	global_load_dwordx2 v[21:22], v[25:26], off glc
	s_waitcnt vmcnt(0)
	v_cmp_eq_u16_sdwa s[34:35], v22, v20 src0_sel:BYTE_0 src1_sel:DWORD
	s_and_saveexec_b64 s[30:31], s[34:35]
	s_cbranch_execz .LBB368_60
; %bb.64:                               ;   in Loop: Header=BB368_62 Depth=1
	s_mov_b64 s[34:35], 0
.LBB368_65:                             ;   Parent Loop BB368_62 Depth=1
                                        ; =>  This Inner Loop Header: Depth=2
	global_load_dwordx2 v[21:22], v[25:26], off glc
	s_waitcnt vmcnt(0)
	v_cmp_ne_u16_sdwa s[36:37], v22, v20 src0_sel:BYTE_0 src1_sel:DWORD
	s_or_b64 s[34:35], s[36:37], s[34:35]
	s_andn2_b64 exec, exec, s[34:35]
	s_cbranch_execnz .LBB368_65
; %bb.66:                               ;   in Loop: Header=BB368_62 Depth=1
	s_or_b64 exec, exec, s[34:35]
	s_branch .LBB368_60
.LBB368_67:
                                        ; implicit-def: $vgpr19
                                        ; implicit-def: $vgpr15
                                        ; implicit-def: $vgpr29
	s_cbranch_execnz .LBB368_73
	s_branch .LBB368_82
.LBB368_68:
	s_and_saveexec_b64 s[30:31], s[16:17]
	s_cbranch_execz .LBB368_70
; %bb.69:
	s_add_i32 s34, s33, 64
	s_mov_b32 s35, 0
	s_lshl_b64 s[34:35], s[34:35], 3
	s_add_u32 s34, s28, s34
	v_add_u32_e32 v19, v16, v15
	v_mov_b32_e32 v20, 2
	s_addc_u32 s35, s29, s35
	v_mov_b32_e32 v21, 0
	global_store_dwordx2 v21, v[19:20], s[34:35]
	ds_write_b64 v21, v[15:16] offset:14336
.LBB368_70:
	s_or_b64 exec, exec, s[30:31]
	s_and_b64 exec, exec, s[0:1]
; %bb.71:
	v_mov_b32_e32 v15, 0
	ds_write_b32 v15, v16 offset:12
.LBB368_72:
	s_or_b64 exec, exec, s[18:19]
	v_mov_b32_e32 v15, 0
	s_waitcnt vmcnt(0) lgkmcnt(0)
	s_barrier
	ds_read_b32 v19, v15 offset:12
	s_waitcnt lgkmcnt(0)
	s_barrier
	ds_read_b64 v[15:16], v15 offset:14336
	v_cndmask_b32_e64 v20, v45, v29, s[16:17]
	v_cndmask_b32_e64 v20, v20, 0, s[0:1]
	v_add_u32_e32 v29, v19, v20
	s_waitcnt lgkmcnt(0)
	v_mov_b32_e32 v19, v16
	s_branch .LBB368_82
.LBB368_73:
	v_mov_b32_dpp v15, v44 row_shr:1 row_mask:0xf bank_mask:0xf
	v_cndmask_b32_e64 v15, v15, 0, s[14:15]
	v_add_u32_e32 v15, v15, v44
	s_nop 1
	v_mov_b32_dpp v16, v15 row_shr:2 row_mask:0xf bank_mask:0xf
	v_cndmask_b32_e64 v16, 0, v16, s[12:13]
	v_add_u32_e32 v15, v15, v16
	s_nop 1
	;; [unrolled: 4-line block ×4, first 2 shown]
	v_mov_b32_dpp v16, v15 row_bcast:15 row_mask:0xf bank_mask:0xf
	v_cndmask_b32_e64 v16, v16, 0, s[6:7]
	v_add_u32_e32 v15, v15, v16
	s_nop 1
	v_mov_b32_dpp v16, v15 row_bcast:31 row_mask:0xf bank_mask:0xf
	v_cndmask_b32_e64 v16, 0, v16, s[2:3]
	v_add_u32_e32 v15, v15, v16
	s_and_saveexec_b64 s[2:3], s[4:5]
; %bb.74:
	v_lshlrev_b32_e32 v16, 2, v35
	ds_write_b32 v16, v15
; %bb.75:
	s_or_b64 exec, exec, s[2:3]
	v_cmp_gt_u32_e32 vcc, 4, v0
	s_waitcnt lgkmcnt(0)
	s_barrier
	s_and_saveexec_b64 s[2:3], vcc
	s_cbranch_execz .LBB368_77
; %bb.76:
	v_lshlrev_b32_e32 v16, 2, v0
	ds_read_b32 v19, v16
	v_and_b32_e32 v20, 3, v33
	v_cmp_ne_u32_e32 vcc, 0, v20
	s_waitcnt lgkmcnt(0)
	v_mov_b32_dpp v21, v19 row_shr:1 row_mask:0xf bank_mask:0xf
	v_cndmask_b32_e32 v21, 0, v21, vcc
	v_add_u32_e32 v19, v21, v19
	v_cmp_lt_u32_e32 vcc, 1, v20
	s_nop 0
	v_mov_b32_dpp v21, v19 row_shr:2 row_mask:0xf bank_mask:0xf
	v_cndmask_b32_e32 v20, 0, v21, vcc
	v_add_u32_e32 v19, v19, v20
	ds_write_b32 v16, v19
.LBB368_77:
	s_or_b64 exec, exec, s[2:3]
	v_cmp_lt_u32_e32 vcc, 63, v0
	v_mov_b32_e32 v16, 0
	v_mov_b32_e32 v19, 0
	s_waitcnt lgkmcnt(0)
	s_barrier
	s_and_saveexec_b64 s[2:3], vcc
; %bb.78:
	v_lshl_add_u32 v19, v35, 2, -4
	ds_read_b32 v19, v19
; %bb.79:
	s_or_b64 exec, exec, s[2:3]
	v_subrev_co_u32_e32 v20, vcc, 1, v33
	v_and_b32_e32 v21, 64, v33
	v_cmp_lt_i32_e64 s[2:3], v20, v21
	v_cndmask_b32_e64 v20, v20, v33, s[2:3]
	s_waitcnt lgkmcnt(0)
	v_add_u32_e32 v15, v19, v15
	v_lshlrev_b32_e32 v20, 2, v20
	ds_bpermute_b32 v20, v20, v15
	ds_read_b32 v15, v16 offset:12
	s_and_saveexec_b64 s[2:3], s[0:1]
	s_cbranch_execz .LBB368_81
; %bb.80:
	v_mov_b32_e32 v21, 0
	v_mov_b32_e32 v16, 2
	s_waitcnt lgkmcnt(0)
	global_store_dwordx2 v21, v[15:16], s[28:29] offset:512
.LBB368_81:
	s_or_b64 exec, exec, s[2:3]
	s_waitcnt lgkmcnt(1)
	v_cndmask_b32_e32 v16, v20, v19, vcc
	v_cndmask_b32_e64 v29, v16, 0, s[0:1]
	s_waitcnt vmcnt(0) lgkmcnt(0)
	s_barrier
	v_mov_b32_e32 v19, 0
.LBB368_82:
	v_add_u32_e32 v35, v29, v27
	v_add_u32_e32 v33, v35, v30
	;; [unrolled: 1-line block ×4, first 2 shown]
	s_movk_i32 s4, 0x101
	v_add_u32_e32 v25, v27, v34
	v_cmp_gt_u32_e32 vcc, s4, v15
	v_lshlrev_b64 v[21:22], 3, v[17:18]
	v_add_u32_e32 v23, v25, v36
	s_mov_b64 s[2:3], -1
	v_and_b32_e32 v16, 1, v28
	s_cbranch_vccnz .LBB368_86
; %bb.83:
	s_and_b64 vcc, exec, s[2:3]
	s_cbranch_vccnz .LBB368_101
.LBB368_84:
	s_and_b64 s[0:1], s[0:1], s[22:23]
	s_and_saveexec_b64 s[2:3], s[0:1]
	s_cbranch_execnz .LBB368_118
.LBB368_85:
	s_endpgm
.LBB368_86:
	v_mov_b32_e32 v26, s25
	v_add_co_u32_e32 v20, vcc, s24, v21
	v_add_u32_e32 v24, v19, v15
	v_addc_co_u32_e32 v44, vcc, v26, v22, vcc
	v_cmp_lt_u32_e32 vcc, v29, v24
	s_or_b64 s[2:3], s[26:27], vcc
	v_cmp_eq_u32_e32 vcc, 1, v16
	s_and_b64 s[4:5], s[2:3], vcc
	s_and_saveexec_b64 s[2:3], s[4:5]
	s_cbranch_execz .LBB368_88
; %bb.87:
	v_mov_b32_e32 v30, 0
	v_lshlrev_b64 v[45:46], 3, v[29:30]
	v_add_co_u32_e32 v45, vcc, v20, v45
	v_addc_co_u32_e32 v46, vcc, v44, v46, vcc
	global_store_dwordx2 v[45:46], v[9:10], off
.LBB368_88:
	s_or_b64 exec, exec, s[2:3]
	v_cmp_lt_u32_e32 vcc, v35, v24
	v_and_b32_e32 v26, 1, v43
	s_or_b64 s[2:3], s[26:27], vcc
	v_cmp_eq_u32_e32 vcc, 1, v26
	s_and_b64 s[4:5], s[2:3], vcc
	s_and_saveexec_b64 s[2:3], s[4:5]
	s_cbranch_execz .LBB368_90
; %bb.89:
	v_mov_b32_e32 v36, 0
	v_lshlrev_b64 v[45:46], 3, v[35:36]
	v_add_co_u32_e32 v45, vcc, v20, v45
	v_addc_co_u32_e32 v46, vcc, v44, v46, vcc
	global_store_dwordx2 v[45:46], v[11:12], off
.LBB368_90:
	s_or_b64 exec, exec, s[2:3]
	v_cmp_lt_u32_e32 vcc, v33, v24
	v_and_b32_e32 v26, 1, v42
	;; [unrolled: 15-line block ×6, first 2 shown]
	s_or_b64 s[2:3], s[26:27], vcc
	v_cmp_eq_u32_e32 vcc, 1, v24
	s_and_b64 s[4:5], s[2:3], vcc
	s_and_saveexec_b64 s[2:3], s[4:5]
	s_cbranch_execz .LBB368_100
; %bb.99:
	v_mov_b32_e32 v24, 0
	v_lshlrev_b64 v[45:46], 3, v[23:24]
	v_add_co_u32_e32 v45, vcc, v20, v45
	v_addc_co_u32_e32 v46, vcc, v44, v46, vcc
	global_store_dwordx2 v[45:46], v[13:14], off
.LBB368_100:
	s_or_b64 exec, exec, s[2:3]
	s_branch .LBB368_84
.LBB368_101:
	v_cmp_eq_u32_e32 vcc, 1, v16
	s_and_saveexec_b64 s[2:3], vcc
; %bb.102:
	v_sub_u32_e32 v16, v29, v19
	v_lshlrev_b32_e32 v16, 3, v16
	ds_write_b64 v16, v[9:10]
; %bb.103:
	s_or_b64 exec, exec, s[2:3]
	v_and_b32_e32 v9, 1, v43
	v_cmp_eq_u32_e32 vcc, 1, v9
	s_and_saveexec_b64 s[2:3], vcc
; %bb.104:
	v_sub_u32_e32 v9, v35, v19
	v_lshlrev_b32_e32 v9, 3, v9
	ds_write_b64 v9, v[11:12]
; %bb.105:
	s_or_b64 exec, exec, s[2:3]
	v_and_b32_e32 v9, 1, v42
	;; [unrolled: 9-line block ×6, first 2 shown]
	v_cmp_eq_u32_e32 vcc, 1, v1
	s_and_saveexec_b64 s[2:3], vcc
; %bb.114:
	v_sub_u32_e32 v1, v23, v19
	v_lshlrev_b32_e32 v1, 3, v1
	ds_write_b64 v1, v[13:14]
; %bb.115:
	s_or_b64 exec, exec, s[2:3]
	v_mov_b32_e32 v1, 0
	v_mov_b32_e32 v20, v1
	;; [unrolled: 1-line block ×3, first 2 shown]
	v_add_co_u32_e32 v4, vcc, s24, v21
	v_addc_co_u32_e32 v5, vcc, v2, v22, vcc
	v_lshlrev_b64 v[2:3], 3, v[19:20]
	s_mov_b64 s[4:5], 0
	v_add_co_u32_e32 v2, vcc, v4, v2
	v_addc_co_u32_e32 v3, vcc, v5, v3, vcc
	s_waitcnt vmcnt(0) lgkmcnt(0)
	s_barrier
.LBB368_116:                            ; =>This Inner Loop Header: Depth=1
	ds_read_b64 v[6:7], v37
	v_lshlrev_b64 v[4:5], 3, v[0:1]
	v_add_u32_e32 v0, 0x100, v0
	v_cmp_ge_u32_e32 vcc, v0, v15
	v_add_co_u32_e64 v4, s[2:3], v2, v4
	v_add_u32_e32 v37, 0x800, v37
	v_addc_co_u32_e64 v5, s[2:3], v3, v5, s[2:3]
	s_or_b64 s[4:5], vcc, s[4:5]
	s_waitcnt lgkmcnt(0)
	global_store_dwordx2 v[4:5], v[6:7], off
	s_andn2_b64 exec, exec, s[4:5]
	s_cbranch_execnz .LBB368_116
; %bb.117:
	s_or_b64 exec, exec, s[4:5]
	s_and_b64 s[0:1], s[0:1], s[22:23]
	s_and_saveexec_b64 s[2:3], s[0:1]
	s_cbranch_execz .LBB368_85
.LBB368_118:
	v_add_co_u32_e32 v0, vcc, v17, v15
	v_addc_co_u32_e32 v1, vcc, 0, v18, vcc
	v_add_co_u32_e32 v0, vcc, v0, v19
	v_mov_b32_e32 v2, 0
	v_addc_co_u32_e32 v1, vcc, 0, v1, vcc
	global_store_dwordx2 v2, v[0:1], s[20:21]
	s_endpgm
	.section	.rodata,"a",@progbits
	.p2align	6, 0x0
	.amdhsa_kernel _ZN7rocprim17ROCPRIM_400000_NS6detail17trampoline_kernelINS0_14default_configENS1_25partition_config_selectorILNS1_17partition_subalgoE8ExNS0_10empty_typeEbEEZZNS1_14partition_implILS5_8ELb0ES3_jN6thrust23THRUST_200600_302600_NS6detail15normal_iteratorINSA_10device_ptrIxEEEEPS6_PKS6_NS0_5tupleIJSF_S6_EEENSJ_IJSG_SG_EEENS0_18inequality_wrapperINSA_8equal_toIxEEEEPmJS6_EEE10hipError_tPvRmT3_T4_T5_T6_T7_T9_mT8_P12ihipStream_tbDpT10_ENKUlT_T0_E_clISt17integral_constantIbLb0EES19_IbLb1EEEEDaS15_S16_EUlS15_E_NS1_11comp_targetILNS1_3genE2ELNS1_11target_archE906ELNS1_3gpuE6ELNS1_3repE0EEENS1_30default_config_static_selectorELNS0_4arch9wavefront6targetE1EEEvT1_
		.amdhsa_group_segment_fixed_size 14344
		.amdhsa_private_segment_fixed_size 0
		.amdhsa_kernarg_size 128
		.amdhsa_user_sgpr_count 6
		.amdhsa_user_sgpr_private_segment_buffer 1
		.amdhsa_user_sgpr_dispatch_ptr 0
		.amdhsa_user_sgpr_queue_ptr 0
		.amdhsa_user_sgpr_kernarg_segment_ptr 1
		.amdhsa_user_sgpr_dispatch_id 0
		.amdhsa_user_sgpr_flat_scratch_init 0
		.amdhsa_user_sgpr_private_segment_size 0
		.amdhsa_uses_dynamic_stack 0
		.amdhsa_system_sgpr_private_segment_wavefront_offset 0
		.amdhsa_system_sgpr_workgroup_id_x 1
		.amdhsa_system_sgpr_workgroup_id_y 0
		.amdhsa_system_sgpr_workgroup_id_z 0
		.amdhsa_system_sgpr_workgroup_info 0
		.amdhsa_system_vgpr_workitem_id 0
		.amdhsa_next_free_vgpr 60
		.amdhsa_next_free_sgpr 98
		.amdhsa_reserve_vcc 1
		.amdhsa_reserve_flat_scratch 0
		.amdhsa_float_round_mode_32 0
		.amdhsa_float_round_mode_16_64 0
		.amdhsa_float_denorm_mode_32 3
		.amdhsa_float_denorm_mode_16_64 3
		.amdhsa_dx10_clamp 1
		.amdhsa_ieee_mode 1
		.amdhsa_fp16_overflow 0
		.amdhsa_exception_fp_ieee_invalid_op 0
		.amdhsa_exception_fp_denorm_src 0
		.amdhsa_exception_fp_ieee_div_zero 0
		.amdhsa_exception_fp_ieee_overflow 0
		.amdhsa_exception_fp_ieee_underflow 0
		.amdhsa_exception_fp_ieee_inexact 0
		.amdhsa_exception_int_div_zero 0
	.end_amdhsa_kernel
	.section	.text._ZN7rocprim17ROCPRIM_400000_NS6detail17trampoline_kernelINS0_14default_configENS1_25partition_config_selectorILNS1_17partition_subalgoE8ExNS0_10empty_typeEbEEZZNS1_14partition_implILS5_8ELb0ES3_jN6thrust23THRUST_200600_302600_NS6detail15normal_iteratorINSA_10device_ptrIxEEEEPS6_PKS6_NS0_5tupleIJSF_S6_EEENSJ_IJSG_SG_EEENS0_18inequality_wrapperINSA_8equal_toIxEEEEPmJS6_EEE10hipError_tPvRmT3_T4_T5_T6_T7_T9_mT8_P12ihipStream_tbDpT10_ENKUlT_T0_E_clISt17integral_constantIbLb0EES19_IbLb1EEEEDaS15_S16_EUlS15_E_NS1_11comp_targetILNS1_3genE2ELNS1_11target_archE906ELNS1_3gpuE6ELNS1_3repE0EEENS1_30default_config_static_selectorELNS0_4arch9wavefront6targetE1EEEvT1_,"axG",@progbits,_ZN7rocprim17ROCPRIM_400000_NS6detail17trampoline_kernelINS0_14default_configENS1_25partition_config_selectorILNS1_17partition_subalgoE8ExNS0_10empty_typeEbEEZZNS1_14partition_implILS5_8ELb0ES3_jN6thrust23THRUST_200600_302600_NS6detail15normal_iteratorINSA_10device_ptrIxEEEEPS6_PKS6_NS0_5tupleIJSF_S6_EEENSJ_IJSG_SG_EEENS0_18inequality_wrapperINSA_8equal_toIxEEEEPmJS6_EEE10hipError_tPvRmT3_T4_T5_T6_T7_T9_mT8_P12ihipStream_tbDpT10_ENKUlT_T0_E_clISt17integral_constantIbLb0EES19_IbLb1EEEEDaS15_S16_EUlS15_E_NS1_11comp_targetILNS1_3genE2ELNS1_11target_archE906ELNS1_3gpuE6ELNS1_3repE0EEENS1_30default_config_static_selectorELNS0_4arch9wavefront6targetE1EEEvT1_,comdat
.Lfunc_end368:
	.size	_ZN7rocprim17ROCPRIM_400000_NS6detail17trampoline_kernelINS0_14default_configENS1_25partition_config_selectorILNS1_17partition_subalgoE8ExNS0_10empty_typeEbEEZZNS1_14partition_implILS5_8ELb0ES3_jN6thrust23THRUST_200600_302600_NS6detail15normal_iteratorINSA_10device_ptrIxEEEEPS6_PKS6_NS0_5tupleIJSF_S6_EEENSJ_IJSG_SG_EEENS0_18inequality_wrapperINSA_8equal_toIxEEEEPmJS6_EEE10hipError_tPvRmT3_T4_T5_T6_T7_T9_mT8_P12ihipStream_tbDpT10_ENKUlT_T0_E_clISt17integral_constantIbLb0EES19_IbLb1EEEEDaS15_S16_EUlS15_E_NS1_11comp_targetILNS1_3genE2ELNS1_11target_archE906ELNS1_3gpuE6ELNS1_3repE0EEENS1_30default_config_static_selectorELNS0_4arch9wavefront6targetE1EEEvT1_, .Lfunc_end368-_ZN7rocprim17ROCPRIM_400000_NS6detail17trampoline_kernelINS0_14default_configENS1_25partition_config_selectorILNS1_17partition_subalgoE8ExNS0_10empty_typeEbEEZZNS1_14partition_implILS5_8ELb0ES3_jN6thrust23THRUST_200600_302600_NS6detail15normal_iteratorINSA_10device_ptrIxEEEEPS6_PKS6_NS0_5tupleIJSF_S6_EEENSJ_IJSG_SG_EEENS0_18inequality_wrapperINSA_8equal_toIxEEEEPmJS6_EEE10hipError_tPvRmT3_T4_T5_T6_T7_T9_mT8_P12ihipStream_tbDpT10_ENKUlT_T0_E_clISt17integral_constantIbLb0EES19_IbLb1EEEEDaS15_S16_EUlS15_E_NS1_11comp_targetILNS1_3genE2ELNS1_11target_archE906ELNS1_3gpuE6ELNS1_3repE0EEENS1_30default_config_static_selectorELNS0_4arch9wavefront6targetE1EEEvT1_
                                        ; -- End function
	.set _ZN7rocprim17ROCPRIM_400000_NS6detail17trampoline_kernelINS0_14default_configENS1_25partition_config_selectorILNS1_17partition_subalgoE8ExNS0_10empty_typeEbEEZZNS1_14partition_implILS5_8ELb0ES3_jN6thrust23THRUST_200600_302600_NS6detail15normal_iteratorINSA_10device_ptrIxEEEEPS6_PKS6_NS0_5tupleIJSF_S6_EEENSJ_IJSG_SG_EEENS0_18inequality_wrapperINSA_8equal_toIxEEEEPmJS6_EEE10hipError_tPvRmT3_T4_T5_T6_T7_T9_mT8_P12ihipStream_tbDpT10_ENKUlT_T0_E_clISt17integral_constantIbLb0EES19_IbLb1EEEEDaS15_S16_EUlS15_E_NS1_11comp_targetILNS1_3genE2ELNS1_11target_archE906ELNS1_3gpuE6ELNS1_3repE0EEENS1_30default_config_static_selectorELNS0_4arch9wavefront6targetE1EEEvT1_.num_vgpr, 60
	.set _ZN7rocprim17ROCPRIM_400000_NS6detail17trampoline_kernelINS0_14default_configENS1_25partition_config_selectorILNS1_17partition_subalgoE8ExNS0_10empty_typeEbEEZZNS1_14partition_implILS5_8ELb0ES3_jN6thrust23THRUST_200600_302600_NS6detail15normal_iteratorINSA_10device_ptrIxEEEEPS6_PKS6_NS0_5tupleIJSF_S6_EEENSJ_IJSG_SG_EEENS0_18inequality_wrapperINSA_8equal_toIxEEEEPmJS6_EEE10hipError_tPvRmT3_T4_T5_T6_T7_T9_mT8_P12ihipStream_tbDpT10_ENKUlT_T0_E_clISt17integral_constantIbLb0EES19_IbLb1EEEEDaS15_S16_EUlS15_E_NS1_11comp_targetILNS1_3genE2ELNS1_11target_archE906ELNS1_3gpuE6ELNS1_3repE0EEENS1_30default_config_static_selectorELNS0_4arch9wavefront6targetE1EEEvT1_.num_agpr, 0
	.set _ZN7rocprim17ROCPRIM_400000_NS6detail17trampoline_kernelINS0_14default_configENS1_25partition_config_selectorILNS1_17partition_subalgoE8ExNS0_10empty_typeEbEEZZNS1_14partition_implILS5_8ELb0ES3_jN6thrust23THRUST_200600_302600_NS6detail15normal_iteratorINSA_10device_ptrIxEEEEPS6_PKS6_NS0_5tupleIJSF_S6_EEENSJ_IJSG_SG_EEENS0_18inequality_wrapperINSA_8equal_toIxEEEEPmJS6_EEE10hipError_tPvRmT3_T4_T5_T6_T7_T9_mT8_P12ihipStream_tbDpT10_ENKUlT_T0_E_clISt17integral_constantIbLb0EES19_IbLb1EEEEDaS15_S16_EUlS15_E_NS1_11comp_targetILNS1_3genE2ELNS1_11target_archE906ELNS1_3gpuE6ELNS1_3repE0EEENS1_30default_config_static_selectorELNS0_4arch9wavefront6targetE1EEEvT1_.numbered_sgpr, 39
	.set _ZN7rocprim17ROCPRIM_400000_NS6detail17trampoline_kernelINS0_14default_configENS1_25partition_config_selectorILNS1_17partition_subalgoE8ExNS0_10empty_typeEbEEZZNS1_14partition_implILS5_8ELb0ES3_jN6thrust23THRUST_200600_302600_NS6detail15normal_iteratorINSA_10device_ptrIxEEEEPS6_PKS6_NS0_5tupleIJSF_S6_EEENSJ_IJSG_SG_EEENS0_18inequality_wrapperINSA_8equal_toIxEEEEPmJS6_EEE10hipError_tPvRmT3_T4_T5_T6_T7_T9_mT8_P12ihipStream_tbDpT10_ENKUlT_T0_E_clISt17integral_constantIbLb0EES19_IbLb1EEEEDaS15_S16_EUlS15_E_NS1_11comp_targetILNS1_3genE2ELNS1_11target_archE906ELNS1_3gpuE6ELNS1_3repE0EEENS1_30default_config_static_selectorELNS0_4arch9wavefront6targetE1EEEvT1_.num_named_barrier, 0
	.set _ZN7rocprim17ROCPRIM_400000_NS6detail17trampoline_kernelINS0_14default_configENS1_25partition_config_selectorILNS1_17partition_subalgoE8ExNS0_10empty_typeEbEEZZNS1_14partition_implILS5_8ELb0ES3_jN6thrust23THRUST_200600_302600_NS6detail15normal_iteratorINSA_10device_ptrIxEEEEPS6_PKS6_NS0_5tupleIJSF_S6_EEENSJ_IJSG_SG_EEENS0_18inequality_wrapperINSA_8equal_toIxEEEEPmJS6_EEE10hipError_tPvRmT3_T4_T5_T6_T7_T9_mT8_P12ihipStream_tbDpT10_ENKUlT_T0_E_clISt17integral_constantIbLb0EES19_IbLb1EEEEDaS15_S16_EUlS15_E_NS1_11comp_targetILNS1_3genE2ELNS1_11target_archE906ELNS1_3gpuE6ELNS1_3repE0EEENS1_30default_config_static_selectorELNS0_4arch9wavefront6targetE1EEEvT1_.private_seg_size, 0
	.set _ZN7rocprim17ROCPRIM_400000_NS6detail17trampoline_kernelINS0_14default_configENS1_25partition_config_selectorILNS1_17partition_subalgoE8ExNS0_10empty_typeEbEEZZNS1_14partition_implILS5_8ELb0ES3_jN6thrust23THRUST_200600_302600_NS6detail15normal_iteratorINSA_10device_ptrIxEEEEPS6_PKS6_NS0_5tupleIJSF_S6_EEENSJ_IJSG_SG_EEENS0_18inequality_wrapperINSA_8equal_toIxEEEEPmJS6_EEE10hipError_tPvRmT3_T4_T5_T6_T7_T9_mT8_P12ihipStream_tbDpT10_ENKUlT_T0_E_clISt17integral_constantIbLb0EES19_IbLb1EEEEDaS15_S16_EUlS15_E_NS1_11comp_targetILNS1_3genE2ELNS1_11target_archE906ELNS1_3gpuE6ELNS1_3repE0EEENS1_30default_config_static_selectorELNS0_4arch9wavefront6targetE1EEEvT1_.uses_vcc, 1
	.set _ZN7rocprim17ROCPRIM_400000_NS6detail17trampoline_kernelINS0_14default_configENS1_25partition_config_selectorILNS1_17partition_subalgoE8ExNS0_10empty_typeEbEEZZNS1_14partition_implILS5_8ELb0ES3_jN6thrust23THRUST_200600_302600_NS6detail15normal_iteratorINSA_10device_ptrIxEEEEPS6_PKS6_NS0_5tupleIJSF_S6_EEENSJ_IJSG_SG_EEENS0_18inequality_wrapperINSA_8equal_toIxEEEEPmJS6_EEE10hipError_tPvRmT3_T4_T5_T6_T7_T9_mT8_P12ihipStream_tbDpT10_ENKUlT_T0_E_clISt17integral_constantIbLb0EES19_IbLb1EEEEDaS15_S16_EUlS15_E_NS1_11comp_targetILNS1_3genE2ELNS1_11target_archE906ELNS1_3gpuE6ELNS1_3repE0EEENS1_30default_config_static_selectorELNS0_4arch9wavefront6targetE1EEEvT1_.uses_flat_scratch, 0
	.set _ZN7rocprim17ROCPRIM_400000_NS6detail17trampoline_kernelINS0_14default_configENS1_25partition_config_selectorILNS1_17partition_subalgoE8ExNS0_10empty_typeEbEEZZNS1_14partition_implILS5_8ELb0ES3_jN6thrust23THRUST_200600_302600_NS6detail15normal_iteratorINSA_10device_ptrIxEEEEPS6_PKS6_NS0_5tupleIJSF_S6_EEENSJ_IJSG_SG_EEENS0_18inequality_wrapperINSA_8equal_toIxEEEEPmJS6_EEE10hipError_tPvRmT3_T4_T5_T6_T7_T9_mT8_P12ihipStream_tbDpT10_ENKUlT_T0_E_clISt17integral_constantIbLb0EES19_IbLb1EEEEDaS15_S16_EUlS15_E_NS1_11comp_targetILNS1_3genE2ELNS1_11target_archE906ELNS1_3gpuE6ELNS1_3repE0EEENS1_30default_config_static_selectorELNS0_4arch9wavefront6targetE1EEEvT1_.has_dyn_sized_stack, 0
	.set _ZN7rocprim17ROCPRIM_400000_NS6detail17trampoline_kernelINS0_14default_configENS1_25partition_config_selectorILNS1_17partition_subalgoE8ExNS0_10empty_typeEbEEZZNS1_14partition_implILS5_8ELb0ES3_jN6thrust23THRUST_200600_302600_NS6detail15normal_iteratorINSA_10device_ptrIxEEEEPS6_PKS6_NS0_5tupleIJSF_S6_EEENSJ_IJSG_SG_EEENS0_18inequality_wrapperINSA_8equal_toIxEEEEPmJS6_EEE10hipError_tPvRmT3_T4_T5_T6_T7_T9_mT8_P12ihipStream_tbDpT10_ENKUlT_T0_E_clISt17integral_constantIbLb0EES19_IbLb1EEEEDaS15_S16_EUlS15_E_NS1_11comp_targetILNS1_3genE2ELNS1_11target_archE906ELNS1_3gpuE6ELNS1_3repE0EEENS1_30default_config_static_selectorELNS0_4arch9wavefront6targetE1EEEvT1_.has_recursion, 0
	.set _ZN7rocprim17ROCPRIM_400000_NS6detail17trampoline_kernelINS0_14default_configENS1_25partition_config_selectorILNS1_17partition_subalgoE8ExNS0_10empty_typeEbEEZZNS1_14partition_implILS5_8ELb0ES3_jN6thrust23THRUST_200600_302600_NS6detail15normal_iteratorINSA_10device_ptrIxEEEEPS6_PKS6_NS0_5tupleIJSF_S6_EEENSJ_IJSG_SG_EEENS0_18inequality_wrapperINSA_8equal_toIxEEEEPmJS6_EEE10hipError_tPvRmT3_T4_T5_T6_T7_T9_mT8_P12ihipStream_tbDpT10_ENKUlT_T0_E_clISt17integral_constantIbLb0EES19_IbLb1EEEEDaS15_S16_EUlS15_E_NS1_11comp_targetILNS1_3genE2ELNS1_11target_archE906ELNS1_3gpuE6ELNS1_3repE0EEENS1_30default_config_static_selectorELNS0_4arch9wavefront6targetE1EEEvT1_.has_indirect_call, 0
	.section	.AMDGPU.csdata,"",@progbits
; Kernel info:
; codeLenInByte = 4848
; TotalNumSgprs: 43
; NumVgprs: 60
; ScratchSize: 0
; MemoryBound: 0
; FloatMode: 240
; IeeeMode: 1
; LDSByteSize: 14344 bytes/workgroup (compile time only)
; SGPRBlocks: 12
; VGPRBlocks: 14
; NumSGPRsForWavesPerEU: 102
; NumVGPRsForWavesPerEU: 60
; Occupancy: 4
; WaveLimiterHint : 1
; COMPUTE_PGM_RSRC2:SCRATCH_EN: 0
; COMPUTE_PGM_RSRC2:USER_SGPR: 6
; COMPUTE_PGM_RSRC2:TRAP_HANDLER: 0
; COMPUTE_PGM_RSRC2:TGID_X_EN: 1
; COMPUTE_PGM_RSRC2:TGID_Y_EN: 0
; COMPUTE_PGM_RSRC2:TGID_Z_EN: 0
; COMPUTE_PGM_RSRC2:TIDIG_COMP_CNT: 0
	.section	.text._ZN7rocprim17ROCPRIM_400000_NS6detail17trampoline_kernelINS0_14default_configENS1_25partition_config_selectorILNS1_17partition_subalgoE8ExNS0_10empty_typeEbEEZZNS1_14partition_implILS5_8ELb0ES3_jN6thrust23THRUST_200600_302600_NS6detail15normal_iteratorINSA_10device_ptrIxEEEEPS6_PKS6_NS0_5tupleIJSF_S6_EEENSJ_IJSG_SG_EEENS0_18inequality_wrapperINSA_8equal_toIxEEEEPmJS6_EEE10hipError_tPvRmT3_T4_T5_T6_T7_T9_mT8_P12ihipStream_tbDpT10_ENKUlT_T0_E_clISt17integral_constantIbLb0EES19_IbLb1EEEEDaS15_S16_EUlS15_E_NS1_11comp_targetILNS1_3genE10ELNS1_11target_archE1200ELNS1_3gpuE4ELNS1_3repE0EEENS1_30default_config_static_selectorELNS0_4arch9wavefront6targetE1EEEvT1_,"axG",@progbits,_ZN7rocprim17ROCPRIM_400000_NS6detail17trampoline_kernelINS0_14default_configENS1_25partition_config_selectorILNS1_17partition_subalgoE8ExNS0_10empty_typeEbEEZZNS1_14partition_implILS5_8ELb0ES3_jN6thrust23THRUST_200600_302600_NS6detail15normal_iteratorINSA_10device_ptrIxEEEEPS6_PKS6_NS0_5tupleIJSF_S6_EEENSJ_IJSG_SG_EEENS0_18inequality_wrapperINSA_8equal_toIxEEEEPmJS6_EEE10hipError_tPvRmT3_T4_T5_T6_T7_T9_mT8_P12ihipStream_tbDpT10_ENKUlT_T0_E_clISt17integral_constantIbLb0EES19_IbLb1EEEEDaS15_S16_EUlS15_E_NS1_11comp_targetILNS1_3genE10ELNS1_11target_archE1200ELNS1_3gpuE4ELNS1_3repE0EEENS1_30default_config_static_selectorELNS0_4arch9wavefront6targetE1EEEvT1_,comdat
	.protected	_ZN7rocprim17ROCPRIM_400000_NS6detail17trampoline_kernelINS0_14default_configENS1_25partition_config_selectorILNS1_17partition_subalgoE8ExNS0_10empty_typeEbEEZZNS1_14partition_implILS5_8ELb0ES3_jN6thrust23THRUST_200600_302600_NS6detail15normal_iteratorINSA_10device_ptrIxEEEEPS6_PKS6_NS0_5tupleIJSF_S6_EEENSJ_IJSG_SG_EEENS0_18inequality_wrapperINSA_8equal_toIxEEEEPmJS6_EEE10hipError_tPvRmT3_T4_T5_T6_T7_T9_mT8_P12ihipStream_tbDpT10_ENKUlT_T0_E_clISt17integral_constantIbLb0EES19_IbLb1EEEEDaS15_S16_EUlS15_E_NS1_11comp_targetILNS1_3genE10ELNS1_11target_archE1200ELNS1_3gpuE4ELNS1_3repE0EEENS1_30default_config_static_selectorELNS0_4arch9wavefront6targetE1EEEvT1_ ; -- Begin function _ZN7rocprim17ROCPRIM_400000_NS6detail17trampoline_kernelINS0_14default_configENS1_25partition_config_selectorILNS1_17partition_subalgoE8ExNS0_10empty_typeEbEEZZNS1_14partition_implILS5_8ELb0ES3_jN6thrust23THRUST_200600_302600_NS6detail15normal_iteratorINSA_10device_ptrIxEEEEPS6_PKS6_NS0_5tupleIJSF_S6_EEENSJ_IJSG_SG_EEENS0_18inequality_wrapperINSA_8equal_toIxEEEEPmJS6_EEE10hipError_tPvRmT3_T4_T5_T6_T7_T9_mT8_P12ihipStream_tbDpT10_ENKUlT_T0_E_clISt17integral_constantIbLb0EES19_IbLb1EEEEDaS15_S16_EUlS15_E_NS1_11comp_targetILNS1_3genE10ELNS1_11target_archE1200ELNS1_3gpuE4ELNS1_3repE0EEENS1_30default_config_static_selectorELNS0_4arch9wavefront6targetE1EEEvT1_
	.globl	_ZN7rocprim17ROCPRIM_400000_NS6detail17trampoline_kernelINS0_14default_configENS1_25partition_config_selectorILNS1_17partition_subalgoE8ExNS0_10empty_typeEbEEZZNS1_14partition_implILS5_8ELb0ES3_jN6thrust23THRUST_200600_302600_NS6detail15normal_iteratorINSA_10device_ptrIxEEEEPS6_PKS6_NS0_5tupleIJSF_S6_EEENSJ_IJSG_SG_EEENS0_18inequality_wrapperINSA_8equal_toIxEEEEPmJS6_EEE10hipError_tPvRmT3_T4_T5_T6_T7_T9_mT8_P12ihipStream_tbDpT10_ENKUlT_T0_E_clISt17integral_constantIbLb0EES19_IbLb1EEEEDaS15_S16_EUlS15_E_NS1_11comp_targetILNS1_3genE10ELNS1_11target_archE1200ELNS1_3gpuE4ELNS1_3repE0EEENS1_30default_config_static_selectorELNS0_4arch9wavefront6targetE1EEEvT1_
	.p2align	8
	.type	_ZN7rocprim17ROCPRIM_400000_NS6detail17trampoline_kernelINS0_14default_configENS1_25partition_config_selectorILNS1_17partition_subalgoE8ExNS0_10empty_typeEbEEZZNS1_14partition_implILS5_8ELb0ES3_jN6thrust23THRUST_200600_302600_NS6detail15normal_iteratorINSA_10device_ptrIxEEEEPS6_PKS6_NS0_5tupleIJSF_S6_EEENSJ_IJSG_SG_EEENS0_18inequality_wrapperINSA_8equal_toIxEEEEPmJS6_EEE10hipError_tPvRmT3_T4_T5_T6_T7_T9_mT8_P12ihipStream_tbDpT10_ENKUlT_T0_E_clISt17integral_constantIbLb0EES19_IbLb1EEEEDaS15_S16_EUlS15_E_NS1_11comp_targetILNS1_3genE10ELNS1_11target_archE1200ELNS1_3gpuE4ELNS1_3repE0EEENS1_30default_config_static_selectorELNS0_4arch9wavefront6targetE1EEEvT1_,@function
_ZN7rocprim17ROCPRIM_400000_NS6detail17trampoline_kernelINS0_14default_configENS1_25partition_config_selectorILNS1_17partition_subalgoE8ExNS0_10empty_typeEbEEZZNS1_14partition_implILS5_8ELb0ES3_jN6thrust23THRUST_200600_302600_NS6detail15normal_iteratorINSA_10device_ptrIxEEEEPS6_PKS6_NS0_5tupleIJSF_S6_EEENSJ_IJSG_SG_EEENS0_18inequality_wrapperINSA_8equal_toIxEEEEPmJS6_EEE10hipError_tPvRmT3_T4_T5_T6_T7_T9_mT8_P12ihipStream_tbDpT10_ENKUlT_T0_E_clISt17integral_constantIbLb0EES19_IbLb1EEEEDaS15_S16_EUlS15_E_NS1_11comp_targetILNS1_3genE10ELNS1_11target_archE1200ELNS1_3gpuE4ELNS1_3repE0EEENS1_30default_config_static_selectorELNS0_4arch9wavefront6targetE1EEEvT1_: ; @_ZN7rocprim17ROCPRIM_400000_NS6detail17trampoline_kernelINS0_14default_configENS1_25partition_config_selectorILNS1_17partition_subalgoE8ExNS0_10empty_typeEbEEZZNS1_14partition_implILS5_8ELb0ES3_jN6thrust23THRUST_200600_302600_NS6detail15normal_iteratorINSA_10device_ptrIxEEEEPS6_PKS6_NS0_5tupleIJSF_S6_EEENSJ_IJSG_SG_EEENS0_18inequality_wrapperINSA_8equal_toIxEEEEPmJS6_EEE10hipError_tPvRmT3_T4_T5_T6_T7_T9_mT8_P12ihipStream_tbDpT10_ENKUlT_T0_E_clISt17integral_constantIbLb0EES19_IbLb1EEEEDaS15_S16_EUlS15_E_NS1_11comp_targetILNS1_3genE10ELNS1_11target_archE1200ELNS1_3gpuE4ELNS1_3repE0EEENS1_30default_config_static_selectorELNS0_4arch9wavefront6targetE1EEEvT1_
; %bb.0:
	.section	.rodata,"a",@progbits
	.p2align	6, 0x0
	.amdhsa_kernel _ZN7rocprim17ROCPRIM_400000_NS6detail17trampoline_kernelINS0_14default_configENS1_25partition_config_selectorILNS1_17partition_subalgoE8ExNS0_10empty_typeEbEEZZNS1_14partition_implILS5_8ELb0ES3_jN6thrust23THRUST_200600_302600_NS6detail15normal_iteratorINSA_10device_ptrIxEEEEPS6_PKS6_NS0_5tupleIJSF_S6_EEENSJ_IJSG_SG_EEENS0_18inequality_wrapperINSA_8equal_toIxEEEEPmJS6_EEE10hipError_tPvRmT3_T4_T5_T6_T7_T9_mT8_P12ihipStream_tbDpT10_ENKUlT_T0_E_clISt17integral_constantIbLb0EES19_IbLb1EEEEDaS15_S16_EUlS15_E_NS1_11comp_targetILNS1_3genE10ELNS1_11target_archE1200ELNS1_3gpuE4ELNS1_3repE0EEENS1_30default_config_static_selectorELNS0_4arch9wavefront6targetE1EEEvT1_
		.amdhsa_group_segment_fixed_size 0
		.amdhsa_private_segment_fixed_size 0
		.amdhsa_kernarg_size 128
		.amdhsa_user_sgpr_count 6
		.amdhsa_user_sgpr_private_segment_buffer 1
		.amdhsa_user_sgpr_dispatch_ptr 0
		.amdhsa_user_sgpr_queue_ptr 0
		.amdhsa_user_sgpr_kernarg_segment_ptr 1
		.amdhsa_user_sgpr_dispatch_id 0
		.amdhsa_user_sgpr_flat_scratch_init 0
		.amdhsa_user_sgpr_private_segment_size 0
		.amdhsa_uses_dynamic_stack 0
		.amdhsa_system_sgpr_private_segment_wavefront_offset 0
		.amdhsa_system_sgpr_workgroup_id_x 1
		.amdhsa_system_sgpr_workgroup_id_y 0
		.amdhsa_system_sgpr_workgroup_id_z 0
		.amdhsa_system_sgpr_workgroup_info 0
		.amdhsa_system_vgpr_workitem_id 0
		.amdhsa_next_free_vgpr 1
		.amdhsa_next_free_sgpr 0
		.amdhsa_reserve_vcc 0
		.amdhsa_reserve_flat_scratch 0
		.amdhsa_float_round_mode_32 0
		.amdhsa_float_round_mode_16_64 0
		.amdhsa_float_denorm_mode_32 3
		.amdhsa_float_denorm_mode_16_64 3
		.amdhsa_dx10_clamp 1
		.amdhsa_ieee_mode 1
		.amdhsa_fp16_overflow 0
		.amdhsa_exception_fp_ieee_invalid_op 0
		.amdhsa_exception_fp_denorm_src 0
		.amdhsa_exception_fp_ieee_div_zero 0
		.amdhsa_exception_fp_ieee_overflow 0
		.amdhsa_exception_fp_ieee_underflow 0
		.amdhsa_exception_fp_ieee_inexact 0
		.amdhsa_exception_int_div_zero 0
	.end_amdhsa_kernel
	.section	.text._ZN7rocprim17ROCPRIM_400000_NS6detail17trampoline_kernelINS0_14default_configENS1_25partition_config_selectorILNS1_17partition_subalgoE8ExNS0_10empty_typeEbEEZZNS1_14partition_implILS5_8ELb0ES3_jN6thrust23THRUST_200600_302600_NS6detail15normal_iteratorINSA_10device_ptrIxEEEEPS6_PKS6_NS0_5tupleIJSF_S6_EEENSJ_IJSG_SG_EEENS0_18inequality_wrapperINSA_8equal_toIxEEEEPmJS6_EEE10hipError_tPvRmT3_T4_T5_T6_T7_T9_mT8_P12ihipStream_tbDpT10_ENKUlT_T0_E_clISt17integral_constantIbLb0EES19_IbLb1EEEEDaS15_S16_EUlS15_E_NS1_11comp_targetILNS1_3genE10ELNS1_11target_archE1200ELNS1_3gpuE4ELNS1_3repE0EEENS1_30default_config_static_selectorELNS0_4arch9wavefront6targetE1EEEvT1_,"axG",@progbits,_ZN7rocprim17ROCPRIM_400000_NS6detail17trampoline_kernelINS0_14default_configENS1_25partition_config_selectorILNS1_17partition_subalgoE8ExNS0_10empty_typeEbEEZZNS1_14partition_implILS5_8ELb0ES3_jN6thrust23THRUST_200600_302600_NS6detail15normal_iteratorINSA_10device_ptrIxEEEEPS6_PKS6_NS0_5tupleIJSF_S6_EEENSJ_IJSG_SG_EEENS0_18inequality_wrapperINSA_8equal_toIxEEEEPmJS6_EEE10hipError_tPvRmT3_T4_T5_T6_T7_T9_mT8_P12ihipStream_tbDpT10_ENKUlT_T0_E_clISt17integral_constantIbLb0EES19_IbLb1EEEEDaS15_S16_EUlS15_E_NS1_11comp_targetILNS1_3genE10ELNS1_11target_archE1200ELNS1_3gpuE4ELNS1_3repE0EEENS1_30default_config_static_selectorELNS0_4arch9wavefront6targetE1EEEvT1_,comdat
.Lfunc_end369:
	.size	_ZN7rocprim17ROCPRIM_400000_NS6detail17trampoline_kernelINS0_14default_configENS1_25partition_config_selectorILNS1_17partition_subalgoE8ExNS0_10empty_typeEbEEZZNS1_14partition_implILS5_8ELb0ES3_jN6thrust23THRUST_200600_302600_NS6detail15normal_iteratorINSA_10device_ptrIxEEEEPS6_PKS6_NS0_5tupleIJSF_S6_EEENSJ_IJSG_SG_EEENS0_18inequality_wrapperINSA_8equal_toIxEEEEPmJS6_EEE10hipError_tPvRmT3_T4_T5_T6_T7_T9_mT8_P12ihipStream_tbDpT10_ENKUlT_T0_E_clISt17integral_constantIbLb0EES19_IbLb1EEEEDaS15_S16_EUlS15_E_NS1_11comp_targetILNS1_3genE10ELNS1_11target_archE1200ELNS1_3gpuE4ELNS1_3repE0EEENS1_30default_config_static_selectorELNS0_4arch9wavefront6targetE1EEEvT1_, .Lfunc_end369-_ZN7rocprim17ROCPRIM_400000_NS6detail17trampoline_kernelINS0_14default_configENS1_25partition_config_selectorILNS1_17partition_subalgoE8ExNS0_10empty_typeEbEEZZNS1_14partition_implILS5_8ELb0ES3_jN6thrust23THRUST_200600_302600_NS6detail15normal_iteratorINSA_10device_ptrIxEEEEPS6_PKS6_NS0_5tupleIJSF_S6_EEENSJ_IJSG_SG_EEENS0_18inequality_wrapperINSA_8equal_toIxEEEEPmJS6_EEE10hipError_tPvRmT3_T4_T5_T6_T7_T9_mT8_P12ihipStream_tbDpT10_ENKUlT_T0_E_clISt17integral_constantIbLb0EES19_IbLb1EEEEDaS15_S16_EUlS15_E_NS1_11comp_targetILNS1_3genE10ELNS1_11target_archE1200ELNS1_3gpuE4ELNS1_3repE0EEENS1_30default_config_static_selectorELNS0_4arch9wavefront6targetE1EEEvT1_
                                        ; -- End function
	.set _ZN7rocprim17ROCPRIM_400000_NS6detail17trampoline_kernelINS0_14default_configENS1_25partition_config_selectorILNS1_17partition_subalgoE8ExNS0_10empty_typeEbEEZZNS1_14partition_implILS5_8ELb0ES3_jN6thrust23THRUST_200600_302600_NS6detail15normal_iteratorINSA_10device_ptrIxEEEEPS6_PKS6_NS0_5tupleIJSF_S6_EEENSJ_IJSG_SG_EEENS0_18inequality_wrapperINSA_8equal_toIxEEEEPmJS6_EEE10hipError_tPvRmT3_T4_T5_T6_T7_T9_mT8_P12ihipStream_tbDpT10_ENKUlT_T0_E_clISt17integral_constantIbLb0EES19_IbLb1EEEEDaS15_S16_EUlS15_E_NS1_11comp_targetILNS1_3genE10ELNS1_11target_archE1200ELNS1_3gpuE4ELNS1_3repE0EEENS1_30default_config_static_selectorELNS0_4arch9wavefront6targetE1EEEvT1_.num_vgpr, 0
	.set _ZN7rocprim17ROCPRIM_400000_NS6detail17trampoline_kernelINS0_14default_configENS1_25partition_config_selectorILNS1_17partition_subalgoE8ExNS0_10empty_typeEbEEZZNS1_14partition_implILS5_8ELb0ES3_jN6thrust23THRUST_200600_302600_NS6detail15normal_iteratorINSA_10device_ptrIxEEEEPS6_PKS6_NS0_5tupleIJSF_S6_EEENSJ_IJSG_SG_EEENS0_18inequality_wrapperINSA_8equal_toIxEEEEPmJS6_EEE10hipError_tPvRmT3_T4_T5_T6_T7_T9_mT8_P12ihipStream_tbDpT10_ENKUlT_T0_E_clISt17integral_constantIbLb0EES19_IbLb1EEEEDaS15_S16_EUlS15_E_NS1_11comp_targetILNS1_3genE10ELNS1_11target_archE1200ELNS1_3gpuE4ELNS1_3repE0EEENS1_30default_config_static_selectorELNS0_4arch9wavefront6targetE1EEEvT1_.num_agpr, 0
	.set _ZN7rocprim17ROCPRIM_400000_NS6detail17trampoline_kernelINS0_14default_configENS1_25partition_config_selectorILNS1_17partition_subalgoE8ExNS0_10empty_typeEbEEZZNS1_14partition_implILS5_8ELb0ES3_jN6thrust23THRUST_200600_302600_NS6detail15normal_iteratorINSA_10device_ptrIxEEEEPS6_PKS6_NS0_5tupleIJSF_S6_EEENSJ_IJSG_SG_EEENS0_18inequality_wrapperINSA_8equal_toIxEEEEPmJS6_EEE10hipError_tPvRmT3_T4_T5_T6_T7_T9_mT8_P12ihipStream_tbDpT10_ENKUlT_T0_E_clISt17integral_constantIbLb0EES19_IbLb1EEEEDaS15_S16_EUlS15_E_NS1_11comp_targetILNS1_3genE10ELNS1_11target_archE1200ELNS1_3gpuE4ELNS1_3repE0EEENS1_30default_config_static_selectorELNS0_4arch9wavefront6targetE1EEEvT1_.numbered_sgpr, 0
	.set _ZN7rocprim17ROCPRIM_400000_NS6detail17trampoline_kernelINS0_14default_configENS1_25partition_config_selectorILNS1_17partition_subalgoE8ExNS0_10empty_typeEbEEZZNS1_14partition_implILS5_8ELb0ES3_jN6thrust23THRUST_200600_302600_NS6detail15normal_iteratorINSA_10device_ptrIxEEEEPS6_PKS6_NS0_5tupleIJSF_S6_EEENSJ_IJSG_SG_EEENS0_18inequality_wrapperINSA_8equal_toIxEEEEPmJS6_EEE10hipError_tPvRmT3_T4_T5_T6_T7_T9_mT8_P12ihipStream_tbDpT10_ENKUlT_T0_E_clISt17integral_constantIbLb0EES19_IbLb1EEEEDaS15_S16_EUlS15_E_NS1_11comp_targetILNS1_3genE10ELNS1_11target_archE1200ELNS1_3gpuE4ELNS1_3repE0EEENS1_30default_config_static_selectorELNS0_4arch9wavefront6targetE1EEEvT1_.num_named_barrier, 0
	.set _ZN7rocprim17ROCPRIM_400000_NS6detail17trampoline_kernelINS0_14default_configENS1_25partition_config_selectorILNS1_17partition_subalgoE8ExNS0_10empty_typeEbEEZZNS1_14partition_implILS5_8ELb0ES3_jN6thrust23THRUST_200600_302600_NS6detail15normal_iteratorINSA_10device_ptrIxEEEEPS6_PKS6_NS0_5tupleIJSF_S6_EEENSJ_IJSG_SG_EEENS0_18inequality_wrapperINSA_8equal_toIxEEEEPmJS6_EEE10hipError_tPvRmT3_T4_T5_T6_T7_T9_mT8_P12ihipStream_tbDpT10_ENKUlT_T0_E_clISt17integral_constantIbLb0EES19_IbLb1EEEEDaS15_S16_EUlS15_E_NS1_11comp_targetILNS1_3genE10ELNS1_11target_archE1200ELNS1_3gpuE4ELNS1_3repE0EEENS1_30default_config_static_selectorELNS0_4arch9wavefront6targetE1EEEvT1_.private_seg_size, 0
	.set _ZN7rocprim17ROCPRIM_400000_NS6detail17trampoline_kernelINS0_14default_configENS1_25partition_config_selectorILNS1_17partition_subalgoE8ExNS0_10empty_typeEbEEZZNS1_14partition_implILS5_8ELb0ES3_jN6thrust23THRUST_200600_302600_NS6detail15normal_iteratorINSA_10device_ptrIxEEEEPS6_PKS6_NS0_5tupleIJSF_S6_EEENSJ_IJSG_SG_EEENS0_18inequality_wrapperINSA_8equal_toIxEEEEPmJS6_EEE10hipError_tPvRmT3_T4_T5_T6_T7_T9_mT8_P12ihipStream_tbDpT10_ENKUlT_T0_E_clISt17integral_constantIbLb0EES19_IbLb1EEEEDaS15_S16_EUlS15_E_NS1_11comp_targetILNS1_3genE10ELNS1_11target_archE1200ELNS1_3gpuE4ELNS1_3repE0EEENS1_30default_config_static_selectorELNS0_4arch9wavefront6targetE1EEEvT1_.uses_vcc, 0
	.set _ZN7rocprim17ROCPRIM_400000_NS6detail17trampoline_kernelINS0_14default_configENS1_25partition_config_selectorILNS1_17partition_subalgoE8ExNS0_10empty_typeEbEEZZNS1_14partition_implILS5_8ELb0ES3_jN6thrust23THRUST_200600_302600_NS6detail15normal_iteratorINSA_10device_ptrIxEEEEPS6_PKS6_NS0_5tupleIJSF_S6_EEENSJ_IJSG_SG_EEENS0_18inequality_wrapperINSA_8equal_toIxEEEEPmJS6_EEE10hipError_tPvRmT3_T4_T5_T6_T7_T9_mT8_P12ihipStream_tbDpT10_ENKUlT_T0_E_clISt17integral_constantIbLb0EES19_IbLb1EEEEDaS15_S16_EUlS15_E_NS1_11comp_targetILNS1_3genE10ELNS1_11target_archE1200ELNS1_3gpuE4ELNS1_3repE0EEENS1_30default_config_static_selectorELNS0_4arch9wavefront6targetE1EEEvT1_.uses_flat_scratch, 0
	.set _ZN7rocprim17ROCPRIM_400000_NS6detail17trampoline_kernelINS0_14default_configENS1_25partition_config_selectorILNS1_17partition_subalgoE8ExNS0_10empty_typeEbEEZZNS1_14partition_implILS5_8ELb0ES3_jN6thrust23THRUST_200600_302600_NS6detail15normal_iteratorINSA_10device_ptrIxEEEEPS6_PKS6_NS0_5tupleIJSF_S6_EEENSJ_IJSG_SG_EEENS0_18inequality_wrapperINSA_8equal_toIxEEEEPmJS6_EEE10hipError_tPvRmT3_T4_T5_T6_T7_T9_mT8_P12ihipStream_tbDpT10_ENKUlT_T0_E_clISt17integral_constantIbLb0EES19_IbLb1EEEEDaS15_S16_EUlS15_E_NS1_11comp_targetILNS1_3genE10ELNS1_11target_archE1200ELNS1_3gpuE4ELNS1_3repE0EEENS1_30default_config_static_selectorELNS0_4arch9wavefront6targetE1EEEvT1_.has_dyn_sized_stack, 0
	.set _ZN7rocprim17ROCPRIM_400000_NS6detail17trampoline_kernelINS0_14default_configENS1_25partition_config_selectorILNS1_17partition_subalgoE8ExNS0_10empty_typeEbEEZZNS1_14partition_implILS5_8ELb0ES3_jN6thrust23THRUST_200600_302600_NS6detail15normal_iteratorINSA_10device_ptrIxEEEEPS6_PKS6_NS0_5tupleIJSF_S6_EEENSJ_IJSG_SG_EEENS0_18inequality_wrapperINSA_8equal_toIxEEEEPmJS6_EEE10hipError_tPvRmT3_T4_T5_T6_T7_T9_mT8_P12ihipStream_tbDpT10_ENKUlT_T0_E_clISt17integral_constantIbLb0EES19_IbLb1EEEEDaS15_S16_EUlS15_E_NS1_11comp_targetILNS1_3genE10ELNS1_11target_archE1200ELNS1_3gpuE4ELNS1_3repE0EEENS1_30default_config_static_selectorELNS0_4arch9wavefront6targetE1EEEvT1_.has_recursion, 0
	.set _ZN7rocprim17ROCPRIM_400000_NS6detail17trampoline_kernelINS0_14default_configENS1_25partition_config_selectorILNS1_17partition_subalgoE8ExNS0_10empty_typeEbEEZZNS1_14partition_implILS5_8ELb0ES3_jN6thrust23THRUST_200600_302600_NS6detail15normal_iteratorINSA_10device_ptrIxEEEEPS6_PKS6_NS0_5tupleIJSF_S6_EEENSJ_IJSG_SG_EEENS0_18inequality_wrapperINSA_8equal_toIxEEEEPmJS6_EEE10hipError_tPvRmT3_T4_T5_T6_T7_T9_mT8_P12ihipStream_tbDpT10_ENKUlT_T0_E_clISt17integral_constantIbLb0EES19_IbLb1EEEEDaS15_S16_EUlS15_E_NS1_11comp_targetILNS1_3genE10ELNS1_11target_archE1200ELNS1_3gpuE4ELNS1_3repE0EEENS1_30default_config_static_selectorELNS0_4arch9wavefront6targetE1EEEvT1_.has_indirect_call, 0
	.section	.AMDGPU.csdata,"",@progbits
; Kernel info:
; codeLenInByte = 0
; TotalNumSgprs: 4
; NumVgprs: 0
; ScratchSize: 0
; MemoryBound: 0
; FloatMode: 240
; IeeeMode: 1
; LDSByteSize: 0 bytes/workgroup (compile time only)
; SGPRBlocks: 0
; VGPRBlocks: 0
; NumSGPRsForWavesPerEU: 4
; NumVGPRsForWavesPerEU: 1
; Occupancy: 10
; WaveLimiterHint : 0
; COMPUTE_PGM_RSRC2:SCRATCH_EN: 0
; COMPUTE_PGM_RSRC2:USER_SGPR: 6
; COMPUTE_PGM_RSRC2:TRAP_HANDLER: 0
; COMPUTE_PGM_RSRC2:TGID_X_EN: 1
; COMPUTE_PGM_RSRC2:TGID_Y_EN: 0
; COMPUTE_PGM_RSRC2:TGID_Z_EN: 0
; COMPUTE_PGM_RSRC2:TIDIG_COMP_CNT: 0
	.section	.text._ZN7rocprim17ROCPRIM_400000_NS6detail17trampoline_kernelINS0_14default_configENS1_25partition_config_selectorILNS1_17partition_subalgoE8ExNS0_10empty_typeEbEEZZNS1_14partition_implILS5_8ELb0ES3_jN6thrust23THRUST_200600_302600_NS6detail15normal_iteratorINSA_10device_ptrIxEEEEPS6_PKS6_NS0_5tupleIJSF_S6_EEENSJ_IJSG_SG_EEENS0_18inequality_wrapperINSA_8equal_toIxEEEEPmJS6_EEE10hipError_tPvRmT3_T4_T5_T6_T7_T9_mT8_P12ihipStream_tbDpT10_ENKUlT_T0_E_clISt17integral_constantIbLb0EES19_IbLb1EEEEDaS15_S16_EUlS15_E_NS1_11comp_targetILNS1_3genE9ELNS1_11target_archE1100ELNS1_3gpuE3ELNS1_3repE0EEENS1_30default_config_static_selectorELNS0_4arch9wavefront6targetE1EEEvT1_,"axG",@progbits,_ZN7rocprim17ROCPRIM_400000_NS6detail17trampoline_kernelINS0_14default_configENS1_25partition_config_selectorILNS1_17partition_subalgoE8ExNS0_10empty_typeEbEEZZNS1_14partition_implILS5_8ELb0ES3_jN6thrust23THRUST_200600_302600_NS6detail15normal_iteratorINSA_10device_ptrIxEEEEPS6_PKS6_NS0_5tupleIJSF_S6_EEENSJ_IJSG_SG_EEENS0_18inequality_wrapperINSA_8equal_toIxEEEEPmJS6_EEE10hipError_tPvRmT3_T4_T5_T6_T7_T9_mT8_P12ihipStream_tbDpT10_ENKUlT_T0_E_clISt17integral_constantIbLb0EES19_IbLb1EEEEDaS15_S16_EUlS15_E_NS1_11comp_targetILNS1_3genE9ELNS1_11target_archE1100ELNS1_3gpuE3ELNS1_3repE0EEENS1_30default_config_static_selectorELNS0_4arch9wavefront6targetE1EEEvT1_,comdat
	.protected	_ZN7rocprim17ROCPRIM_400000_NS6detail17trampoline_kernelINS0_14default_configENS1_25partition_config_selectorILNS1_17partition_subalgoE8ExNS0_10empty_typeEbEEZZNS1_14partition_implILS5_8ELb0ES3_jN6thrust23THRUST_200600_302600_NS6detail15normal_iteratorINSA_10device_ptrIxEEEEPS6_PKS6_NS0_5tupleIJSF_S6_EEENSJ_IJSG_SG_EEENS0_18inequality_wrapperINSA_8equal_toIxEEEEPmJS6_EEE10hipError_tPvRmT3_T4_T5_T6_T7_T9_mT8_P12ihipStream_tbDpT10_ENKUlT_T0_E_clISt17integral_constantIbLb0EES19_IbLb1EEEEDaS15_S16_EUlS15_E_NS1_11comp_targetILNS1_3genE9ELNS1_11target_archE1100ELNS1_3gpuE3ELNS1_3repE0EEENS1_30default_config_static_selectorELNS0_4arch9wavefront6targetE1EEEvT1_ ; -- Begin function _ZN7rocprim17ROCPRIM_400000_NS6detail17trampoline_kernelINS0_14default_configENS1_25partition_config_selectorILNS1_17partition_subalgoE8ExNS0_10empty_typeEbEEZZNS1_14partition_implILS5_8ELb0ES3_jN6thrust23THRUST_200600_302600_NS6detail15normal_iteratorINSA_10device_ptrIxEEEEPS6_PKS6_NS0_5tupleIJSF_S6_EEENSJ_IJSG_SG_EEENS0_18inequality_wrapperINSA_8equal_toIxEEEEPmJS6_EEE10hipError_tPvRmT3_T4_T5_T6_T7_T9_mT8_P12ihipStream_tbDpT10_ENKUlT_T0_E_clISt17integral_constantIbLb0EES19_IbLb1EEEEDaS15_S16_EUlS15_E_NS1_11comp_targetILNS1_3genE9ELNS1_11target_archE1100ELNS1_3gpuE3ELNS1_3repE0EEENS1_30default_config_static_selectorELNS0_4arch9wavefront6targetE1EEEvT1_
	.globl	_ZN7rocprim17ROCPRIM_400000_NS6detail17trampoline_kernelINS0_14default_configENS1_25partition_config_selectorILNS1_17partition_subalgoE8ExNS0_10empty_typeEbEEZZNS1_14partition_implILS5_8ELb0ES3_jN6thrust23THRUST_200600_302600_NS6detail15normal_iteratorINSA_10device_ptrIxEEEEPS6_PKS6_NS0_5tupleIJSF_S6_EEENSJ_IJSG_SG_EEENS0_18inequality_wrapperINSA_8equal_toIxEEEEPmJS6_EEE10hipError_tPvRmT3_T4_T5_T6_T7_T9_mT8_P12ihipStream_tbDpT10_ENKUlT_T0_E_clISt17integral_constantIbLb0EES19_IbLb1EEEEDaS15_S16_EUlS15_E_NS1_11comp_targetILNS1_3genE9ELNS1_11target_archE1100ELNS1_3gpuE3ELNS1_3repE0EEENS1_30default_config_static_selectorELNS0_4arch9wavefront6targetE1EEEvT1_
	.p2align	8
	.type	_ZN7rocprim17ROCPRIM_400000_NS6detail17trampoline_kernelINS0_14default_configENS1_25partition_config_selectorILNS1_17partition_subalgoE8ExNS0_10empty_typeEbEEZZNS1_14partition_implILS5_8ELb0ES3_jN6thrust23THRUST_200600_302600_NS6detail15normal_iteratorINSA_10device_ptrIxEEEEPS6_PKS6_NS0_5tupleIJSF_S6_EEENSJ_IJSG_SG_EEENS0_18inequality_wrapperINSA_8equal_toIxEEEEPmJS6_EEE10hipError_tPvRmT3_T4_T5_T6_T7_T9_mT8_P12ihipStream_tbDpT10_ENKUlT_T0_E_clISt17integral_constantIbLb0EES19_IbLb1EEEEDaS15_S16_EUlS15_E_NS1_11comp_targetILNS1_3genE9ELNS1_11target_archE1100ELNS1_3gpuE3ELNS1_3repE0EEENS1_30default_config_static_selectorELNS0_4arch9wavefront6targetE1EEEvT1_,@function
_ZN7rocprim17ROCPRIM_400000_NS6detail17trampoline_kernelINS0_14default_configENS1_25partition_config_selectorILNS1_17partition_subalgoE8ExNS0_10empty_typeEbEEZZNS1_14partition_implILS5_8ELb0ES3_jN6thrust23THRUST_200600_302600_NS6detail15normal_iteratorINSA_10device_ptrIxEEEEPS6_PKS6_NS0_5tupleIJSF_S6_EEENSJ_IJSG_SG_EEENS0_18inequality_wrapperINSA_8equal_toIxEEEEPmJS6_EEE10hipError_tPvRmT3_T4_T5_T6_T7_T9_mT8_P12ihipStream_tbDpT10_ENKUlT_T0_E_clISt17integral_constantIbLb0EES19_IbLb1EEEEDaS15_S16_EUlS15_E_NS1_11comp_targetILNS1_3genE9ELNS1_11target_archE1100ELNS1_3gpuE3ELNS1_3repE0EEENS1_30default_config_static_selectorELNS0_4arch9wavefront6targetE1EEEvT1_: ; @_ZN7rocprim17ROCPRIM_400000_NS6detail17trampoline_kernelINS0_14default_configENS1_25partition_config_selectorILNS1_17partition_subalgoE8ExNS0_10empty_typeEbEEZZNS1_14partition_implILS5_8ELb0ES3_jN6thrust23THRUST_200600_302600_NS6detail15normal_iteratorINSA_10device_ptrIxEEEEPS6_PKS6_NS0_5tupleIJSF_S6_EEENSJ_IJSG_SG_EEENS0_18inequality_wrapperINSA_8equal_toIxEEEEPmJS6_EEE10hipError_tPvRmT3_T4_T5_T6_T7_T9_mT8_P12ihipStream_tbDpT10_ENKUlT_T0_E_clISt17integral_constantIbLb0EES19_IbLb1EEEEDaS15_S16_EUlS15_E_NS1_11comp_targetILNS1_3genE9ELNS1_11target_archE1100ELNS1_3gpuE3ELNS1_3repE0EEENS1_30default_config_static_selectorELNS0_4arch9wavefront6targetE1EEEvT1_
; %bb.0:
	.section	.rodata,"a",@progbits
	.p2align	6, 0x0
	.amdhsa_kernel _ZN7rocprim17ROCPRIM_400000_NS6detail17trampoline_kernelINS0_14default_configENS1_25partition_config_selectorILNS1_17partition_subalgoE8ExNS0_10empty_typeEbEEZZNS1_14partition_implILS5_8ELb0ES3_jN6thrust23THRUST_200600_302600_NS6detail15normal_iteratorINSA_10device_ptrIxEEEEPS6_PKS6_NS0_5tupleIJSF_S6_EEENSJ_IJSG_SG_EEENS0_18inequality_wrapperINSA_8equal_toIxEEEEPmJS6_EEE10hipError_tPvRmT3_T4_T5_T6_T7_T9_mT8_P12ihipStream_tbDpT10_ENKUlT_T0_E_clISt17integral_constantIbLb0EES19_IbLb1EEEEDaS15_S16_EUlS15_E_NS1_11comp_targetILNS1_3genE9ELNS1_11target_archE1100ELNS1_3gpuE3ELNS1_3repE0EEENS1_30default_config_static_selectorELNS0_4arch9wavefront6targetE1EEEvT1_
		.amdhsa_group_segment_fixed_size 0
		.amdhsa_private_segment_fixed_size 0
		.amdhsa_kernarg_size 128
		.amdhsa_user_sgpr_count 6
		.amdhsa_user_sgpr_private_segment_buffer 1
		.amdhsa_user_sgpr_dispatch_ptr 0
		.amdhsa_user_sgpr_queue_ptr 0
		.amdhsa_user_sgpr_kernarg_segment_ptr 1
		.amdhsa_user_sgpr_dispatch_id 0
		.amdhsa_user_sgpr_flat_scratch_init 0
		.amdhsa_user_sgpr_private_segment_size 0
		.amdhsa_uses_dynamic_stack 0
		.amdhsa_system_sgpr_private_segment_wavefront_offset 0
		.amdhsa_system_sgpr_workgroup_id_x 1
		.amdhsa_system_sgpr_workgroup_id_y 0
		.amdhsa_system_sgpr_workgroup_id_z 0
		.amdhsa_system_sgpr_workgroup_info 0
		.amdhsa_system_vgpr_workitem_id 0
		.amdhsa_next_free_vgpr 1
		.amdhsa_next_free_sgpr 0
		.amdhsa_reserve_vcc 0
		.amdhsa_reserve_flat_scratch 0
		.amdhsa_float_round_mode_32 0
		.amdhsa_float_round_mode_16_64 0
		.amdhsa_float_denorm_mode_32 3
		.amdhsa_float_denorm_mode_16_64 3
		.amdhsa_dx10_clamp 1
		.amdhsa_ieee_mode 1
		.amdhsa_fp16_overflow 0
		.amdhsa_exception_fp_ieee_invalid_op 0
		.amdhsa_exception_fp_denorm_src 0
		.amdhsa_exception_fp_ieee_div_zero 0
		.amdhsa_exception_fp_ieee_overflow 0
		.amdhsa_exception_fp_ieee_underflow 0
		.amdhsa_exception_fp_ieee_inexact 0
		.amdhsa_exception_int_div_zero 0
	.end_amdhsa_kernel
	.section	.text._ZN7rocprim17ROCPRIM_400000_NS6detail17trampoline_kernelINS0_14default_configENS1_25partition_config_selectorILNS1_17partition_subalgoE8ExNS0_10empty_typeEbEEZZNS1_14partition_implILS5_8ELb0ES3_jN6thrust23THRUST_200600_302600_NS6detail15normal_iteratorINSA_10device_ptrIxEEEEPS6_PKS6_NS0_5tupleIJSF_S6_EEENSJ_IJSG_SG_EEENS0_18inequality_wrapperINSA_8equal_toIxEEEEPmJS6_EEE10hipError_tPvRmT3_T4_T5_T6_T7_T9_mT8_P12ihipStream_tbDpT10_ENKUlT_T0_E_clISt17integral_constantIbLb0EES19_IbLb1EEEEDaS15_S16_EUlS15_E_NS1_11comp_targetILNS1_3genE9ELNS1_11target_archE1100ELNS1_3gpuE3ELNS1_3repE0EEENS1_30default_config_static_selectorELNS0_4arch9wavefront6targetE1EEEvT1_,"axG",@progbits,_ZN7rocprim17ROCPRIM_400000_NS6detail17trampoline_kernelINS0_14default_configENS1_25partition_config_selectorILNS1_17partition_subalgoE8ExNS0_10empty_typeEbEEZZNS1_14partition_implILS5_8ELb0ES3_jN6thrust23THRUST_200600_302600_NS6detail15normal_iteratorINSA_10device_ptrIxEEEEPS6_PKS6_NS0_5tupleIJSF_S6_EEENSJ_IJSG_SG_EEENS0_18inequality_wrapperINSA_8equal_toIxEEEEPmJS6_EEE10hipError_tPvRmT3_T4_T5_T6_T7_T9_mT8_P12ihipStream_tbDpT10_ENKUlT_T0_E_clISt17integral_constantIbLb0EES19_IbLb1EEEEDaS15_S16_EUlS15_E_NS1_11comp_targetILNS1_3genE9ELNS1_11target_archE1100ELNS1_3gpuE3ELNS1_3repE0EEENS1_30default_config_static_selectorELNS0_4arch9wavefront6targetE1EEEvT1_,comdat
.Lfunc_end370:
	.size	_ZN7rocprim17ROCPRIM_400000_NS6detail17trampoline_kernelINS0_14default_configENS1_25partition_config_selectorILNS1_17partition_subalgoE8ExNS0_10empty_typeEbEEZZNS1_14partition_implILS5_8ELb0ES3_jN6thrust23THRUST_200600_302600_NS6detail15normal_iteratorINSA_10device_ptrIxEEEEPS6_PKS6_NS0_5tupleIJSF_S6_EEENSJ_IJSG_SG_EEENS0_18inequality_wrapperINSA_8equal_toIxEEEEPmJS6_EEE10hipError_tPvRmT3_T4_T5_T6_T7_T9_mT8_P12ihipStream_tbDpT10_ENKUlT_T0_E_clISt17integral_constantIbLb0EES19_IbLb1EEEEDaS15_S16_EUlS15_E_NS1_11comp_targetILNS1_3genE9ELNS1_11target_archE1100ELNS1_3gpuE3ELNS1_3repE0EEENS1_30default_config_static_selectorELNS0_4arch9wavefront6targetE1EEEvT1_, .Lfunc_end370-_ZN7rocprim17ROCPRIM_400000_NS6detail17trampoline_kernelINS0_14default_configENS1_25partition_config_selectorILNS1_17partition_subalgoE8ExNS0_10empty_typeEbEEZZNS1_14partition_implILS5_8ELb0ES3_jN6thrust23THRUST_200600_302600_NS6detail15normal_iteratorINSA_10device_ptrIxEEEEPS6_PKS6_NS0_5tupleIJSF_S6_EEENSJ_IJSG_SG_EEENS0_18inequality_wrapperINSA_8equal_toIxEEEEPmJS6_EEE10hipError_tPvRmT3_T4_T5_T6_T7_T9_mT8_P12ihipStream_tbDpT10_ENKUlT_T0_E_clISt17integral_constantIbLb0EES19_IbLb1EEEEDaS15_S16_EUlS15_E_NS1_11comp_targetILNS1_3genE9ELNS1_11target_archE1100ELNS1_3gpuE3ELNS1_3repE0EEENS1_30default_config_static_selectorELNS0_4arch9wavefront6targetE1EEEvT1_
                                        ; -- End function
	.set _ZN7rocprim17ROCPRIM_400000_NS6detail17trampoline_kernelINS0_14default_configENS1_25partition_config_selectorILNS1_17partition_subalgoE8ExNS0_10empty_typeEbEEZZNS1_14partition_implILS5_8ELb0ES3_jN6thrust23THRUST_200600_302600_NS6detail15normal_iteratorINSA_10device_ptrIxEEEEPS6_PKS6_NS0_5tupleIJSF_S6_EEENSJ_IJSG_SG_EEENS0_18inequality_wrapperINSA_8equal_toIxEEEEPmJS6_EEE10hipError_tPvRmT3_T4_T5_T6_T7_T9_mT8_P12ihipStream_tbDpT10_ENKUlT_T0_E_clISt17integral_constantIbLb0EES19_IbLb1EEEEDaS15_S16_EUlS15_E_NS1_11comp_targetILNS1_3genE9ELNS1_11target_archE1100ELNS1_3gpuE3ELNS1_3repE0EEENS1_30default_config_static_selectorELNS0_4arch9wavefront6targetE1EEEvT1_.num_vgpr, 0
	.set _ZN7rocprim17ROCPRIM_400000_NS6detail17trampoline_kernelINS0_14default_configENS1_25partition_config_selectorILNS1_17partition_subalgoE8ExNS0_10empty_typeEbEEZZNS1_14partition_implILS5_8ELb0ES3_jN6thrust23THRUST_200600_302600_NS6detail15normal_iteratorINSA_10device_ptrIxEEEEPS6_PKS6_NS0_5tupleIJSF_S6_EEENSJ_IJSG_SG_EEENS0_18inequality_wrapperINSA_8equal_toIxEEEEPmJS6_EEE10hipError_tPvRmT3_T4_T5_T6_T7_T9_mT8_P12ihipStream_tbDpT10_ENKUlT_T0_E_clISt17integral_constantIbLb0EES19_IbLb1EEEEDaS15_S16_EUlS15_E_NS1_11comp_targetILNS1_3genE9ELNS1_11target_archE1100ELNS1_3gpuE3ELNS1_3repE0EEENS1_30default_config_static_selectorELNS0_4arch9wavefront6targetE1EEEvT1_.num_agpr, 0
	.set _ZN7rocprim17ROCPRIM_400000_NS6detail17trampoline_kernelINS0_14default_configENS1_25partition_config_selectorILNS1_17partition_subalgoE8ExNS0_10empty_typeEbEEZZNS1_14partition_implILS5_8ELb0ES3_jN6thrust23THRUST_200600_302600_NS6detail15normal_iteratorINSA_10device_ptrIxEEEEPS6_PKS6_NS0_5tupleIJSF_S6_EEENSJ_IJSG_SG_EEENS0_18inequality_wrapperINSA_8equal_toIxEEEEPmJS6_EEE10hipError_tPvRmT3_T4_T5_T6_T7_T9_mT8_P12ihipStream_tbDpT10_ENKUlT_T0_E_clISt17integral_constantIbLb0EES19_IbLb1EEEEDaS15_S16_EUlS15_E_NS1_11comp_targetILNS1_3genE9ELNS1_11target_archE1100ELNS1_3gpuE3ELNS1_3repE0EEENS1_30default_config_static_selectorELNS0_4arch9wavefront6targetE1EEEvT1_.numbered_sgpr, 0
	.set _ZN7rocprim17ROCPRIM_400000_NS6detail17trampoline_kernelINS0_14default_configENS1_25partition_config_selectorILNS1_17partition_subalgoE8ExNS0_10empty_typeEbEEZZNS1_14partition_implILS5_8ELb0ES3_jN6thrust23THRUST_200600_302600_NS6detail15normal_iteratorINSA_10device_ptrIxEEEEPS6_PKS6_NS0_5tupleIJSF_S6_EEENSJ_IJSG_SG_EEENS0_18inequality_wrapperINSA_8equal_toIxEEEEPmJS6_EEE10hipError_tPvRmT3_T4_T5_T6_T7_T9_mT8_P12ihipStream_tbDpT10_ENKUlT_T0_E_clISt17integral_constantIbLb0EES19_IbLb1EEEEDaS15_S16_EUlS15_E_NS1_11comp_targetILNS1_3genE9ELNS1_11target_archE1100ELNS1_3gpuE3ELNS1_3repE0EEENS1_30default_config_static_selectorELNS0_4arch9wavefront6targetE1EEEvT1_.num_named_barrier, 0
	.set _ZN7rocprim17ROCPRIM_400000_NS6detail17trampoline_kernelINS0_14default_configENS1_25partition_config_selectorILNS1_17partition_subalgoE8ExNS0_10empty_typeEbEEZZNS1_14partition_implILS5_8ELb0ES3_jN6thrust23THRUST_200600_302600_NS6detail15normal_iteratorINSA_10device_ptrIxEEEEPS6_PKS6_NS0_5tupleIJSF_S6_EEENSJ_IJSG_SG_EEENS0_18inequality_wrapperINSA_8equal_toIxEEEEPmJS6_EEE10hipError_tPvRmT3_T4_T5_T6_T7_T9_mT8_P12ihipStream_tbDpT10_ENKUlT_T0_E_clISt17integral_constantIbLb0EES19_IbLb1EEEEDaS15_S16_EUlS15_E_NS1_11comp_targetILNS1_3genE9ELNS1_11target_archE1100ELNS1_3gpuE3ELNS1_3repE0EEENS1_30default_config_static_selectorELNS0_4arch9wavefront6targetE1EEEvT1_.private_seg_size, 0
	.set _ZN7rocprim17ROCPRIM_400000_NS6detail17trampoline_kernelINS0_14default_configENS1_25partition_config_selectorILNS1_17partition_subalgoE8ExNS0_10empty_typeEbEEZZNS1_14partition_implILS5_8ELb0ES3_jN6thrust23THRUST_200600_302600_NS6detail15normal_iteratorINSA_10device_ptrIxEEEEPS6_PKS6_NS0_5tupleIJSF_S6_EEENSJ_IJSG_SG_EEENS0_18inequality_wrapperINSA_8equal_toIxEEEEPmJS6_EEE10hipError_tPvRmT3_T4_T5_T6_T7_T9_mT8_P12ihipStream_tbDpT10_ENKUlT_T0_E_clISt17integral_constantIbLb0EES19_IbLb1EEEEDaS15_S16_EUlS15_E_NS1_11comp_targetILNS1_3genE9ELNS1_11target_archE1100ELNS1_3gpuE3ELNS1_3repE0EEENS1_30default_config_static_selectorELNS0_4arch9wavefront6targetE1EEEvT1_.uses_vcc, 0
	.set _ZN7rocprim17ROCPRIM_400000_NS6detail17trampoline_kernelINS0_14default_configENS1_25partition_config_selectorILNS1_17partition_subalgoE8ExNS0_10empty_typeEbEEZZNS1_14partition_implILS5_8ELb0ES3_jN6thrust23THRUST_200600_302600_NS6detail15normal_iteratorINSA_10device_ptrIxEEEEPS6_PKS6_NS0_5tupleIJSF_S6_EEENSJ_IJSG_SG_EEENS0_18inequality_wrapperINSA_8equal_toIxEEEEPmJS6_EEE10hipError_tPvRmT3_T4_T5_T6_T7_T9_mT8_P12ihipStream_tbDpT10_ENKUlT_T0_E_clISt17integral_constantIbLb0EES19_IbLb1EEEEDaS15_S16_EUlS15_E_NS1_11comp_targetILNS1_3genE9ELNS1_11target_archE1100ELNS1_3gpuE3ELNS1_3repE0EEENS1_30default_config_static_selectorELNS0_4arch9wavefront6targetE1EEEvT1_.uses_flat_scratch, 0
	.set _ZN7rocprim17ROCPRIM_400000_NS6detail17trampoline_kernelINS0_14default_configENS1_25partition_config_selectorILNS1_17partition_subalgoE8ExNS0_10empty_typeEbEEZZNS1_14partition_implILS5_8ELb0ES3_jN6thrust23THRUST_200600_302600_NS6detail15normal_iteratorINSA_10device_ptrIxEEEEPS6_PKS6_NS0_5tupleIJSF_S6_EEENSJ_IJSG_SG_EEENS0_18inequality_wrapperINSA_8equal_toIxEEEEPmJS6_EEE10hipError_tPvRmT3_T4_T5_T6_T7_T9_mT8_P12ihipStream_tbDpT10_ENKUlT_T0_E_clISt17integral_constantIbLb0EES19_IbLb1EEEEDaS15_S16_EUlS15_E_NS1_11comp_targetILNS1_3genE9ELNS1_11target_archE1100ELNS1_3gpuE3ELNS1_3repE0EEENS1_30default_config_static_selectorELNS0_4arch9wavefront6targetE1EEEvT1_.has_dyn_sized_stack, 0
	.set _ZN7rocprim17ROCPRIM_400000_NS6detail17trampoline_kernelINS0_14default_configENS1_25partition_config_selectorILNS1_17partition_subalgoE8ExNS0_10empty_typeEbEEZZNS1_14partition_implILS5_8ELb0ES3_jN6thrust23THRUST_200600_302600_NS6detail15normal_iteratorINSA_10device_ptrIxEEEEPS6_PKS6_NS0_5tupleIJSF_S6_EEENSJ_IJSG_SG_EEENS0_18inequality_wrapperINSA_8equal_toIxEEEEPmJS6_EEE10hipError_tPvRmT3_T4_T5_T6_T7_T9_mT8_P12ihipStream_tbDpT10_ENKUlT_T0_E_clISt17integral_constantIbLb0EES19_IbLb1EEEEDaS15_S16_EUlS15_E_NS1_11comp_targetILNS1_3genE9ELNS1_11target_archE1100ELNS1_3gpuE3ELNS1_3repE0EEENS1_30default_config_static_selectorELNS0_4arch9wavefront6targetE1EEEvT1_.has_recursion, 0
	.set _ZN7rocprim17ROCPRIM_400000_NS6detail17trampoline_kernelINS0_14default_configENS1_25partition_config_selectorILNS1_17partition_subalgoE8ExNS0_10empty_typeEbEEZZNS1_14partition_implILS5_8ELb0ES3_jN6thrust23THRUST_200600_302600_NS6detail15normal_iteratorINSA_10device_ptrIxEEEEPS6_PKS6_NS0_5tupleIJSF_S6_EEENSJ_IJSG_SG_EEENS0_18inequality_wrapperINSA_8equal_toIxEEEEPmJS6_EEE10hipError_tPvRmT3_T4_T5_T6_T7_T9_mT8_P12ihipStream_tbDpT10_ENKUlT_T0_E_clISt17integral_constantIbLb0EES19_IbLb1EEEEDaS15_S16_EUlS15_E_NS1_11comp_targetILNS1_3genE9ELNS1_11target_archE1100ELNS1_3gpuE3ELNS1_3repE0EEENS1_30default_config_static_selectorELNS0_4arch9wavefront6targetE1EEEvT1_.has_indirect_call, 0
	.section	.AMDGPU.csdata,"",@progbits
; Kernel info:
; codeLenInByte = 0
; TotalNumSgprs: 4
; NumVgprs: 0
; ScratchSize: 0
; MemoryBound: 0
; FloatMode: 240
; IeeeMode: 1
; LDSByteSize: 0 bytes/workgroup (compile time only)
; SGPRBlocks: 0
; VGPRBlocks: 0
; NumSGPRsForWavesPerEU: 4
; NumVGPRsForWavesPerEU: 1
; Occupancy: 10
; WaveLimiterHint : 0
; COMPUTE_PGM_RSRC2:SCRATCH_EN: 0
; COMPUTE_PGM_RSRC2:USER_SGPR: 6
; COMPUTE_PGM_RSRC2:TRAP_HANDLER: 0
; COMPUTE_PGM_RSRC2:TGID_X_EN: 1
; COMPUTE_PGM_RSRC2:TGID_Y_EN: 0
; COMPUTE_PGM_RSRC2:TGID_Z_EN: 0
; COMPUTE_PGM_RSRC2:TIDIG_COMP_CNT: 0
	.section	.text._ZN7rocprim17ROCPRIM_400000_NS6detail17trampoline_kernelINS0_14default_configENS1_25partition_config_selectorILNS1_17partition_subalgoE8ExNS0_10empty_typeEbEEZZNS1_14partition_implILS5_8ELb0ES3_jN6thrust23THRUST_200600_302600_NS6detail15normal_iteratorINSA_10device_ptrIxEEEEPS6_PKS6_NS0_5tupleIJSF_S6_EEENSJ_IJSG_SG_EEENS0_18inequality_wrapperINSA_8equal_toIxEEEEPmJS6_EEE10hipError_tPvRmT3_T4_T5_T6_T7_T9_mT8_P12ihipStream_tbDpT10_ENKUlT_T0_E_clISt17integral_constantIbLb0EES19_IbLb1EEEEDaS15_S16_EUlS15_E_NS1_11comp_targetILNS1_3genE8ELNS1_11target_archE1030ELNS1_3gpuE2ELNS1_3repE0EEENS1_30default_config_static_selectorELNS0_4arch9wavefront6targetE1EEEvT1_,"axG",@progbits,_ZN7rocprim17ROCPRIM_400000_NS6detail17trampoline_kernelINS0_14default_configENS1_25partition_config_selectorILNS1_17partition_subalgoE8ExNS0_10empty_typeEbEEZZNS1_14partition_implILS5_8ELb0ES3_jN6thrust23THRUST_200600_302600_NS6detail15normal_iteratorINSA_10device_ptrIxEEEEPS6_PKS6_NS0_5tupleIJSF_S6_EEENSJ_IJSG_SG_EEENS0_18inequality_wrapperINSA_8equal_toIxEEEEPmJS6_EEE10hipError_tPvRmT3_T4_T5_T6_T7_T9_mT8_P12ihipStream_tbDpT10_ENKUlT_T0_E_clISt17integral_constantIbLb0EES19_IbLb1EEEEDaS15_S16_EUlS15_E_NS1_11comp_targetILNS1_3genE8ELNS1_11target_archE1030ELNS1_3gpuE2ELNS1_3repE0EEENS1_30default_config_static_selectorELNS0_4arch9wavefront6targetE1EEEvT1_,comdat
	.protected	_ZN7rocprim17ROCPRIM_400000_NS6detail17trampoline_kernelINS0_14default_configENS1_25partition_config_selectorILNS1_17partition_subalgoE8ExNS0_10empty_typeEbEEZZNS1_14partition_implILS5_8ELb0ES3_jN6thrust23THRUST_200600_302600_NS6detail15normal_iteratorINSA_10device_ptrIxEEEEPS6_PKS6_NS0_5tupleIJSF_S6_EEENSJ_IJSG_SG_EEENS0_18inequality_wrapperINSA_8equal_toIxEEEEPmJS6_EEE10hipError_tPvRmT3_T4_T5_T6_T7_T9_mT8_P12ihipStream_tbDpT10_ENKUlT_T0_E_clISt17integral_constantIbLb0EES19_IbLb1EEEEDaS15_S16_EUlS15_E_NS1_11comp_targetILNS1_3genE8ELNS1_11target_archE1030ELNS1_3gpuE2ELNS1_3repE0EEENS1_30default_config_static_selectorELNS0_4arch9wavefront6targetE1EEEvT1_ ; -- Begin function _ZN7rocprim17ROCPRIM_400000_NS6detail17trampoline_kernelINS0_14default_configENS1_25partition_config_selectorILNS1_17partition_subalgoE8ExNS0_10empty_typeEbEEZZNS1_14partition_implILS5_8ELb0ES3_jN6thrust23THRUST_200600_302600_NS6detail15normal_iteratorINSA_10device_ptrIxEEEEPS6_PKS6_NS0_5tupleIJSF_S6_EEENSJ_IJSG_SG_EEENS0_18inequality_wrapperINSA_8equal_toIxEEEEPmJS6_EEE10hipError_tPvRmT3_T4_T5_T6_T7_T9_mT8_P12ihipStream_tbDpT10_ENKUlT_T0_E_clISt17integral_constantIbLb0EES19_IbLb1EEEEDaS15_S16_EUlS15_E_NS1_11comp_targetILNS1_3genE8ELNS1_11target_archE1030ELNS1_3gpuE2ELNS1_3repE0EEENS1_30default_config_static_selectorELNS0_4arch9wavefront6targetE1EEEvT1_
	.globl	_ZN7rocprim17ROCPRIM_400000_NS6detail17trampoline_kernelINS0_14default_configENS1_25partition_config_selectorILNS1_17partition_subalgoE8ExNS0_10empty_typeEbEEZZNS1_14partition_implILS5_8ELb0ES3_jN6thrust23THRUST_200600_302600_NS6detail15normal_iteratorINSA_10device_ptrIxEEEEPS6_PKS6_NS0_5tupleIJSF_S6_EEENSJ_IJSG_SG_EEENS0_18inequality_wrapperINSA_8equal_toIxEEEEPmJS6_EEE10hipError_tPvRmT3_T4_T5_T6_T7_T9_mT8_P12ihipStream_tbDpT10_ENKUlT_T0_E_clISt17integral_constantIbLb0EES19_IbLb1EEEEDaS15_S16_EUlS15_E_NS1_11comp_targetILNS1_3genE8ELNS1_11target_archE1030ELNS1_3gpuE2ELNS1_3repE0EEENS1_30default_config_static_selectorELNS0_4arch9wavefront6targetE1EEEvT1_
	.p2align	8
	.type	_ZN7rocprim17ROCPRIM_400000_NS6detail17trampoline_kernelINS0_14default_configENS1_25partition_config_selectorILNS1_17partition_subalgoE8ExNS0_10empty_typeEbEEZZNS1_14partition_implILS5_8ELb0ES3_jN6thrust23THRUST_200600_302600_NS6detail15normal_iteratorINSA_10device_ptrIxEEEEPS6_PKS6_NS0_5tupleIJSF_S6_EEENSJ_IJSG_SG_EEENS0_18inequality_wrapperINSA_8equal_toIxEEEEPmJS6_EEE10hipError_tPvRmT3_T4_T5_T6_T7_T9_mT8_P12ihipStream_tbDpT10_ENKUlT_T0_E_clISt17integral_constantIbLb0EES19_IbLb1EEEEDaS15_S16_EUlS15_E_NS1_11comp_targetILNS1_3genE8ELNS1_11target_archE1030ELNS1_3gpuE2ELNS1_3repE0EEENS1_30default_config_static_selectorELNS0_4arch9wavefront6targetE1EEEvT1_,@function
_ZN7rocprim17ROCPRIM_400000_NS6detail17trampoline_kernelINS0_14default_configENS1_25partition_config_selectorILNS1_17partition_subalgoE8ExNS0_10empty_typeEbEEZZNS1_14partition_implILS5_8ELb0ES3_jN6thrust23THRUST_200600_302600_NS6detail15normal_iteratorINSA_10device_ptrIxEEEEPS6_PKS6_NS0_5tupleIJSF_S6_EEENSJ_IJSG_SG_EEENS0_18inequality_wrapperINSA_8equal_toIxEEEEPmJS6_EEE10hipError_tPvRmT3_T4_T5_T6_T7_T9_mT8_P12ihipStream_tbDpT10_ENKUlT_T0_E_clISt17integral_constantIbLb0EES19_IbLb1EEEEDaS15_S16_EUlS15_E_NS1_11comp_targetILNS1_3genE8ELNS1_11target_archE1030ELNS1_3gpuE2ELNS1_3repE0EEENS1_30default_config_static_selectorELNS0_4arch9wavefront6targetE1EEEvT1_: ; @_ZN7rocprim17ROCPRIM_400000_NS6detail17trampoline_kernelINS0_14default_configENS1_25partition_config_selectorILNS1_17partition_subalgoE8ExNS0_10empty_typeEbEEZZNS1_14partition_implILS5_8ELb0ES3_jN6thrust23THRUST_200600_302600_NS6detail15normal_iteratorINSA_10device_ptrIxEEEEPS6_PKS6_NS0_5tupleIJSF_S6_EEENSJ_IJSG_SG_EEENS0_18inequality_wrapperINSA_8equal_toIxEEEEPmJS6_EEE10hipError_tPvRmT3_T4_T5_T6_T7_T9_mT8_P12ihipStream_tbDpT10_ENKUlT_T0_E_clISt17integral_constantIbLb0EES19_IbLb1EEEEDaS15_S16_EUlS15_E_NS1_11comp_targetILNS1_3genE8ELNS1_11target_archE1030ELNS1_3gpuE2ELNS1_3repE0EEENS1_30default_config_static_selectorELNS0_4arch9wavefront6targetE1EEEvT1_
; %bb.0:
	.section	.rodata,"a",@progbits
	.p2align	6, 0x0
	.amdhsa_kernel _ZN7rocprim17ROCPRIM_400000_NS6detail17trampoline_kernelINS0_14default_configENS1_25partition_config_selectorILNS1_17partition_subalgoE8ExNS0_10empty_typeEbEEZZNS1_14partition_implILS5_8ELb0ES3_jN6thrust23THRUST_200600_302600_NS6detail15normal_iteratorINSA_10device_ptrIxEEEEPS6_PKS6_NS0_5tupleIJSF_S6_EEENSJ_IJSG_SG_EEENS0_18inequality_wrapperINSA_8equal_toIxEEEEPmJS6_EEE10hipError_tPvRmT3_T4_T5_T6_T7_T9_mT8_P12ihipStream_tbDpT10_ENKUlT_T0_E_clISt17integral_constantIbLb0EES19_IbLb1EEEEDaS15_S16_EUlS15_E_NS1_11comp_targetILNS1_3genE8ELNS1_11target_archE1030ELNS1_3gpuE2ELNS1_3repE0EEENS1_30default_config_static_selectorELNS0_4arch9wavefront6targetE1EEEvT1_
		.amdhsa_group_segment_fixed_size 0
		.amdhsa_private_segment_fixed_size 0
		.amdhsa_kernarg_size 128
		.amdhsa_user_sgpr_count 6
		.amdhsa_user_sgpr_private_segment_buffer 1
		.amdhsa_user_sgpr_dispatch_ptr 0
		.amdhsa_user_sgpr_queue_ptr 0
		.amdhsa_user_sgpr_kernarg_segment_ptr 1
		.amdhsa_user_sgpr_dispatch_id 0
		.amdhsa_user_sgpr_flat_scratch_init 0
		.amdhsa_user_sgpr_private_segment_size 0
		.amdhsa_uses_dynamic_stack 0
		.amdhsa_system_sgpr_private_segment_wavefront_offset 0
		.amdhsa_system_sgpr_workgroup_id_x 1
		.amdhsa_system_sgpr_workgroup_id_y 0
		.amdhsa_system_sgpr_workgroup_id_z 0
		.amdhsa_system_sgpr_workgroup_info 0
		.amdhsa_system_vgpr_workitem_id 0
		.amdhsa_next_free_vgpr 1
		.amdhsa_next_free_sgpr 0
		.amdhsa_reserve_vcc 0
		.amdhsa_reserve_flat_scratch 0
		.amdhsa_float_round_mode_32 0
		.amdhsa_float_round_mode_16_64 0
		.amdhsa_float_denorm_mode_32 3
		.amdhsa_float_denorm_mode_16_64 3
		.amdhsa_dx10_clamp 1
		.amdhsa_ieee_mode 1
		.amdhsa_fp16_overflow 0
		.amdhsa_exception_fp_ieee_invalid_op 0
		.amdhsa_exception_fp_denorm_src 0
		.amdhsa_exception_fp_ieee_div_zero 0
		.amdhsa_exception_fp_ieee_overflow 0
		.amdhsa_exception_fp_ieee_underflow 0
		.amdhsa_exception_fp_ieee_inexact 0
		.amdhsa_exception_int_div_zero 0
	.end_amdhsa_kernel
	.section	.text._ZN7rocprim17ROCPRIM_400000_NS6detail17trampoline_kernelINS0_14default_configENS1_25partition_config_selectorILNS1_17partition_subalgoE8ExNS0_10empty_typeEbEEZZNS1_14partition_implILS5_8ELb0ES3_jN6thrust23THRUST_200600_302600_NS6detail15normal_iteratorINSA_10device_ptrIxEEEEPS6_PKS6_NS0_5tupleIJSF_S6_EEENSJ_IJSG_SG_EEENS0_18inequality_wrapperINSA_8equal_toIxEEEEPmJS6_EEE10hipError_tPvRmT3_T4_T5_T6_T7_T9_mT8_P12ihipStream_tbDpT10_ENKUlT_T0_E_clISt17integral_constantIbLb0EES19_IbLb1EEEEDaS15_S16_EUlS15_E_NS1_11comp_targetILNS1_3genE8ELNS1_11target_archE1030ELNS1_3gpuE2ELNS1_3repE0EEENS1_30default_config_static_selectorELNS0_4arch9wavefront6targetE1EEEvT1_,"axG",@progbits,_ZN7rocprim17ROCPRIM_400000_NS6detail17trampoline_kernelINS0_14default_configENS1_25partition_config_selectorILNS1_17partition_subalgoE8ExNS0_10empty_typeEbEEZZNS1_14partition_implILS5_8ELb0ES3_jN6thrust23THRUST_200600_302600_NS6detail15normal_iteratorINSA_10device_ptrIxEEEEPS6_PKS6_NS0_5tupleIJSF_S6_EEENSJ_IJSG_SG_EEENS0_18inequality_wrapperINSA_8equal_toIxEEEEPmJS6_EEE10hipError_tPvRmT3_T4_T5_T6_T7_T9_mT8_P12ihipStream_tbDpT10_ENKUlT_T0_E_clISt17integral_constantIbLb0EES19_IbLb1EEEEDaS15_S16_EUlS15_E_NS1_11comp_targetILNS1_3genE8ELNS1_11target_archE1030ELNS1_3gpuE2ELNS1_3repE0EEENS1_30default_config_static_selectorELNS0_4arch9wavefront6targetE1EEEvT1_,comdat
.Lfunc_end371:
	.size	_ZN7rocprim17ROCPRIM_400000_NS6detail17trampoline_kernelINS0_14default_configENS1_25partition_config_selectorILNS1_17partition_subalgoE8ExNS0_10empty_typeEbEEZZNS1_14partition_implILS5_8ELb0ES3_jN6thrust23THRUST_200600_302600_NS6detail15normal_iteratorINSA_10device_ptrIxEEEEPS6_PKS6_NS0_5tupleIJSF_S6_EEENSJ_IJSG_SG_EEENS0_18inequality_wrapperINSA_8equal_toIxEEEEPmJS6_EEE10hipError_tPvRmT3_T4_T5_T6_T7_T9_mT8_P12ihipStream_tbDpT10_ENKUlT_T0_E_clISt17integral_constantIbLb0EES19_IbLb1EEEEDaS15_S16_EUlS15_E_NS1_11comp_targetILNS1_3genE8ELNS1_11target_archE1030ELNS1_3gpuE2ELNS1_3repE0EEENS1_30default_config_static_selectorELNS0_4arch9wavefront6targetE1EEEvT1_, .Lfunc_end371-_ZN7rocprim17ROCPRIM_400000_NS6detail17trampoline_kernelINS0_14default_configENS1_25partition_config_selectorILNS1_17partition_subalgoE8ExNS0_10empty_typeEbEEZZNS1_14partition_implILS5_8ELb0ES3_jN6thrust23THRUST_200600_302600_NS6detail15normal_iteratorINSA_10device_ptrIxEEEEPS6_PKS6_NS0_5tupleIJSF_S6_EEENSJ_IJSG_SG_EEENS0_18inequality_wrapperINSA_8equal_toIxEEEEPmJS6_EEE10hipError_tPvRmT3_T4_T5_T6_T7_T9_mT8_P12ihipStream_tbDpT10_ENKUlT_T0_E_clISt17integral_constantIbLb0EES19_IbLb1EEEEDaS15_S16_EUlS15_E_NS1_11comp_targetILNS1_3genE8ELNS1_11target_archE1030ELNS1_3gpuE2ELNS1_3repE0EEENS1_30default_config_static_selectorELNS0_4arch9wavefront6targetE1EEEvT1_
                                        ; -- End function
	.set _ZN7rocprim17ROCPRIM_400000_NS6detail17trampoline_kernelINS0_14default_configENS1_25partition_config_selectorILNS1_17partition_subalgoE8ExNS0_10empty_typeEbEEZZNS1_14partition_implILS5_8ELb0ES3_jN6thrust23THRUST_200600_302600_NS6detail15normal_iteratorINSA_10device_ptrIxEEEEPS6_PKS6_NS0_5tupleIJSF_S6_EEENSJ_IJSG_SG_EEENS0_18inequality_wrapperINSA_8equal_toIxEEEEPmJS6_EEE10hipError_tPvRmT3_T4_T5_T6_T7_T9_mT8_P12ihipStream_tbDpT10_ENKUlT_T0_E_clISt17integral_constantIbLb0EES19_IbLb1EEEEDaS15_S16_EUlS15_E_NS1_11comp_targetILNS1_3genE8ELNS1_11target_archE1030ELNS1_3gpuE2ELNS1_3repE0EEENS1_30default_config_static_selectorELNS0_4arch9wavefront6targetE1EEEvT1_.num_vgpr, 0
	.set _ZN7rocprim17ROCPRIM_400000_NS6detail17trampoline_kernelINS0_14default_configENS1_25partition_config_selectorILNS1_17partition_subalgoE8ExNS0_10empty_typeEbEEZZNS1_14partition_implILS5_8ELb0ES3_jN6thrust23THRUST_200600_302600_NS6detail15normal_iteratorINSA_10device_ptrIxEEEEPS6_PKS6_NS0_5tupleIJSF_S6_EEENSJ_IJSG_SG_EEENS0_18inequality_wrapperINSA_8equal_toIxEEEEPmJS6_EEE10hipError_tPvRmT3_T4_T5_T6_T7_T9_mT8_P12ihipStream_tbDpT10_ENKUlT_T0_E_clISt17integral_constantIbLb0EES19_IbLb1EEEEDaS15_S16_EUlS15_E_NS1_11comp_targetILNS1_3genE8ELNS1_11target_archE1030ELNS1_3gpuE2ELNS1_3repE0EEENS1_30default_config_static_selectorELNS0_4arch9wavefront6targetE1EEEvT1_.num_agpr, 0
	.set _ZN7rocprim17ROCPRIM_400000_NS6detail17trampoline_kernelINS0_14default_configENS1_25partition_config_selectorILNS1_17partition_subalgoE8ExNS0_10empty_typeEbEEZZNS1_14partition_implILS5_8ELb0ES3_jN6thrust23THRUST_200600_302600_NS6detail15normal_iteratorINSA_10device_ptrIxEEEEPS6_PKS6_NS0_5tupleIJSF_S6_EEENSJ_IJSG_SG_EEENS0_18inequality_wrapperINSA_8equal_toIxEEEEPmJS6_EEE10hipError_tPvRmT3_T4_T5_T6_T7_T9_mT8_P12ihipStream_tbDpT10_ENKUlT_T0_E_clISt17integral_constantIbLb0EES19_IbLb1EEEEDaS15_S16_EUlS15_E_NS1_11comp_targetILNS1_3genE8ELNS1_11target_archE1030ELNS1_3gpuE2ELNS1_3repE0EEENS1_30default_config_static_selectorELNS0_4arch9wavefront6targetE1EEEvT1_.numbered_sgpr, 0
	.set _ZN7rocprim17ROCPRIM_400000_NS6detail17trampoline_kernelINS0_14default_configENS1_25partition_config_selectorILNS1_17partition_subalgoE8ExNS0_10empty_typeEbEEZZNS1_14partition_implILS5_8ELb0ES3_jN6thrust23THRUST_200600_302600_NS6detail15normal_iteratorINSA_10device_ptrIxEEEEPS6_PKS6_NS0_5tupleIJSF_S6_EEENSJ_IJSG_SG_EEENS0_18inequality_wrapperINSA_8equal_toIxEEEEPmJS6_EEE10hipError_tPvRmT3_T4_T5_T6_T7_T9_mT8_P12ihipStream_tbDpT10_ENKUlT_T0_E_clISt17integral_constantIbLb0EES19_IbLb1EEEEDaS15_S16_EUlS15_E_NS1_11comp_targetILNS1_3genE8ELNS1_11target_archE1030ELNS1_3gpuE2ELNS1_3repE0EEENS1_30default_config_static_selectorELNS0_4arch9wavefront6targetE1EEEvT1_.num_named_barrier, 0
	.set _ZN7rocprim17ROCPRIM_400000_NS6detail17trampoline_kernelINS0_14default_configENS1_25partition_config_selectorILNS1_17partition_subalgoE8ExNS0_10empty_typeEbEEZZNS1_14partition_implILS5_8ELb0ES3_jN6thrust23THRUST_200600_302600_NS6detail15normal_iteratorINSA_10device_ptrIxEEEEPS6_PKS6_NS0_5tupleIJSF_S6_EEENSJ_IJSG_SG_EEENS0_18inequality_wrapperINSA_8equal_toIxEEEEPmJS6_EEE10hipError_tPvRmT3_T4_T5_T6_T7_T9_mT8_P12ihipStream_tbDpT10_ENKUlT_T0_E_clISt17integral_constantIbLb0EES19_IbLb1EEEEDaS15_S16_EUlS15_E_NS1_11comp_targetILNS1_3genE8ELNS1_11target_archE1030ELNS1_3gpuE2ELNS1_3repE0EEENS1_30default_config_static_selectorELNS0_4arch9wavefront6targetE1EEEvT1_.private_seg_size, 0
	.set _ZN7rocprim17ROCPRIM_400000_NS6detail17trampoline_kernelINS0_14default_configENS1_25partition_config_selectorILNS1_17partition_subalgoE8ExNS0_10empty_typeEbEEZZNS1_14partition_implILS5_8ELb0ES3_jN6thrust23THRUST_200600_302600_NS6detail15normal_iteratorINSA_10device_ptrIxEEEEPS6_PKS6_NS0_5tupleIJSF_S6_EEENSJ_IJSG_SG_EEENS0_18inequality_wrapperINSA_8equal_toIxEEEEPmJS6_EEE10hipError_tPvRmT3_T4_T5_T6_T7_T9_mT8_P12ihipStream_tbDpT10_ENKUlT_T0_E_clISt17integral_constantIbLb0EES19_IbLb1EEEEDaS15_S16_EUlS15_E_NS1_11comp_targetILNS1_3genE8ELNS1_11target_archE1030ELNS1_3gpuE2ELNS1_3repE0EEENS1_30default_config_static_selectorELNS0_4arch9wavefront6targetE1EEEvT1_.uses_vcc, 0
	.set _ZN7rocprim17ROCPRIM_400000_NS6detail17trampoline_kernelINS0_14default_configENS1_25partition_config_selectorILNS1_17partition_subalgoE8ExNS0_10empty_typeEbEEZZNS1_14partition_implILS5_8ELb0ES3_jN6thrust23THRUST_200600_302600_NS6detail15normal_iteratorINSA_10device_ptrIxEEEEPS6_PKS6_NS0_5tupleIJSF_S6_EEENSJ_IJSG_SG_EEENS0_18inequality_wrapperINSA_8equal_toIxEEEEPmJS6_EEE10hipError_tPvRmT3_T4_T5_T6_T7_T9_mT8_P12ihipStream_tbDpT10_ENKUlT_T0_E_clISt17integral_constantIbLb0EES19_IbLb1EEEEDaS15_S16_EUlS15_E_NS1_11comp_targetILNS1_3genE8ELNS1_11target_archE1030ELNS1_3gpuE2ELNS1_3repE0EEENS1_30default_config_static_selectorELNS0_4arch9wavefront6targetE1EEEvT1_.uses_flat_scratch, 0
	.set _ZN7rocprim17ROCPRIM_400000_NS6detail17trampoline_kernelINS0_14default_configENS1_25partition_config_selectorILNS1_17partition_subalgoE8ExNS0_10empty_typeEbEEZZNS1_14partition_implILS5_8ELb0ES3_jN6thrust23THRUST_200600_302600_NS6detail15normal_iteratorINSA_10device_ptrIxEEEEPS6_PKS6_NS0_5tupleIJSF_S6_EEENSJ_IJSG_SG_EEENS0_18inequality_wrapperINSA_8equal_toIxEEEEPmJS6_EEE10hipError_tPvRmT3_T4_T5_T6_T7_T9_mT8_P12ihipStream_tbDpT10_ENKUlT_T0_E_clISt17integral_constantIbLb0EES19_IbLb1EEEEDaS15_S16_EUlS15_E_NS1_11comp_targetILNS1_3genE8ELNS1_11target_archE1030ELNS1_3gpuE2ELNS1_3repE0EEENS1_30default_config_static_selectorELNS0_4arch9wavefront6targetE1EEEvT1_.has_dyn_sized_stack, 0
	.set _ZN7rocprim17ROCPRIM_400000_NS6detail17trampoline_kernelINS0_14default_configENS1_25partition_config_selectorILNS1_17partition_subalgoE8ExNS0_10empty_typeEbEEZZNS1_14partition_implILS5_8ELb0ES3_jN6thrust23THRUST_200600_302600_NS6detail15normal_iteratorINSA_10device_ptrIxEEEEPS6_PKS6_NS0_5tupleIJSF_S6_EEENSJ_IJSG_SG_EEENS0_18inequality_wrapperINSA_8equal_toIxEEEEPmJS6_EEE10hipError_tPvRmT3_T4_T5_T6_T7_T9_mT8_P12ihipStream_tbDpT10_ENKUlT_T0_E_clISt17integral_constantIbLb0EES19_IbLb1EEEEDaS15_S16_EUlS15_E_NS1_11comp_targetILNS1_3genE8ELNS1_11target_archE1030ELNS1_3gpuE2ELNS1_3repE0EEENS1_30default_config_static_selectorELNS0_4arch9wavefront6targetE1EEEvT1_.has_recursion, 0
	.set _ZN7rocprim17ROCPRIM_400000_NS6detail17trampoline_kernelINS0_14default_configENS1_25partition_config_selectorILNS1_17partition_subalgoE8ExNS0_10empty_typeEbEEZZNS1_14partition_implILS5_8ELb0ES3_jN6thrust23THRUST_200600_302600_NS6detail15normal_iteratorINSA_10device_ptrIxEEEEPS6_PKS6_NS0_5tupleIJSF_S6_EEENSJ_IJSG_SG_EEENS0_18inequality_wrapperINSA_8equal_toIxEEEEPmJS6_EEE10hipError_tPvRmT3_T4_T5_T6_T7_T9_mT8_P12ihipStream_tbDpT10_ENKUlT_T0_E_clISt17integral_constantIbLb0EES19_IbLb1EEEEDaS15_S16_EUlS15_E_NS1_11comp_targetILNS1_3genE8ELNS1_11target_archE1030ELNS1_3gpuE2ELNS1_3repE0EEENS1_30default_config_static_selectorELNS0_4arch9wavefront6targetE1EEEvT1_.has_indirect_call, 0
	.section	.AMDGPU.csdata,"",@progbits
; Kernel info:
; codeLenInByte = 0
; TotalNumSgprs: 4
; NumVgprs: 0
; ScratchSize: 0
; MemoryBound: 0
; FloatMode: 240
; IeeeMode: 1
; LDSByteSize: 0 bytes/workgroup (compile time only)
; SGPRBlocks: 0
; VGPRBlocks: 0
; NumSGPRsForWavesPerEU: 4
; NumVGPRsForWavesPerEU: 1
; Occupancy: 10
; WaveLimiterHint : 0
; COMPUTE_PGM_RSRC2:SCRATCH_EN: 0
; COMPUTE_PGM_RSRC2:USER_SGPR: 6
; COMPUTE_PGM_RSRC2:TRAP_HANDLER: 0
; COMPUTE_PGM_RSRC2:TGID_X_EN: 1
; COMPUTE_PGM_RSRC2:TGID_Y_EN: 0
; COMPUTE_PGM_RSRC2:TGID_Z_EN: 0
; COMPUTE_PGM_RSRC2:TIDIG_COMP_CNT: 0
	.section	.text._ZN7rocprim17ROCPRIM_400000_NS6detail17trampoline_kernelINS0_14default_configENS1_25partition_config_selectorILNS1_17partition_subalgoE8ExNS0_10empty_typeEbEEZZNS1_14partition_implILS5_8ELb0ES3_jN6thrust23THRUST_200600_302600_NS6detail15normal_iteratorINSA_10device_ptrIxEEEEPS6_PKS6_NS0_5tupleIJSF_S6_EEENSJ_IJSG_SG_EEENS0_18inequality_wrapperI22is_equal_div_10_uniqueIxEEEPmJS6_EEE10hipError_tPvRmT3_T4_T5_T6_T7_T9_mT8_P12ihipStream_tbDpT10_ENKUlT_T0_E_clISt17integral_constantIbLb0EES1A_EEDaS15_S16_EUlS15_E_NS1_11comp_targetILNS1_3genE0ELNS1_11target_archE4294967295ELNS1_3gpuE0ELNS1_3repE0EEENS1_30default_config_static_selectorELNS0_4arch9wavefront6targetE1EEEvT1_,"axG",@progbits,_ZN7rocprim17ROCPRIM_400000_NS6detail17trampoline_kernelINS0_14default_configENS1_25partition_config_selectorILNS1_17partition_subalgoE8ExNS0_10empty_typeEbEEZZNS1_14partition_implILS5_8ELb0ES3_jN6thrust23THRUST_200600_302600_NS6detail15normal_iteratorINSA_10device_ptrIxEEEEPS6_PKS6_NS0_5tupleIJSF_S6_EEENSJ_IJSG_SG_EEENS0_18inequality_wrapperI22is_equal_div_10_uniqueIxEEEPmJS6_EEE10hipError_tPvRmT3_T4_T5_T6_T7_T9_mT8_P12ihipStream_tbDpT10_ENKUlT_T0_E_clISt17integral_constantIbLb0EES1A_EEDaS15_S16_EUlS15_E_NS1_11comp_targetILNS1_3genE0ELNS1_11target_archE4294967295ELNS1_3gpuE0ELNS1_3repE0EEENS1_30default_config_static_selectorELNS0_4arch9wavefront6targetE1EEEvT1_,comdat
	.protected	_ZN7rocprim17ROCPRIM_400000_NS6detail17trampoline_kernelINS0_14default_configENS1_25partition_config_selectorILNS1_17partition_subalgoE8ExNS0_10empty_typeEbEEZZNS1_14partition_implILS5_8ELb0ES3_jN6thrust23THRUST_200600_302600_NS6detail15normal_iteratorINSA_10device_ptrIxEEEEPS6_PKS6_NS0_5tupleIJSF_S6_EEENSJ_IJSG_SG_EEENS0_18inequality_wrapperI22is_equal_div_10_uniqueIxEEEPmJS6_EEE10hipError_tPvRmT3_T4_T5_T6_T7_T9_mT8_P12ihipStream_tbDpT10_ENKUlT_T0_E_clISt17integral_constantIbLb0EES1A_EEDaS15_S16_EUlS15_E_NS1_11comp_targetILNS1_3genE0ELNS1_11target_archE4294967295ELNS1_3gpuE0ELNS1_3repE0EEENS1_30default_config_static_selectorELNS0_4arch9wavefront6targetE1EEEvT1_ ; -- Begin function _ZN7rocprim17ROCPRIM_400000_NS6detail17trampoline_kernelINS0_14default_configENS1_25partition_config_selectorILNS1_17partition_subalgoE8ExNS0_10empty_typeEbEEZZNS1_14partition_implILS5_8ELb0ES3_jN6thrust23THRUST_200600_302600_NS6detail15normal_iteratorINSA_10device_ptrIxEEEEPS6_PKS6_NS0_5tupleIJSF_S6_EEENSJ_IJSG_SG_EEENS0_18inequality_wrapperI22is_equal_div_10_uniqueIxEEEPmJS6_EEE10hipError_tPvRmT3_T4_T5_T6_T7_T9_mT8_P12ihipStream_tbDpT10_ENKUlT_T0_E_clISt17integral_constantIbLb0EES1A_EEDaS15_S16_EUlS15_E_NS1_11comp_targetILNS1_3genE0ELNS1_11target_archE4294967295ELNS1_3gpuE0ELNS1_3repE0EEENS1_30default_config_static_selectorELNS0_4arch9wavefront6targetE1EEEvT1_
	.globl	_ZN7rocprim17ROCPRIM_400000_NS6detail17trampoline_kernelINS0_14default_configENS1_25partition_config_selectorILNS1_17partition_subalgoE8ExNS0_10empty_typeEbEEZZNS1_14partition_implILS5_8ELb0ES3_jN6thrust23THRUST_200600_302600_NS6detail15normal_iteratorINSA_10device_ptrIxEEEEPS6_PKS6_NS0_5tupleIJSF_S6_EEENSJ_IJSG_SG_EEENS0_18inequality_wrapperI22is_equal_div_10_uniqueIxEEEPmJS6_EEE10hipError_tPvRmT3_T4_T5_T6_T7_T9_mT8_P12ihipStream_tbDpT10_ENKUlT_T0_E_clISt17integral_constantIbLb0EES1A_EEDaS15_S16_EUlS15_E_NS1_11comp_targetILNS1_3genE0ELNS1_11target_archE4294967295ELNS1_3gpuE0ELNS1_3repE0EEENS1_30default_config_static_selectorELNS0_4arch9wavefront6targetE1EEEvT1_
	.p2align	8
	.type	_ZN7rocprim17ROCPRIM_400000_NS6detail17trampoline_kernelINS0_14default_configENS1_25partition_config_selectorILNS1_17partition_subalgoE8ExNS0_10empty_typeEbEEZZNS1_14partition_implILS5_8ELb0ES3_jN6thrust23THRUST_200600_302600_NS6detail15normal_iteratorINSA_10device_ptrIxEEEEPS6_PKS6_NS0_5tupleIJSF_S6_EEENSJ_IJSG_SG_EEENS0_18inequality_wrapperI22is_equal_div_10_uniqueIxEEEPmJS6_EEE10hipError_tPvRmT3_T4_T5_T6_T7_T9_mT8_P12ihipStream_tbDpT10_ENKUlT_T0_E_clISt17integral_constantIbLb0EES1A_EEDaS15_S16_EUlS15_E_NS1_11comp_targetILNS1_3genE0ELNS1_11target_archE4294967295ELNS1_3gpuE0ELNS1_3repE0EEENS1_30default_config_static_selectorELNS0_4arch9wavefront6targetE1EEEvT1_,@function
_ZN7rocprim17ROCPRIM_400000_NS6detail17trampoline_kernelINS0_14default_configENS1_25partition_config_selectorILNS1_17partition_subalgoE8ExNS0_10empty_typeEbEEZZNS1_14partition_implILS5_8ELb0ES3_jN6thrust23THRUST_200600_302600_NS6detail15normal_iteratorINSA_10device_ptrIxEEEEPS6_PKS6_NS0_5tupleIJSF_S6_EEENSJ_IJSG_SG_EEENS0_18inequality_wrapperI22is_equal_div_10_uniqueIxEEEPmJS6_EEE10hipError_tPvRmT3_T4_T5_T6_T7_T9_mT8_P12ihipStream_tbDpT10_ENKUlT_T0_E_clISt17integral_constantIbLb0EES1A_EEDaS15_S16_EUlS15_E_NS1_11comp_targetILNS1_3genE0ELNS1_11target_archE4294967295ELNS1_3gpuE0ELNS1_3repE0EEENS1_30default_config_static_selectorELNS0_4arch9wavefront6targetE1EEEvT1_: ; @_ZN7rocprim17ROCPRIM_400000_NS6detail17trampoline_kernelINS0_14default_configENS1_25partition_config_selectorILNS1_17partition_subalgoE8ExNS0_10empty_typeEbEEZZNS1_14partition_implILS5_8ELb0ES3_jN6thrust23THRUST_200600_302600_NS6detail15normal_iteratorINSA_10device_ptrIxEEEEPS6_PKS6_NS0_5tupleIJSF_S6_EEENSJ_IJSG_SG_EEENS0_18inequality_wrapperI22is_equal_div_10_uniqueIxEEEPmJS6_EEE10hipError_tPvRmT3_T4_T5_T6_T7_T9_mT8_P12ihipStream_tbDpT10_ENKUlT_T0_E_clISt17integral_constantIbLb0EES1A_EEDaS15_S16_EUlS15_E_NS1_11comp_targetILNS1_3genE0ELNS1_11target_archE4294967295ELNS1_3gpuE0ELNS1_3repE0EEENS1_30default_config_static_selectorELNS0_4arch9wavefront6targetE1EEEvT1_
; %bb.0:
	.section	.rodata,"a",@progbits
	.p2align	6, 0x0
	.amdhsa_kernel _ZN7rocprim17ROCPRIM_400000_NS6detail17trampoline_kernelINS0_14default_configENS1_25partition_config_selectorILNS1_17partition_subalgoE8ExNS0_10empty_typeEbEEZZNS1_14partition_implILS5_8ELb0ES3_jN6thrust23THRUST_200600_302600_NS6detail15normal_iteratorINSA_10device_ptrIxEEEEPS6_PKS6_NS0_5tupleIJSF_S6_EEENSJ_IJSG_SG_EEENS0_18inequality_wrapperI22is_equal_div_10_uniqueIxEEEPmJS6_EEE10hipError_tPvRmT3_T4_T5_T6_T7_T9_mT8_P12ihipStream_tbDpT10_ENKUlT_T0_E_clISt17integral_constantIbLb0EES1A_EEDaS15_S16_EUlS15_E_NS1_11comp_targetILNS1_3genE0ELNS1_11target_archE4294967295ELNS1_3gpuE0ELNS1_3repE0EEENS1_30default_config_static_selectorELNS0_4arch9wavefront6targetE1EEEvT1_
		.amdhsa_group_segment_fixed_size 0
		.amdhsa_private_segment_fixed_size 0
		.amdhsa_kernarg_size 112
		.amdhsa_user_sgpr_count 6
		.amdhsa_user_sgpr_private_segment_buffer 1
		.amdhsa_user_sgpr_dispatch_ptr 0
		.amdhsa_user_sgpr_queue_ptr 0
		.amdhsa_user_sgpr_kernarg_segment_ptr 1
		.amdhsa_user_sgpr_dispatch_id 0
		.amdhsa_user_sgpr_flat_scratch_init 0
		.amdhsa_user_sgpr_private_segment_size 0
		.amdhsa_uses_dynamic_stack 0
		.amdhsa_system_sgpr_private_segment_wavefront_offset 0
		.amdhsa_system_sgpr_workgroup_id_x 1
		.amdhsa_system_sgpr_workgroup_id_y 0
		.amdhsa_system_sgpr_workgroup_id_z 0
		.amdhsa_system_sgpr_workgroup_info 0
		.amdhsa_system_vgpr_workitem_id 0
		.amdhsa_next_free_vgpr 1
		.amdhsa_next_free_sgpr 0
		.amdhsa_reserve_vcc 0
		.amdhsa_reserve_flat_scratch 0
		.amdhsa_float_round_mode_32 0
		.amdhsa_float_round_mode_16_64 0
		.amdhsa_float_denorm_mode_32 3
		.amdhsa_float_denorm_mode_16_64 3
		.amdhsa_dx10_clamp 1
		.amdhsa_ieee_mode 1
		.amdhsa_fp16_overflow 0
		.amdhsa_exception_fp_ieee_invalid_op 0
		.amdhsa_exception_fp_denorm_src 0
		.amdhsa_exception_fp_ieee_div_zero 0
		.amdhsa_exception_fp_ieee_overflow 0
		.amdhsa_exception_fp_ieee_underflow 0
		.amdhsa_exception_fp_ieee_inexact 0
		.amdhsa_exception_int_div_zero 0
	.end_amdhsa_kernel
	.section	.text._ZN7rocprim17ROCPRIM_400000_NS6detail17trampoline_kernelINS0_14default_configENS1_25partition_config_selectorILNS1_17partition_subalgoE8ExNS0_10empty_typeEbEEZZNS1_14partition_implILS5_8ELb0ES3_jN6thrust23THRUST_200600_302600_NS6detail15normal_iteratorINSA_10device_ptrIxEEEEPS6_PKS6_NS0_5tupleIJSF_S6_EEENSJ_IJSG_SG_EEENS0_18inequality_wrapperI22is_equal_div_10_uniqueIxEEEPmJS6_EEE10hipError_tPvRmT3_T4_T5_T6_T7_T9_mT8_P12ihipStream_tbDpT10_ENKUlT_T0_E_clISt17integral_constantIbLb0EES1A_EEDaS15_S16_EUlS15_E_NS1_11comp_targetILNS1_3genE0ELNS1_11target_archE4294967295ELNS1_3gpuE0ELNS1_3repE0EEENS1_30default_config_static_selectorELNS0_4arch9wavefront6targetE1EEEvT1_,"axG",@progbits,_ZN7rocprim17ROCPRIM_400000_NS6detail17trampoline_kernelINS0_14default_configENS1_25partition_config_selectorILNS1_17partition_subalgoE8ExNS0_10empty_typeEbEEZZNS1_14partition_implILS5_8ELb0ES3_jN6thrust23THRUST_200600_302600_NS6detail15normal_iteratorINSA_10device_ptrIxEEEEPS6_PKS6_NS0_5tupleIJSF_S6_EEENSJ_IJSG_SG_EEENS0_18inequality_wrapperI22is_equal_div_10_uniqueIxEEEPmJS6_EEE10hipError_tPvRmT3_T4_T5_T6_T7_T9_mT8_P12ihipStream_tbDpT10_ENKUlT_T0_E_clISt17integral_constantIbLb0EES1A_EEDaS15_S16_EUlS15_E_NS1_11comp_targetILNS1_3genE0ELNS1_11target_archE4294967295ELNS1_3gpuE0ELNS1_3repE0EEENS1_30default_config_static_selectorELNS0_4arch9wavefront6targetE1EEEvT1_,comdat
.Lfunc_end372:
	.size	_ZN7rocprim17ROCPRIM_400000_NS6detail17trampoline_kernelINS0_14default_configENS1_25partition_config_selectorILNS1_17partition_subalgoE8ExNS0_10empty_typeEbEEZZNS1_14partition_implILS5_8ELb0ES3_jN6thrust23THRUST_200600_302600_NS6detail15normal_iteratorINSA_10device_ptrIxEEEEPS6_PKS6_NS0_5tupleIJSF_S6_EEENSJ_IJSG_SG_EEENS0_18inequality_wrapperI22is_equal_div_10_uniqueIxEEEPmJS6_EEE10hipError_tPvRmT3_T4_T5_T6_T7_T9_mT8_P12ihipStream_tbDpT10_ENKUlT_T0_E_clISt17integral_constantIbLb0EES1A_EEDaS15_S16_EUlS15_E_NS1_11comp_targetILNS1_3genE0ELNS1_11target_archE4294967295ELNS1_3gpuE0ELNS1_3repE0EEENS1_30default_config_static_selectorELNS0_4arch9wavefront6targetE1EEEvT1_, .Lfunc_end372-_ZN7rocprim17ROCPRIM_400000_NS6detail17trampoline_kernelINS0_14default_configENS1_25partition_config_selectorILNS1_17partition_subalgoE8ExNS0_10empty_typeEbEEZZNS1_14partition_implILS5_8ELb0ES3_jN6thrust23THRUST_200600_302600_NS6detail15normal_iteratorINSA_10device_ptrIxEEEEPS6_PKS6_NS0_5tupleIJSF_S6_EEENSJ_IJSG_SG_EEENS0_18inequality_wrapperI22is_equal_div_10_uniqueIxEEEPmJS6_EEE10hipError_tPvRmT3_T4_T5_T6_T7_T9_mT8_P12ihipStream_tbDpT10_ENKUlT_T0_E_clISt17integral_constantIbLb0EES1A_EEDaS15_S16_EUlS15_E_NS1_11comp_targetILNS1_3genE0ELNS1_11target_archE4294967295ELNS1_3gpuE0ELNS1_3repE0EEENS1_30default_config_static_selectorELNS0_4arch9wavefront6targetE1EEEvT1_
                                        ; -- End function
	.set _ZN7rocprim17ROCPRIM_400000_NS6detail17trampoline_kernelINS0_14default_configENS1_25partition_config_selectorILNS1_17partition_subalgoE8ExNS0_10empty_typeEbEEZZNS1_14partition_implILS5_8ELb0ES3_jN6thrust23THRUST_200600_302600_NS6detail15normal_iteratorINSA_10device_ptrIxEEEEPS6_PKS6_NS0_5tupleIJSF_S6_EEENSJ_IJSG_SG_EEENS0_18inequality_wrapperI22is_equal_div_10_uniqueIxEEEPmJS6_EEE10hipError_tPvRmT3_T4_T5_T6_T7_T9_mT8_P12ihipStream_tbDpT10_ENKUlT_T0_E_clISt17integral_constantIbLb0EES1A_EEDaS15_S16_EUlS15_E_NS1_11comp_targetILNS1_3genE0ELNS1_11target_archE4294967295ELNS1_3gpuE0ELNS1_3repE0EEENS1_30default_config_static_selectorELNS0_4arch9wavefront6targetE1EEEvT1_.num_vgpr, 0
	.set _ZN7rocprim17ROCPRIM_400000_NS6detail17trampoline_kernelINS0_14default_configENS1_25partition_config_selectorILNS1_17partition_subalgoE8ExNS0_10empty_typeEbEEZZNS1_14partition_implILS5_8ELb0ES3_jN6thrust23THRUST_200600_302600_NS6detail15normal_iteratorINSA_10device_ptrIxEEEEPS6_PKS6_NS0_5tupleIJSF_S6_EEENSJ_IJSG_SG_EEENS0_18inequality_wrapperI22is_equal_div_10_uniqueIxEEEPmJS6_EEE10hipError_tPvRmT3_T4_T5_T6_T7_T9_mT8_P12ihipStream_tbDpT10_ENKUlT_T0_E_clISt17integral_constantIbLb0EES1A_EEDaS15_S16_EUlS15_E_NS1_11comp_targetILNS1_3genE0ELNS1_11target_archE4294967295ELNS1_3gpuE0ELNS1_3repE0EEENS1_30default_config_static_selectorELNS0_4arch9wavefront6targetE1EEEvT1_.num_agpr, 0
	.set _ZN7rocprim17ROCPRIM_400000_NS6detail17trampoline_kernelINS0_14default_configENS1_25partition_config_selectorILNS1_17partition_subalgoE8ExNS0_10empty_typeEbEEZZNS1_14partition_implILS5_8ELb0ES3_jN6thrust23THRUST_200600_302600_NS6detail15normal_iteratorINSA_10device_ptrIxEEEEPS6_PKS6_NS0_5tupleIJSF_S6_EEENSJ_IJSG_SG_EEENS0_18inequality_wrapperI22is_equal_div_10_uniqueIxEEEPmJS6_EEE10hipError_tPvRmT3_T4_T5_T6_T7_T9_mT8_P12ihipStream_tbDpT10_ENKUlT_T0_E_clISt17integral_constantIbLb0EES1A_EEDaS15_S16_EUlS15_E_NS1_11comp_targetILNS1_3genE0ELNS1_11target_archE4294967295ELNS1_3gpuE0ELNS1_3repE0EEENS1_30default_config_static_selectorELNS0_4arch9wavefront6targetE1EEEvT1_.numbered_sgpr, 0
	.set _ZN7rocprim17ROCPRIM_400000_NS6detail17trampoline_kernelINS0_14default_configENS1_25partition_config_selectorILNS1_17partition_subalgoE8ExNS0_10empty_typeEbEEZZNS1_14partition_implILS5_8ELb0ES3_jN6thrust23THRUST_200600_302600_NS6detail15normal_iteratorINSA_10device_ptrIxEEEEPS6_PKS6_NS0_5tupleIJSF_S6_EEENSJ_IJSG_SG_EEENS0_18inequality_wrapperI22is_equal_div_10_uniqueIxEEEPmJS6_EEE10hipError_tPvRmT3_T4_T5_T6_T7_T9_mT8_P12ihipStream_tbDpT10_ENKUlT_T0_E_clISt17integral_constantIbLb0EES1A_EEDaS15_S16_EUlS15_E_NS1_11comp_targetILNS1_3genE0ELNS1_11target_archE4294967295ELNS1_3gpuE0ELNS1_3repE0EEENS1_30default_config_static_selectorELNS0_4arch9wavefront6targetE1EEEvT1_.num_named_barrier, 0
	.set _ZN7rocprim17ROCPRIM_400000_NS6detail17trampoline_kernelINS0_14default_configENS1_25partition_config_selectorILNS1_17partition_subalgoE8ExNS0_10empty_typeEbEEZZNS1_14partition_implILS5_8ELb0ES3_jN6thrust23THRUST_200600_302600_NS6detail15normal_iteratorINSA_10device_ptrIxEEEEPS6_PKS6_NS0_5tupleIJSF_S6_EEENSJ_IJSG_SG_EEENS0_18inequality_wrapperI22is_equal_div_10_uniqueIxEEEPmJS6_EEE10hipError_tPvRmT3_T4_T5_T6_T7_T9_mT8_P12ihipStream_tbDpT10_ENKUlT_T0_E_clISt17integral_constantIbLb0EES1A_EEDaS15_S16_EUlS15_E_NS1_11comp_targetILNS1_3genE0ELNS1_11target_archE4294967295ELNS1_3gpuE0ELNS1_3repE0EEENS1_30default_config_static_selectorELNS0_4arch9wavefront6targetE1EEEvT1_.private_seg_size, 0
	.set _ZN7rocprim17ROCPRIM_400000_NS6detail17trampoline_kernelINS0_14default_configENS1_25partition_config_selectorILNS1_17partition_subalgoE8ExNS0_10empty_typeEbEEZZNS1_14partition_implILS5_8ELb0ES3_jN6thrust23THRUST_200600_302600_NS6detail15normal_iteratorINSA_10device_ptrIxEEEEPS6_PKS6_NS0_5tupleIJSF_S6_EEENSJ_IJSG_SG_EEENS0_18inequality_wrapperI22is_equal_div_10_uniqueIxEEEPmJS6_EEE10hipError_tPvRmT3_T4_T5_T6_T7_T9_mT8_P12ihipStream_tbDpT10_ENKUlT_T0_E_clISt17integral_constantIbLb0EES1A_EEDaS15_S16_EUlS15_E_NS1_11comp_targetILNS1_3genE0ELNS1_11target_archE4294967295ELNS1_3gpuE0ELNS1_3repE0EEENS1_30default_config_static_selectorELNS0_4arch9wavefront6targetE1EEEvT1_.uses_vcc, 0
	.set _ZN7rocprim17ROCPRIM_400000_NS6detail17trampoline_kernelINS0_14default_configENS1_25partition_config_selectorILNS1_17partition_subalgoE8ExNS0_10empty_typeEbEEZZNS1_14partition_implILS5_8ELb0ES3_jN6thrust23THRUST_200600_302600_NS6detail15normal_iteratorINSA_10device_ptrIxEEEEPS6_PKS6_NS0_5tupleIJSF_S6_EEENSJ_IJSG_SG_EEENS0_18inequality_wrapperI22is_equal_div_10_uniqueIxEEEPmJS6_EEE10hipError_tPvRmT3_T4_T5_T6_T7_T9_mT8_P12ihipStream_tbDpT10_ENKUlT_T0_E_clISt17integral_constantIbLb0EES1A_EEDaS15_S16_EUlS15_E_NS1_11comp_targetILNS1_3genE0ELNS1_11target_archE4294967295ELNS1_3gpuE0ELNS1_3repE0EEENS1_30default_config_static_selectorELNS0_4arch9wavefront6targetE1EEEvT1_.uses_flat_scratch, 0
	.set _ZN7rocprim17ROCPRIM_400000_NS6detail17trampoline_kernelINS0_14default_configENS1_25partition_config_selectorILNS1_17partition_subalgoE8ExNS0_10empty_typeEbEEZZNS1_14partition_implILS5_8ELb0ES3_jN6thrust23THRUST_200600_302600_NS6detail15normal_iteratorINSA_10device_ptrIxEEEEPS6_PKS6_NS0_5tupleIJSF_S6_EEENSJ_IJSG_SG_EEENS0_18inequality_wrapperI22is_equal_div_10_uniqueIxEEEPmJS6_EEE10hipError_tPvRmT3_T4_T5_T6_T7_T9_mT8_P12ihipStream_tbDpT10_ENKUlT_T0_E_clISt17integral_constantIbLb0EES1A_EEDaS15_S16_EUlS15_E_NS1_11comp_targetILNS1_3genE0ELNS1_11target_archE4294967295ELNS1_3gpuE0ELNS1_3repE0EEENS1_30default_config_static_selectorELNS0_4arch9wavefront6targetE1EEEvT1_.has_dyn_sized_stack, 0
	.set _ZN7rocprim17ROCPRIM_400000_NS6detail17trampoline_kernelINS0_14default_configENS1_25partition_config_selectorILNS1_17partition_subalgoE8ExNS0_10empty_typeEbEEZZNS1_14partition_implILS5_8ELb0ES3_jN6thrust23THRUST_200600_302600_NS6detail15normal_iteratorINSA_10device_ptrIxEEEEPS6_PKS6_NS0_5tupleIJSF_S6_EEENSJ_IJSG_SG_EEENS0_18inequality_wrapperI22is_equal_div_10_uniqueIxEEEPmJS6_EEE10hipError_tPvRmT3_T4_T5_T6_T7_T9_mT8_P12ihipStream_tbDpT10_ENKUlT_T0_E_clISt17integral_constantIbLb0EES1A_EEDaS15_S16_EUlS15_E_NS1_11comp_targetILNS1_3genE0ELNS1_11target_archE4294967295ELNS1_3gpuE0ELNS1_3repE0EEENS1_30default_config_static_selectorELNS0_4arch9wavefront6targetE1EEEvT1_.has_recursion, 0
	.set _ZN7rocprim17ROCPRIM_400000_NS6detail17trampoline_kernelINS0_14default_configENS1_25partition_config_selectorILNS1_17partition_subalgoE8ExNS0_10empty_typeEbEEZZNS1_14partition_implILS5_8ELb0ES3_jN6thrust23THRUST_200600_302600_NS6detail15normal_iteratorINSA_10device_ptrIxEEEEPS6_PKS6_NS0_5tupleIJSF_S6_EEENSJ_IJSG_SG_EEENS0_18inequality_wrapperI22is_equal_div_10_uniqueIxEEEPmJS6_EEE10hipError_tPvRmT3_T4_T5_T6_T7_T9_mT8_P12ihipStream_tbDpT10_ENKUlT_T0_E_clISt17integral_constantIbLb0EES1A_EEDaS15_S16_EUlS15_E_NS1_11comp_targetILNS1_3genE0ELNS1_11target_archE4294967295ELNS1_3gpuE0ELNS1_3repE0EEENS1_30default_config_static_selectorELNS0_4arch9wavefront6targetE1EEEvT1_.has_indirect_call, 0
	.section	.AMDGPU.csdata,"",@progbits
; Kernel info:
; codeLenInByte = 0
; TotalNumSgprs: 4
; NumVgprs: 0
; ScratchSize: 0
; MemoryBound: 0
; FloatMode: 240
; IeeeMode: 1
; LDSByteSize: 0 bytes/workgroup (compile time only)
; SGPRBlocks: 0
; VGPRBlocks: 0
; NumSGPRsForWavesPerEU: 4
; NumVGPRsForWavesPerEU: 1
; Occupancy: 10
; WaveLimiterHint : 0
; COMPUTE_PGM_RSRC2:SCRATCH_EN: 0
; COMPUTE_PGM_RSRC2:USER_SGPR: 6
; COMPUTE_PGM_RSRC2:TRAP_HANDLER: 0
; COMPUTE_PGM_RSRC2:TGID_X_EN: 1
; COMPUTE_PGM_RSRC2:TGID_Y_EN: 0
; COMPUTE_PGM_RSRC2:TGID_Z_EN: 0
; COMPUTE_PGM_RSRC2:TIDIG_COMP_CNT: 0
	.section	.text._ZN7rocprim17ROCPRIM_400000_NS6detail17trampoline_kernelINS0_14default_configENS1_25partition_config_selectorILNS1_17partition_subalgoE8ExNS0_10empty_typeEbEEZZNS1_14partition_implILS5_8ELb0ES3_jN6thrust23THRUST_200600_302600_NS6detail15normal_iteratorINSA_10device_ptrIxEEEEPS6_PKS6_NS0_5tupleIJSF_S6_EEENSJ_IJSG_SG_EEENS0_18inequality_wrapperI22is_equal_div_10_uniqueIxEEEPmJS6_EEE10hipError_tPvRmT3_T4_T5_T6_T7_T9_mT8_P12ihipStream_tbDpT10_ENKUlT_T0_E_clISt17integral_constantIbLb0EES1A_EEDaS15_S16_EUlS15_E_NS1_11comp_targetILNS1_3genE5ELNS1_11target_archE942ELNS1_3gpuE9ELNS1_3repE0EEENS1_30default_config_static_selectorELNS0_4arch9wavefront6targetE1EEEvT1_,"axG",@progbits,_ZN7rocprim17ROCPRIM_400000_NS6detail17trampoline_kernelINS0_14default_configENS1_25partition_config_selectorILNS1_17partition_subalgoE8ExNS0_10empty_typeEbEEZZNS1_14partition_implILS5_8ELb0ES3_jN6thrust23THRUST_200600_302600_NS6detail15normal_iteratorINSA_10device_ptrIxEEEEPS6_PKS6_NS0_5tupleIJSF_S6_EEENSJ_IJSG_SG_EEENS0_18inequality_wrapperI22is_equal_div_10_uniqueIxEEEPmJS6_EEE10hipError_tPvRmT3_T4_T5_T6_T7_T9_mT8_P12ihipStream_tbDpT10_ENKUlT_T0_E_clISt17integral_constantIbLb0EES1A_EEDaS15_S16_EUlS15_E_NS1_11comp_targetILNS1_3genE5ELNS1_11target_archE942ELNS1_3gpuE9ELNS1_3repE0EEENS1_30default_config_static_selectorELNS0_4arch9wavefront6targetE1EEEvT1_,comdat
	.protected	_ZN7rocprim17ROCPRIM_400000_NS6detail17trampoline_kernelINS0_14default_configENS1_25partition_config_selectorILNS1_17partition_subalgoE8ExNS0_10empty_typeEbEEZZNS1_14partition_implILS5_8ELb0ES3_jN6thrust23THRUST_200600_302600_NS6detail15normal_iteratorINSA_10device_ptrIxEEEEPS6_PKS6_NS0_5tupleIJSF_S6_EEENSJ_IJSG_SG_EEENS0_18inequality_wrapperI22is_equal_div_10_uniqueIxEEEPmJS6_EEE10hipError_tPvRmT3_T4_T5_T6_T7_T9_mT8_P12ihipStream_tbDpT10_ENKUlT_T0_E_clISt17integral_constantIbLb0EES1A_EEDaS15_S16_EUlS15_E_NS1_11comp_targetILNS1_3genE5ELNS1_11target_archE942ELNS1_3gpuE9ELNS1_3repE0EEENS1_30default_config_static_selectorELNS0_4arch9wavefront6targetE1EEEvT1_ ; -- Begin function _ZN7rocprim17ROCPRIM_400000_NS6detail17trampoline_kernelINS0_14default_configENS1_25partition_config_selectorILNS1_17partition_subalgoE8ExNS0_10empty_typeEbEEZZNS1_14partition_implILS5_8ELb0ES3_jN6thrust23THRUST_200600_302600_NS6detail15normal_iteratorINSA_10device_ptrIxEEEEPS6_PKS6_NS0_5tupleIJSF_S6_EEENSJ_IJSG_SG_EEENS0_18inequality_wrapperI22is_equal_div_10_uniqueIxEEEPmJS6_EEE10hipError_tPvRmT3_T4_T5_T6_T7_T9_mT8_P12ihipStream_tbDpT10_ENKUlT_T0_E_clISt17integral_constantIbLb0EES1A_EEDaS15_S16_EUlS15_E_NS1_11comp_targetILNS1_3genE5ELNS1_11target_archE942ELNS1_3gpuE9ELNS1_3repE0EEENS1_30default_config_static_selectorELNS0_4arch9wavefront6targetE1EEEvT1_
	.globl	_ZN7rocprim17ROCPRIM_400000_NS6detail17trampoline_kernelINS0_14default_configENS1_25partition_config_selectorILNS1_17partition_subalgoE8ExNS0_10empty_typeEbEEZZNS1_14partition_implILS5_8ELb0ES3_jN6thrust23THRUST_200600_302600_NS6detail15normal_iteratorINSA_10device_ptrIxEEEEPS6_PKS6_NS0_5tupleIJSF_S6_EEENSJ_IJSG_SG_EEENS0_18inequality_wrapperI22is_equal_div_10_uniqueIxEEEPmJS6_EEE10hipError_tPvRmT3_T4_T5_T6_T7_T9_mT8_P12ihipStream_tbDpT10_ENKUlT_T0_E_clISt17integral_constantIbLb0EES1A_EEDaS15_S16_EUlS15_E_NS1_11comp_targetILNS1_3genE5ELNS1_11target_archE942ELNS1_3gpuE9ELNS1_3repE0EEENS1_30default_config_static_selectorELNS0_4arch9wavefront6targetE1EEEvT1_
	.p2align	8
	.type	_ZN7rocprim17ROCPRIM_400000_NS6detail17trampoline_kernelINS0_14default_configENS1_25partition_config_selectorILNS1_17partition_subalgoE8ExNS0_10empty_typeEbEEZZNS1_14partition_implILS5_8ELb0ES3_jN6thrust23THRUST_200600_302600_NS6detail15normal_iteratorINSA_10device_ptrIxEEEEPS6_PKS6_NS0_5tupleIJSF_S6_EEENSJ_IJSG_SG_EEENS0_18inequality_wrapperI22is_equal_div_10_uniqueIxEEEPmJS6_EEE10hipError_tPvRmT3_T4_T5_T6_T7_T9_mT8_P12ihipStream_tbDpT10_ENKUlT_T0_E_clISt17integral_constantIbLb0EES1A_EEDaS15_S16_EUlS15_E_NS1_11comp_targetILNS1_3genE5ELNS1_11target_archE942ELNS1_3gpuE9ELNS1_3repE0EEENS1_30default_config_static_selectorELNS0_4arch9wavefront6targetE1EEEvT1_,@function
_ZN7rocprim17ROCPRIM_400000_NS6detail17trampoline_kernelINS0_14default_configENS1_25partition_config_selectorILNS1_17partition_subalgoE8ExNS0_10empty_typeEbEEZZNS1_14partition_implILS5_8ELb0ES3_jN6thrust23THRUST_200600_302600_NS6detail15normal_iteratorINSA_10device_ptrIxEEEEPS6_PKS6_NS0_5tupleIJSF_S6_EEENSJ_IJSG_SG_EEENS0_18inequality_wrapperI22is_equal_div_10_uniqueIxEEEPmJS6_EEE10hipError_tPvRmT3_T4_T5_T6_T7_T9_mT8_P12ihipStream_tbDpT10_ENKUlT_T0_E_clISt17integral_constantIbLb0EES1A_EEDaS15_S16_EUlS15_E_NS1_11comp_targetILNS1_3genE5ELNS1_11target_archE942ELNS1_3gpuE9ELNS1_3repE0EEENS1_30default_config_static_selectorELNS0_4arch9wavefront6targetE1EEEvT1_: ; @_ZN7rocprim17ROCPRIM_400000_NS6detail17trampoline_kernelINS0_14default_configENS1_25partition_config_selectorILNS1_17partition_subalgoE8ExNS0_10empty_typeEbEEZZNS1_14partition_implILS5_8ELb0ES3_jN6thrust23THRUST_200600_302600_NS6detail15normal_iteratorINSA_10device_ptrIxEEEEPS6_PKS6_NS0_5tupleIJSF_S6_EEENSJ_IJSG_SG_EEENS0_18inequality_wrapperI22is_equal_div_10_uniqueIxEEEPmJS6_EEE10hipError_tPvRmT3_T4_T5_T6_T7_T9_mT8_P12ihipStream_tbDpT10_ENKUlT_T0_E_clISt17integral_constantIbLb0EES1A_EEDaS15_S16_EUlS15_E_NS1_11comp_targetILNS1_3genE5ELNS1_11target_archE942ELNS1_3gpuE9ELNS1_3repE0EEENS1_30default_config_static_selectorELNS0_4arch9wavefront6targetE1EEEvT1_
; %bb.0:
	.section	.rodata,"a",@progbits
	.p2align	6, 0x0
	.amdhsa_kernel _ZN7rocprim17ROCPRIM_400000_NS6detail17trampoline_kernelINS0_14default_configENS1_25partition_config_selectorILNS1_17partition_subalgoE8ExNS0_10empty_typeEbEEZZNS1_14partition_implILS5_8ELb0ES3_jN6thrust23THRUST_200600_302600_NS6detail15normal_iteratorINSA_10device_ptrIxEEEEPS6_PKS6_NS0_5tupleIJSF_S6_EEENSJ_IJSG_SG_EEENS0_18inequality_wrapperI22is_equal_div_10_uniqueIxEEEPmJS6_EEE10hipError_tPvRmT3_T4_T5_T6_T7_T9_mT8_P12ihipStream_tbDpT10_ENKUlT_T0_E_clISt17integral_constantIbLb0EES1A_EEDaS15_S16_EUlS15_E_NS1_11comp_targetILNS1_3genE5ELNS1_11target_archE942ELNS1_3gpuE9ELNS1_3repE0EEENS1_30default_config_static_selectorELNS0_4arch9wavefront6targetE1EEEvT1_
		.amdhsa_group_segment_fixed_size 0
		.amdhsa_private_segment_fixed_size 0
		.amdhsa_kernarg_size 112
		.amdhsa_user_sgpr_count 6
		.amdhsa_user_sgpr_private_segment_buffer 1
		.amdhsa_user_sgpr_dispatch_ptr 0
		.amdhsa_user_sgpr_queue_ptr 0
		.amdhsa_user_sgpr_kernarg_segment_ptr 1
		.amdhsa_user_sgpr_dispatch_id 0
		.amdhsa_user_sgpr_flat_scratch_init 0
		.amdhsa_user_sgpr_private_segment_size 0
		.amdhsa_uses_dynamic_stack 0
		.amdhsa_system_sgpr_private_segment_wavefront_offset 0
		.amdhsa_system_sgpr_workgroup_id_x 1
		.amdhsa_system_sgpr_workgroup_id_y 0
		.amdhsa_system_sgpr_workgroup_id_z 0
		.amdhsa_system_sgpr_workgroup_info 0
		.amdhsa_system_vgpr_workitem_id 0
		.amdhsa_next_free_vgpr 1
		.amdhsa_next_free_sgpr 0
		.amdhsa_reserve_vcc 0
		.amdhsa_reserve_flat_scratch 0
		.amdhsa_float_round_mode_32 0
		.amdhsa_float_round_mode_16_64 0
		.amdhsa_float_denorm_mode_32 3
		.amdhsa_float_denorm_mode_16_64 3
		.amdhsa_dx10_clamp 1
		.amdhsa_ieee_mode 1
		.amdhsa_fp16_overflow 0
		.amdhsa_exception_fp_ieee_invalid_op 0
		.amdhsa_exception_fp_denorm_src 0
		.amdhsa_exception_fp_ieee_div_zero 0
		.amdhsa_exception_fp_ieee_overflow 0
		.amdhsa_exception_fp_ieee_underflow 0
		.amdhsa_exception_fp_ieee_inexact 0
		.amdhsa_exception_int_div_zero 0
	.end_amdhsa_kernel
	.section	.text._ZN7rocprim17ROCPRIM_400000_NS6detail17trampoline_kernelINS0_14default_configENS1_25partition_config_selectorILNS1_17partition_subalgoE8ExNS0_10empty_typeEbEEZZNS1_14partition_implILS5_8ELb0ES3_jN6thrust23THRUST_200600_302600_NS6detail15normal_iteratorINSA_10device_ptrIxEEEEPS6_PKS6_NS0_5tupleIJSF_S6_EEENSJ_IJSG_SG_EEENS0_18inequality_wrapperI22is_equal_div_10_uniqueIxEEEPmJS6_EEE10hipError_tPvRmT3_T4_T5_T6_T7_T9_mT8_P12ihipStream_tbDpT10_ENKUlT_T0_E_clISt17integral_constantIbLb0EES1A_EEDaS15_S16_EUlS15_E_NS1_11comp_targetILNS1_3genE5ELNS1_11target_archE942ELNS1_3gpuE9ELNS1_3repE0EEENS1_30default_config_static_selectorELNS0_4arch9wavefront6targetE1EEEvT1_,"axG",@progbits,_ZN7rocprim17ROCPRIM_400000_NS6detail17trampoline_kernelINS0_14default_configENS1_25partition_config_selectorILNS1_17partition_subalgoE8ExNS0_10empty_typeEbEEZZNS1_14partition_implILS5_8ELb0ES3_jN6thrust23THRUST_200600_302600_NS6detail15normal_iteratorINSA_10device_ptrIxEEEEPS6_PKS6_NS0_5tupleIJSF_S6_EEENSJ_IJSG_SG_EEENS0_18inequality_wrapperI22is_equal_div_10_uniqueIxEEEPmJS6_EEE10hipError_tPvRmT3_T4_T5_T6_T7_T9_mT8_P12ihipStream_tbDpT10_ENKUlT_T0_E_clISt17integral_constantIbLb0EES1A_EEDaS15_S16_EUlS15_E_NS1_11comp_targetILNS1_3genE5ELNS1_11target_archE942ELNS1_3gpuE9ELNS1_3repE0EEENS1_30default_config_static_selectorELNS0_4arch9wavefront6targetE1EEEvT1_,comdat
.Lfunc_end373:
	.size	_ZN7rocprim17ROCPRIM_400000_NS6detail17trampoline_kernelINS0_14default_configENS1_25partition_config_selectorILNS1_17partition_subalgoE8ExNS0_10empty_typeEbEEZZNS1_14partition_implILS5_8ELb0ES3_jN6thrust23THRUST_200600_302600_NS6detail15normal_iteratorINSA_10device_ptrIxEEEEPS6_PKS6_NS0_5tupleIJSF_S6_EEENSJ_IJSG_SG_EEENS0_18inequality_wrapperI22is_equal_div_10_uniqueIxEEEPmJS6_EEE10hipError_tPvRmT3_T4_T5_T6_T7_T9_mT8_P12ihipStream_tbDpT10_ENKUlT_T0_E_clISt17integral_constantIbLb0EES1A_EEDaS15_S16_EUlS15_E_NS1_11comp_targetILNS1_3genE5ELNS1_11target_archE942ELNS1_3gpuE9ELNS1_3repE0EEENS1_30default_config_static_selectorELNS0_4arch9wavefront6targetE1EEEvT1_, .Lfunc_end373-_ZN7rocprim17ROCPRIM_400000_NS6detail17trampoline_kernelINS0_14default_configENS1_25partition_config_selectorILNS1_17partition_subalgoE8ExNS0_10empty_typeEbEEZZNS1_14partition_implILS5_8ELb0ES3_jN6thrust23THRUST_200600_302600_NS6detail15normal_iteratorINSA_10device_ptrIxEEEEPS6_PKS6_NS0_5tupleIJSF_S6_EEENSJ_IJSG_SG_EEENS0_18inequality_wrapperI22is_equal_div_10_uniqueIxEEEPmJS6_EEE10hipError_tPvRmT3_T4_T5_T6_T7_T9_mT8_P12ihipStream_tbDpT10_ENKUlT_T0_E_clISt17integral_constantIbLb0EES1A_EEDaS15_S16_EUlS15_E_NS1_11comp_targetILNS1_3genE5ELNS1_11target_archE942ELNS1_3gpuE9ELNS1_3repE0EEENS1_30default_config_static_selectorELNS0_4arch9wavefront6targetE1EEEvT1_
                                        ; -- End function
	.set _ZN7rocprim17ROCPRIM_400000_NS6detail17trampoline_kernelINS0_14default_configENS1_25partition_config_selectorILNS1_17partition_subalgoE8ExNS0_10empty_typeEbEEZZNS1_14partition_implILS5_8ELb0ES3_jN6thrust23THRUST_200600_302600_NS6detail15normal_iteratorINSA_10device_ptrIxEEEEPS6_PKS6_NS0_5tupleIJSF_S6_EEENSJ_IJSG_SG_EEENS0_18inequality_wrapperI22is_equal_div_10_uniqueIxEEEPmJS6_EEE10hipError_tPvRmT3_T4_T5_T6_T7_T9_mT8_P12ihipStream_tbDpT10_ENKUlT_T0_E_clISt17integral_constantIbLb0EES1A_EEDaS15_S16_EUlS15_E_NS1_11comp_targetILNS1_3genE5ELNS1_11target_archE942ELNS1_3gpuE9ELNS1_3repE0EEENS1_30default_config_static_selectorELNS0_4arch9wavefront6targetE1EEEvT1_.num_vgpr, 0
	.set _ZN7rocprim17ROCPRIM_400000_NS6detail17trampoline_kernelINS0_14default_configENS1_25partition_config_selectorILNS1_17partition_subalgoE8ExNS0_10empty_typeEbEEZZNS1_14partition_implILS5_8ELb0ES3_jN6thrust23THRUST_200600_302600_NS6detail15normal_iteratorINSA_10device_ptrIxEEEEPS6_PKS6_NS0_5tupleIJSF_S6_EEENSJ_IJSG_SG_EEENS0_18inequality_wrapperI22is_equal_div_10_uniqueIxEEEPmJS6_EEE10hipError_tPvRmT3_T4_T5_T6_T7_T9_mT8_P12ihipStream_tbDpT10_ENKUlT_T0_E_clISt17integral_constantIbLb0EES1A_EEDaS15_S16_EUlS15_E_NS1_11comp_targetILNS1_3genE5ELNS1_11target_archE942ELNS1_3gpuE9ELNS1_3repE0EEENS1_30default_config_static_selectorELNS0_4arch9wavefront6targetE1EEEvT1_.num_agpr, 0
	.set _ZN7rocprim17ROCPRIM_400000_NS6detail17trampoline_kernelINS0_14default_configENS1_25partition_config_selectorILNS1_17partition_subalgoE8ExNS0_10empty_typeEbEEZZNS1_14partition_implILS5_8ELb0ES3_jN6thrust23THRUST_200600_302600_NS6detail15normal_iteratorINSA_10device_ptrIxEEEEPS6_PKS6_NS0_5tupleIJSF_S6_EEENSJ_IJSG_SG_EEENS0_18inequality_wrapperI22is_equal_div_10_uniqueIxEEEPmJS6_EEE10hipError_tPvRmT3_T4_T5_T6_T7_T9_mT8_P12ihipStream_tbDpT10_ENKUlT_T0_E_clISt17integral_constantIbLb0EES1A_EEDaS15_S16_EUlS15_E_NS1_11comp_targetILNS1_3genE5ELNS1_11target_archE942ELNS1_3gpuE9ELNS1_3repE0EEENS1_30default_config_static_selectorELNS0_4arch9wavefront6targetE1EEEvT1_.numbered_sgpr, 0
	.set _ZN7rocprim17ROCPRIM_400000_NS6detail17trampoline_kernelINS0_14default_configENS1_25partition_config_selectorILNS1_17partition_subalgoE8ExNS0_10empty_typeEbEEZZNS1_14partition_implILS5_8ELb0ES3_jN6thrust23THRUST_200600_302600_NS6detail15normal_iteratorINSA_10device_ptrIxEEEEPS6_PKS6_NS0_5tupleIJSF_S6_EEENSJ_IJSG_SG_EEENS0_18inequality_wrapperI22is_equal_div_10_uniqueIxEEEPmJS6_EEE10hipError_tPvRmT3_T4_T5_T6_T7_T9_mT8_P12ihipStream_tbDpT10_ENKUlT_T0_E_clISt17integral_constantIbLb0EES1A_EEDaS15_S16_EUlS15_E_NS1_11comp_targetILNS1_3genE5ELNS1_11target_archE942ELNS1_3gpuE9ELNS1_3repE0EEENS1_30default_config_static_selectorELNS0_4arch9wavefront6targetE1EEEvT1_.num_named_barrier, 0
	.set _ZN7rocprim17ROCPRIM_400000_NS6detail17trampoline_kernelINS0_14default_configENS1_25partition_config_selectorILNS1_17partition_subalgoE8ExNS0_10empty_typeEbEEZZNS1_14partition_implILS5_8ELb0ES3_jN6thrust23THRUST_200600_302600_NS6detail15normal_iteratorINSA_10device_ptrIxEEEEPS6_PKS6_NS0_5tupleIJSF_S6_EEENSJ_IJSG_SG_EEENS0_18inequality_wrapperI22is_equal_div_10_uniqueIxEEEPmJS6_EEE10hipError_tPvRmT3_T4_T5_T6_T7_T9_mT8_P12ihipStream_tbDpT10_ENKUlT_T0_E_clISt17integral_constantIbLb0EES1A_EEDaS15_S16_EUlS15_E_NS1_11comp_targetILNS1_3genE5ELNS1_11target_archE942ELNS1_3gpuE9ELNS1_3repE0EEENS1_30default_config_static_selectorELNS0_4arch9wavefront6targetE1EEEvT1_.private_seg_size, 0
	.set _ZN7rocprim17ROCPRIM_400000_NS6detail17trampoline_kernelINS0_14default_configENS1_25partition_config_selectorILNS1_17partition_subalgoE8ExNS0_10empty_typeEbEEZZNS1_14partition_implILS5_8ELb0ES3_jN6thrust23THRUST_200600_302600_NS6detail15normal_iteratorINSA_10device_ptrIxEEEEPS6_PKS6_NS0_5tupleIJSF_S6_EEENSJ_IJSG_SG_EEENS0_18inequality_wrapperI22is_equal_div_10_uniqueIxEEEPmJS6_EEE10hipError_tPvRmT3_T4_T5_T6_T7_T9_mT8_P12ihipStream_tbDpT10_ENKUlT_T0_E_clISt17integral_constantIbLb0EES1A_EEDaS15_S16_EUlS15_E_NS1_11comp_targetILNS1_3genE5ELNS1_11target_archE942ELNS1_3gpuE9ELNS1_3repE0EEENS1_30default_config_static_selectorELNS0_4arch9wavefront6targetE1EEEvT1_.uses_vcc, 0
	.set _ZN7rocprim17ROCPRIM_400000_NS6detail17trampoline_kernelINS0_14default_configENS1_25partition_config_selectorILNS1_17partition_subalgoE8ExNS0_10empty_typeEbEEZZNS1_14partition_implILS5_8ELb0ES3_jN6thrust23THRUST_200600_302600_NS6detail15normal_iteratorINSA_10device_ptrIxEEEEPS6_PKS6_NS0_5tupleIJSF_S6_EEENSJ_IJSG_SG_EEENS0_18inequality_wrapperI22is_equal_div_10_uniqueIxEEEPmJS6_EEE10hipError_tPvRmT3_T4_T5_T6_T7_T9_mT8_P12ihipStream_tbDpT10_ENKUlT_T0_E_clISt17integral_constantIbLb0EES1A_EEDaS15_S16_EUlS15_E_NS1_11comp_targetILNS1_3genE5ELNS1_11target_archE942ELNS1_3gpuE9ELNS1_3repE0EEENS1_30default_config_static_selectorELNS0_4arch9wavefront6targetE1EEEvT1_.uses_flat_scratch, 0
	.set _ZN7rocprim17ROCPRIM_400000_NS6detail17trampoline_kernelINS0_14default_configENS1_25partition_config_selectorILNS1_17partition_subalgoE8ExNS0_10empty_typeEbEEZZNS1_14partition_implILS5_8ELb0ES3_jN6thrust23THRUST_200600_302600_NS6detail15normal_iteratorINSA_10device_ptrIxEEEEPS6_PKS6_NS0_5tupleIJSF_S6_EEENSJ_IJSG_SG_EEENS0_18inequality_wrapperI22is_equal_div_10_uniqueIxEEEPmJS6_EEE10hipError_tPvRmT3_T4_T5_T6_T7_T9_mT8_P12ihipStream_tbDpT10_ENKUlT_T0_E_clISt17integral_constantIbLb0EES1A_EEDaS15_S16_EUlS15_E_NS1_11comp_targetILNS1_3genE5ELNS1_11target_archE942ELNS1_3gpuE9ELNS1_3repE0EEENS1_30default_config_static_selectorELNS0_4arch9wavefront6targetE1EEEvT1_.has_dyn_sized_stack, 0
	.set _ZN7rocprim17ROCPRIM_400000_NS6detail17trampoline_kernelINS0_14default_configENS1_25partition_config_selectorILNS1_17partition_subalgoE8ExNS0_10empty_typeEbEEZZNS1_14partition_implILS5_8ELb0ES3_jN6thrust23THRUST_200600_302600_NS6detail15normal_iteratorINSA_10device_ptrIxEEEEPS6_PKS6_NS0_5tupleIJSF_S6_EEENSJ_IJSG_SG_EEENS0_18inequality_wrapperI22is_equal_div_10_uniqueIxEEEPmJS6_EEE10hipError_tPvRmT3_T4_T5_T6_T7_T9_mT8_P12ihipStream_tbDpT10_ENKUlT_T0_E_clISt17integral_constantIbLb0EES1A_EEDaS15_S16_EUlS15_E_NS1_11comp_targetILNS1_3genE5ELNS1_11target_archE942ELNS1_3gpuE9ELNS1_3repE0EEENS1_30default_config_static_selectorELNS0_4arch9wavefront6targetE1EEEvT1_.has_recursion, 0
	.set _ZN7rocprim17ROCPRIM_400000_NS6detail17trampoline_kernelINS0_14default_configENS1_25partition_config_selectorILNS1_17partition_subalgoE8ExNS0_10empty_typeEbEEZZNS1_14partition_implILS5_8ELb0ES3_jN6thrust23THRUST_200600_302600_NS6detail15normal_iteratorINSA_10device_ptrIxEEEEPS6_PKS6_NS0_5tupleIJSF_S6_EEENSJ_IJSG_SG_EEENS0_18inequality_wrapperI22is_equal_div_10_uniqueIxEEEPmJS6_EEE10hipError_tPvRmT3_T4_T5_T6_T7_T9_mT8_P12ihipStream_tbDpT10_ENKUlT_T0_E_clISt17integral_constantIbLb0EES1A_EEDaS15_S16_EUlS15_E_NS1_11comp_targetILNS1_3genE5ELNS1_11target_archE942ELNS1_3gpuE9ELNS1_3repE0EEENS1_30default_config_static_selectorELNS0_4arch9wavefront6targetE1EEEvT1_.has_indirect_call, 0
	.section	.AMDGPU.csdata,"",@progbits
; Kernel info:
; codeLenInByte = 0
; TotalNumSgprs: 4
; NumVgprs: 0
; ScratchSize: 0
; MemoryBound: 0
; FloatMode: 240
; IeeeMode: 1
; LDSByteSize: 0 bytes/workgroup (compile time only)
; SGPRBlocks: 0
; VGPRBlocks: 0
; NumSGPRsForWavesPerEU: 4
; NumVGPRsForWavesPerEU: 1
; Occupancy: 10
; WaveLimiterHint : 0
; COMPUTE_PGM_RSRC2:SCRATCH_EN: 0
; COMPUTE_PGM_RSRC2:USER_SGPR: 6
; COMPUTE_PGM_RSRC2:TRAP_HANDLER: 0
; COMPUTE_PGM_RSRC2:TGID_X_EN: 1
; COMPUTE_PGM_RSRC2:TGID_Y_EN: 0
; COMPUTE_PGM_RSRC2:TGID_Z_EN: 0
; COMPUTE_PGM_RSRC2:TIDIG_COMP_CNT: 0
	.section	.text._ZN7rocprim17ROCPRIM_400000_NS6detail17trampoline_kernelINS0_14default_configENS1_25partition_config_selectorILNS1_17partition_subalgoE8ExNS0_10empty_typeEbEEZZNS1_14partition_implILS5_8ELb0ES3_jN6thrust23THRUST_200600_302600_NS6detail15normal_iteratorINSA_10device_ptrIxEEEEPS6_PKS6_NS0_5tupleIJSF_S6_EEENSJ_IJSG_SG_EEENS0_18inequality_wrapperI22is_equal_div_10_uniqueIxEEEPmJS6_EEE10hipError_tPvRmT3_T4_T5_T6_T7_T9_mT8_P12ihipStream_tbDpT10_ENKUlT_T0_E_clISt17integral_constantIbLb0EES1A_EEDaS15_S16_EUlS15_E_NS1_11comp_targetILNS1_3genE4ELNS1_11target_archE910ELNS1_3gpuE8ELNS1_3repE0EEENS1_30default_config_static_selectorELNS0_4arch9wavefront6targetE1EEEvT1_,"axG",@progbits,_ZN7rocprim17ROCPRIM_400000_NS6detail17trampoline_kernelINS0_14default_configENS1_25partition_config_selectorILNS1_17partition_subalgoE8ExNS0_10empty_typeEbEEZZNS1_14partition_implILS5_8ELb0ES3_jN6thrust23THRUST_200600_302600_NS6detail15normal_iteratorINSA_10device_ptrIxEEEEPS6_PKS6_NS0_5tupleIJSF_S6_EEENSJ_IJSG_SG_EEENS0_18inequality_wrapperI22is_equal_div_10_uniqueIxEEEPmJS6_EEE10hipError_tPvRmT3_T4_T5_T6_T7_T9_mT8_P12ihipStream_tbDpT10_ENKUlT_T0_E_clISt17integral_constantIbLb0EES1A_EEDaS15_S16_EUlS15_E_NS1_11comp_targetILNS1_3genE4ELNS1_11target_archE910ELNS1_3gpuE8ELNS1_3repE0EEENS1_30default_config_static_selectorELNS0_4arch9wavefront6targetE1EEEvT1_,comdat
	.protected	_ZN7rocprim17ROCPRIM_400000_NS6detail17trampoline_kernelINS0_14default_configENS1_25partition_config_selectorILNS1_17partition_subalgoE8ExNS0_10empty_typeEbEEZZNS1_14partition_implILS5_8ELb0ES3_jN6thrust23THRUST_200600_302600_NS6detail15normal_iteratorINSA_10device_ptrIxEEEEPS6_PKS6_NS0_5tupleIJSF_S6_EEENSJ_IJSG_SG_EEENS0_18inequality_wrapperI22is_equal_div_10_uniqueIxEEEPmJS6_EEE10hipError_tPvRmT3_T4_T5_T6_T7_T9_mT8_P12ihipStream_tbDpT10_ENKUlT_T0_E_clISt17integral_constantIbLb0EES1A_EEDaS15_S16_EUlS15_E_NS1_11comp_targetILNS1_3genE4ELNS1_11target_archE910ELNS1_3gpuE8ELNS1_3repE0EEENS1_30default_config_static_selectorELNS0_4arch9wavefront6targetE1EEEvT1_ ; -- Begin function _ZN7rocprim17ROCPRIM_400000_NS6detail17trampoline_kernelINS0_14default_configENS1_25partition_config_selectorILNS1_17partition_subalgoE8ExNS0_10empty_typeEbEEZZNS1_14partition_implILS5_8ELb0ES3_jN6thrust23THRUST_200600_302600_NS6detail15normal_iteratorINSA_10device_ptrIxEEEEPS6_PKS6_NS0_5tupleIJSF_S6_EEENSJ_IJSG_SG_EEENS0_18inequality_wrapperI22is_equal_div_10_uniqueIxEEEPmJS6_EEE10hipError_tPvRmT3_T4_T5_T6_T7_T9_mT8_P12ihipStream_tbDpT10_ENKUlT_T0_E_clISt17integral_constantIbLb0EES1A_EEDaS15_S16_EUlS15_E_NS1_11comp_targetILNS1_3genE4ELNS1_11target_archE910ELNS1_3gpuE8ELNS1_3repE0EEENS1_30default_config_static_selectorELNS0_4arch9wavefront6targetE1EEEvT1_
	.globl	_ZN7rocprim17ROCPRIM_400000_NS6detail17trampoline_kernelINS0_14default_configENS1_25partition_config_selectorILNS1_17partition_subalgoE8ExNS0_10empty_typeEbEEZZNS1_14partition_implILS5_8ELb0ES3_jN6thrust23THRUST_200600_302600_NS6detail15normal_iteratorINSA_10device_ptrIxEEEEPS6_PKS6_NS0_5tupleIJSF_S6_EEENSJ_IJSG_SG_EEENS0_18inequality_wrapperI22is_equal_div_10_uniqueIxEEEPmJS6_EEE10hipError_tPvRmT3_T4_T5_T6_T7_T9_mT8_P12ihipStream_tbDpT10_ENKUlT_T0_E_clISt17integral_constantIbLb0EES1A_EEDaS15_S16_EUlS15_E_NS1_11comp_targetILNS1_3genE4ELNS1_11target_archE910ELNS1_3gpuE8ELNS1_3repE0EEENS1_30default_config_static_selectorELNS0_4arch9wavefront6targetE1EEEvT1_
	.p2align	8
	.type	_ZN7rocprim17ROCPRIM_400000_NS6detail17trampoline_kernelINS0_14default_configENS1_25partition_config_selectorILNS1_17partition_subalgoE8ExNS0_10empty_typeEbEEZZNS1_14partition_implILS5_8ELb0ES3_jN6thrust23THRUST_200600_302600_NS6detail15normal_iteratorINSA_10device_ptrIxEEEEPS6_PKS6_NS0_5tupleIJSF_S6_EEENSJ_IJSG_SG_EEENS0_18inequality_wrapperI22is_equal_div_10_uniqueIxEEEPmJS6_EEE10hipError_tPvRmT3_T4_T5_T6_T7_T9_mT8_P12ihipStream_tbDpT10_ENKUlT_T0_E_clISt17integral_constantIbLb0EES1A_EEDaS15_S16_EUlS15_E_NS1_11comp_targetILNS1_3genE4ELNS1_11target_archE910ELNS1_3gpuE8ELNS1_3repE0EEENS1_30default_config_static_selectorELNS0_4arch9wavefront6targetE1EEEvT1_,@function
_ZN7rocprim17ROCPRIM_400000_NS6detail17trampoline_kernelINS0_14default_configENS1_25partition_config_selectorILNS1_17partition_subalgoE8ExNS0_10empty_typeEbEEZZNS1_14partition_implILS5_8ELb0ES3_jN6thrust23THRUST_200600_302600_NS6detail15normal_iteratorINSA_10device_ptrIxEEEEPS6_PKS6_NS0_5tupleIJSF_S6_EEENSJ_IJSG_SG_EEENS0_18inequality_wrapperI22is_equal_div_10_uniqueIxEEEPmJS6_EEE10hipError_tPvRmT3_T4_T5_T6_T7_T9_mT8_P12ihipStream_tbDpT10_ENKUlT_T0_E_clISt17integral_constantIbLb0EES1A_EEDaS15_S16_EUlS15_E_NS1_11comp_targetILNS1_3genE4ELNS1_11target_archE910ELNS1_3gpuE8ELNS1_3repE0EEENS1_30default_config_static_selectorELNS0_4arch9wavefront6targetE1EEEvT1_: ; @_ZN7rocprim17ROCPRIM_400000_NS6detail17trampoline_kernelINS0_14default_configENS1_25partition_config_selectorILNS1_17partition_subalgoE8ExNS0_10empty_typeEbEEZZNS1_14partition_implILS5_8ELb0ES3_jN6thrust23THRUST_200600_302600_NS6detail15normal_iteratorINSA_10device_ptrIxEEEEPS6_PKS6_NS0_5tupleIJSF_S6_EEENSJ_IJSG_SG_EEENS0_18inequality_wrapperI22is_equal_div_10_uniqueIxEEEPmJS6_EEE10hipError_tPvRmT3_T4_T5_T6_T7_T9_mT8_P12ihipStream_tbDpT10_ENKUlT_T0_E_clISt17integral_constantIbLb0EES1A_EEDaS15_S16_EUlS15_E_NS1_11comp_targetILNS1_3genE4ELNS1_11target_archE910ELNS1_3gpuE8ELNS1_3repE0EEENS1_30default_config_static_selectorELNS0_4arch9wavefront6targetE1EEEvT1_
; %bb.0:
	.section	.rodata,"a",@progbits
	.p2align	6, 0x0
	.amdhsa_kernel _ZN7rocprim17ROCPRIM_400000_NS6detail17trampoline_kernelINS0_14default_configENS1_25partition_config_selectorILNS1_17partition_subalgoE8ExNS0_10empty_typeEbEEZZNS1_14partition_implILS5_8ELb0ES3_jN6thrust23THRUST_200600_302600_NS6detail15normal_iteratorINSA_10device_ptrIxEEEEPS6_PKS6_NS0_5tupleIJSF_S6_EEENSJ_IJSG_SG_EEENS0_18inequality_wrapperI22is_equal_div_10_uniqueIxEEEPmJS6_EEE10hipError_tPvRmT3_T4_T5_T6_T7_T9_mT8_P12ihipStream_tbDpT10_ENKUlT_T0_E_clISt17integral_constantIbLb0EES1A_EEDaS15_S16_EUlS15_E_NS1_11comp_targetILNS1_3genE4ELNS1_11target_archE910ELNS1_3gpuE8ELNS1_3repE0EEENS1_30default_config_static_selectorELNS0_4arch9wavefront6targetE1EEEvT1_
		.amdhsa_group_segment_fixed_size 0
		.amdhsa_private_segment_fixed_size 0
		.amdhsa_kernarg_size 112
		.amdhsa_user_sgpr_count 6
		.amdhsa_user_sgpr_private_segment_buffer 1
		.amdhsa_user_sgpr_dispatch_ptr 0
		.amdhsa_user_sgpr_queue_ptr 0
		.amdhsa_user_sgpr_kernarg_segment_ptr 1
		.amdhsa_user_sgpr_dispatch_id 0
		.amdhsa_user_sgpr_flat_scratch_init 0
		.amdhsa_user_sgpr_private_segment_size 0
		.amdhsa_uses_dynamic_stack 0
		.amdhsa_system_sgpr_private_segment_wavefront_offset 0
		.amdhsa_system_sgpr_workgroup_id_x 1
		.amdhsa_system_sgpr_workgroup_id_y 0
		.amdhsa_system_sgpr_workgroup_id_z 0
		.amdhsa_system_sgpr_workgroup_info 0
		.amdhsa_system_vgpr_workitem_id 0
		.amdhsa_next_free_vgpr 1
		.amdhsa_next_free_sgpr 0
		.amdhsa_reserve_vcc 0
		.amdhsa_reserve_flat_scratch 0
		.amdhsa_float_round_mode_32 0
		.amdhsa_float_round_mode_16_64 0
		.amdhsa_float_denorm_mode_32 3
		.amdhsa_float_denorm_mode_16_64 3
		.amdhsa_dx10_clamp 1
		.amdhsa_ieee_mode 1
		.amdhsa_fp16_overflow 0
		.amdhsa_exception_fp_ieee_invalid_op 0
		.amdhsa_exception_fp_denorm_src 0
		.amdhsa_exception_fp_ieee_div_zero 0
		.amdhsa_exception_fp_ieee_overflow 0
		.amdhsa_exception_fp_ieee_underflow 0
		.amdhsa_exception_fp_ieee_inexact 0
		.amdhsa_exception_int_div_zero 0
	.end_amdhsa_kernel
	.section	.text._ZN7rocprim17ROCPRIM_400000_NS6detail17trampoline_kernelINS0_14default_configENS1_25partition_config_selectorILNS1_17partition_subalgoE8ExNS0_10empty_typeEbEEZZNS1_14partition_implILS5_8ELb0ES3_jN6thrust23THRUST_200600_302600_NS6detail15normal_iteratorINSA_10device_ptrIxEEEEPS6_PKS6_NS0_5tupleIJSF_S6_EEENSJ_IJSG_SG_EEENS0_18inequality_wrapperI22is_equal_div_10_uniqueIxEEEPmJS6_EEE10hipError_tPvRmT3_T4_T5_T6_T7_T9_mT8_P12ihipStream_tbDpT10_ENKUlT_T0_E_clISt17integral_constantIbLb0EES1A_EEDaS15_S16_EUlS15_E_NS1_11comp_targetILNS1_3genE4ELNS1_11target_archE910ELNS1_3gpuE8ELNS1_3repE0EEENS1_30default_config_static_selectorELNS0_4arch9wavefront6targetE1EEEvT1_,"axG",@progbits,_ZN7rocprim17ROCPRIM_400000_NS6detail17trampoline_kernelINS0_14default_configENS1_25partition_config_selectorILNS1_17partition_subalgoE8ExNS0_10empty_typeEbEEZZNS1_14partition_implILS5_8ELb0ES3_jN6thrust23THRUST_200600_302600_NS6detail15normal_iteratorINSA_10device_ptrIxEEEEPS6_PKS6_NS0_5tupleIJSF_S6_EEENSJ_IJSG_SG_EEENS0_18inequality_wrapperI22is_equal_div_10_uniqueIxEEEPmJS6_EEE10hipError_tPvRmT3_T4_T5_T6_T7_T9_mT8_P12ihipStream_tbDpT10_ENKUlT_T0_E_clISt17integral_constantIbLb0EES1A_EEDaS15_S16_EUlS15_E_NS1_11comp_targetILNS1_3genE4ELNS1_11target_archE910ELNS1_3gpuE8ELNS1_3repE0EEENS1_30default_config_static_selectorELNS0_4arch9wavefront6targetE1EEEvT1_,comdat
.Lfunc_end374:
	.size	_ZN7rocprim17ROCPRIM_400000_NS6detail17trampoline_kernelINS0_14default_configENS1_25partition_config_selectorILNS1_17partition_subalgoE8ExNS0_10empty_typeEbEEZZNS1_14partition_implILS5_8ELb0ES3_jN6thrust23THRUST_200600_302600_NS6detail15normal_iteratorINSA_10device_ptrIxEEEEPS6_PKS6_NS0_5tupleIJSF_S6_EEENSJ_IJSG_SG_EEENS0_18inequality_wrapperI22is_equal_div_10_uniqueIxEEEPmJS6_EEE10hipError_tPvRmT3_T4_T5_T6_T7_T9_mT8_P12ihipStream_tbDpT10_ENKUlT_T0_E_clISt17integral_constantIbLb0EES1A_EEDaS15_S16_EUlS15_E_NS1_11comp_targetILNS1_3genE4ELNS1_11target_archE910ELNS1_3gpuE8ELNS1_3repE0EEENS1_30default_config_static_selectorELNS0_4arch9wavefront6targetE1EEEvT1_, .Lfunc_end374-_ZN7rocprim17ROCPRIM_400000_NS6detail17trampoline_kernelINS0_14default_configENS1_25partition_config_selectorILNS1_17partition_subalgoE8ExNS0_10empty_typeEbEEZZNS1_14partition_implILS5_8ELb0ES3_jN6thrust23THRUST_200600_302600_NS6detail15normal_iteratorINSA_10device_ptrIxEEEEPS6_PKS6_NS0_5tupleIJSF_S6_EEENSJ_IJSG_SG_EEENS0_18inequality_wrapperI22is_equal_div_10_uniqueIxEEEPmJS6_EEE10hipError_tPvRmT3_T4_T5_T6_T7_T9_mT8_P12ihipStream_tbDpT10_ENKUlT_T0_E_clISt17integral_constantIbLb0EES1A_EEDaS15_S16_EUlS15_E_NS1_11comp_targetILNS1_3genE4ELNS1_11target_archE910ELNS1_3gpuE8ELNS1_3repE0EEENS1_30default_config_static_selectorELNS0_4arch9wavefront6targetE1EEEvT1_
                                        ; -- End function
	.set _ZN7rocprim17ROCPRIM_400000_NS6detail17trampoline_kernelINS0_14default_configENS1_25partition_config_selectorILNS1_17partition_subalgoE8ExNS0_10empty_typeEbEEZZNS1_14partition_implILS5_8ELb0ES3_jN6thrust23THRUST_200600_302600_NS6detail15normal_iteratorINSA_10device_ptrIxEEEEPS6_PKS6_NS0_5tupleIJSF_S6_EEENSJ_IJSG_SG_EEENS0_18inequality_wrapperI22is_equal_div_10_uniqueIxEEEPmJS6_EEE10hipError_tPvRmT3_T4_T5_T6_T7_T9_mT8_P12ihipStream_tbDpT10_ENKUlT_T0_E_clISt17integral_constantIbLb0EES1A_EEDaS15_S16_EUlS15_E_NS1_11comp_targetILNS1_3genE4ELNS1_11target_archE910ELNS1_3gpuE8ELNS1_3repE0EEENS1_30default_config_static_selectorELNS0_4arch9wavefront6targetE1EEEvT1_.num_vgpr, 0
	.set _ZN7rocprim17ROCPRIM_400000_NS6detail17trampoline_kernelINS0_14default_configENS1_25partition_config_selectorILNS1_17partition_subalgoE8ExNS0_10empty_typeEbEEZZNS1_14partition_implILS5_8ELb0ES3_jN6thrust23THRUST_200600_302600_NS6detail15normal_iteratorINSA_10device_ptrIxEEEEPS6_PKS6_NS0_5tupleIJSF_S6_EEENSJ_IJSG_SG_EEENS0_18inequality_wrapperI22is_equal_div_10_uniqueIxEEEPmJS6_EEE10hipError_tPvRmT3_T4_T5_T6_T7_T9_mT8_P12ihipStream_tbDpT10_ENKUlT_T0_E_clISt17integral_constantIbLb0EES1A_EEDaS15_S16_EUlS15_E_NS1_11comp_targetILNS1_3genE4ELNS1_11target_archE910ELNS1_3gpuE8ELNS1_3repE0EEENS1_30default_config_static_selectorELNS0_4arch9wavefront6targetE1EEEvT1_.num_agpr, 0
	.set _ZN7rocprim17ROCPRIM_400000_NS6detail17trampoline_kernelINS0_14default_configENS1_25partition_config_selectorILNS1_17partition_subalgoE8ExNS0_10empty_typeEbEEZZNS1_14partition_implILS5_8ELb0ES3_jN6thrust23THRUST_200600_302600_NS6detail15normal_iteratorINSA_10device_ptrIxEEEEPS6_PKS6_NS0_5tupleIJSF_S6_EEENSJ_IJSG_SG_EEENS0_18inequality_wrapperI22is_equal_div_10_uniqueIxEEEPmJS6_EEE10hipError_tPvRmT3_T4_T5_T6_T7_T9_mT8_P12ihipStream_tbDpT10_ENKUlT_T0_E_clISt17integral_constantIbLb0EES1A_EEDaS15_S16_EUlS15_E_NS1_11comp_targetILNS1_3genE4ELNS1_11target_archE910ELNS1_3gpuE8ELNS1_3repE0EEENS1_30default_config_static_selectorELNS0_4arch9wavefront6targetE1EEEvT1_.numbered_sgpr, 0
	.set _ZN7rocprim17ROCPRIM_400000_NS6detail17trampoline_kernelINS0_14default_configENS1_25partition_config_selectorILNS1_17partition_subalgoE8ExNS0_10empty_typeEbEEZZNS1_14partition_implILS5_8ELb0ES3_jN6thrust23THRUST_200600_302600_NS6detail15normal_iteratorINSA_10device_ptrIxEEEEPS6_PKS6_NS0_5tupleIJSF_S6_EEENSJ_IJSG_SG_EEENS0_18inequality_wrapperI22is_equal_div_10_uniqueIxEEEPmJS6_EEE10hipError_tPvRmT3_T4_T5_T6_T7_T9_mT8_P12ihipStream_tbDpT10_ENKUlT_T0_E_clISt17integral_constantIbLb0EES1A_EEDaS15_S16_EUlS15_E_NS1_11comp_targetILNS1_3genE4ELNS1_11target_archE910ELNS1_3gpuE8ELNS1_3repE0EEENS1_30default_config_static_selectorELNS0_4arch9wavefront6targetE1EEEvT1_.num_named_barrier, 0
	.set _ZN7rocprim17ROCPRIM_400000_NS6detail17trampoline_kernelINS0_14default_configENS1_25partition_config_selectorILNS1_17partition_subalgoE8ExNS0_10empty_typeEbEEZZNS1_14partition_implILS5_8ELb0ES3_jN6thrust23THRUST_200600_302600_NS6detail15normal_iteratorINSA_10device_ptrIxEEEEPS6_PKS6_NS0_5tupleIJSF_S6_EEENSJ_IJSG_SG_EEENS0_18inequality_wrapperI22is_equal_div_10_uniqueIxEEEPmJS6_EEE10hipError_tPvRmT3_T4_T5_T6_T7_T9_mT8_P12ihipStream_tbDpT10_ENKUlT_T0_E_clISt17integral_constantIbLb0EES1A_EEDaS15_S16_EUlS15_E_NS1_11comp_targetILNS1_3genE4ELNS1_11target_archE910ELNS1_3gpuE8ELNS1_3repE0EEENS1_30default_config_static_selectorELNS0_4arch9wavefront6targetE1EEEvT1_.private_seg_size, 0
	.set _ZN7rocprim17ROCPRIM_400000_NS6detail17trampoline_kernelINS0_14default_configENS1_25partition_config_selectorILNS1_17partition_subalgoE8ExNS0_10empty_typeEbEEZZNS1_14partition_implILS5_8ELb0ES3_jN6thrust23THRUST_200600_302600_NS6detail15normal_iteratorINSA_10device_ptrIxEEEEPS6_PKS6_NS0_5tupleIJSF_S6_EEENSJ_IJSG_SG_EEENS0_18inequality_wrapperI22is_equal_div_10_uniqueIxEEEPmJS6_EEE10hipError_tPvRmT3_T4_T5_T6_T7_T9_mT8_P12ihipStream_tbDpT10_ENKUlT_T0_E_clISt17integral_constantIbLb0EES1A_EEDaS15_S16_EUlS15_E_NS1_11comp_targetILNS1_3genE4ELNS1_11target_archE910ELNS1_3gpuE8ELNS1_3repE0EEENS1_30default_config_static_selectorELNS0_4arch9wavefront6targetE1EEEvT1_.uses_vcc, 0
	.set _ZN7rocprim17ROCPRIM_400000_NS6detail17trampoline_kernelINS0_14default_configENS1_25partition_config_selectorILNS1_17partition_subalgoE8ExNS0_10empty_typeEbEEZZNS1_14partition_implILS5_8ELb0ES3_jN6thrust23THRUST_200600_302600_NS6detail15normal_iteratorINSA_10device_ptrIxEEEEPS6_PKS6_NS0_5tupleIJSF_S6_EEENSJ_IJSG_SG_EEENS0_18inequality_wrapperI22is_equal_div_10_uniqueIxEEEPmJS6_EEE10hipError_tPvRmT3_T4_T5_T6_T7_T9_mT8_P12ihipStream_tbDpT10_ENKUlT_T0_E_clISt17integral_constantIbLb0EES1A_EEDaS15_S16_EUlS15_E_NS1_11comp_targetILNS1_3genE4ELNS1_11target_archE910ELNS1_3gpuE8ELNS1_3repE0EEENS1_30default_config_static_selectorELNS0_4arch9wavefront6targetE1EEEvT1_.uses_flat_scratch, 0
	.set _ZN7rocprim17ROCPRIM_400000_NS6detail17trampoline_kernelINS0_14default_configENS1_25partition_config_selectorILNS1_17partition_subalgoE8ExNS0_10empty_typeEbEEZZNS1_14partition_implILS5_8ELb0ES3_jN6thrust23THRUST_200600_302600_NS6detail15normal_iteratorINSA_10device_ptrIxEEEEPS6_PKS6_NS0_5tupleIJSF_S6_EEENSJ_IJSG_SG_EEENS0_18inequality_wrapperI22is_equal_div_10_uniqueIxEEEPmJS6_EEE10hipError_tPvRmT3_T4_T5_T6_T7_T9_mT8_P12ihipStream_tbDpT10_ENKUlT_T0_E_clISt17integral_constantIbLb0EES1A_EEDaS15_S16_EUlS15_E_NS1_11comp_targetILNS1_3genE4ELNS1_11target_archE910ELNS1_3gpuE8ELNS1_3repE0EEENS1_30default_config_static_selectorELNS0_4arch9wavefront6targetE1EEEvT1_.has_dyn_sized_stack, 0
	.set _ZN7rocprim17ROCPRIM_400000_NS6detail17trampoline_kernelINS0_14default_configENS1_25partition_config_selectorILNS1_17partition_subalgoE8ExNS0_10empty_typeEbEEZZNS1_14partition_implILS5_8ELb0ES3_jN6thrust23THRUST_200600_302600_NS6detail15normal_iteratorINSA_10device_ptrIxEEEEPS6_PKS6_NS0_5tupleIJSF_S6_EEENSJ_IJSG_SG_EEENS0_18inequality_wrapperI22is_equal_div_10_uniqueIxEEEPmJS6_EEE10hipError_tPvRmT3_T4_T5_T6_T7_T9_mT8_P12ihipStream_tbDpT10_ENKUlT_T0_E_clISt17integral_constantIbLb0EES1A_EEDaS15_S16_EUlS15_E_NS1_11comp_targetILNS1_3genE4ELNS1_11target_archE910ELNS1_3gpuE8ELNS1_3repE0EEENS1_30default_config_static_selectorELNS0_4arch9wavefront6targetE1EEEvT1_.has_recursion, 0
	.set _ZN7rocprim17ROCPRIM_400000_NS6detail17trampoline_kernelINS0_14default_configENS1_25partition_config_selectorILNS1_17partition_subalgoE8ExNS0_10empty_typeEbEEZZNS1_14partition_implILS5_8ELb0ES3_jN6thrust23THRUST_200600_302600_NS6detail15normal_iteratorINSA_10device_ptrIxEEEEPS6_PKS6_NS0_5tupleIJSF_S6_EEENSJ_IJSG_SG_EEENS0_18inequality_wrapperI22is_equal_div_10_uniqueIxEEEPmJS6_EEE10hipError_tPvRmT3_T4_T5_T6_T7_T9_mT8_P12ihipStream_tbDpT10_ENKUlT_T0_E_clISt17integral_constantIbLb0EES1A_EEDaS15_S16_EUlS15_E_NS1_11comp_targetILNS1_3genE4ELNS1_11target_archE910ELNS1_3gpuE8ELNS1_3repE0EEENS1_30default_config_static_selectorELNS0_4arch9wavefront6targetE1EEEvT1_.has_indirect_call, 0
	.section	.AMDGPU.csdata,"",@progbits
; Kernel info:
; codeLenInByte = 0
; TotalNumSgprs: 4
; NumVgprs: 0
; ScratchSize: 0
; MemoryBound: 0
; FloatMode: 240
; IeeeMode: 1
; LDSByteSize: 0 bytes/workgroup (compile time only)
; SGPRBlocks: 0
; VGPRBlocks: 0
; NumSGPRsForWavesPerEU: 4
; NumVGPRsForWavesPerEU: 1
; Occupancy: 10
; WaveLimiterHint : 0
; COMPUTE_PGM_RSRC2:SCRATCH_EN: 0
; COMPUTE_PGM_RSRC2:USER_SGPR: 6
; COMPUTE_PGM_RSRC2:TRAP_HANDLER: 0
; COMPUTE_PGM_RSRC2:TGID_X_EN: 1
; COMPUTE_PGM_RSRC2:TGID_Y_EN: 0
; COMPUTE_PGM_RSRC2:TGID_Z_EN: 0
; COMPUTE_PGM_RSRC2:TIDIG_COMP_CNT: 0
	.section	.text._ZN7rocprim17ROCPRIM_400000_NS6detail17trampoline_kernelINS0_14default_configENS1_25partition_config_selectorILNS1_17partition_subalgoE8ExNS0_10empty_typeEbEEZZNS1_14partition_implILS5_8ELb0ES3_jN6thrust23THRUST_200600_302600_NS6detail15normal_iteratorINSA_10device_ptrIxEEEEPS6_PKS6_NS0_5tupleIJSF_S6_EEENSJ_IJSG_SG_EEENS0_18inequality_wrapperI22is_equal_div_10_uniqueIxEEEPmJS6_EEE10hipError_tPvRmT3_T4_T5_T6_T7_T9_mT8_P12ihipStream_tbDpT10_ENKUlT_T0_E_clISt17integral_constantIbLb0EES1A_EEDaS15_S16_EUlS15_E_NS1_11comp_targetILNS1_3genE3ELNS1_11target_archE908ELNS1_3gpuE7ELNS1_3repE0EEENS1_30default_config_static_selectorELNS0_4arch9wavefront6targetE1EEEvT1_,"axG",@progbits,_ZN7rocprim17ROCPRIM_400000_NS6detail17trampoline_kernelINS0_14default_configENS1_25partition_config_selectorILNS1_17partition_subalgoE8ExNS0_10empty_typeEbEEZZNS1_14partition_implILS5_8ELb0ES3_jN6thrust23THRUST_200600_302600_NS6detail15normal_iteratorINSA_10device_ptrIxEEEEPS6_PKS6_NS0_5tupleIJSF_S6_EEENSJ_IJSG_SG_EEENS0_18inequality_wrapperI22is_equal_div_10_uniqueIxEEEPmJS6_EEE10hipError_tPvRmT3_T4_T5_T6_T7_T9_mT8_P12ihipStream_tbDpT10_ENKUlT_T0_E_clISt17integral_constantIbLb0EES1A_EEDaS15_S16_EUlS15_E_NS1_11comp_targetILNS1_3genE3ELNS1_11target_archE908ELNS1_3gpuE7ELNS1_3repE0EEENS1_30default_config_static_selectorELNS0_4arch9wavefront6targetE1EEEvT1_,comdat
	.protected	_ZN7rocprim17ROCPRIM_400000_NS6detail17trampoline_kernelINS0_14default_configENS1_25partition_config_selectorILNS1_17partition_subalgoE8ExNS0_10empty_typeEbEEZZNS1_14partition_implILS5_8ELb0ES3_jN6thrust23THRUST_200600_302600_NS6detail15normal_iteratorINSA_10device_ptrIxEEEEPS6_PKS6_NS0_5tupleIJSF_S6_EEENSJ_IJSG_SG_EEENS0_18inequality_wrapperI22is_equal_div_10_uniqueIxEEEPmJS6_EEE10hipError_tPvRmT3_T4_T5_T6_T7_T9_mT8_P12ihipStream_tbDpT10_ENKUlT_T0_E_clISt17integral_constantIbLb0EES1A_EEDaS15_S16_EUlS15_E_NS1_11comp_targetILNS1_3genE3ELNS1_11target_archE908ELNS1_3gpuE7ELNS1_3repE0EEENS1_30default_config_static_selectorELNS0_4arch9wavefront6targetE1EEEvT1_ ; -- Begin function _ZN7rocprim17ROCPRIM_400000_NS6detail17trampoline_kernelINS0_14default_configENS1_25partition_config_selectorILNS1_17partition_subalgoE8ExNS0_10empty_typeEbEEZZNS1_14partition_implILS5_8ELb0ES3_jN6thrust23THRUST_200600_302600_NS6detail15normal_iteratorINSA_10device_ptrIxEEEEPS6_PKS6_NS0_5tupleIJSF_S6_EEENSJ_IJSG_SG_EEENS0_18inequality_wrapperI22is_equal_div_10_uniqueIxEEEPmJS6_EEE10hipError_tPvRmT3_T4_T5_T6_T7_T9_mT8_P12ihipStream_tbDpT10_ENKUlT_T0_E_clISt17integral_constantIbLb0EES1A_EEDaS15_S16_EUlS15_E_NS1_11comp_targetILNS1_3genE3ELNS1_11target_archE908ELNS1_3gpuE7ELNS1_3repE0EEENS1_30default_config_static_selectorELNS0_4arch9wavefront6targetE1EEEvT1_
	.globl	_ZN7rocprim17ROCPRIM_400000_NS6detail17trampoline_kernelINS0_14default_configENS1_25partition_config_selectorILNS1_17partition_subalgoE8ExNS0_10empty_typeEbEEZZNS1_14partition_implILS5_8ELb0ES3_jN6thrust23THRUST_200600_302600_NS6detail15normal_iteratorINSA_10device_ptrIxEEEEPS6_PKS6_NS0_5tupleIJSF_S6_EEENSJ_IJSG_SG_EEENS0_18inequality_wrapperI22is_equal_div_10_uniqueIxEEEPmJS6_EEE10hipError_tPvRmT3_T4_T5_T6_T7_T9_mT8_P12ihipStream_tbDpT10_ENKUlT_T0_E_clISt17integral_constantIbLb0EES1A_EEDaS15_S16_EUlS15_E_NS1_11comp_targetILNS1_3genE3ELNS1_11target_archE908ELNS1_3gpuE7ELNS1_3repE0EEENS1_30default_config_static_selectorELNS0_4arch9wavefront6targetE1EEEvT1_
	.p2align	8
	.type	_ZN7rocprim17ROCPRIM_400000_NS6detail17trampoline_kernelINS0_14default_configENS1_25partition_config_selectorILNS1_17partition_subalgoE8ExNS0_10empty_typeEbEEZZNS1_14partition_implILS5_8ELb0ES3_jN6thrust23THRUST_200600_302600_NS6detail15normal_iteratorINSA_10device_ptrIxEEEEPS6_PKS6_NS0_5tupleIJSF_S6_EEENSJ_IJSG_SG_EEENS0_18inequality_wrapperI22is_equal_div_10_uniqueIxEEEPmJS6_EEE10hipError_tPvRmT3_T4_T5_T6_T7_T9_mT8_P12ihipStream_tbDpT10_ENKUlT_T0_E_clISt17integral_constantIbLb0EES1A_EEDaS15_S16_EUlS15_E_NS1_11comp_targetILNS1_3genE3ELNS1_11target_archE908ELNS1_3gpuE7ELNS1_3repE0EEENS1_30default_config_static_selectorELNS0_4arch9wavefront6targetE1EEEvT1_,@function
_ZN7rocprim17ROCPRIM_400000_NS6detail17trampoline_kernelINS0_14default_configENS1_25partition_config_selectorILNS1_17partition_subalgoE8ExNS0_10empty_typeEbEEZZNS1_14partition_implILS5_8ELb0ES3_jN6thrust23THRUST_200600_302600_NS6detail15normal_iteratorINSA_10device_ptrIxEEEEPS6_PKS6_NS0_5tupleIJSF_S6_EEENSJ_IJSG_SG_EEENS0_18inequality_wrapperI22is_equal_div_10_uniqueIxEEEPmJS6_EEE10hipError_tPvRmT3_T4_T5_T6_T7_T9_mT8_P12ihipStream_tbDpT10_ENKUlT_T0_E_clISt17integral_constantIbLb0EES1A_EEDaS15_S16_EUlS15_E_NS1_11comp_targetILNS1_3genE3ELNS1_11target_archE908ELNS1_3gpuE7ELNS1_3repE0EEENS1_30default_config_static_selectorELNS0_4arch9wavefront6targetE1EEEvT1_: ; @_ZN7rocprim17ROCPRIM_400000_NS6detail17trampoline_kernelINS0_14default_configENS1_25partition_config_selectorILNS1_17partition_subalgoE8ExNS0_10empty_typeEbEEZZNS1_14partition_implILS5_8ELb0ES3_jN6thrust23THRUST_200600_302600_NS6detail15normal_iteratorINSA_10device_ptrIxEEEEPS6_PKS6_NS0_5tupleIJSF_S6_EEENSJ_IJSG_SG_EEENS0_18inequality_wrapperI22is_equal_div_10_uniqueIxEEEPmJS6_EEE10hipError_tPvRmT3_T4_T5_T6_T7_T9_mT8_P12ihipStream_tbDpT10_ENKUlT_T0_E_clISt17integral_constantIbLb0EES1A_EEDaS15_S16_EUlS15_E_NS1_11comp_targetILNS1_3genE3ELNS1_11target_archE908ELNS1_3gpuE7ELNS1_3repE0EEENS1_30default_config_static_selectorELNS0_4arch9wavefront6targetE1EEEvT1_
; %bb.0:
	.section	.rodata,"a",@progbits
	.p2align	6, 0x0
	.amdhsa_kernel _ZN7rocprim17ROCPRIM_400000_NS6detail17trampoline_kernelINS0_14default_configENS1_25partition_config_selectorILNS1_17partition_subalgoE8ExNS0_10empty_typeEbEEZZNS1_14partition_implILS5_8ELb0ES3_jN6thrust23THRUST_200600_302600_NS6detail15normal_iteratorINSA_10device_ptrIxEEEEPS6_PKS6_NS0_5tupleIJSF_S6_EEENSJ_IJSG_SG_EEENS0_18inequality_wrapperI22is_equal_div_10_uniqueIxEEEPmJS6_EEE10hipError_tPvRmT3_T4_T5_T6_T7_T9_mT8_P12ihipStream_tbDpT10_ENKUlT_T0_E_clISt17integral_constantIbLb0EES1A_EEDaS15_S16_EUlS15_E_NS1_11comp_targetILNS1_3genE3ELNS1_11target_archE908ELNS1_3gpuE7ELNS1_3repE0EEENS1_30default_config_static_selectorELNS0_4arch9wavefront6targetE1EEEvT1_
		.amdhsa_group_segment_fixed_size 0
		.amdhsa_private_segment_fixed_size 0
		.amdhsa_kernarg_size 112
		.amdhsa_user_sgpr_count 6
		.amdhsa_user_sgpr_private_segment_buffer 1
		.amdhsa_user_sgpr_dispatch_ptr 0
		.amdhsa_user_sgpr_queue_ptr 0
		.amdhsa_user_sgpr_kernarg_segment_ptr 1
		.amdhsa_user_sgpr_dispatch_id 0
		.amdhsa_user_sgpr_flat_scratch_init 0
		.amdhsa_user_sgpr_private_segment_size 0
		.amdhsa_uses_dynamic_stack 0
		.amdhsa_system_sgpr_private_segment_wavefront_offset 0
		.amdhsa_system_sgpr_workgroup_id_x 1
		.amdhsa_system_sgpr_workgroup_id_y 0
		.amdhsa_system_sgpr_workgroup_id_z 0
		.amdhsa_system_sgpr_workgroup_info 0
		.amdhsa_system_vgpr_workitem_id 0
		.amdhsa_next_free_vgpr 1
		.amdhsa_next_free_sgpr 0
		.amdhsa_reserve_vcc 0
		.amdhsa_reserve_flat_scratch 0
		.amdhsa_float_round_mode_32 0
		.amdhsa_float_round_mode_16_64 0
		.amdhsa_float_denorm_mode_32 3
		.amdhsa_float_denorm_mode_16_64 3
		.amdhsa_dx10_clamp 1
		.amdhsa_ieee_mode 1
		.amdhsa_fp16_overflow 0
		.amdhsa_exception_fp_ieee_invalid_op 0
		.amdhsa_exception_fp_denorm_src 0
		.amdhsa_exception_fp_ieee_div_zero 0
		.amdhsa_exception_fp_ieee_overflow 0
		.amdhsa_exception_fp_ieee_underflow 0
		.amdhsa_exception_fp_ieee_inexact 0
		.amdhsa_exception_int_div_zero 0
	.end_amdhsa_kernel
	.section	.text._ZN7rocprim17ROCPRIM_400000_NS6detail17trampoline_kernelINS0_14default_configENS1_25partition_config_selectorILNS1_17partition_subalgoE8ExNS0_10empty_typeEbEEZZNS1_14partition_implILS5_8ELb0ES3_jN6thrust23THRUST_200600_302600_NS6detail15normal_iteratorINSA_10device_ptrIxEEEEPS6_PKS6_NS0_5tupleIJSF_S6_EEENSJ_IJSG_SG_EEENS0_18inequality_wrapperI22is_equal_div_10_uniqueIxEEEPmJS6_EEE10hipError_tPvRmT3_T4_T5_T6_T7_T9_mT8_P12ihipStream_tbDpT10_ENKUlT_T0_E_clISt17integral_constantIbLb0EES1A_EEDaS15_S16_EUlS15_E_NS1_11comp_targetILNS1_3genE3ELNS1_11target_archE908ELNS1_3gpuE7ELNS1_3repE0EEENS1_30default_config_static_selectorELNS0_4arch9wavefront6targetE1EEEvT1_,"axG",@progbits,_ZN7rocprim17ROCPRIM_400000_NS6detail17trampoline_kernelINS0_14default_configENS1_25partition_config_selectorILNS1_17partition_subalgoE8ExNS0_10empty_typeEbEEZZNS1_14partition_implILS5_8ELb0ES3_jN6thrust23THRUST_200600_302600_NS6detail15normal_iteratorINSA_10device_ptrIxEEEEPS6_PKS6_NS0_5tupleIJSF_S6_EEENSJ_IJSG_SG_EEENS0_18inequality_wrapperI22is_equal_div_10_uniqueIxEEEPmJS6_EEE10hipError_tPvRmT3_T4_T5_T6_T7_T9_mT8_P12ihipStream_tbDpT10_ENKUlT_T0_E_clISt17integral_constantIbLb0EES1A_EEDaS15_S16_EUlS15_E_NS1_11comp_targetILNS1_3genE3ELNS1_11target_archE908ELNS1_3gpuE7ELNS1_3repE0EEENS1_30default_config_static_selectorELNS0_4arch9wavefront6targetE1EEEvT1_,comdat
.Lfunc_end375:
	.size	_ZN7rocprim17ROCPRIM_400000_NS6detail17trampoline_kernelINS0_14default_configENS1_25partition_config_selectorILNS1_17partition_subalgoE8ExNS0_10empty_typeEbEEZZNS1_14partition_implILS5_8ELb0ES3_jN6thrust23THRUST_200600_302600_NS6detail15normal_iteratorINSA_10device_ptrIxEEEEPS6_PKS6_NS0_5tupleIJSF_S6_EEENSJ_IJSG_SG_EEENS0_18inequality_wrapperI22is_equal_div_10_uniqueIxEEEPmJS6_EEE10hipError_tPvRmT3_T4_T5_T6_T7_T9_mT8_P12ihipStream_tbDpT10_ENKUlT_T0_E_clISt17integral_constantIbLb0EES1A_EEDaS15_S16_EUlS15_E_NS1_11comp_targetILNS1_3genE3ELNS1_11target_archE908ELNS1_3gpuE7ELNS1_3repE0EEENS1_30default_config_static_selectorELNS0_4arch9wavefront6targetE1EEEvT1_, .Lfunc_end375-_ZN7rocprim17ROCPRIM_400000_NS6detail17trampoline_kernelINS0_14default_configENS1_25partition_config_selectorILNS1_17partition_subalgoE8ExNS0_10empty_typeEbEEZZNS1_14partition_implILS5_8ELb0ES3_jN6thrust23THRUST_200600_302600_NS6detail15normal_iteratorINSA_10device_ptrIxEEEEPS6_PKS6_NS0_5tupleIJSF_S6_EEENSJ_IJSG_SG_EEENS0_18inequality_wrapperI22is_equal_div_10_uniqueIxEEEPmJS6_EEE10hipError_tPvRmT3_T4_T5_T6_T7_T9_mT8_P12ihipStream_tbDpT10_ENKUlT_T0_E_clISt17integral_constantIbLb0EES1A_EEDaS15_S16_EUlS15_E_NS1_11comp_targetILNS1_3genE3ELNS1_11target_archE908ELNS1_3gpuE7ELNS1_3repE0EEENS1_30default_config_static_selectorELNS0_4arch9wavefront6targetE1EEEvT1_
                                        ; -- End function
	.set _ZN7rocprim17ROCPRIM_400000_NS6detail17trampoline_kernelINS0_14default_configENS1_25partition_config_selectorILNS1_17partition_subalgoE8ExNS0_10empty_typeEbEEZZNS1_14partition_implILS5_8ELb0ES3_jN6thrust23THRUST_200600_302600_NS6detail15normal_iteratorINSA_10device_ptrIxEEEEPS6_PKS6_NS0_5tupleIJSF_S6_EEENSJ_IJSG_SG_EEENS0_18inequality_wrapperI22is_equal_div_10_uniqueIxEEEPmJS6_EEE10hipError_tPvRmT3_T4_T5_T6_T7_T9_mT8_P12ihipStream_tbDpT10_ENKUlT_T0_E_clISt17integral_constantIbLb0EES1A_EEDaS15_S16_EUlS15_E_NS1_11comp_targetILNS1_3genE3ELNS1_11target_archE908ELNS1_3gpuE7ELNS1_3repE0EEENS1_30default_config_static_selectorELNS0_4arch9wavefront6targetE1EEEvT1_.num_vgpr, 0
	.set _ZN7rocprim17ROCPRIM_400000_NS6detail17trampoline_kernelINS0_14default_configENS1_25partition_config_selectorILNS1_17partition_subalgoE8ExNS0_10empty_typeEbEEZZNS1_14partition_implILS5_8ELb0ES3_jN6thrust23THRUST_200600_302600_NS6detail15normal_iteratorINSA_10device_ptrIxEEEEPS6_PKS6_NS0_5tupleIJSF_S6_EEENSJ_IJSG_SG_EEENS0_18inequality_wrapperI22is_equal_div_10_uniqueIxEEEPmJS6_EEE10hipError_tPvRmT3_T4_T5_T6_T7_T9_mT8_P12ihipStream_tbDpT10_ENKUlT_T0_E_clISt17integral_constantIbLb0EES1A_EEDaS15_S16_EUlS15_E_NS1_11comp_targetILNS1_3genE3ELNS1_11target_archE908ELNS1_3gpuE7ELNS1_3repE0EEENS1_30default_config_static_selectorELNS0_4arch9wavefront6targetE1EEEvT1_.num_agpr, 0
	.set _ZN7rocprim17ROCPRIM_400000_NS6detail17trampoline_kernelINS0_14default_configENS1_25partition_config_selectorILNS1_17partition_subalgoE8ExNS0_10empty_typeEbEEZZNS1_14partition_implILS5_8ELb0ES3_jN6thrust23THRUST_200600_302600_NS6detail15normal_iteratorINSA_10device_ptrIxEEEEPS6_PKS6_NS0_5tupleIJSF_S6_EEENSJ_IJSG_SG_EEENS0_18inequality_wrapperI22is_equal_div_10_uniqueIxEEEPmJS6_EEE10hipError_tPvRmT3_T4_T5_T6_T7_T9_mT8_P12ihipStream_tbDpT10_ENKUlT_T0_E_clISt17integral_constantIbLb0EES1A_EEDaS15_S16_EUlS15_E_NS1_11comp_targetILNS1_3genE3ELNS1_11target_archE908ELNS1_3gpuE7ELNS1_3repE0EEENS1_30default_config_static_selectorELNS0_4arch9wavefront6targetE1EEEvT1_.numbered_sgpr, 0
	.set _ZN7rocprim17ROCPRIM_400000_NS6detail17trampoline_kernelINS0_14default_configENS1_25partition_config_selectorILNS1_17partition_subalgoE8ExNS0_10empty_typeEbEEZZNS1_14partition_implILS5_8ELb0ES3_jN6thrust23THRUST_200600_302600_NS6detail15normal_iteratorINSA_10device_ptrIxEEEEPS6_PKS6_NS0_5tupleIJSF_S6_EEENSJ_IJSG_SG_EEENS0_18inequality_wrapperI22is_equal_div_10_uniqueIxEEEPmJS6_EEE10hipError_tPvRmT3_T4_T5_T6_T7_T9_mT8_P12ihipStream_tbDpT10_ENKUlT_T0_E_clISt17integral_constantIbLb0EES1A_EEDaS15_S16_EUlS15_E_NS1_11comp_targetILNS1_3genE3ELNS1_11target_archE908ELNS1_3gpuE7ELNS1_3repE0EEENS1_30default_config_static_selectorELNS0_4arch9wavefront6targetE1EEEvT1_.num_named_barrier, 0
	.set _ZN7rocprim17ROCPRIM_400000_NS6detail17trampoline_kernelINS0_14default_configENS1_25partition_config_selectorILNS1_17partition_subalgoE8ExNS0_10empty_typeEbEEZZNS1_14partition_implILS5_8ELb0ES3_jN6thrust23THRUST_200600_302600_NS6detail15normal_iteratorINSA_10device_ptrIxEEEEPS6_PKS6_NS0_5tupleIJSF_S6_EEENSJ_IJSG_SG_EEENS0_18inequality_wrapperI22is_equal_div_10_uniqueIxEEEPmJS6_EEE10hipError_tPvRmT3_T4_T5_T6_T7_T9_mT8_P12ihipStream_tbDpT10_ENKUlT_T0_E_clISt17integral_constantIbLb0EES1A_EEDaS15_S16_EUlS15_E_NS1_11comp_targetILNS1_3genE3ELNS1_11target_archE908ELNS1_3gpuE7ELNS1_3repE0EEENS1_30default_config_static_selectorELNS0_4arch9wavefront6targetE1EEEvT1_.private_seg_size, 0
	.set _ZN7rocprim17ROCPRIM_400000_NS6detail17trampoline_kernelINS0_14default_configENS1_25partition_config_selectorILNS1_17partition_subalgoE8ExNS0_10empty_typeEbEEZZNS1_14partition_implILS5_8ELb0ES3_jN6thrust23THRUST_200600_302600_NS6detail15normal_iteratorINSA_10device_ptrIxEEEEPS6_PKS6_NS0_5tupleIJSF_S6_EEENSJ_IJSG_SG_EEENS0_18inequality_wrapperI22is_equal_div_10_uniqueIxEEEPmJS6_EEE10hipError_tPvRmT3_T4_T5_T6_T7_T9_mT8_P12ihipStream_tbDpT10_ENKUlT_T0_E_clISt17integral_constantIbLb0EES1A_EEDaS15_S16_EUlS15_E_NS1_11comp_targetILNS1_3genE3ELNS1_11target_archE908ELNS1_3gpuE7ELNS1_3repE0EEENS1_30default_config_static_selectorELNS0_4arch9wavefront6targetE1EEEvT1_.uses_vcc, 0
	.set _ZN7rocprim17ROCPRIM_400000_NS6detail17trampoline_kernelINS0_14default_configENS1_25partition_config_selectorILNS1_17partition_subalgoE8ExNS0_10empty_typeEbEEZZNS1_14partition_implILS5_8ELb0ES3_jN6thrust23THRUST_200600_302600_NS6detail15normal_iteratorINSA_10device_ptrIxEEEEPS6_PKS6_NS0_5tupleIJSF_S6_EEENSJ_IJSG_SG_EEENS0_18inequality_wrapperI22is_equal_div_10_uniqueIxEEEPmJS6_EEE10hipError_tPvRmT3_T4_T5_T6_T7_T9_mT8_P12ihipStream_tbDpT10_ENKUlT_T0_E_clISt17integral_constantIbLb0EES1A_EEDaS15_S16_EUlS15_E_NS1_11comp_targetILNS1_3genE3ELNS1_11target_archE908ELNS1_3gpuE7ELNS1_3repE0EEENS1_30default_config_static_selectorELNS0_4arch9wavefront6targetE1EEEvT1_.uses_flat_scratch, 0
	.set _ZN7rocprim17ROCPRIM_400000_NS6detail17trampoline_kernelINS0_14default_configENS1_25partition_config_selectorILNS1_17partition_subalgoE8ExNS0_10empty_typeEbEEZZNS1_14partition_implILS5_8ELb0ES3_jN6thrust23THRUST_200600_302600_NS6detail15normal_iteratorINSA_10device_ptrIxEEEEPS6_PKS6_NS0_5tupleIJSF_S6_EEENSJ_IJSG_SG_EEENS0_18inequality_wrapperI22is_equal_div_10_uniqueIxEEEPmJS6_EEE10hipError_tPvRmT3_T4_T5_T6_T7_T9_mT8_P12ihipStream_tbDpT10_ENKUlT_T0_E_clISt17integral_constantIbLb0EES1A_EEDaS15_S16_EUlS15_E_NS1_11comp_targetILNS1_3genE3ELNS1_11target_archE908ELNS1_3gpuE7ELNS1_3repE0EEENS1_30default_config_static_selectorELNS0_4arch9wavefront6targetE1EEEvT1_.has_dyn_sized_stack, 0
	.set _ZN7rocprim17ROCPRIM_400000_NS6detail17trampoline_kernelINS0_14default_configENS1_25partition_config_selectorILNS1_17partition_subalgoE8ExNS0_10empty_typeEbEEZZNS1_14partition_implILS5_8ELb0ES3_jN6thrust23THRUST_200600_302600_NS6detail15normal_iteratorINSA_10device_ptrIxEEEEPS6_PKS6_NS0_5tupleIJSF_S6_EEENSJ_IJSG_SG_EEENS0_18inequality_wrapperI22is_equal_div_10_uniqueIxEEEPmJS6_EEE10hipError_tPvRmT3_T4_T5_T6_T7_T9_mT8_P12ihipStream_tbDpT10_ENKUlT_T0_E_clISt17integral_constantIbLb0EES1A_EEDaS15_S16_EUlS15_E_NS1_11comp_targetILNS1_3genE3ELNS1_11target_archE908ELNS1_3gpuE7ELNS1_3repE0EEENS1_30default_config_static_selectorELNS0_4arch9wavefront6targetE1EEEvT1_.has_recursion, 0
	.set _ZN7rocprim17ROCPRIM_400000_NS6detail17trampoline_kernelINS0_14default_configENS1_25partition_config_selectorILNS1_17partition_subalgoE8ExNS0_10empty_typeEbEEZZNS1_14partition_implILS5_8ELb0ES3_jN6thrust23THRUST_200600_302600_NS6detail15normal_iteratorINSA_10device_ptrIxEEEEPS6_PKS6_NS0_5tupleIJSF_S6_EEENSJ_IJSG_SG_EEENS0_18inequality_wrapperI22is_equal_div_10_uniqueIxEEEPmJS6_EEE10hipError_tPvRmT3_T4_T5_T6_T7_T9_mT8_P12ihipStream_tbDpT10_ENKUlT_T0_E_clISt17integral_constantIbLb0EES1A_EEDaS15_S16_EUlS15_E_NS1_11comp_targetILNS1_3genE3ELNS1_11target_archE908ELNS1_3gpuE7ELNS1_3repE0EEENS1_30default_config_static_selectorELNS0_4arch9wavefront6targetE1EEEvT1_.has_indirect_call, 0
	.section	.AMDGPU.csdata,"",@progbits
; Kernel info:
; codeLenInByte = 0
; TotalNumSgprs: 4
; NumVgprs: 0
; ScratchSize: 0
; MemoryBound: 0
; FloatMode: 240
; IeeeMode: 1
; LDSByteSize: 0 bytes/workgroup (compile time only)
; SGPRBlocks: 0
; VGPRBlocks: 0
; NumSGPRsForWavesPerEU: 4
; NumVGPRsForWavesPerEU: 1
; Occupancy: 10
; WaveLimiterHint : 0
; COMPUTE_PGM_RSRC2:SCRATCH_EN: 0
; COMPUTE_PGM_RSRC2:USER_SGPR: 6
; COMPUTE_PGM_RSRC2:TRAP_HANDLER: 0
; COMPUTE_PGM_RSRC2:TGID_X_EN: 1
; COMPUTE_PGM_RSRC2:TGID_Y_EN: 0
; COMPUTE_PGM_RSRC2:TGID_Z_EN: 0
; COMPUTE_PGM_RSRC2:TIDIG_COMP_CNT: 0
	.section	.text._ZN7rocprim17ROCPRIM_400000_NS6detail17trampoline_kernelINS0_14default_configENS1_25partition_config_selectorILNS1_17partition_subalgoE8ExNS0_10empty_typeEbEEZZNS1_14partition_implILS5_8ELb0ES3_jN6thrust23THRUST_200600_302600_NS6detail15normal_iteratorINSA_10device_ptrIxEEEEPS6_PKS6_NS0_5tupleIJSF_S6_EEENSJ_IJSG_SG_EEENS0_18inequality_wrapperI22is_equal_div_10_uniqueIxEEEPmJS6_EEE10hipError_tPvRmT3_T4_T5_T6_T7_T9_mT8_P12ihipStream_tbDpT10_ENKUlT_T0_E_clISt17integral_constantIbLb0EES1A_EEDaS15_S16_EUlS15_E_NS1_11comp_targetILNS1_3genE2ELNS1_11target_archE906ELNS1_3gpuE6ELNS1_3repE0EEENS1_30default_config_static_selectorELNS0_4arch9wavefront6targetE1EEEvT1_,"axG",@progbits,_ZN7rocprim17ROCPRIM_400000_NS6detail17trampoline_kernelINS0_14default_configENS1_25partition_config_selectorILNS1_17partition_subalgoE8ExNS0_10empty_typeEbEEZZNS1_14partition_implILS5_8ELb0ES3_jN6thrust23THRUST_200600_302600_NS6detail15normal_iteratorINSA_10device_ptrIxEEEEPS6_PKS6_NS0_5tupleIJSF_S6_EEENSJ_IJSG_SG_EEENS0_18inequality_wrapperI22is_equal_div_10_uniqueIxEEEPmJS6_EEE10hipError_tPvRmT3_T4_T5_T6_T7_T9_mT8_P12ihipStream_tbDpT10_ENKUlT_T0_E_clISt17integral_constantIbLb0EES1A_EEDaS15_S16_EUlS15_E_NS1_11comp_targetILNS1_3genE2ELNS1_11target_archE906ELNS1_3gpuE6ELNS1_3repE0EEENS1_30default_config_static_selectorELNS0_4arch9wavefront6targetE1EEEvT1_,comdat
	.protected	_ZN7rocprim17ROCPRIM_400000_NS6detail17trampoline_kernelINS0_14default_configENS1_25partition_config_selectorILNS1_17partition_subalgoE8ExNS0_10empty_typeEbEEZZNS1_14partition_implILS5_8ELb0ES3_jN6thrust23THRUST_200600_302600_NS6detail15normal_iteratorINSA_10device_ptrIxEEEEPS6_PKS6_NS0_5tupleIJSF_S6_EEENSJ_IJSG_SG_EEENS0_18inequality_wrapperI22is_equal_div_10_uniqueIxEEEPmJS6_EEE10hipError_tPvRmT3_T4_T5_T6_T7_T9_mT8_P12ihipStream_tbDpT10_ENKUlT_T0_E_clISt17integral_constantIbLb0EES1A_EEDaS15_S16_EUlS15_E_NS1_11comp_targetILNS1_3genE2ELNS1_11target_archE906ELNS1_3gpuE6ELNS1_3repE0EEENS1_30default_config_static_selectorELNS0_4arch9wavefront6targetE1EEEvT1_ ; -- Begin function _ZN7rocprim17ROCPRIM_400000_NS6detail17trampoline_kernelINS0_14default_configENS1_25partition_config_selectorILNS1_17partition_subalgoE8ExNS0_10empty_typeEbEEZZNS1_14partition_implILS5_8ELb0ES3_jN6thrust23THRUST_200600_302600_NS6detail15normal_iteratorINSA_10device_ptrIxEEEEPS6_PKS6_NS0_5tupleIJSF_S6_EEENSJ_IJSG_SG_EEENS0_18inequality_wrapperI22is_equal_div_10_uniqueIxEEEPmJS6_EEE10hipError_tPvRmT3_T4_T5_T6_T7_T9_mT8_P12ihipStream_tbDpT10_ENKUlT_T0_E_clISt17integral_constantIbLb0EES1A_EEDaS15_S16_EUlS15_E_NS1_11comp_targetILNS1_3genE2ELNS1_11target_archE906ELNS1_3gpuE6ELNS1_3repE0EEENS1_30default_config_static_selectorELNS0_4arch9wavefront6targetE1EEEvT1_
	.globl	_ZN7rocprim17ROCPRIM_400000_NS6detail17trampoline_kernelINS0_14default_configENS1_25partition_config_selectorILNS1_17partition_subalgoE8ExNS0_10empty_typeEbEEZZNS1_14partition_implILS5_8ELb0ES3_jN6thrust23THRUST_200600_302600_NS6detail15normal_iteratorINSA_10device_ptrIxEEEEPS6_PKS6_NS0_5tupleIJSF_S6_EEENSJ_IJSG_SG_EEENS0_18inequality_wrapperI22is_equal_div_10_uniqueIxEEEPmJS6_EEE10hipError_tPvRmT3_T4_T5_T6_T7_T9_mT8_P12ihipStream_tbDpT10_ENKUlT_T0_E_clISt17integral_constantIbLb0EES1A_EEDaS15_S16_EUlS15_E_NS1_11comp_targetILNS1_3genE2ELNS1_11target_archE906ELNS1_3gpuE6ELNS1_3repE0EEENS1_30default_config_static_selectorELNS0_4arch9wavefront6targetE1EEEvT1_
	.p2align	8
	.type	_ZN7rocprim17ROCPRIM_400000_NS6detail17trampoline_kernelINS0_14default_configENS1_25partition_config_selectorILNS1_17partition_subalgoE8ExNS0_10empty_typeEbEEZZNS1_14partition_implILS5_8ELb0ES3_jN6thrust23THRUST_200600_302600_NS6detail15normal_iteratorINSA_10device_ptrIxEEEEPS6_PKS6_NS0_5tupleIJSF_S6_EEENSJ_IJSG_SG_EEENS0_18inequality_wrapperI22is_equal_div_10_uniqueIxEEEPmJS6_EEE10hipError_tPvRmT3_T4_T5_T6_T7_T9_mT8_P12ihipStream_tbDpT10_ENKUlT_T0_E_clISt17integral_constantIbLb0EES1A_EEDaS15_S16_EUlS15_E_NS1_11comp_targetILNS1_3genE2ELNS1_11target_archE906ELNS1_3gpuE6ELNS1_3repE0EEENS1_30default_config_static_selectorELNS0_4arch9wavefront6targetE1EEEvT1_,@function
_ZN7rocprim17ROCPRIM_400000_NS6detail17trampoline_kernelINS0_14default_configENS1_25partition_config_selectorILNS1_17partition_subalgoE8ExNS0_10empty_typeEbEEZZNS1_14partition_implILS5_8ELb0ES3_jN6thrust23THRUST_200600_302600_NS6detail15normal_iteratorINSA_10device_ptrIxEEEEPS6_PKS6_NS0_5tupleIJSF_S6_EEENSJ_IJSG_SG_EEENS0_18inequality_wrapperI22is_equal_div_10_uniqueIxEEEPmJS6_EEE10hipError_tPvRmT3_T4_T5_T6_T7_T9_mT8_P12ihipStream_tbDpT10_ENKUlT_T0_E_clISt17integral_constantIbLb0EES1A_EEDaS15_S16_EUlS15_E_NS1_11comp_targetILNS1_3genE2ELNS1_11target_archE906ELNS1_3gpuE6ELNS1_3repE0EEENS1_30default_config_static_selectorELNS0_4arch9wavefront6targetE1EEEvT1_: ; @_ZN7rocprim17ROCPRIM_400000_NS6detail17trampoline_kernelINS0_14default_configENS1_25partition_config_selectorILNS1_17partition_subalgoE8ExNS0_10empty_typeEbEEZZNS1_14partition_implILS5_8ELb0ES3_jN6thrust23THRUST_200600_302600_NS6detail15normal_iteratorINSA_10device_ptrIxEEEEPS6_PKS6_NS0_5tupleIJSF_S6_EEENSJ_IJSG_SG_EEENS0_18inequality_wrapperI22is_equal_div_10_uniqueIxEEEPmJS6_EEE10hipError_tPvRmT3_T4_T5_T6_T7_T9_mT8_P12ihipStream_tbDpT10_ENKUlT_T0_E_clISt17integral_constantIbLb0EES1A_EEDaS15_S16_EUlS15_E_NS1_11comp_targetILNS1_3genE2ELNS1_11target_archE906ELNS1_3gpuE6ELNS1_3repE0EEENS1_30default_config_static_selectorELNS0_4arch9wavefront6targetE1EEEvT1_
; %bb.0:
	s_load_dwordx4 s[0:3], s[4:5], 0x8
	s_load_dwordx4 s[24:27], s[4:5], 0x40
	s_load_dwordx2 s[8:9], s[4:5], 0x50
	s_load_dword s7, s[4:5], 0x68
	v_lshlrev_b32_e32 v31, 3, v0
	s_waitcnt lgkmcnt(0)
	s_lshl_b64 s[10:11], s[2:3], 3
	s_add_u32 s12, s0, s10
	s_addc_u32 s13, s1, s11
	s_mul_i32 s0, s7, 0x700
	s_add_i32 s1, s0, s2
	s_add_i32 s14, s7, -1
	s_sub_i32 s7, s8, s1
	s_add_u32 s0, s2, s0
	s_addc_u32 s1, s3, 0
	v_mov_b32_e32 v2, s1
	v_mov_b32_e32 v1, s0
	v_cmp_le_u64_e32 vcc, s[8:9], v[1:2]
	s_cmp_eq_u32 s6, s14
	s_load_dwordx2 s[22:23], s[26:27], 0x0
	s_cselect_b64 s[26:27], -1, 0
	s_mul_i32 s10, s6, 0x700
	s_mov_b32 s11, 0
	s_and_b64 s[16:17], s[26:27], vcc
	s_xor_b64 s[28:29], s[16:17], -1
	s_lshl_b64 s[8:9], s[10:11], 3
	s_add_u32 s8, s12, s8
	s_mov_b64 s[0:1], -1
	s_addc_u32 s9, s13, s9
	s_and_b64 vcc, exec, s[28:29]
	s_cbranch_vccz .LBB376_2
; %bb.1:
	v_lshlrev_b32_e32 v19, 3, v0
	v_mov_b32_e32 v2, s9
	v_add_co_u32_e32 v1, vcc, s8, v19
	v_addc_co_u32_e32 v2, vcc, 0, v2, vcc
	v_add_co_u32_e32 v3, vcc, 0x1000, v1
	v_addc_co_u32_e32 v4, vcc, 0, v2, vcc
	flat_load_dwordx2 v[5:6], v[1:2]
	flat_load_dwordx2 v[7:8], v[1:2] offset:2048
	flat_load_dwordx2 v[9:10], v[3:4]
	flat_load_dwordx2 v[11:12], v[3:4] offset:2048
	v_add_co_u32_e32 v3, vcc, 0x2000, v1
	v_addc_co_u32_e32 v4, vcc, 0, v2, vcc
	v_add_co_u32_e32 v1, vcc, 0x3000, v1
	v_addc_co_u32_e32 v2, vcc, 0, v2, vcc
	flat_load_dwordx2 v[13:14], v[3:4]
	flat_load_dwordx2 v[15:16], v[3:4] offset:2048
	flat_load_dwordx2 v[17:18], v[1:2]
	s_mov_b64 s[0:1], 0
	s_waitcnt vmcnt(0) lgkmcnt(0)
	ds_write2st64_b64 v19, v[5:6], v[7:8] offset1:4
	ds_write2st64_b64 v19, v[9:10], v[11:12] offset0:8 offset1:12
	ds_write2st64_b64 v19, v[13:14], v[15:16] offset0:16 offset1:20
	ds_write_b64 v19, v[17:18] offset:12288
	s_waitcnt lgkmcnt(0)
	s_barrier
.LBB376_2:
	s_andn2_b64 vcc, exec, s[0:1]
	s_addk_i32 s7, 0x700
	s_cbranch_vccnz .LBB376_18
; %bb.3:
	v_mov_b32_e32 v1, 0
	v_cmp_gt_u32_e32 vcc, s7, v0
	v_mov_b32_e32 v2, v1
	v_mov_b32_e32 v3, v1
	;; [unrolled: 1-line block ×13, first 2 shown]
	s_and_saveexec_b64 s[0:1], vcc
	s_cbranch_execz .LBB376_5
; %bb.4:
	v_lshlrev_b32_e32 v2, 3, v0
	v_mov_b32_e32 v3, s9
	v_add_co_u32_e32 v2, vcc, s8, v2
	v_addc_co_u32_e32 v3, vcc, 0, v3, vcc
	flat_load_dwordx2 v[2:3], v[2:3]
	v_mov_b32_e32 v4, v1
	v_mov_b32_e32 v5, v1
	;; [unrolled: 1-line block ×12, first 2 shown]
	s_waitcnt vmcnt(0) lgkmcnt(0)
	v_mov_b32_e32 v1, v2
	v_mov_b32_e32 v2, v3
	;; [unrolled: 1-line block ×16, first 2 shown]
.LBB376_5:
	s_or_b64 exec, exec, s[0:1]
	v_or_b32_e32 v15, 0x100, v0
	v_cmp_gt_u32_e32 vcc, s7, v15
	s_and_saveexec_b64 s[0:1], vcc
	s_cbranch_execz .LBB376_7
; %bb.6:
	v_lshlrev_b32_e32 v3, 3, v0
	v_mov_b32_e32 v4, s9
	v_add_co_u32_e32 v3, vcc, s8, v3
	v_addc_co_u32_e32 v4, vcc, 0, v4, vcc
	flat_load_dwordx2 v[3:4], v[3:4] offset:2048
.LBB376_7:
	s_or_b64 exec, exec, s[0:1]
	v_or_b32_e32 v15, 0x200, v0
	v_cmp_gt_u32_e32 vcc, s7, v15
	s_and_saveexec_b64 s[0:1], vcc
	s_cbranch_execz .LBB376_9
; %bb.8:
	v_lshlrev_b32_e32 v5, 3, v15
	v_mov_b32_e32 v6, s9
	v_add_co_u32_e32 v5, vcc, s8, v5
	v_addc_co_u32_e32 v6, vcc, 0, v6, vcc
	flat_load_dwordx2 v[5:6], v[5:6]
.LBB376_9:
	s_or_b64 exec, exec, s[0:1]
	v_or_b32_e32 v15, 0x300, v0
	v_cmp_gt_u32_e32 vcc, s7, v15
	s_and_saveexec_b64 s[0:1], vcc
	s_cbranch_execz .LBB376_11
; %bb.10:
	v_lshlrev_b32_e32 v7, 3, v15
	v_mov_b32_e32 v8, s9
	v_add_co_u32_e32 v7, vcc, s8, v7
	v_addc_co_u32_e32 v8, vcc, 0, v8, vcc
	flat_load_dwordx2 v[7:8], v[7:8]
.LBB376_11:
	;; [unrolled: 12-line block ×5, first 2 shown]
	s_or_b64 exec, exec, s[0:1]
	v_lshlrev_b32_e32 v15, 3, v0
	s_waitcnt vmcnt(0) lgkmcnt(0)
	ds_write2st64_b64 v15, v[1:2], v[3:4] offset1:4
	ds_write2st64_b64 v15, v[5:6], v[7:8] offset0:8 offset1:12
	ds_write2st64_b64 v15, v[9:10], v[11:12] offset0:16 offset1:20
	ds_write_b64 v15, v[13:14] offset:12288
	s_waitcnt lgkmcnt(0)
	s_barrier
.LBB376_18:
	v_mul_u32_u24_e32 v18, 7, v0
	v_lshlrev_b32_e32 v19, 3, v18
	s_waitcnt lgkmcnt(0)
	ds_read2_b64 v[9:12], v19 offset1:1
	ds_read2_b64 v[5:8], v19 offset0:2 offset1:3
	ds_read2_b64 v[1:4], v19 offset0:4 offset1:5
	ds_read_b64 v[13:14], v19 offset:48
	s_cmp_lg_u32 s6, 0
	s_cselect_b64 s[20:21], -1, 0
	s_cmp_lg_u64 s[2:3], 0
	s_cselect_b64 s[0:1], -1, 0
	s_or_b64 s[0:1], s[20:21], s[0:1]
	s_mov_b64 s[18:19], 0
	s_and_b64 vcc, exec, s[0:1]
	s_waitcnt lgkmcnt(0)
	s_barrier
	s_cbranch_vccz .LBB376_23
; %bb.19:
	v_mov_b32_e32 v16, s9
	v_add_co_u32_e64 v15, vcc, -8, s8
	v_addc_co_u32_e32 v16, vcc, -1, v16, vcc
	flat_load_dwordx2 v[15:16], v[15:16]
	v_lshlrev_b32_e32 v20, 3, v0
	s_and_b64 vcc, exec, s[28:29]
	ds_write_b64 v20, v[13:14]
	s_cbranch_vccz .LBB376_24
; %bb.20:
	s_waitcnt vmcnt(0) lgkmcnt(0)
	v_mov_b32_e32 v17, v16
	v_cmp_ne_u32_e32 vcc, 0, v0
	v_mov_b32_e32 v16, v15
	s_barrier
	s_and_saveexec_b64 s[0:1], vcc
; %bb.21:
	v_add_u32_e32 v16, -8, v20
	ds_read_b64 v[16:17], v16
; %bb.22:
	s_or_b64 exec, exec, s[0:1]
	s_mov_b32 s0, 0x66666667
	s_waitcnt lgkmcnt(0)
	v_mul_hi_i32 v17, v3, s0
	v_mul_hi_i32 v21, v13, s0
	;; [unrolled: 1-line block ×3, first 2 shown]
	v_lshrrev_b32_e32 v22, 31, v17
	v_ashrrev_i32_e32 v17, 2, v17
	v_add_u32_e32 v17, v17, v22
	v_mul_hi_i32 v22, v1, s0
	v_lshrrev_b32_e32 v23, 31, v21
	v_ashrrev_i32_e32 v21, 2, v21
	v_add_u32_e32 v21, v21, v23
	v_mul_hi_i32 v23, v7, s0
	v_cmp_ne_u32_e32 vcc, v17, v21
	v_lshrrev_b32_e32 v21, 31, v22
	v_ashrrev_i32_e32 v22, 2, v22
	v_add_u32_e32 v21, v22, v21
	v_cndmask_b32_e64 v32, 0, 1, vcc
	v_cmp_ne_u32_e32 vcc, v21, v17
	v_lshrrev_b32_e32 v17, 31, v23
	v_ashrrev_i32_e32 v22, 2, v23
	v_mul_hi_i32 v23, v5, s0
	v_add_u32_e32 v17, v22, v17
	v_cndmask_b32_e64 v33, 0, 1, vcc
	v_cmp_ne_u32_e32 vcc, v17, v21
	v_lshrrev_b32_e32 v21, 31, v23
	v_ashrrev_i32_e32 v22, 2, v23
	v_mul_hi_i32 v23, v11, s0
	;; [unrolled: 6-line block ×3, first 2 shown]
	v_add_u32_e32 v17, v22, v17
	v_cndmask_b32_e64 v35, 0, 1, vcc
	v_cmp_ne_u32_e32 vcc, v17, v21
	v_lshrrev_b32_e32 v21, 31, v23
	v_ashrrev_i32_e32 v22, 2, v23
	v_add_u32_e32 v21, v22, v21
	v_cndmask_b32_e64 v36, 0, 1, vcc
	v_cmp_ne_u32_e32 vcc, v21, v17
	v_lshrrev_b32_e32 v17, 31, v16
	v_ashrrev_i32_e32 v16, 2, v16
	v_add_u32_e32 v16, v16, v17
	v_cndmask_b32_e64 v37, 0, 1, vcc
	v_cmp_ne_u32_e64 s[30:31], v16, v21
	s_branch .LBB376_42
.LBB376_23:
                                        ; implicit-def: $sgpr30_sgpr31
                                        ; implicit-def: $vgpr32
                                        ; implicit-def: $vgpr33
                                        ; implicit-def: $vgpr34
                                        ; implicit-def: $vgpr35
                                        ; implicit-def: $vgpr36
                                        ; implicit-def: $vgpr37
	s_branch .LBB376_43
.LBB376_24:
                                        ; implicit-def: $sgpr30_sgpr31
                                        ; implicit-def: $vgpr32
                                        ; implicit-def: $vgpr33
                                        ; implicit-def: $vgpr34
                                        ; implicit-def: $vgpr35
                                        ; implicit-def: $vgpr36
                                        ; implicit-def: $vgpr37
	s_cbranch_execz .LBB376_42
; %bb.25:
	s_waitcnt vmcnt(0) lgkmcnt(0)
	v_add_u32_e32 v16, 6, v18
	v_cmp_gt_u32_e32 vcc, s7, v16
	s_mov_b64 s[2:3], 0
	s_mov_b64 s[0:1], 0
	s_and_saveexec_b64 s[8:9], vcc
	s_cbranch_execz .LBB376_27
; %bb.26:
	s_mov_b32 s0, 0x66666667
	v_mul_hi_i32 v16, v3, s0
	v_mul_hi_i32 v17, v13, s0
	v_lshrrev_b32_e32 v21, 31, v16
	v_ashrrev_i32_e32 v16, 2, v16
	v_lshrrev_b32_e32 v22, 31, v17
	v_ashrrev_i32_e32 v17, 2, v17
	v_add_u32_e32 v16, v16, v21
	v_add_u32_e32 v17, v17, v22
	v_cmp_ne_u32_e32 vcc, v16, v17
	s_and_b64 s[0:1], vcc, exec
.LBB376_27:
	s_or_b64 exec, exec, s[8:9]
	v_add_u32_e32 v16, 5, v18
	v_cmp_gt_u32_e32 vcc, s7, v16
	s_and_saveexec_b64 s[8:9], vcc
	s_cbranch_execz .LBB376_29
; %bb.28:
	s_mov_b32 s2, 0x66666667
	v_mul_hi_i32 v16, v1, s2
	v_mul_hi_i32 v17, v3, s2
	v_lshrrev_b32_e32 v21, 31, v16
	v_ashrrev_i32_e32 v16, 2, v16
	v_lshrrev_b32_e32 v22, 31, v17
	v_ashrrev_i32_e32 v17, 2, v17
	v_add_u32_e32 v16, v16, v21
	v_add_u32_e32 v17, v17, v22
	v_cmp_ne_u32_e32 vcc, v16, v17
	s_and_b64 s[2:3], vcc, exec
.LBB376_29:
	s_or_b64 exec, exec, s[8:9]
	v_add_u32_e32 v16, 4, v18
	v_cmp_gt_u32_e32 vcc, s7, v16
	s_mov_b64 s[10:11], 0
	s_mov_b64 s[8:9], 0
	s_and_saveexec_b64 s[12:13], vcc
	s_cbranch_execz .LBB376_31
; %bb.30:
	s_mov_b32 s8, 0x66666667
	v_mul_hi_i32 v16, v7, s8
	v_mul_hi_i32 v17, v1, s8
	v_lshrrev_b32_e32 v21, 31, v16
	v_ashrrev_i32_e32 v16, 2, v16
	v_lshrrev_b32_e32 v22, 31, v17
	v_ashrrev_i32_e32 v17, 2, v17
	v_add_u32_e32 v16, v16, v21
	v_add_u32_e32 v17, v17, v22
	v_cmp_ne_u32_e32 vcc, v16, v17
	s_and_b64 s[8:9], vcc, exec
.LBB376_31:
	s_or_b64 exec, exec, s[12:13]
	v_add_u32_e32 v16, 3, v18
	v_cmp_gt_u32_e32 vcc, s7, v16
	s_and_saveexec_b64 s[12:13], vcc
	s_cbranch_execz .LBB376_33
; %bb.32:
	s_mov_b32 s10, 0x66666667
	v_mul_hi_i32 v16, v5, s10
	v_mul_hi_i32 v17, v7, s10
	v_lshrrev_b32_e32 v21, 31, v16
	v_ashrrev_i32_e32 v16, 2, v16
	v_lshrrev_b32_e32 v22, 31, v17
	v_ashrrev_i32_e32 v17, 2, v17
	v_add_u32_e32 v16, v16, v21
	v_add_u32_e32 v17, v17, v22
	v_cmp_ne_u32_e32 vcc, v16, v17
	s_and_b64 s[10:11], vcc, exec
.LBB376_33:
	s_or_b64 exec, exec, s[12:13]
	;; [unrolled: 38-line block ×3, first 2 shown]
	v_cmp_ne_u32_e32 vcc, 0, v0
	s_barrier
	s_and_saveexec_b64 s[18:19], vcc
; %bb.38:
	v_add_u32_e32 v15, -8, v20
	ds_read_b64 v[15:16], v15
; %bb.39:
	s_or_b64 exec, exec, s[18:19]
	v_cmp_gt_u32_e32 vcc, s7, v18
	s_mov_b64 s[30:31], 0
	s_and_saveexec_b64 s[18:19], vcc
	s_cbranch_execz .LBB376_41
; %bb.40:
	s_mov_b32 s30, 0x66666667
	s_waitcnt lgkmcnt(0)
	v_mul_hi_i32 v15, v15, s30
	v_mul_hi_i32 v16, v9, s30
	v_lshrrev_b32_e32 v17, 31, v15
	v_ashrrev_i32_e32 v15, 2, v15
	v_lshrrev_b32_e32 v20, 31, v16
	v_ashrrev_i32_e32 v16, 2, v16
	v_add_u32_e32 v15, v15, v17
	v_add_u32_e32 v16, v16, v20
	v_cmp_ne_u32_e32 vcc, v15, v16
	s_and_b64 s[30:31], vcc, exec
.LBB376_41:
	s_or_b64 exec, exec, s[18:19]
	v_cndmask_b32_e64 v37, 0, 1, s[14:15]
	v_cndmask_b32_e64 v36, 0, 1, s[12:13]
	;; [unrolled: 1-line block ×6, first 2 shown]
.LBB376_42:
	s_mov_b64 s[18:19], -1
	s_cbranch_execnz .LBB376_65
.LBB376_43:
	s_movk_i32 s0, 0xffd0
	s_waitcnt vmcnt(0) lgkmcnt(0)
	v_mad_i32_i24 v15, v0, s0, v19
	s_and_b64 vcc, exec, s[28:29]
	ds_write_b64 v15, v[13:14]
	s_cbranch_vccz .LBB376_47
; %bb.44:
	s_mov_b32 s33, 0x66666667
	v_mul_hi_i32 v16, v3, s33
	v_mul_hi_i32 v17, v13, s33
	v_cmp_ne_u32_e64 s[14:15], 0, v0
	s_waitcnt lgkmcnt(0)
	v_lshrrev_b32_e32 v19, 31, v16
	v_ashrrev_i32_e32 v16, 2, v16
	v_add_u32_e32 v16, v16, v19
	v_mul_hi_i32 v19, v1, s33
	v_lshrrev_b32_e32 v20, 31, v17
	v_ashrrev_i32_e32 v17, 2, v17
	v_add_u32_e32 v17, v17, v20
	v_mul_hi_i32 v20, v7, s33
	v_cmp_ne_u32_e32 vcc, v16, v17
	v_lshrrev_b32_e32 v17, 31, v19
	v_ashrrev_i32_e32 v19, 2, v19
	v_add_u32_e32 v17, v19, v17
	v_mul_hi_i32 v19, v5, s33
	v_cmp_ne_u32_e64 s[0:1], v17, v16
	v_lshrrev_b32_e32 v16, 31, v20
	v_ashrrev_i32_e32 v20, 2, v20
	v_add_u32_e32 v16, v20, v16
	v_mul_hi_i32 v20, v11, s33
	v_cmp_ne_u32_e64 s[2:3], v16, v17
	;; [unrolled: 5-line block ×3, first 2 shown]
	v_lshrrev_b32_e32 v16, 31, v20
	v_ashrrev_i32_e32 v20, 2, v20
	v_add_u32_e32 v20, v20, v16
	v_cmp_ne_u32_e64 s[8:9], v20, v17
	v_lshrrev_b32_e32 v16, 31, v19
	v_ashrrev_i32_e32 v17, 2, v19
	v_add_u32_e32 v16, v17, v16
	v_cmp_ne_u32_e64 s[10:11], v16, v20
	s_barrier
                                        ; implicit-def: $sgpr30_sgpr31
	s_and_saveexec_b64 s[34:35], s[14:15]
	s_xor_b64 s[14:15], exec, s[34:35]
	s_cbranch_execz .LBB376_46
; %bb.45:
	v_add_u32_e32 v17, -8, v15
	ds_read_b32 v17, v17
	s_or_b64 s[18:19], s[18:19], exec
	s_waitcnt lgkmcnt(0)
	v_mul_hi_i32 v17, v17, s33
	v_lshrrev_b32_e32 v19, 31, v17
	v_ashrrev_i32_e32 v17, 2, v17
	v_add_u32_e32 v17, v17, v19
	v_cmp_ne_u32_e64 s[30:31], v17, v16
.LBB376_46:
	s_or_b64 exec, exec, s[14:15]
	v_cndmask_b32_e64 v32, 0, 1, vcc
	v_cndmask_b32_e64 v33, 0, 1, s[0:1]
	v_cndmask_b32_e64 v34, 0, 1, s[2:3]
	v_cndmask_b32_e64 v35, 0, 1, s[12:13]
	v_cndmask_b32_e64 v36, 0, 1, s[8:9]
	v_cndmask_b32_e64 v37, 0, 1, s[10:11]
	s_branch .LBB376_65
.LBB376_47:
                                        ; implicit-def: $sgpr30_sgpr31
                                        ; implicit-def: $vgpr32
                                        ; implicit-def: $vgpr33
                                        ; implicit-def: $vgpr34
                                        ; implicit-def: $vgpr35
                                        ; implicit-def: $vgpr36
                                        ; implicit-def: $vgpr37
	s_cbranch_execz .LBB376_65
; %bb.48:
	v_add_u32_e32 v16, 6, v18
	v_cmp_gt_u32_e32 vcc, s7, v16
	s_mov_b64 s[2:3], 0
	s_mov_b64 s[0:1], 0
	s_and_saveexec_b64 s[8:9], vcc
	s_cbranch_execz .LBB376_50
; %bb.49:
	s_mov_b32 s0, 0x66666667
	v_mul_hi_i32 v16, v3, s0
	v_mul_hi_i32 v17, v13, s0
	v_lshrrev_b32_e32 v19, 31, v16
	v_ashrrev_i32_e32 v16, 2, v16
	v_lshrrev_b32_e32 v20, 31, v17
	v_ashrrev_i32_e32 v17, 2, v17
	v_add_u32_e32 v16, v16, v19
	v_add_u32_e32 v17, v17, v20
	v_cmp_ne_u32_e32 vcc, v16, v17
	s_and_b64 s[0:1], vcc, exec
.LBB376_50:
	s_or_b64 exec, exec, s[8:9]
	v_add_u32_e32 v16, 5, v18
	v_cmp_gt_u32_e32 vcc, s7, v16
	s_and_saveexec_b64 s[8:9], vcc
	s_cbranch_execz .LBB376_52
; %bb.51:
	s_mov_b32 s2, 0x66666667
	v_mul_hi_i32 v16, v1, s2
	v_mul_hi_i32 v17, v3, s2
	v_lshrrev_b32_e32 v19, 31, v16
	v_ashrrev_i32_e32 v16, 2, v16
	v_lshrrev_b32_e32 v20, 31, v17
	v_ashrrev_i32_e32 v17, 2, v17
	v_add_u32_e32 v16, v16, v19
	v_add_u32_e32 v17, v17, v20
	v_cmp_ne_u32_e32 vcc, v16, v17
	s_and_b64 s[2:3], vcc, exec
.LBB376_52:
	s_or_b64 exec, exec, s[8:9]
	v_add_u32_e32 v16, 4, v18
	v_cmp_gt_u32_e32 vcc, s7, v16
	s_mov_b64 s[10:11], 0
	s_mov_b64 s[8:9], 0
	s_and_saveexec_b64 s[12:13], vcc
	s_cbranch_execz .LBB376_54
; %bb.53:
	s_mov_b32 s8, 0x66666667
	v_mul_hi_i32 v16, v7, s8
	v_mul_hi_i32 v17, v1, s8
	v_lshrrev_b32_e32 v19, 31, v16
	v_ashrrev_i32_e32 v16, 2, v16
	v_lshrrev_b32_e32 v20, 31, v17
	v_ashrrev_i32_e32 v17, 2, v17
	v_add_u32_e32 v16, v16, v19
	v_add_u32_e32 v17, v17, v20
	v_cmp_ne_u32_e32 vcc, v16, v17
	s_and_b64 s[8:9], vcc, exec
.LBB376_54:
	s_or_b64 exec, exec, s[12:13]
	v_add_u32_e32 v16, 3, v18
	v_cmp_gt_u32_e32 vcc, s7, v16
	s_and_saveexec_b64 s[12:13], vcc
	s_cbranch_execz .LBB376_56
; %bb.55:
	s_mov_b32 s10, 0x66666667
	v_mul_hi_i32 v16, v5, s10
	v_mul_hi_i32 v17, v7, s10
	v_lshrrev_b32_e32 v19, 31, v16
	v_ashrrev_i32_e32 v16, 2, v16
	v_lshrrev_b32_e32 v20, 31, v17
	v_ashrrev_i32_e32 v17, 2, v17
	v_add_u32_e32 v16, v16, v19
	v_add_u32_e32 v17, v17, v20
	v_cmp_ne_u32_e32 vcc, v16, v17
	s_and_b64 s[10:11], vcc, exec
.LBB376_56:
	s_or_b64 exec, exec, s[12:13]
	;; [unrolled: 38-line block ×3, first 2 shown]
	v_cmp_ne_u32_e32 vcc, 0, v0
	s_waitcnt lgkmcnt(0)
	s_barrier
                                        ; implicit-def: $sgpr30_sgpr31
	s_and_saveexec_b64 s[34:35], vcc
	s_cbranch_execz .LBB376_64
; %bb.61:
	v_cmp_gt_u32_e32 vcc, s7, v18
	s_mov_b64 s[30:31], 0
	s_and_saveexec_b64 s[36:37], vcc
	s_cbranch_execz .LBB376_63
; %bb.62:
	v_add_u32_e32 v15, -8, v15
	ds_read_b32 v15, v15
	s_mov_b32 s30, 0x66666667
	v_mul_hi_i32 v16, v9, s30
	s_waitcnt lgkmcnt(0)
	v_mul_hi_i32 v15, v15, s30
	v_lshrrev_b32_e32 v17, 31, v16
	v_ashrrev_i32_e32 v16, 2, v16
	v_add_u32_e32 v16, v16, v17
	v_lshrrev_b32_e32 v19, 31, v15
	v_ashrrev_i32_e32 v15, 2, v15
	v_add_u32_e32 v15, v15, v19
	v_cmp_ne_u32_e32 vcc, v15, v16
	s_and_b64 s[30:31], vcc, exec
.LBB376_63:
	s_or_b64 exec, exec, s[36:37]
	s_or_b64 s[18:19], s[18:19], exec
.LBB376_64:
	s_or_b64 exec, exec, s[34:35]
	v_cndmask_b32_e64 v36, 0, 1, s[14:15]
	v_cndmask_b32_e64 v35, 0, 1, s[10:11]
	;; [unrolled: 1-line block ×6, first 2 shown]
.LBB376_65:
	v_mov_b32_e32 v26, 1
	s_and_saveexec_b64 s[0:1], s[18:19]
; %bb.66:
	v_cndmask_b32_e64 v26, 0, 1, s[30:31]
; %bb.67:
	s_or_b64 exec, exec, s[0:1]
	s_load_dwordx2 s[30:31], s[4:5], 0x60
	s_andn2_b64 vcc, exec, s[16:17]
	s_cbranch_vccnz .LBB376_69
; %bb.68:
	v_cmp_gt_u32_e32 vcc, s7, v18
	s_waitcnt vmcnt(0) lgkmcnt(0)
	v_add_u32_e32 v15, 1, v18
	v_cndmask_b32_e32 v26, 0, v26, vcc
	v_cmp_gt_u32_e32 vcc, s7, v15
	v_add_u32_e32 v15, 2, v18
	v_cndmask_b32_e32 v37, 0, v37, vcc
	v_cmp_gt_u32_e32 vcc, s7, v15
	;; [unrolled: 3-line block ×6, first 2 shown]
	v_cndmask_b32_e32 v32, 0, v32, vcc
.LBB376_69:
	v_and_b32_e32 v25, 0xffff, v26
	v_and_b32_e32 v27, 0xff, v37
	;; [unrolled: 1-line block ×5, first 2 shown]
	s_waitcnt vmcnt(0) lgkmcnt(0)
	v_add3_u32 v16, v27, v25, v28
	v_and_b32_e32 v39, 0xff, v33
	v_and_b32_e32 v15, 0xff, v32
	v_add3_u32 v16, v16, v30, v38
	v_add3_u32 v41, v16, v39, v15
	v_mbcnt_lo_u32_b32 v15, -1, 0
	v_mbcnt_hi_u32_b32 v29, -1, v15
	v_and_b32_e32 v15, 15, v29
	v_cmp_eq_u32_e64 s[14:15], 0, v15
	v_cmp_lt_u32_e64 s[12:13], 1, v15
	v_cmp_lt_u32_e64 s[10:11], 3, v15
	;; [unrolled: 1-line block ×3, first 2 shown]
	v_and_b32_e32 v15, 16, v29
	v_cmp_eq_u32_e64 s[18:19], 0, v15
	v_or_b32_e32 v15, 63, v0
	v_cmp_lt_u32_e64 s[0:1], 31, v29
	v_lshrrev_b32_e32 v40, 6, v0
	v_cmp_eq_u32_e64 s[2:3], v0, v15
	s_and_b64 vcc, exec, s[20:21]
	s_barrier
	s_cbranch_vccz .LBB376_91
; %bb.70:
	v_mov_b32_dpp v15, v41 row_shr:1 row_mask:0xf bank_mask:0xf
	v_cndmask_b32_e64 v15, v15, 0, s[14:15]
	v_add_u32_e32 v15, v15, v41
	s_nop 1
	v_mov_b32_dpp v16, v15 row_shr:2 row_mask:0xf bank_mask:0xf
	v_cndmask_b32_e64 v16, 0, v16, s[12:13]
	v_add_u32_e32 v15, v15, v16
	s_nop 1
	;; [unrolled: 4-line block ×4, first 2 shown]
	v_mov_b32_dpp v16, v15 row_bcast:15 row_mask:0xf bank_mask:0xf
	v_cndmask_b32_e64 v16, v16, 0, s[18:19]
	v_add_u32_e32 v15, v15, v16
	s_nop 1
	v_mov_b32_dpp v16, v15 row_bcast:31 row_mask:0xf bank_mask:0xf
	v_cndmask_b32_e64 v16, 0, v16, s[0:1]
	v_add_u32_e32 v15, v15, v16
	s_and_saveexec_b64 s[16:17], s[2:3]
; %bb.71:
	v_lshlrev_b32_e32 v16, 2, v40
	ds_write_b32 v16, v15
; %bb.72:
	s_or_b64 exec, exec, s[16:17]
	v_cmp_gt_u32_e32 vcc, 4, v0
	s_waitcnt lgkmcnt(0)
	s_barrier
	s_and_saveexec_b64 s[16:17], vcc
	s_cbranch_execz .LBB376_74
; %bb.73:
	v_lshlrev_b32_e32 v16, 2, v0
	ds_read_b32 v17, v16
	v_and_b32_e32 v18, 3, v29
	v_cmp_ne_u32_e32 vcc, 0, v18
	s_waitcnt lgkmcnt(0)
	v_mov_b32_dpp v19, v17 row_shr:1 row_mask:0xf bank_mask:0xf
	v_cndmask_b32_e32 v19, 0, v19, vcc
	v_add_u32_e32 v17, v19, v17
	v_cmp_lt_u32_e32 vcc, 1, v18
	s_nop 0
	v_mov_b32_dpp v19, v17 row_shr:2 row_mask:0xf bank_mask:0xf
	v_cndmask_b32_e32 v18, 0, v19, vcc
	v_add_u32_e32 v17, v17, v18
	ds_write_b32 v16, v17
.LBB376_74:
	s_or_b64 exec, exec, s[16:17]
	v_cmp_gt_u32_e32 vcc, 64, v0
	v_cmp_lt_u32_e64 s[16:17], 63, v0
	s_waitcnt lgkmcnt(0)
	s_barrier
                                        ; implicit-def: $vgpr42
	s_and_saveexec_b64 s[20:21], s[16:17]
	s_cbranch_execz .LBB376_76
; %bb.75:
	v_lshl_add_u32 v16, v40, 2, -4
	ds_read_b32 v42, v16
	s_waitcnt lgkmcnt(0)
	v_add_u32_e32 v15, v42, v15
.LBB376_76:
	s_or_b64 exec, exec, s[20:21]
	v_subrev_co_u32_e64 v16, s[16:17], 1, v29
	v_and_b32_e32 v17, 64, v29
	v_cmp_lt_i32_e64 s[20:21], v16, v17
	v_cndmask_b32_e64 v16, v16, v29, s[20:21]
	v_lshlrev_b32_e32 v16, 2, v16
	ds_bpermute_b32 v43, v16, v15
	s_and_saveexec_b64 s[20:21], vcc
	s_cbranch_execz .LBB376_96
; %bb.77:
	v_mov_b32_e32 v21, 0
	ds_read_b32 v15, v21 offset:12
	s_and_saveexec_b64 s[34:35], s[16:17]
	s_cbranch_execz .LBB376_79
; %bb.78:
	s_add_i32 s36, s6, 64
	s_mov_b32 s37, 0
	s_lshl_b64 s[36:37], s[36:37], 3
	s_add_u32 s36, s30, s36
	v_mov_b32_e32 v16, 1
	s_addc_u32 s37, s31, s37
	s_waitcnt lgkmcnt(0)
	global_store_dwordx2 v21, v[15:16], s[36:37]
.LBB376_79:
	s_or_b64 exec, exec, s[34:35]
	v_xad_u32 v17, v29, -1, s6
	v_add_u32_e32 v20, 64, v17
	v_lshlrev_b64 v[18:19], 3, v[20:21]
	v_mov_b32_e32 v16, s31
	v_add_co_u32_e32 v22, vcc, s30, v18
	v_addc_co_u32_e32 v23, vcc, v16, v19, vcc
	global_load_dwordx2 v[19:20], v[22:23], off glc
	s_waitcnt vmcnt(0)
	v_cmp_eq_u16_sdwa s[36:37], v20, v21 src0_sel:BYTE_0 src1_sel:DWORD
	s_and_saveexec_b64 s[34:35], s[36:37]
	s_cbranch_execz .LBB376_83
; %bb.80:
	s_mov_b64 s[36:37], 0
	v_mov_b32_e32 v16, 0
.LBB376_81:                             ; =>This Inner Loop Header: Depth=1
	global_load_dwordx2 v[19:20], v[22:23], off glc
	s_waitcnt vmcnt(0)
	v_cmp_ne_u16_sdwa s[38:39], v20, v16 src0_sel:BYTE_0 src1_sel:DWORD
	s_or_b64 s[36:37], s[38:39], s[36:37]
	s_andn2_b64 exec, exec, s[36:37]
	s_cbranch_execnz .LBB376_81
; %bb.82:
	s_or_b64 exec, exec, s[36:37]
.LBB376_83:
	s_or_b64 exec, exec, s[34:35]
	v_and_b32_e32 v45, 63, v29
	v_mov_b32_e32 v44, 2
	v_lshlrev_b64 v[21:22], v29, -1
	v_cmp_ne_u32_e32 vcc, 63, v45
	v_cmp_eq_u16_sdwa s[34:35], v20, v44 src0_sel:BYTE_0 src1_sel:DWORD
	v_addc_co_u32_e32 v23, vcc, 0, v29, vcc
	v_and_b32_e32 v16, s35, v22
	v_lshlrev_b32_e32 v46, 2, v23
	v_or_b32_e32 v16, 0x80000000, v16
	ds_bpermute_b32 v23, v46, v19
	v_and_b32_e32 v18, s34, v21
	v_ffbl_b32_e32 v16, v16
	v_add_u32_e32 v16, 32, v16
	v_ffbl_b32_e32 v18, v18
	v_min_u32_e32 v16, v18, v16
	v_cmp_lt_u32_e32 vcc, v45, v16
	s_waitcnt lgkmcnt(0)
	v_cndmask_b32_e32 v18, 0, v23, vcc
	v_cmp_gt_u32_e32 vcc, 62, v45
	v_add_u32_e32 v18, v18, v19
	v_cndmask_b32_e64 v19, 0, 2, vcc
	v_add_lshl_u32 v47, v19, v29, 2
	ds_bpermute_b32 v19, v47, v18
	v_add_u32_e32 v48, 2, v45
	v_cmp_le_u32_e32 vcc, v48, v16
	v_add_u32_e32 v50, 4, v45
	v_add_u32_e32 v52, 8, v45
	s_waitcnt lgkmcnt(0)
	v_cndmask_b32_e32 v19, 0, v19, vcc
	v_cmp_gt_u32_e32 vcc, 60, v45
	v_add_u32_e32 v18, v18, v19
	v_cndmask_b32_e64 v19, 0, 4, vcc
	v_add_lshl_u32 v49, v19, v29, 2
	ds_bpermute_b32 v19, v49, v18
	v_cmp_le_u32_e32 vcc, v50, v16
	v_add_u32_e32 v54, 16, v45
	v_add_u32_e32 v56, 32, v45
	s_waitcnt lgkmcnt(0)
	v_cndmask_b32_e32 v19, 0, v19, vcc
	v_cmp_gt_u32_e32 vcc, 56, v45
	v_add_u32_e32 v18, v18, v19
	v_cndmask_b32_e64 v19, 0, 8, vcc
	v_add_lshl_u32 v51, v19, v29, 2
	ds_bpermute_b32 v19, v51, v18
	v_cmp_le_u32_e32 vcc, v52, v16
	s_waitcnt lgkmcnt(0)
	v_cndmask_b32_e32 v19, 0, v19, vcc
	v_cmp_gt_u32_e32 vcc, 48, v45
	v_add_u32_e32 v18, v18, v19
	v_cndmask_b32_e64 v19, 0, 16, vcc
	v_add_lshl_u32 v53, v19, v29, 2
	ds_bpermute_b32 v19, v53, v18
	v_cmp_le_u32_e32 vcc, v54, v16
	s_waitcnt lgkmcnt(0)
	v_cndmask_b32_e32 v19, 0, v19, vcc
	v_add_u32_e32 v18, v18, v19
	v_mov_b32_e32 v19, 0x80
	v_lshl_or_b32 v55, v29, 2, v19
	ds_bpermute_b32 v19, v55, v18
	v_cmp_le_u32_e32 vcc, v56, v16
	s_waitcnt lgkmcnt(0)
	v_cndmask_b32_e32 v16, 0, v19, vcc
	v_add_u32_e32 v19, v18, v16
	v_mov_b32_e32 v18, 0
	s_branch .LBB376_86
.LBB376_84:                             ;   in Loop: Header=BB376_86 Depth=1
	s_or_b64 exec, exec, s[34:35]
	v_cmp_eq_u16_sdwa s[34:35], v20, v44 src0_sel:BYTE_0 src1_sel:DWORD
	v_and_b32_e32 v23, s35, v22
	v_or_b32_e32 v23, 0x80000000, v23
	ds_bpermute_b32 v57, v46, v19
	v_and_b32_e32 v24, s34, v21
	v_ffbl_b32_e32 v23, v23
	v_add_u32_e32 v23, 32, v23
	v_ffbl_b32_e32 v24, v24
	v_min_u32_e32 v23, v24, v23
	v_cmp_lt_u32_e32 vcc, v45, v23
	s_waitcnt lgkmcnt(0)
	v_cndmask_b32_e32 v24, 0, v57, vcc
	v_add_u32_e32 v19, v24, v19
	ds_bpermute_b32 v24, v47, v19
	v_cmp_le_u32_e32 vcc, v48, v23
	v_subrev_u32_e32 v17, 64, v17
	s_mov_b64 s[34:35], 0
	s_waitcnt lgkmcnt(0)
	v_cndmask_b32_e32 v24, 0, v24, vcc
	v_add_u32_e32 v19, v19, v24
	ds_bpermute_b32 v24, v49, v19
	v_cmp_le_u32_e32 vcc, v50, v23
	s_waitcnt lgkmcnt(0)
	v_cndmask_b32_e32 v24, 0, v24, vcc
	v_add_u32_e32 v19, v19, v24
	ds_bpermute_b32 v24, v51, v19
	v_cmp_le_u32_e32 vcc, v52, v23
	;; [unrolled: 5-line block ×4, first 2 shown]
	s_waitcnt lgkmcnt(0)
	v_cndmask_b32_e32 v23, 0, v24, vcc
	v_add3_u32 v19, v23, v16, v19
.LBB376_85:                             ;   in Loop: Header=BB376_86 Depth=1
	s_and_b64 vcc, exec, s[34:35]
	s_cbranch_vccnz .LBB376_92
.LBB376_86:                             ; =>This Loop Header: Depth=1
                                        ;     Child Loop BB376_89 Depth 2
	v_cmp_ne_u16_sdwa s[34:35], v20, v44 src0_sel:BYTE_0 src1_sel:DWORD
	v_mov_b32_e32 v16, v19
	s_cmp_lg_u64 s[34:35], exec
	s_mov_b64 s[34:35], -1
                                        ; implicit-def: $vgpr19
                                        ; implicit-def: $vgpr20
	s_cbranch_scc1 .LBB376_85
; %bb.87:                               ;   in Loop: Header=BB376_86 Depth=1
	v_lshlrev_b64 v[19:20], 3, v[17:18]
	v_mov_b32_e32 v24, s31
	v_add_co_u32_e32 v23, vcc, s30, v19
	v_addc_co_u32_e32 v24, vcc, v24, v20, vcc
	global_load_dwordx2 v[19:20], v[23:24], off glc
	s_waitcnt vmcnt(0)
	v_cmp_eq_u16_sdwa s[36:37], v20, v18 src0_sel:BYTE_0 src1_sel:DWORD
	s_and_saveexec_b64 s[34:35], s[36:37]
	s_cbranch_execz .LBB376_84
; %bb.88:                               ;   in Loop: Header=BB376_86 Depth=1
	s_mov_b64 s[36:37], 0
.LBB376_89:                             ;   Parent Loop BB376_86 Depth=1
                                        ; =>  This Inner Loop Header: Depth=2
	global_load_dwordx2 v[19:20], v[23:24], off glc
	s_waitcnt vmcnt(0)
	v_cmp_ne_u16_sdwa s[38:39], v20, v18 src0_sel:BYTE_0 src1_sel:DWORD
	s_or_b64 s[36:37], s[38:39], s[36:37]
	s_andn2_b64 exec, exec, s[36:37]
	s_cbranch_execnz .LBB376_89
; %bb.90:                               ;   in Loop: Header=BB376_86 Depth=1
	s_or_b64 exec, exec, s[36:37]
	s_branch .LBB376_84
.LBB376_91:
                                        ; implicit-def: $vgpr16
                                        ; implicit-def: $vgpr15
                                        ; implicit-def: $vgpr21
	s_load_dwordx2 s[4:5], s[4:5], 0x28
	s_cbranch_execnz .LBB376_97
	s_branch .LBB376_106
.LBB376_92:
	s_and_saveexec_b64 s[34:35], s[16:17]
	s_cbranch_execz .LBB376_94
; %bb.93:
	s_add_i32 s6, s6, 64
	s_mov_b32 s7, 0
	s_lshl_b64 s[6:7], s[6:7], 3
	s_add_u32 s6, s30, s6
	v_add_u32_e32 v17, v16, v15
	v_mov_b32_e32 v18, 2
	s_addc_u32 s7, s31, s7
	v_mov_b32_e32 v19, 0
	global_store_dwordx2 v19, v[17:18], s[6:7]
	ds_write_b64 v19, v[15:16] offset:14336
.LBB376_94:
	s_or_b64 exec, exec, s[34:35]
	v_cmp_eq_u32_e32 vcc, 0, v0
	s_and_b64 exec, exec, vcc
; %bb.95:
	v_mov_b32_e32 v15, 0
	ds_write_b32 v15, v16 offset:12
.LBB376_96:
	s_or_b64 exec, exec, s[20:21]
	v_mov_b32_e32 v15, 0
	s_waitcnt vmcnt(0) lgkmcnt(0)
	s_barrier
	ds_read_b32 v18, v15 offset:12
	s_waitcnt lgkmcnt(0)
	s_barrier
	ds_read_b64 v[15:16], v15 offset:14336
	v_cndmask_b32_e64 v17, v43, v42, s[16:17]
	v_cmp_ne_u32_e32 vcc, 0, v0
	v_cndmask_b32_e32 v17, 0, v17, vcc
	v_add_u32_e32 v21, v18, v17
	s_load_dwordx2 s[4:5], s[4:5], 0x28
	s_branch .LBB376_106
.LBB376_97:
	s_waitcnt lgkmcnt(0)
	v_mov_b32_dpp v15, v41 row_shr:1 row_mask:0xf bank_mask:0xf
	v_cndmask_b32_e64 v15, v15, 0, s[14:15]
	v_add_u32_e32 v15, v15, v41
	s_nop 1
	v_mov_b32_dpp v16, v15 row_shr:2 row_mask:0xf bank_mask:0xf
	v_cndmask_b32_e64 v16, 0, v16, s[12:13]
	v_add_u32_e32 v15, v15, v16
	s_nop 1
	;; [unrolled: 4-line block ×4, first 2 shown]
	v_mov_b32_dpp v16, v15 row_bcast:15 row_mask:0xf bank_mask:0xf
	v_cndmask_b32_e64 v16, v16, 0, s[18:19]
	v_add_u32_e32 v15, v15, v16
	s_nop 1
	v_mov_b32_dpp v16, v15 row_bcast:31 row_mask:0xf bank_mask:0xf
	v_cndmask_b32_e64 v16, 0, v16, s[0:1]
	v_add_u32_e32 v15, v15, v16
	s_and_saveexec_b64 s[0:1], s[2:3]
; %bb.98:
	v_lshlrev_b32_e32 v16, 2, v40
	ds_write_b32 v16, v15
; %bb.99:
	s_or_b64 exec, exec, s[0:1]
	v_cmp_gt_u32_e32 vcc, 4, v0
	s_waitcnt lgkmcnt(0)
	s_barrier
	s_and_saveexec_b64 s[0:1], vcc
	s_cbranch_execz .LBB376_101
; %bb.100:
	v_lshlrev_b32_e32 v16, 2, v0
	ds_read_b32 v17, v16
	v_and_b32_e32 v18, 3, v29
	v_cmp_ne_u32_e32 vcc, 0, v18
	s_waitcnt lgkmcnt(0)
	v_mov_b32_dpp v19, v17 row_shr:1 row_mask:0xf bank_mask:0xf
	v_cndmask_b32_e32 v19, 0, v19, vcc
	v_add_u32_e32 v17, v19, v17
	v_cmp_lt_u32_e32 vcc, 1, v18
	s_nop 0
	v_mov_b32_dpp v19, v17 row_shr:2 row_mask:0xf bank_mask:0xf
	v_cndmask_b32_e32 v18, 0, v19, vcc
	v_add_u32_e32 v17, v17, v18
	ds_write_b32 v16, v17
.LBB376_101:
	s_or_b64 exec, exec, s[0:1]
	v_cmp_lt_u32_e32 vcc, 63, v0
	v_mov_b32_e32 v16, 0
	v_mov_b32_e32 v17, 0
	s_waitcnt lgkmcnt(0)
	s_barrier
	s_and_saveexec_b64 s[0:1], vcc
; %bb.102:
	v_lshl_add_u32 v17, v40, 2, -4
	ds_read_b32 v17, v17
; %bb.103:
	s_or_b64 exec, exec, s[0:1]
	v_subrev_co_u32_e32 v18, vcc, 1, v29
	v_and_b32_e32 v19, 64, v29
	v_cmp_lt_i32_e64 s[0:1], v18, v19
	v_cndmask_b32_e64 v18, v18, v29, s[0:1]
	s_waitcnt lgkmcnt(0)
	v_add_u32_e32 v15, v17, v15
	v_lshlrev_b32_e32 v18, 2, v18
	ds_bpermute_b32 v18, v18, v15
	ds_read_b32 v15, v16 offset:12
	v_cmp_eq_u32_e64 s[0:1], 0, v0
	s_and_saveexec_b64 s[2:3], s[0:1]
	s_cbranch_execz .LBB376_105
; %bb.104:
	v_mov_b32_e32 v19, 0
	v_mov_b32_e32 v16, 2
	s_waitcnt lgkmcnt(0)
	global_store_dwordx2 v19, v[15:16], s[30:31] offset:512
.LBB376_105:
	s_or_b64 exec, exec, s[2:3]
	s_waitcnt lgkmcnt(1)
	v_cndmask_b32_e32 v16, v18, v17, vcc
	v_cndmask_b32_e64 v21, v16, 0, s[0:1]
	s_waitcnt vmcnt(0) lgkmcnt(0)
	s_barrier
	v_mov_b32_e32 v16, 0
.LBB376_106:
	v_add_u32_e32 v29, v21, v25
	v_add_u32_e32 v27, v29, v27
	;; [unrolled: 1-line block ×4, first 2 shown]
	s_movk_i32 s2, 0x101
	v_add_u32_e32 v19, v23, v38
	s_waitcnt lgkmcnt(0)
	v_cmp_gt_u32_e32 vcc, s2, v15
	v_add_u32_e32 v17, v19, v39
	s_mov_b64 s[0:1], -1
	v_and_b32_e32 v38, 1, v26
	s_cbranch_vccnz .LBB376_110
; %bb.107:
	s_and_b64 vcc, exec, s[0:1]
	s_cbranch_vccnz .LBB376_125
.LBB376_108:
	v_cmp_eq_u32_e32 vcc, 0, v0
	s_and_b64 s[0:1], vcc, s[26:27]
	s_and_saveexec_b64 s[2:3], s[0:1]
	s_cbranch_execnz .LBB376_142
.LBB376_109:
	s_endpgm
.LBB376_110:
	v_add_u32_e32 v18, v16, v15
	s_lshl_b64 s[0:1], s[22:23], 3
	s_add_u32 s2, s4, s0
	v_cmp_lt_u32_e32 vcc, v21, v18
	s_addc_u32 s3, s5, s1
	s_or_b64 s[0:1], s[28:29], vcc
	v_cmp_eq_u32_e32 vcc, 1, v38
	s_and_b64 s[6:7], s[0:1], vcc
	s_and_saveexec_b64 s[0:1], s[6:7]
	s_cbranch_execz .LBB376_112
; %bb.111:
	v_mov_b32_e32 v22, 0
	v_lshlrev_b64 v[39:40], 3, v[21:22]
	v_mov_b32_e32 v20, s3
	v_add_co_u32_e32 v39, vcc, s2, v39
	v_addc_co_u32_e32 v40, vcc, v20, v40, vcc
	global_store_dwordx2 v[39:40], v[9:10], off
.LBB376_112:
	s_or_b64 exec, exec, s[0:1]
	v_cmp_lt_u32_e32 vcc, v29, v18
	v_and_b32_e32 v20, 1, v37
	s_or_b64 s[0:1], s[28:29], vcc
	v_cmp_eq_u32_e32 vcc, 1, v20
	s_and_b64 s[6:7], s[0:1], vcc
	s_and_saveexec_b64 s[0:1], s[6:7]
	s_cbranch_execz .LBB376_114
; %bb.113:
	v_mov_b32_e32 v30, 0
	v_lshlrev_b64 v[39:40], 3, v[29:30]
	v_mov_b32_e32 v20, s3
	v_add_co_u32_e32 v39, vcc, s2, v39
	v_addc_co_u32_e32 v40, vcc, v20, v40, vcc
	global_store_dwordx2 v[39:40], v[11:12], off
.LBB376_114:
	s_or_b64 exec, exec, s[0:1]
	v_cmp_lt_u32_e32 vcc, v27, v18
	v_and_b32_e32 v20, 1, v36
	;; [unrolled: 16-line block ×6, first 2 shown]
	s_or_b64 s[0:1], s[28:29], vcc
	v_cmp_eq_u32_e32 vcc, 1, v18
	s_and_b64 s[6:7], s[0:1], vcc
	s_and_saveexec_b64 s[0:1], s[6:7]
	s_cbranch_execz .LBB376_124
; %bb.123:
	v_mov_b32_e32 v18, 0
	v_lshlrev_b64 v[39:40], 3, v[17:18]
	v_mov_b32_e32 v18, s3
	v_add_co_u32_e32 v39, vcc, s2, v39
	v_addc_co_u32_e32 v40, vcc, v18, v40, vcc
	global_store_dwordx2 v[39:40], v[13:14], off
.LBB376_124:
	s_or_b64 exec, exec, s[0:1]
	s_branch .LBB376_108
.LBB376_125:
	v_cmp_eq_u32_e32 vcc, 1, v38
	s_and_saveexec_b64 s[0:1], vcc
; %bb.126:
	v_sub_u32_e32 v18, v21, v16
	v_lshlrev_b32_e32 v18, 3, v18
	ds_write_b64 v18, v[9:10]
; %bb.127:
	s_or_b64 exec, exec, s[0:1]
	v_and_b32_e32 v9, 1, v37
	v_cmp_eq_u32_e32 vcc, 1, v9
	s_and_saveexec_b64 s[0:1], vcc
; %bb.128:
	v_sub_u32_e32 v9, v29, v16
	v_lshlrev_b32_e32 v9, 3, v9
	ds_write_b64 v9, v[11:12]
; %bb.129:
	s_or_b64 exec, exec, s[0:1]
	v_and_b32_e32 v9, 1, v36
	;; [unrolled: 9-line block ×6, first 2 shown]
	v_cmp_eq_u32_e32 vcc, 1, v1
	s_and_saveexec_b64 s[0:1], vcc
; %bb.138:
	v_sub_u32_e32 v1, v17, v16
	v_lshlrev_b32_e32 v1, 3, v1
	ds_write_b64 v1, v[13:14]
; %bb.139:
	s_or_b64 exec, exec, s[0:1]
	v_mov_b32_e32 v2, 0
	v_mov_b32_e32 v17, v2
	s_lshl_b64 s[0:1], s[22:23], 3
	s_add_u32 s0, s4, s0
	v_lshlrev_b64 v[3:4], 3, v[16:17]
	s_addc_u32 s1, s5, s1
	v_mov_b32_e32 v1, s1
	v_add_co_u32_e32 v3, vcc, s0, v3
	v_addc_co_u32_e32 v4, vcc, v1, v4, vcc
	s_mov_b64 s[2:3], 0
	v_mov_b32_e32 v1, v0
	s_waitcnt vmcnt(0) lgkmcnt(0)
	s_barrier
.LBB376_140:                            ; =>This Inner Loop Header: Depth=1
	ds_read_b64 v[7:8], v31
	v_lshlrev_b64 v[5:6], 3, v[1:2]
	v_add_u32_e32 v1, 0x100, v1
	v_cmp_ge_u32_e32 vcc, v1, v15
	v_add_co_u32_e64 v5, s[0:1], v3, v5
	v_add_u32_e32 v31, 0x800, v31
	v_addc_co_u32_e64 v6, s[0:1], v4, v6, s[0:1]
	s_or_b64 s[2:3], vcc, s[2:3]
	s_waitcnt lgkmcnt(0)
	global_store_dwordx2 v[5:6], v[7:8], off
	s_andn2_b64 exec, exec, s[2:3]
	s_cbranch_execnz .LBB376_140
; %bb.141:
	s_or_b64 exec, exec, s[2:3]
	v_cmp_eq_u32_e32 vcc, 0, v0
	s_and_b64 s[0:1], vcc, s[26:27]
	s_and_saveexec_b64 s[2:3], s[0:1]
	s_cbranch_execz .LBB376_109
.LBB376_142:
	v_mov_b32_e32 v0, s23
	v_add_co_u32_e32 v1, vcc, s22, v15
	v_addc_co_u32_e32 v3, vcc, 0, v0, vcc
	v_add_co_u32_e32 v0, vcc, v1, v16
	v_mov_b32_e32 v2, 0
	v_addc_co_u32_e32 v1, vcc, 0, v3, vcc
	global_store_dwordx2 v2, v[0:1], s[24:25]
	s_endpgm
	.section	.rodata,"a",@progbits
	.p2align	6, 0x0
	.amdhsa_kernel _ZN7rocprim17ROCPRIM_400000_NS6detail17trampoline_kernelINS0_14default_configENS1_25partition_config_selectorILNS1_17partition_subalgoE8ExNS0_10empty_typeEbEEZZNS1_14partition_implILS5_8ELb0ES3_jN6thrust23THRUST_200600_302600_NS6detail15normal_iteratorINSA_10device_ptrIxEEEEPS6_PKS6_NS0_5tupleIJSF_S6_EEENSJ_IJSG_SG_EEENS0_18inequality_wrapperI22is_equal_div_10_uniqueIxEEEPmJS6_EEE10hipError_tPvRmT3_T4_T5_T6_T7_T9_mT8_P12ihipStream_tbDpT10_ENKUlT_T0_E_clISt17integral_constantIbLb0EES1A_EEDaS15_S16_EUlS15_E_NS1_11comp_targetILNS1_3genE2ELNS1_11target_archE906ELNS1_3gpuE6ELNS1_3repE0EEENS1_30default_config_static_selectorELNS0_4arch9wavefront6targetE1EEEvT1_
		.amdhsa_group_segment_fixed_size 14344
		.amdhsa_private_segment_fixed_size 0
		.amdhsa_kernarg_size 112
		.amdhsa_user_sgpr_count 6
		.amdhsa_user_sgpr_private_segment_buffer 1
		.amdhsa_user_sgpr_dispatch_ptr 0
		.amdhsa_user_sgpr_queue_ptr 0
		.amdhsa_user_sgpr_kernarg_segment_ptr 1
		.amdhsa_user_sgpr_dispatch_id 0
		.amdhsa_user_sgpr_flat_scratch_init 0
		.amdhsa_user_sgpr_private_segment_size 0
		.amdhsa_uses_dynamic_stack 0
		.amdhsa_system_sgpr_private_segment_wavefront_offset 0
		.amdhsa_system_sgpr_workgroup_id_x 1
		.amdhsa_system_sgpr_workgroup_id_y 0
		.amdhsa_system_sgpr_workgroup_id_z 0
		.amdhsa_system_sgpr_workgroup_info 0
		.amdhsa_system_vgpr_workitem_id 0
		.amdhsa_next_free_vgpr 58
		.amdhsa_next_free_sgpr 98
		.amdhsa_reserve_vcc 1
		.amdhsa_reserve_flat_scratch 0
		.amdhsa_float_round_mode_32 0
		.amdhsa_float_round_mode_16_64 0
		.amdhsa_float_denorm_mode_32 3
		.amdhsa_float_denorm_mode_16_64 3
		.amdhsa_dx10_clamp 1
		.amdhsa_ieee_mode 1
		.amdhsa_fp16_overflow 0
		.amdhsa_exception_fp_ieee_invalid_op 0
		.amdhsa_exception_fp_denorm_src 0
		.amdhsa_exception_fp_ieee_div_zero 0
		.amdhsa_exception_fp_ieee_overflow 0
		.amdhsa_exception_fp_ieee_underflow 0
		.amdhsa_exception_fp_ieee_inexact 0
		.amdhsa_exception_int_div_zero 0
	.end_amdhsa_kernel
	.section	.text._ZN7rocprim17ROCPRIM_400000_NS6detail17trampoline_kernelINS0_14default_configENS1_25partition_config_selectorILNS1_17partition_subalgoE8ExNS0_10empty_typeEbEEZZNS1_14partition_implILS5_8ELb0ES3_jN6thrust23THRUST_200600_302600_NS6detail15normal_iteratorINSA_10device_ptrIxEEEEPS6_PKS6_NS0_5tupleIJSF_S6_EEENSJ_IJSG_SG_EEENS0_18inequality_wrapperI22is_equal_div_10_uniqueIxEEEPmJS6_EEE10hipError_tPvRmT3_T4_T5_T6_T7_T9_mT8_P12ihipStream_tbDpT10_ENKUlT_T0_E_clISt17integral_constantIbLb0EES1A_EEDaS15_S16_EUlS15_E_NS1_11comp_targetILNS1_3genE2ELNS1_11target_archE906ELNS1_3gpuE6ELNS1_3repE0EEENS1_30default_config_static_selectorELNS0_4arch9wavefront6targetE1EEEvT1_,"axG",@progbits,_ZN7rocprim17ROCPRIM_400000_NS6detail17trampoline_kernelINS0_14default_configENS1_25partition_config_selectorILNS1_17partition_subalgoE8ExNS0_10empty_typeEbEEZZNS1_14partition_implILS5_8ELb0ES3_jN6thrust23THRUST_200600_302600_NS6detail15normal_iteratorINSA_10device_ptrIxEEEEPS6_PKS6_NS0_5tupleIJSF_S6_EEENSJ_IJSG_SG_EEENS0_18inequality_wrapperI22is_equal_div_10_uniqueIxEEEPmJS6_EEE10hipError_tPvRmT3_T4_T5_T6_T7_T9_mT8_P12ihipStream_tbDpT10_ENKUlT_T0_E_clISt17integral_constantIbLb0EES1A_EEDaS15_S16_EUlS15_E_NS1_11comp_targetILNS1_3genE2ELNS1_11target_archE906ELNS1_3gpuE6ELNS1_3repE0EEENS1_30default_config_static_selectorELNS0_4arch9wavefront6targetE1EEEvT1_,comdat
.Lfunc_end376:
	.size	_ZN7rocprim17ROCPRIM_400000_NS6detail17trampoline_kernelINS0_14default_configENS1_25partition_config_selectorILNS1_17partition_subalgoE8ExNS0_10empty_typeEbEEZZNS1_14partition_implILS5_8ELb0ES3_jN6thrust23THRUST_200600_302600_NS6detail15normal_iteratorINSA_10device_ptrIxEEEEPS6_PKS6_NS0_5tupleIJSF_S6_EEENSJ_IJSG_SG_EEENS0_18inequality_wrapperI22is_equal_div_10_uniqueIxEEEPmJS6_EEE10hipError_tPvRmT3_T4_T5_T6_T7_T9_mT8_P12ihipStream_tbDpT10_ENKUlT_T0_E_clISt17integral_constantIbLb0EES1A_EEDaS15_S16_EUlS15_E_NS1_11comp_targetILNS1_3genE2ELNS1_11target_archE906ELNS1_3gpuE6ELNS1_3repE0EEENS1_30default_config_static_selectorELNS0_4arch9wavefront6targetE1EEEvT1_, .Lfunc_end376-_ZN7rocprim17ROCPRIM_400000_NS6detail17trampoline_kernelINS0_14default_configENS1_25partition_config_selectorILNS1_17partition_subalgoE8ExNS0_10empty_typeEbEEZZNS1_14partition_implILS5_8ELb0ES3_jN6thrust23THRUST_200600_302600_NS6detail15normal_iteratorINSA_10device_ptrIxEEEEPS6_PKS6_NS0_5tupleIJSF_S6_EEENSJ_IJSG_SG_EEENS0_18inequality_wrapperI22is_equal_div_10_uniqueIxEEEPmJS6_EEE10hipError_tPvRmT3_T4_T5_T6_T7_T9_mT8_P12ihipStream_tbDpT10_ENKUlT_T0_E_clISt17integral_constantIbLb0EES1A_EEDaS15_S16_EUlS15_E_NS1_11comp_targetILNS1_3genE2ELNS1_11target_archE906ELNS1_3gpuE6ELNS1_3repE0EEENS1_30default_config_static_selectorELNS0_4arch9wavefront6targetE1EEEvT1_
                                        ; -- End function
	.set _ZN7rocprim17ROCPRIM_400000_NS6detail17trampoline_kernelINS0_14default_configENS1_25partition_config_selectorILNS1_17partition_subalgoE8ExNS0_10empty_typeEbEEZZNS1_14partition_implILS5_8ELb0ES3_jN6thrust23THRUST_200600_302600_NS6detail15normal_iteratorINSA_10device_ptrIxEEEEPS6_PKS6_NS0_5tupleIJSF_S6_EEENSJ_IJSG_SG_EEENS0_18inequality_wrapperI22is_equal_div_10_uniqueIxEEEPmJS6_EEE10hipError_tPvRmT3_T4_T5_T6_T7_T9_mT8_P12ihipStream_tbDpT10_ENKUlT_T0_E_clISt17integral_constantIbLb0EES1A_EEDaS15_S16_EUlS15_E_NS1_11comp_targetILNS1_3genE2ELNS1_11target_archE906ELNS1_3gpuE6ELNS1_3repE0EEENS1_30default_config_static_selectorELNS0_4arch9wavefront6targetE1EEEvT1_.num_vgpr, 58
	.set _ZN7rocprim17ROCPRIM_400000_NS6detail17trampoline_kernelINS0_14default_configENS1_25partition_config_selectorILNS1_17partition_subalgoE8ExNS0_10empty_typeEbEEZZNS1_14partition_implILS5_8ELb0ES3_jN6thrust23THRUST_200600_302600_NS6detail15normal_iteratorINSA_10device_ptrIxEEEEPS6_PKS6_NS0_5tupleIJSF_S6_EEENSJ_IJSG_SG_EEENS0_18inequality_wrapperI22is_equal_div_10_uniqueIxEEEPmJS6_EEE10hipError_tPvRmT3_T4_T5_T6_T7_T9_mT8_P12ihipStream_tbDpT10_ENKUlT_T0_E_clISt17integral_constantIbLb0EES1A_EEDaS15_S16_EUlS15_E_NS1_11comp_targetILNS1_3genE2ELNS1_11target_archE906ELNS1_3gpuE6ELNS1_3repE0EEENS1_30default_config_static_selectorELNS0_4arch9wavefront6targetE1EEEvT1_.num_agpr, 0
	.set _ZN7rocprim17ROCPRIM_400000_NS6detail17trampoline_kernelINS0_14default_configENS1_25partition_config_selectorILNS1_17partition_subalgoE8ExNS0_10empty_typeEbEEZZNS1_14partition_implILS5_8ELb0ES3_jN6thrust23THRUST_200600_302600_NS6detail15normal_iteratorINSA_10device_ptrIxEEEEPS6_PKS6_NS0_5tupleIJSF_S6_EEENSJ_IJSG_SG_EEENS0_18inequality_wrapperI22is_equal_div_10_uniqueIxEEEPmJS6_EEE10hipError_tPvRmT3_T4_T5_T6_T7_T9_mT8_P12ihipStream_tbDpT10_ENKUlT_T0_E_clISt17integral_constantIbLb0EES1A_EEDaS15_S16_EUlS15_E_NS1_11comp_targetILNS1_3genE2ELNS1_11target_archE906ELNS1_3gpuE6ELNS1_3repE0EEENS1_30default_config_static_selectorELNS0_4arch9wavefront6targetE1EEEvT1_.numbered_sgpr, 40
	.set _ZN7rocprim17ROCPRIM_400000_NS6detail17trampoline_kernelINS0_14default_configENS1_25partition_config_selectorILNS1_17partition_subalgoE8ExNS0_10empty_typeEbEEZZNS1_14partition_implILS5_8ELb0ES3_jN6thrust23THRUST_200600_302600_NS6detail15normal_iteratorINSA_10device_ptrIxEEEEPS6_PKS6_NS0_5tupleIJSF_S6_EEENSJ_IJSG_SG_EEENS0_18inequality_wrapperI22is_equal_div_10_uniqueIxEEEPmJS6_EEE10hipError_tPvRmT3_T4_T5_T6_T7_T9_mT8_P12ihipStream_tbDpT10_ENKUlT_T0_E_clISt17integral_constantIbLb0EES1A_EEDaS15_S16_EUlS15_E_NS1_11comp_targetILNS1_3genE2ELNS1_11target_archE906ELNS1_3gpuE6ELNS1_3repE0EEENS1_30default_config_static_selectorELNS0_4arch9wavefront6targetE1EEEvT1_.num_named_barrier, 0
	.set _ZN7rocprim17ROCPRIM_400000_NS6detail17trampoline_kernelINS0_14default_configENS1_25partition_config_selectorILNS1_17partition_subalgoE8ExNS0_10empty_typeEbEEZZNS1_14partition_implILS5_8ELb0ES3_jN6thrust23THRUST_200600_302600_NS6detail15normal_iteratorINSA_10device_ptrIxEEEEPS6_PKS6_NS0_5tupleIJSF_S6_EEENSJ_IJSG_SG_EEENS0_18inequality_wrapperI22is_equal_div_10_uniqueIxEEEPmJS6_EEE10hipError_tPvRmT3_T4_T5_T6_T7_T9_mT8_P12ihipStream_tbDpT10_ENKUlT_T0_E_clISt17integral_constantIbLb0EES1A_EEDaS15_S16_EUlS15_E_NS1_11comp_targetILNS1_3genE2ELNS1_11target_archE906ELNS1_3gpuE6ELNS1_3repE0EEENS1_30default_config_static_selectorELNS0_4arch9wavefront6targetE1EEEvT1_.private_seg_size, 0
	.set _ZN7rocprim17ROCPRIM_400000_NS6detail17trampoline_kernelINS0_14default_configENS1_25partition_config_selectorILNS1_17partition_subalgoE8ExNS0_10empty_typeEbEEZZNS1_14partition_implILS5_8ELb0ES3_jN6thrust23THRUST_200600_302600_NS6detail15normal_iteratorINSA_10device_ptrIxEEEEPS6_PKS6_NS0_5tupleIJSF_S6_EEENSJ_IJSG_SG_EEENS0_18inequality_wrapperI22is_equal_div_10_uniqueIxEEEPmJS6_EEE10hipError_tPvRmT3_T4_T5_T6_T7_T9_mT8_P12ihipStream_tbDpT10_ENKUlT_T0_E_clISt17integral_constantIbLb0EES1A_EEDaS15_S16_EUlS15_E_NS1_11comp_targetILNS1_3genE2ELNS1_11target_archE906ELNS1_3gpuE6ELNS1_3repE0EEENS1_30default_config_static_selectorELNS0_4arch9wavefront6targetE1EEEvT1_.uses_vcc, 1
	.set _ZN7rocprim17ROCPRIM_400000_NS6detail17trampoline_kernelINS0_14default_configENS1_25partition_config_selectorILNS1_17partition_subalgoE8ExNS0_10empty_typeEbEEZZNS1_14partition_implILS5_8ELb0ES3_jN6thrust23THRUST_200600_302600_NS6detail15normal_iteratorINSA_10device_ptrIxEEEEPS6_PKS6_NS0_5tupleIJSF_S6_EEENSJ_IJSG_SG_EEENS0_18inequality_wrapperI22is_equal_div_10_uniqueIxEEEPmJS6_EEE10hipError_tPvRmT3_T4_T5_T6_T7_T9_mT8_P12ihipStream_tbDpT10_ENKUlT_T0_E_clISt17integral_constantIbLb0EES1A_EEDaS15_S16_EUlS15_E_NS1_11comp_targetILNS1_3genE2ELNS1_11target_archE906ELNS1_3gpuE6ELNS1_3repE0EEENS1_30default_config_static_selectorELNS0_4arch9wavefront6targetE1EEEvT1_.uses_flat_scratch, 0
	.set _ZN7rocprim17ROCPRIM_400000_NS6detail17trampoline_kernelINS0_14default_configENS1_25partition_config_selectorILNS1_17partition_subalgoE8ExNS0_10empty_typeEbEEZZNS1_14partition_implILS5_8ELb0ES3_jN6thrust23THRUST_200600_302600_NS6detail15normal_iteratorINSA_10device_ptrIxEEEEPS6_PKS6_NS0_5tupleIJSF_S6_EEENSJ_IJSG_SG_EEENS0_18inequality_wrapperI22is_equal_div_10_uniqueIxEEEPmJS6_EEE10hipError_tPvRmT3_T4_T5_T6_T7_T9_mT8_P12ihipStream_tbDpT10_ENKUlT_T0_E_clISt17integral_constantIbLb0EES1A_EEDaS15_S16_EUlS15_E_NS1_11comp_targetILNS1_3genE2ELNS1_11target_archE906ELNS1_3gpuE6ELNS1_3repE0EEENS1_30default_config_static_selectorELNS0_4arch9wavefront6targetE1EEEvT1_.has_dyn_sized_stack, 0
	.set _ZN7rocprim17ROCPRIM_400000_NS6detail17trampoline_kernelINS0_14default_configENS1_25partition_config_selectorILNS1_17partition_subalgoE8ExNS0_10empty_typeEbEEZZNS1_14partition_implILS5_8ELb0ES3_jN6thrust23THRUST_200600_302600_NS6detail15normal_iteratorINSA_10device_ptrIxEEEEPS6_PKS6_NS0_5tupleIJSF_S6_EEENSJ_IJSG_SG_EEENS0_18inequality_wrapperI22is_equal_div_10_uniqueIxEEEPmJS6_EEE10hipError_tPvRmT3_T4_T5_T6_T7_T9_mT8_P12ihipStream_tbDpT10_ENKUlT_T0_E_clISt17integral_constantIbLb0EES1A_EEDaS15_S16_EUlS15_E_NS1_11comp_targetILNS1_3genE2ELNS1_11target_archE906ELNS1_3gpuE6ELNS1_3repE0EEENS1_30default_config_static_selectorELNS0_4arch9wavefront6targetE1EEEvT1_.has_recursion, 0
	.set _ZN7rocprim17ROCPRIM_400000_NS6detail17trampoline_kernelINS0_14default_configENS1_25partition_config_selectorILNS1_17partition_subalgoE8ExNS0_10empty_typeEbEEZZNS1_14partition_implILS5_8ELb0ES3_jN6thrust23THRUST_200600_302600_NS6detail15normal_iteratorINSA_10device_ptrIxEEEEPS6_PKS6_NS0_5tupleIJSF_S6_EEENSJ_IJSG_SG_EEENS0_18inequality_wrapperI22is_equal_div_10_uniqueIxEEEPmJS6_EEE10hipError_tPvRmT3_T4_T5_T6_T7_T9_mT8_P12ihipStream_tbDpT10_ENKUlT_T0_E_clISt17integral_constantIbLb0EES1A_EEDaS15_S16_EUlS15_E_NS1_11comp_targetILNS1_3genE2ELNS1_11target_archE906ELNS1_3gpuE6ELNS1_3repE0EEENS1_30default_config_static_selectorELNS0_4arch9wavefront6targetE1EEEvT1_.has_indirect_call, 0
	.section	.AMDGPU.csdata,"",@progbits
; Kernel info:
; codeLenInByte = 5988
; TotalNumSgprs: 44
; NumVgprs: 58
; ScratchSize: 0
; MemoryBound: 0
; FloatMode: 240
; IeeeMode: 1
; LDSByteSize: 14344 bytes/workgroup (compile time only)
; SGPRBlocks: 12
; VGPRBlocks: 14
; NumSGPRsForWavesPerEU: 102
; NumVGPRsForWavesPerEU: 58
; Occupancy: 4
; WaveLimiterHint : 1
; COMPUTE_PGM_RSRC2:SCRATCH_EN: 0
; COMPUTE_PGM_RSRC2:USER_SGPR: 6
; COMPUTE_PGM_RSRC2:TRAP_HANDLER: 0
; COMPUTE_PGM_RSRC2:TGID_X_EN: 1
; COMPUTE_PGM_RSRC2:TGID_Y_EN: 0
; COMPUTE_PGM_RSRC2:TGID_Z_EN: 0
; COMPUTE_PGM_RSRC2:TIDIG_COMP_CNT: 0
	.section	.text._ZN7rocprim17ROCPRIM_400000_NS6detail17trampoline_kernelINS0_14default_configENS1_25partition_config_selectorILNS1_17partition_subalgoE8ExNS0_10empty_typeEbEEZZNS1_14partition_implILS5_8ELb0ES3_jN6thrust23THRUST_200600_302600_NS6detail15normal_iteratorINSA_10device_ptrIxEEEEPS6_PKS6_NS0_5tupleIJSF_S6_EEENSJ_IJSG_SG_EEENS0_18inequality_wrapperI22is_equal_div_10_uniqueIxEEEPmJS6_EEE10hipError_tPvRmT3_T4_T5_T6_T7_T9_mT8_P12ihipStream_tbDpT10_ENKUlT_T0_E_clISt17integral_constantIbLb0EES1A_EEDaS15_S16_EUlS15_E_NS1_11comp_targetILNS1_3genE10ELNS1_11target_archE1200ELNS1_3gpuE4ELNS1_3repE0EEENS1_30default_config_static_selectorELNS0_4arch9wavefront6targetE1EEEvT1_,"axG",@progbits,_ZN7rocprim17ROCPRIM_400000_NS6detail17trampoline_kernelINS0_14default_configENS1_25partition_config_selectorILNS1_17partition_subalgoE8ExNS0_10empty_typeEbEEZZNS1_14partition_implILS5_8ELb0ES3_jN6thrust23THRUST_200600_302600_NS6detail15normal_iteratorINSA_10device_ptrIxEEEEPS6_PKS6_NS0_5tupleIJSF_S6_EEENSJ_IJSG_SG_EEENS0_18inequality_wrapperI22is_equal_div_10_uniqueIxEEEPmJS6_EEE10hipError_tPvRmT3_T4_T5_T6_T7_T9_mT8_P12ihipStream_tbDpT10_ENKUlT_T0_E_clISt17integral_constantIbLb0EES1A_EEDaS15_S16_EUlS15_E_NS1_11comp_targetILNS1_3genE10ELNS1_11target_archE1200ELNS1_3gpuE4ELNS1_3repE0EEENS1_30default_config_static_selectorELNS0_4arch9wavefront6targetE1EEEvT1_,comdat
	.protected	_ZN7rocprim17ROCPRIM_400000_NS6detail17trampoline_kernelINS0_14default_configENS1_25partition_config_selectorILNS1_17partition_subalgoE8ExNS0_10empty_typeEbEEZZNS1_14partition_implILS5_8ELb0ES3_jN6thrust23THRUST_200600_302600_NS6detail15normal_iteratorINSA_10device_ptrIxEEEEPS6_PKS6_NS0_5tupleIJSF_S6_EEENSJ_IJSG_SG_EEENS0_18inequality_wrapperI22is_equal_div_10_uniqueIxEEEPmJS6_EEE10hipError_tPvRmT3_T4_T5_T6_T7_T9_mT8_P12ihipStream_tbDpT10_ENKUlT_T0_E_clISt17integral_constantIbLb0EES1A_EEDaS15_S16_EUlS15_E_NS1_11comp_targetILNS1_3genE10ELNS1_11target_archE1200ELNS1_3gpuE4ELNS1_3repE0EEENS1_30default_config_static_selectorELNS0_4arch9wavefront6targetE1EEEvT1_ ; -- Begin function _ZN7rocprim17ROCPRIM_400000_NS6detail17trampoline_kernelINS0_14default_configENS1_25partition_config_selectorILNS1_17partition_subalgoE8ExNS0_10empty_typeEbEEZZNS1_14partition_implILS5_8ELb0ES3_jN6thrust23THRUST_200600_302600_NS6detail15normal_iteratorINSA_10device_ptrIxEEEEPS6_PKS6_NS0_5tupleIJSF_S6_EEENSJ_IJSG_SG_EEENS0_18inequality_wrapperI22is_equal_div_10_uniqueIxEEEPmJS6_EEE10hipError_tPvRmT3_T4_T5_T6_T7_T9_mT8_P12ihipStream_tbDpT10_ENKUlT_T0_E_clISt17integral_constantIbLb0EES1A_EEDaS15_S16_EUlS15_E_NS1_11comp_targetILNS1_3genE10ELNS1_11target_archE1200ELNS1_3gpuE4ELNS1_3repE0EEENS1_30default_config_static_selectorELNS0_4arch9wavefront6targetE1EEEvT1_
	.globl	_ZN7rocprim17ROCPRIM_400000_NS6detail17trampoline_kernelINS0_14default_configENS1_25partition_config_selectorILNS1_17partition_subalgoE8ExNS0_10empty_typeEbEEZZNS1_14partition_implILS5_8ELb0ES3_jN6thrust23THRUST_200600_302600_NS6detail15normal_iteratorINSA_10device_ptrIxEEEEPS6_PKS6_NS0_5tupleIJSF_S6_EEENSJ_IJSG_SG_EEENS0_18inequality_wrapperI22is_equal_div_10_uniqueIxEEEPmJS6_EEE10hipError_tPvRmT3_T4_T5_T6_T7_T9_mT8_P12ihipStream_tbDpT10_ENKUlT_T0_E_clISt17integral_constantIbLb0EES1A_EEDaS15_S16_EUlS15_E_NS1_11comp_targetILNS1_3genE10ELNS1_11target_archE1200ELNS1_3gpuE4ELNS1_3repE0EEENS1_30default_config_static_selectorELNS0_4arch9wavefront6targetE1EEEvT1_
	.p2align	8
	.type	_ZN7rocprim17ROCPRIM_400000_NS6detail17trampoline_kernelINS0_14default_configENS1_25partition_config_selectorILNS1_17partition_subalgoE8ExNS0_10empty_typeEbEEZZNS1_14partition_implILS5_8ELb0ES3_jN6thrust23THRUST_200600_302600_NS6detail15normal_iteratorINSA_10device_ptrIxEEEEPS6_PKS6_NS0_5tupleIJSF_S6_EEENSJ_IJSG_SG_EEENS0_18inequality_wrapperI22is_equal_div_10_uniqueIxEEEPmJS6_EEE10hipError_tPvRmT3_T4_T5_T6_T7_T9_mT8_P12ihipStream_tbDpT10_ENKUlT_T0_E_clISt17integral_constantIbLb0EES1A_EEDaS15_S16_EUlS15_E_NS1_11comp_targetILNS1_3genE10ELNS1_11target_archE1200ELNS1_3gpuE4ELNS1_3repE0EEENS1_30default_config_static_selectorELNS0_4arch9wavefront6targetE1EEEvT1_,@function
_ZN7rocprim17ROCPRIM_400000_NS6detail17trampoline_kernelINS0_14default_configENS1_25partition_config_selectorILNS1_17partition_subalgoE8ExNS0_10empty_typeEbEEZZNS1_14partition_implILS5_8ELb0ES3_jN6thrust23THRUST_200600_302600_NS6detail15normal_iteratorINSA_10device_ptrIxEEEEPS6_PKS6_NS0_5tupleIJSF_S6_EEENSJ_IJSG_SG_EEENS0_18inequality_wrapperI22is_equal_div_10_uniqueIxEEEPmJS6_EEE10hipError_tPvRmT3_T4_T5_T6_T7_T9_mT8_P12ihipStream_tbDpT10_ENKUlT_T0_E_clISt17integral_constantIbLb0EES1A_EEDaS15_S16_EUlS15_E_NS1_11comp_targetILNS1_3genE10ELNS1_11target_archE1200ELNS1_3gpuE4ELNS1_3repE0EEENS1_30default_config_static_selectorELNS0_4arch9wavefront6targetE1EEEvT1_: ; @_ZN7rocprim17ROCPRIM_400000_NS6detail17trampoline_kernelINS0_14default_configENS1_25partition_config_selectorILNS1_17partition_subalgoE8ExNS0_10empty_typeEbEEZZNS1_14partition_implILS5_8ELb0ES3_jN6thrust23THRUST_200600_302600_NS6detail15normal_iteratorINSA_10device_ptrIxEEEEPS6_PKS6_NS0_5tupleIJSF_S6_EEENSJ_IJSG_SG_EEENS0_18inequality_wrapperI22is_equal_div_10_uniqueIxEEEPmJS6_EEE10hipError_tPvRmT3_T4_T5_T6_T7_T9_mT8_P12ihipStream_tbDpT10_ENKUlT_T0_E_clISt17integral_constantIbLb0EES1A_EEDaS15_S16_EUlS15_E_NS1_11comp_targetILNS1_3genE10ELNS1_11target_archE1200ELNS1_3gpuE4ELNS1_3repE0EEENS1_30default_config_static_selectorELNS0_4arch9wavefront6targetE1EEEvT1_
; %bb.0:
	.section	.rodata,"a",@progbits
	.p2align	6, 0x0
	.amdhsa_kernel _ZN7rocprim17ROCPRIM_400000_NS6detail17trampoline_kernelINS0_14default_configENS1_25partition_config_selectorILNS1_17partition_subalgoE8ExNS0_10empty_typeEbEEZZNS1_14partition_implILS5_8ELb0ES3_jN6thrust23THRUST_200600_302600_NS6detail15normal_iteratorINSA_10device_ptrIxEEEEPS6_PKS6_NS0_5tupleIJSF_S6_EEENSJ_IJSG_SG_EEENS0_18inequality_wrapperI22is_equal_div_10_uniqueIxEEEPmJS6_EEE10hipError_tPvRmT3_T4_T5_T6_T7_T9_mT8_P12ihipStream_tbDpT10_ENKUlT_T0_E_clISt17integral_constantIbLb0EES1A_EEDaS15_S16_EUlS15_E_NS1_11comp_targetILNS1_3genE10ELNS1_11target_archE1200ELNS1_3gpuE4ELNS1_3repE0EEENS1_30default_config_static_selectorELNS0_4arch9wavefront6targetE1EEEvT1_
		.amdhsa_group_segment_fixed_size 0
		.amdhsa_private_segment_fixed_size 0
		.amdhsa_kernarg_size 112
		.amdhsa_user_sgpr_count 6
		.amdhsa_user_sgpr_private_segment_buffer 1
		.amdhsa_user_sgpr_dispatch_ptr 0
		.amdhsa_user_sgpr_queue_ptr 0
		.amdhsa_user_sgpr_kernarg_segment_ptr 1
		.amdhsa_user_sgpr_dispatch_id 0
		.amdhsa_user_sgpr_flat_scratch_init 0
		.amdhsa_user_sgpr_private_segment_size 0
		.amdhsa_uses_dynamic_stack 0
		.amdhsa_system_sgpr_private_segment_wavefront_offset 0
		.amdhsa_system_sgpr_workgroup_id_x 1
		.amdhsa_system_sgpr_workgroup_id_y 0
		.amdhsa_system_sgpr_workgroup_id_z 0
		.amdhsa_system_sgpr_workgroup_info 0
		.amdhsa_system_vgpr_workitem_id 0
		.amdhsa_next_free_vgpr 1
		.amdhsa_next_free_sgpr 0
		.amdhsa_reserve_vcc 0
		.amdhsa_reserve_flat_scratch 0
		.amdhsa_float_round_mode_32 0
		.amdhsa_float_round_mode_16_64 0
		.amdhsa_float_denorm_mode_32 3
		.amdhsa_float_denorm_mode_16_64 3
		.amdhsa_dx10_clamp 1
		.amdhsa_ieee_mode 1
		.amdhsa_fp16_overflow 0
		.amdhsa_exception_fp_ieee_invalid_op 0
		.amdhsa_exception_fp_denorm_src 0
		.amdhsa_exception_fp_ieee_div_zero 0
		.amdhsa_exception_fp_ieee_overflow 0
		.amdhsa_exception_fp_ieee_underflow 0
		.amdhsa_exception_fp_ieee_inexact 0
		.amdhsa_exception_int_div_zero 0
	.end_amdhsa_kernel
	.section	.text._ZN7rocprim17ROCPRIM_400000_NS6detail17trampoline_kernelINS0_14default_configENS1_25partition_config_selectorILNS1_17partition_subalgoE8ExNS0_10empty_typeEbEEZZNS1_14partition_implILS5_8ELb0ES3_jN6thrust23THRUST_200600_302600_NS6detail15normal_iteratorINSA_10device_ptrIxEEEEPS6_PKS6_NS0_5tupleIJSF_S6_EEENSJ_IJSG_SG_EEENS0_18inequality_wrapperI22is_equal_div_10_uniqueIxEEEPmJS6_EEE10hipError_tPvRmT3_T4_T5_T6_T7_T9_mT8_P12ihipStream_tbDpT10_ENKUlT_T0_E_clISt17integral_constantIbLb0EES1A_EEDaS15_S16_EUlS15_E_NS1_11comp_targetILNS1_3genE10ELNS1_11target_archE1200ELNS1_3gpuE4ELNS1_3repE0EEENS1_30default_config_static_selectorELNS0_4arch9wavefront6targetE1EEEvT1_,"axG",@progbits,_ZN7rocprim17ROCPRIM_400000_NS6detail17trampoline_kernelINS0_14default_configENS1_25partition_config_selectorILNS1_17partition_subalgoE8ExNS0_10empty_typeEbEEZZNS1_14partition_implILS5_8ELb0ES3_jN6thrust23THRUST_200600_302600_NS6detail15normal_iteratorINSA_10device_ptrIxEEEEPS6_PKS6_NS0_5tupleIJSF_S6_EEENSJ_IJSG_SG_EEENS0_18inequality_wrapperI22is_equal_div_10_uniqueIxEEEPmJS6_EEE10hipError_tPvRmT3_T4_T5_T6_T7_T9_mT8_P12ihipStream_tbDpT10_ENKUlT_T0_E_clISt17integral_constantIbLb0EES1A_EEDaS15_S16_EUlS15_E_NS1_11comp_targetILNS1_3genE10ELNS1_11target_archE1200ELNS1_3gpuE4ELNS1_3repE0EEENS1_30default_config_static_selectorELNS0_4arch9wavefront6targetE1EEEvT1_,comdat
.Lfunc_end377:
	.size	_ZN7rocprim17ROCPRIM_400000_NS6detail17trampoline_kernelINS0_14default_configENS1_25partition_config_selectorILNS1_17partition_subalgoE8ExNS0_10empty_typeEbEEZZNS1_14partition_implILS5_8ELb0ES3_jN6thrust23THRUST_200600_302600_NS6detail15normal_iteratorINSA_10device_ptrIxEEEEPS6_PKS6_NS0_5tupleIJSF_S6_EEENSJ_IJSG_SG_EEENS0_18inequality_wrapperI22is_equal_div_10_uniqueIxEEEPmJS6_EEE10hipError_tPvRmT3_T4_T5_T6_T7_T9_mT8_P12ihipStream_tbDpT10_ENKUlT_T0_E_clISt17integral_constantIbLb0EES1A_EEDaS15_S16_EUlS15_E_NS1_11comp_targetILNS1_3genE10ELNS1_11target_archE1200ELNS1_3gpuE4ELNS1_3repE0EEENS1_30default_config_static_selectorELNS0_4arch9wavefront6targetE1EEEvT1_, .Lfunc_end377-_ZN7rocprim17ROCPRIM_400000_NS6detail17trampoline_kernelINS0_14default_configENS1_25partition_config_selectorILNS1_17partition_subalgoE8ExNS0_10empty_typeEbEEZZNS1_14partition_implILS5_8ELb0ES3_jN6thrust23THRUST_200600_302600_NS6detail15normal_iteratorINSA_10device_ptrIxEEEEPS6_PKS6_NS0_5tupleIJSF_S6_EEENSJ_IJSG_SG_EEENS0_18inequality_wrapperI22is_equal_div_10_uniqueIxEEEPmJS6_EEE10hipError_tPvRmT3_T4_T5_T6_T7_T9_mT8_P12ihipStream_tbDpT10_ENKUlT_T0_E_clISt17integral_constantIbLb0EES1A_EEDaS15_S16_EUlS15_E_NS1_11comp_targetILNS1_3genE10ELNS1_11target_archE1200ELNS1_3gpuE4ELNS1_3repE0EEENS1_30default_config_static_selectorELNS0_4arch9wavefront6targetE1EEEvT1_
                                        ; -- End function
	.set _ZN7rocprim17ROCPRIM_400000_NS6detail17trampoline_kernelINS0_14default_configENS1_25partition_config_selectorILNS1_17partition_subalgoE8ExNS0_10empty_typeEbEEZZNS1_14partition_implILS5_8ELb0ES3_jN6thrust23THRUST_200600_302600_NS6detail15normal_iteratorINSA_10device_ptrIxEEEEPS6_PKS6_NS0_5tupleIJSF_S6_EEENSJ_IJSG_SG_EEENS0_18inequality_wrapperI22is_equal_div_10_uniqueIxEEEPmJS6_EEE10hipError_tPvRmT3_T4_T5_T6_T7_T9_mT8_P12ihipStream_tbDpT10_ENKUlT_T0_E_clISt17integral_constantIbLb0EES1A_EEDaS15_S16_EUlS15_E_NS1_11comp_targetILNS1_3genE10ELNS1_11target_archE1200ELNS1_3gpuE4ELNS1_3repE0EEENS1_30default_config_static_selectorELNS0_4arch9wavefront6targetE1EEEvT1_.num_vgpr, 0
	.set _ZN7rocprim17ROCPRIM_400000_NS6detail17trampoline_kernelINS0_14default_configENS1_25partition_config_selectorILNS1_17partition_subalgoE8ExNS0_10empty_typeEbEEZZNS1_14partition_implILS5_8ELb0ES3_jN6thrust23THRUST_200600_302600_NS6detail15normal_iteratorINSA_10device_ptrIxEEEEPS6_PKS6_NS0_5tupleIJSF_S6_EEENSJ_IJSG_SG_EEENS0_18inequality_wrapperI22is_equal_div_10_uniqueIxEEEPmJS6_EEE10hipError_tPvRmT3_T4_T5_T6_T7_T9_mT8_P12ihipStream_tbDpT10_ENKUlT_T0_E_clISt17integral_constantIbLb0EES1A_EEDaS15_S16_EUlS15_E_NS1_11comp_targetILNS1_3genE10ELNS1_11target_archE1200ELNS1_3gpuE4ELNS1_3repE0EEENS1_30default_config_static_selectorELNS0_4arch9wavefront6targetE1EEEvT1_.num_agpr, 0
	.set _ZN7rocprim17ROCPRIM_400000_NS6detail17trampoline_kernelINS0_14default_configENS1_25partition_config_selectorILNS1_17partition_subalgoE8ExNS0_10empty_typeEbEEZZNS1_14partition_implILS5_8ELb0ES3_jN6thrust23THRUST_200600_302600_NS6detail15normal_iteratorINSA_10device_ptrIxEEEEPS6_PKS6_NS0_5tupleIJSF_S6_EEENSJ_IJSG_SG_EEENS0_18inequality_wrapperI22is_equal_div_10_uniqueIxEEEPmJS6_EEE10hipError_tPvRmT3_T4_T5_T6_T7_T9_mT8_P12ihipStream_tbDpT10_ENKUlT_T0_E_clISt17integral_constantIbLb0EES1A_EEDaS15_S16_EUlS15_E_NS1_11comp_targetILNS1_3genE10ELNS1_11target_archE1200ELNS1_3gpuE4ELNS1_3repE0EEENS1_30default_config_static_selectorELNS0_4arch9wavefront6targetE1EEEvT1_.numbered_sgpr, 0
	.set _ZN7rocprim17ROCPRIM_400000_NS6detail17trampoline_kernelINS0_14default_configENS1_25partition_config_selectorILNS1_17partition_subalgoE8ExNS0_10empty_typeEbEEZZNS1_14partition_implILS5_8ELb0ES3_jN6thrust23THRUST_200600_302600_NS6detail15normal_iteratorINSA_10device_ptrIxEEEEPS6_PKS6_NS0_5tupleIJSF_S6_EEENSJ_IJSG_SG_EEENS0_18inequality_wrapperI22is_equal_div_10_uniqueIxEEEPmJS6_EEE10hipError_tPvRmT3_T4_T5_T6_T7_T9_mT8_P12ihipStream_tbDpT10_ENKUlT_T0_E_clISt17integral_constantIbLb0EES1A_EEDaS15_S16_EUlS15_E_NS1_11comp_targetILNS1_3genE10ELNS1_11target_archE1200ELNS1_3gpuE4ELNS1_3repE0EEENS1_30default_config_static_selectorELNS0_4arch9wavefront6targetE1EEEvT1_.num_named_barrier, 0
	.set _ZN7rocprim17ROCPRIM_400000_NS6detail17trampoline_kernelINS0_14default_configENS1_25partition_config_selectorILNS1_17partition_subalgoE8ExNS0_10empty_typeEbEEZZNS1_14partition_implILS5_8ELb0ES3_jN6thrust23THRUST_200600_302600_NS6detail15normal_iteratorINSA_10device_ptrIxEEEEPS6_PKS6_NS0_5tupleIJSF_S6_EEENSJ_IJSG_SG_EEENS0_18inequality_wrapperI22is_equal_div_10_uniqueIxEEEPmJS6_EEE10hipError_tPvRmT3_T4_T5_T6_T7_T9_mT8_P12ihipStream_tbDpT10_ENKUlT_T0_E_clISt17integral_constantIbLb0EES1A_EEDaS15_S16_EUlS15_E_NS1_11comp_targetILNS1_3genE10ELNS1_11target_archE1200ELNS1_3gpuE4ELNS1_3repE0EEENS1_30default_config_static_selectorELNS0_4arch9wavefront6targetE1EEEvT1_.private_seg_size, 0
	.set _ZN7rocprim17ROCPRIM_400000_NS6detail17trampoline_kernelINS0_14default_configENS1_25partition_config_selectorILNS1_17partition_subalgoE8ExNS0_10empty_typeEbEEZZNS1_14partition_implILS5_8ELb0ES3_jN6thrust23THRUST_200600_302600_NS6detail15normal_iteratorINSA_10device_ptrIxEEEEPS6_PKS6_NS0_5tupleIJSF_S6_EEENSJ_IJSG_SG_EEENS0_18inequality_wrapperI22is_equal_div_10_uniqueIxEEEPmJS6_EEE10hipError_tPvRmT3_T4_T5_T6_T7_T9_mT8_P12ihipStream_tbDpT10_ENKUlT_T0_E_clISt17integral_constantIbLb0EES1A_EEDaS15_S16_EUlS15_E_NS1_11comp_targetILNS1_3genE10ELNS1_11target_archE1200ELNS1_3gpuE4ELNS1_3repE0EEENS1_30default_config_static_selectorELNS0_4arch9wavefront6targetE1EEEvT1_.uses_vcc, 0
	.set _ZN7rocprim17ROCPRIM_400000_NS6detail17trampoline_kernelINS0_14default_configENS1_25partition_config_selectorILNS1_17partition_subalgoE8ExNS0_10empty_typeEbEEZZNS1_14partition_implILS5_8ELb0ES3_jN6thrust23THRUST_200600_302600_NS6detail15normal_iteratorINSA_10device_ptrIxEEEEPS6_PKS6_NS0_5tupleIJSF_S6_EEENSJ_IJSG_SG_EEENS0_18inequality_wrapperI22is_equal_div_10_uniqueIxEEEPmJS6_EEE10hipError_tPvRmT3_T4_T5_T6_T7_T9_mT8_P12ihipStream_tbDpT10_ENKUlT_T0_E_clISt17integral_constantIbLb0EES1A_EEDaS15_S16_EUlS15_E_NS1_11comp_targetILNS1_3genE10ELNS1_11target_archE1200ELNS1_3gpuE4ELNS1_3repE0EEENS1_30default_config_static_selectorELNS0_4arch9wavefront6targetE1EEEvT1_.uses_flat_scratch, 0
	.set _ZN7rocprim17ROCPRIM_400000_NS6detail17trampoline_kernelINS0_14default_configENS1_25partition_config_selectorILNS1_17partition_subalgoE8ExNS0_10empty_typeEbEEZZNS1_14partition_implILS5_8ELb0ES3_jN6thrust23THRUST_200600_302600_NS6detail15normal_iteratorINSA_10device_ptrIxEEEEPS6_PKS6_NS0_5tupleIJSF_S6_EEENSJ_IJSG_SG_EEENS0_18inequality_wrapperI22is_equal_div_10_uniqueIxEEEPmJS6_EEE10hipError_tPvRmT3_T4_T5_T6_T7_T9_mT8_P12ihipStream_tbDpT10_ENKUlT_T0_E_clISt17integral_constantIbLb0EES1A_EEDaS15_S16_EUlS15_E_NS1_11comp_targetILNS1_3genE10ELNS1_11target_archE1200ELNS1_3gpuE4ELNS1_3repE0EEENS1_30default_config_static_selectorELNS0_4arch9wavefront6targetE1EEEvT1_.has_dyn_sized_stack, 0
	.set _ZN7rocprim17ROCPRIM_400000_NS6detail17trampoline_kernelINS0_14default_configENS1_25partition_config_selectorILNS1_17partition_subalgoE8ExNS0_10empty_typeEbEEZZNS1_14partition_implILS5_8ELb0ES3_jN6thrust23THRUST_200600_302600_NS6detail15normal_iteratorINSA_10device_ptrIxEEEEPS6_PKS6_NS0_5tupleIJSF_S6_EEENSJ_IJSG_SG_EEENS0_18inequality_wrapperI22is_equal_div_10_uniqueIxEEEPmJS6_EEE10hipError_tPvRmT3_T4_T5_T6_T7_T9_mT8_P12ihipStream_tbDpT10_ENKUlT_T0_E_clISt17integral_constantIbLb0EES1A_EEDaS15_S16_EUlS15_E_NS1_11comp_targetILNS1_3genE10ELNS1_11target_archE1200ELNS1_3gpuE4ELNS1_3repE0EEENS1_30default_config_static_selectorELNS0_4arch9wavefront6targetE1EEEvT1_.has_recursion, 0
	.set _ZN7rocprim17ROCPRIM_400000_NS6detail17trampoline_kernelINS0_14default_configENS1_25partition_config_selectorILNS1_17partition_subalgoE8ExNS0_10empty_typeEbEEZZNS1_14partition_implILS5_8ELb0ES3_jN6thrust23THRUST_200600_302600_NS6detail15normal_iteratorINSA_10device_ptrIxEEEEPS6_PKS6_NS0_5tupleIJSF_S6_EEENSJ_IJSG_SG_EEENS0_18inequality_wrapperI22is_equal_div_10_uniqueIxEEEPmJS6_EEE10hipError_tPvRmT3_T4_T5_T6_T7_T9_mT8_P12ihipStream_tbDpT10_ENKUlT_T0_E_clISt17integral_constantIbLb0EES1A_EEDaS15_S16_EUlS15_E_NS1_11comp_targetILNS1_3genE10ELNS1_11target_archE1200ELNS1_3gpuE4ELNS1_3repE0EEENS1_30default_config_static_selectorELNS0_4arch9wavefront6targetE1EEEvT1_.has_indirect_call, 0
	.section	.AMDGPU.csdata,"",@progbits
; Kernel info:
; codeLenInByte = 0
; TotalNumSgprs: 4
; NumVgprs: 0
; ScratchSize: 0
; MemoryBound: 0
; FloatMode: 240
; IeeeMode: 1
; LDSByteSize: 0 bytes/workgroup (compile time only)
; SGPRBlocks: 0
; VGPRBlocks: 0
; NumSGPRsForWavesPerEU: 4
; NumVGPRsForWavesPerEU: 1
; Occupancy: 10
; WaveLimiterHint : 0
; COMPUTE_PGM_RSRC2:SCRATCH_EN: 0
; COMPUTE_PGM_RSRC2:USER_SGPR: 6
; COMPUTE_PGM_RSRC2:TRAP_HANDLER: 0
; COMPUTE_PGM_RSRC2:TGID_X_EN: 1
; COMPUTE_PGM_RSRC2:TGID_Y_EN: 0
; COMPUTE_PGM_RSRC2:TGID_Z_EN: 0
; COMPUTE_PGM_RSRC2:TIDIG_COMP_CNT: 0
	.section	.text._ZN7rocprim17ROCPRIM_400000_NS6detail17trampoline_kernelINS0_14default_configENS1_25partition_config_selectorILNS1_17partition_subalgoE8ExNS0_10empty_typeEbEEZZNS1_14partition_implILS5_8ELb0ES3_jN6thrust23THRUST_200600_302600_NS6detail15normal_iteratorINSA_10device_ptrIxEEEEPS6_PKS6_NS0_5tupleIJSF_S6_EEENSJ_IJSG_SG_EEENS0_18inequality_wrapperI22is_equal_div_10_uniqueIxEEEPmJS6_EEE10hipError_tPvRmT3_T4_T5_T6_T7_T9_mT8_P12ihipStream_tbDpT10_ENKUlT_T0_E_clISt17integral_constantIbLb0EES1A_EEDaS15_S16_EUlS15_E_NS1_11comp_targetILNS1_3genE9ELNS1_11target_archE1100ELNS1_3gpuE3ELNS1_3repE0EEENS1_30default_config_static_selectorELNS0_4arch9wavefront6targetE1EEEvT1_,"axG",@progbits,_ZN7rocprim17ROCPRIM_400000_NS6detail17trampoline_kernelINS0_14default_configENS1_25partition_config_selectorILNS1_17partition_subalgoE8ExNS0_10empty_typeEbEEZZNS1_14partition_implILS5_8ELb0ES3_jN6thrust23THRUST_200600_302600_NS6detail15normal_iteratorINSA_10device_ptrIxEEEEPS6_PKS6_NS0_5tupleIJSF_S6_EEENSJ_IJSG_SG_EEENS0_18inequality_wrapperI22is_equal_div_10_uniqueIxEEEPmJS6_EEE10hipError_tPvRmT3_T4_T5_T6_T7_T9_mT8_P12ihipStream_tbDpT10_ENKUlT_T0_E_clISt17integral_constantIbLb0EES1A_EEDaS15_S16_EUlS15_E_NS1_11comp_targetILNS1_3genE9ELNS1_11target_archE1100ELNS1_3gpuE3ELNS1_3repE0EEENS1_30default_config_static_selectorELNS0_4arch9wavefront6targetE1EEEvT1_,comdat
	.protected	_ZN7rocprim17ROCPRIM_400000_NS6detail17trampoline_kernelINS0_14default_configENS1_25partition_config_selectorILNS1_17partition_subalgoE8ExNS0_10empty_typeEbEEZZNS1_14partition_implILS5_8ELb0ES3_jN6thrust23THRUST_200600_302600_NS6detail15normal_iteratorINSA_10device_ptrIxEEEEPS6_PKS6_NS0_5tupleIJSF_S6_EEENSJ_IJSG_SG_EEENS0_18inequality_wrapperI22is_equal_div_10_uniqueIxEEEPmJS6_EEE10hipError_tPvRmT3_T4_T5_T6_T7_T9_mT8_P12ihipStream_tbDpT10_ENKUlT_T0_E_clISt17integral_constantIbLb0EES1A_EEDaS15_S16_EUlS15_E_NS1_11comp_targetILNS1_3genE9ELNS1_11target_archE1100ELNS1_3gpuE3ELNS1_3repE0EEENS1_30default_config_static_selectorELNS0_4arch9wavefront6targetE1EEEvT1_ ; -- Begin function _ZN7rocprim17ROCPRIM_400000_NS6detail17trampoline_kernelINS0_14default_configENS1_25partition_config_selectorILNS1_17partition_subalgoE8ExNS0_10empty_typeEbEEZZNS1_14partition_implILS5_8ELb0ES3_jN6thrust23THRUST_200600_302600_NS6detail15normal_iteratorINSA_10device_ptrIxEEEEPS6_PKS6_NS0_5tupleIJSF_S6_EEENSJ_IJSG_SG_EEENS0_18inequality_wrapperI22is_equal_div_10_uniqueIxEEEPmJS6_EEE10hipError_tPvRmT3_T4_T5_T6_T7_T9_mT8_P12ihipStream_tbDpT10_ENKUlT_T0_E_clISt17integral_constantIbLb0EES1A_EEDaS15_S16_EUlS15_E_NS1_11comp_targetILNS1_3genE9ELNS1_11target_archE1100ELNS1_3gpuE3ELNS1_3repE0EEENS1_30default_config_static_selectorELNS0_4arch9wavefront6targetE1EEEvT1_
	.globl	_ZN7rocprim17ROCPRIM_400000_NS6detail17trampoline_kernelINS0_14default_configENS1_25partition_config_selectorILNS1_17partition_subalgoE8ExNS0_10empty_typeEbEEZZNS1_14partition_implILS5_8ELb0ES3_jN6thrust23THRUST_200600_302600_NS6detail15normal_iteratorINSA_10device_ptrIxEEEEPS6_PKS6_NS0_5tupleIJSF_S6_EEENSJ_IJSG_SG_EEENS0_18inequality_wrapperI22is_equal_div_10_uniqueIxEEEPmJS6_EEE10hipError_tPvRmT3_T4_T5_T6_T7_T9_mT8_P12ihipStream_tbDpT10_ENKUlT_T0_E_clISt17integral_constantIbLb0EES1A_EEDaS15_S16_EUlS15_E_NS1_11comp_targetILNS1_3genE9ELNS1_11target_archE1100ELNS1_3gpuE3ELNS1_3repE0EEENS1_30default_config_static_selectorELNS0_4arch9wavefront6targetE1EEEvT1_
	.p2align	8
	.type	_ZN7rocprim17ROCPRIM_400000_NS6detail17trampoline_kernelINS0_14default_configENS1_25partition_config_selectorILNS1_17partition_subalgoE8ExNS0_10empty_typeEbEEZZNS1_14partition_implILS5_8ELb0ES3_jN6thrust23THRUST_200600_302600_NS6detail15normal_iteratorINSA_10device_ptrIxEEEEPS6_PKS6_NS0_5tupleIJSF_S6_EEENSJ_IJSG_SG_EEENS0_18inequality_wrapperI22is_equal_div_10_uniqueIxEEEPmJS6_EEE10hipError_tPvRmT3_T4_T5_T6_T7_T9_mT8_P12ihipStream_tbDpT10_ENKUlT_T0_E_clISt17integral_constantIbLb0EES1A_EEDaS15_S16_EUlS15_E_NS1_11comp_targetILNS1_3genE9ELNS1_11target_archE1100ELNS1_3gpuE3ELNS1_3repE0EEENS1_30default_config_static_selectorELNS0_4arch9wavefront6targetE1EEEvT1_,@function
_ZN7rocprim17ROCPRIM_400000_NS6detail17trampoline_kernelINS0_14default_configENS1_25partition_config_selectorILNS1_17partition_subalgoE8ExNS0_10empty_typeEbEEZZNS1_14partition_implILS5_8ELb0ES3_jN6thrust23THRUST_200600_302600_NS6detail15normal_iteratorINSA_10device_ptrIxEEEEPS6_PKS6_NS0_5tupleIJSF_S6_EEENSJ_IJSG_SG_EEENS0_18inequality_wrapperI22is_equal_div_10_uniqueIxEEEPmJS6_EEE10hipError_tPvRmT3_T4_T5_T6_T7_T9_mT8_P12ihipStream_tbDpT10_ENKUlT_T0_E_clISt17integral_constantIbLb0EES1A_EEDaS15_S16_EUlS15_E_NS1_11comp_targetILNS1_3genE9ELNS1_11target_archE1100ELNS1_3gpuE3ELNS1_3repE0EEENS1_30default_config_static_selectorELNS0_4arch9wavefront6targetE1EEEvT1_: ; @_ZN7rocprim17ROCPRIM_400000_NS6detail17trampoline_kernelINS0_14default_configENS1_25partition_config_selectorILNS1_17partition_subalgoE8ExNS0_10empty_typeEbEEZZNS1_14partition_implILS5_8ELb0ES3_jN6thrust23THRUST_200600_302600_NS6detail15normal_iteratorINSA_10device_ptrIxEEEEPS6_PKS6_NS0_5tupleIJSF_S6_EEENSJ_IJSG_SG_EEENS0_18inequality_wrapperI22is_equal_div_10_uniqueIxEEEPmJS6_EEE10hipError_tPvRmT3_T4_T5_T6_T7_T9_mT8_P12ihipStream_tbDpT10_ENKUlT_T0_E_clISt17integral_constantIbLb0EES1A_EEDaS15_S16_EUlS15_E_NS1_11comp_targetILNS1_3genE9ELNS1_11target_archE1100ELNS1_3gpuE3ELNS1_3repE0EEENS1_30default_config_static_selectorELNS0_4arch9wavefront6targetE1EEEvT1_
; %bb.0:
	.section	.rodata,"a",@progbits
	.p2align	6, 0x0
	.amdhsa_kernel _ZN7rocprim17ROCPRIM_400000_NS6detail17trampoline_kernelINS0_14default_configENS1_25partition_config_selectorILNS1_17partition_subalgoE8ExNS0_10empty_typeEbEEZZNS1_14partition_implILS5_8ELb0ES3_jN6thrust23THRUST_200600_302600_NS6detail15normal_iteratorINSA_10device_ptrIxEEEEPS6_PKS6_NS0_5tupleIJSF_S6_EEENSJ_IJSG_SG_EEENS0_18inequality_wrapperI22is_equal_div_10_uniqueIxEEEPmJS6_EEE10hipError_tPvRmT3_T4_T5_T6_T7_T9_mT8_P12ihipStream_tbDpT10_ENKUlT_T0_E_clISt17integral_constantIbLb0EES1A_EEDaS15_S16_EUlS15_E_NS1_11comp_targetILNS1_3genE9ELNS1_11target_archE1100ELNS1_3gpuE3ELNS1_3repE0EEENS1_30default_config_static_selectorELNS0_4arch9wavefront6targetE1EEEvT1_
		.amdhsa_group_segment_fixed_size 0
		.amdhsa_private_segment_fixed_size 0
		.amdhsa_kernarg_size 112
		.amdhsa_user_sgpr_count 6
		.amdhsa_user_sgpr_private_segment_buffer 1
		.amdhsa_user_sgpr_dispatch_ptr 0
		.amdhsa_user_sgpr_queue_ptr 0
		.amdhsa_user_sgpr_kernarg_segment_ptr 1
		.amdhsa_user_sgpr_dispatch_id 0
		.amdhsa_user_sgpr_flat_scratch_init 0
		.amdhsa_user_sgpr_private_segment_size 0
		.amdhsa_uses_dynamic_stack 0
		.amdhsa_system_sgpr_private_segment_wavefront_offset 0
		.amdhsa_system_sgpr_workgroup_id_x 1
		.amdhsa_system_sgpr_workgroup_id_y 0
		.amdhsa_system_sgpr_workgroup_id_z 0
		.amdhsa_system_sgpr_workgroup_info 0
		.amdhsa_system_vgpr_workitem_id 0
		.amdhsa_next_free_vgpr 1
		.amdhsa_next_free_sgpr 0
		.amdhsa_reserve_vcc 0
		.amdhsa_reserve_flat_scratch 0
		.amdhsa_float_round_mode_32 0
		.amdhsa_float_round_mode_16_64 0
		.amdhsa_float_denorm_mode_32 3
		.amdhsa_float_denorm_mode_16_64 3
		.amdhsa_dx10_clamp 1
		.amdhsa_ieee_mode 1
		.amdhsa_fp16_overflow 0
		.amdhsa_exception_fp_ieee_invalid_op 0
		.amdhsa_exception_fp_denorm_src 0
		.amdhsa_exception_fp_ieee_div_zero 0
		.amdhsa_exception_fp_ieee_overflow 0
		.amdhsa_exception_fp_ieee_underflow 0
		.amdhsa_exception_fp_ieee_inexact 0
		.amdhsa_exception_int_div_zero 0
	.end_amdhsa_kernel
	.section	.text._ZN7rocprim17ROCPRIM_400000_NS6detail17trampoline_kernelINS0_14default_configENS1_25partition_config_selectorILNS1_17partition_subalgoE8ExNS0_10empty_typeEbEEZZNS1_14partition_implILS5_8ELb0ES3_jN6thrust23THRUST_200600_302600_NS6detail15normal_iteratorINSA_10device_ptrIxEEEEPS6_PKS6_NS0_5tupleIJSF_S6_EEENSJ_IJSG_SG_EEENS0_18inequality_wrapperI22is_equal_div_10_uniqueIxEEEPmJS6_EEE10hipError_tPvRmT3_T4_T5_T6_T7_T9_mT8_P12ihipStream_tbDpT10_ENKUlT_T0_E_clISt17integral_constantIbLb0EES1A_EEDaS15_S16_EUlS15_E_NS1_11comp_targetILNS1_3genE9ELNS1_11target_archE1100ELNS1_3gpuE3ELNS1_3repE0EEENS1_30default_config_static_selectorELNS0_4arch9wavefront6targetE1EEEvT1_,"axG",@progbits,_ZN7rocprim17ROCPRIM_400000_NS6detail17trampoline_kernelINS0_14default_configENS1_25partition_config_selectorILNS1_17partition_subalgoE8ExNS0_10empty_typeEbEEZZNS1_14partition_implILS5_8ELb0ES3_jN6thrust23THRUST_200600_302600_NS6detail15normal_iteratorINSA_10device_ptrIxEEEEPS6_PKS6_NS0_5tupleIJSF_S6_EEENSJ_IJSG_SG_EEENS0_18inequality_wrapperI22is_equal_div_10_uniqueIxEEEPmJS6_EEE10hipError_tPvRmT3_T4_T5_T6_T7_T9_mT8_P12ihipStream_tbDpT10_ENKUlT_T0_E_clISt17integral_constantIbLb0EES1A_EEDaS15_S16_EUlS15_E_NS1_11comp_targetILNS1_3genE9ELNS1_11target_archE1100ELNS1_3gpuE3ELNS1_3repE0EEENS1_30default_config_static_selectorELNS0_4arch9wavefront6targetE1EEEvT1_,comdat
.Lfunc_end378:
	.size	_ZN7rocprim17ROCPRIM_400000_NS6detail17trampoline_kernelINS0_14default_configENS1_25partition_config_selectorILNS1_17partition_subalgoE8ExNS0_10empty_typeEbEEZZNS1_14partition_implILS5_8ELb0ES3_jN6thrust23THRUST_200600_302600_NS6detail15normal_iteratorINSA_10device_ptrIxEEEEPS6_PKS6_NS0_5tupleIJSF_S6_EEENSJ_IJSG_SG_EEENS0_18inequality_wrapperI22is_equal_div_10_uniqueIxEEEPmJS6_EEE10hipError_tPvRmT3_T4_T5_T6_T7_T9_mT8_P12ihipStream_tbDpT10_ENKUlT_T0_E_clISt17integral_constantIbLb0EES1A_EEDaS15_S16_EUlS15_E_NS1_11comp_targetILNS1_3genE9ELNS1_11target_archE1100ELNS1_3gpuE3ELNS1_3repE0EEENS1_30default_config_static_selectorELNS0_4arch9wavefront6targetE1EEEvT1_, .Lfunc_end378-_ZN7rocprim17ROCPRIM_400000_NS6detail17trampoline_kernelINS0_14default_configENS1_25partition_config_selectorILNS1_17partition_subalgoE8ExNS0_10empty_typeEbEEZZNS1_14partition_implILS5_8ELb0ES3_jN6thrust23THRUST_200600_302600_NS6detail15normal_iteratorINSA_10device_ptrIxEEEEPS6_PKS6_NS0_5tupleIJSF_S6_EEENSJ_IJSG_SG_EEENS0_18inequality_wrapperI22is_equal_div_10_uniqueIxEEEPmJS6_EEE10hipError_tPvRmT3_T4_T5_T6_T7_T9_mT8_P12ihipStream_tbDpT10_ENKUlT_T0_E_clISt17integral_constantIbLb0EES1A_EEDaS15_S16_EUlS15_E_NS1_11comp_targetILNS1_3genE9ELNS1_11target_archE1100ELNS1_3gpuE3ELNS1_3repE0EEENS1_30default_config_static_selectorELNS0_4arch9wavefront6targetE1EEEvT1_
                                        ; -- End function
	.set _ZN7rocprim17ROCPRIM_400000_NS6detail17trampoline_kernelINS0_14default_configENS1_25partition_config_selectorILNS1_17partition_subalgoE8ExNS0_10empty_typeEbEEZZNS1_14partition_implILS5_8ELb0ES3_jN6thrust23THRUST_200600_302600_NS6detail15normal_iteratorINSA_10device_ptrIxEEEEPS6_PKS6_NS0_5tupleIJSF_S6_EEENSJ_IJSG_SG_EEENS0_18inequality_wrapperI22is_equal_div_10_uniqueIxEEEPmJS6_EEE10hipError_tPvRmT3_T4_T5_T6_T7_T9_mT8_P12ihipStream_tbDpT10_ENKUlT_T0_E_clISt17integral_constantIbLb0EES1A_EEDaS15_S16_EUlS15_E_NS1_11comp_targetILNS1_3genE9ELNS1_11target_archE1100ELNS1_3gpuE3ELNS1_3repE0EEENS1_30default_config_static_selectorELNS0_4arch9wavefront6targetE1EEEvT1_.num_vgpr, 0
	.set _ZN7rocprim17ROCPRIM_400000_NS6detail17trampoline_kernelINS0_14default_configENS1_25partition_config_selectorILNS1_17partition_subalgoE8ExNS0_10empty_typeEbEEZZNS1_14partition_implILS5_8ELb0ES3_jN6thrust23THRUST_200600_302600_NS6detail15normal_iteratorINSA_10device_ptrIxEEEEPS6_PKS6_NS0_5tupleIJSF_S6_EEENSJ_IJSG_SG_EEENS0_18inequality_wrapperI22is_equal_div_10_uniqueIxEEEPmJS6_EEE10hipError_tPvRmT3_T4_T5_T6_T7_T9_mT8_P12ihipStream_tbDpT10_ENKUlT_T0_E_clISt17integral_constantIbLb0EES1A_EEDaS15_S16_EUlS15_E_NS1_11comp_targetILNS1_3genE9ELNS1_11target_archE1100ELNS1_3gpuE3ELNS1_3repE0EEENS1_30default_config_static_selectorELNS0_4arch9wavefront6targetE1EEEvT1_.num_agpr, 0
	.set _ZN7rocprim17ROCPRIM_400000_NS6detail17trampoline_kernelINS0_14default_configENS1_25partition_config_selectorILNS1_17partition_subalgoE8ExNS0_10empty_typeEbEEZZNS1_14partition_implILS5_8ELb0ES3_jN6thrust23THRUST_200600_302600_NS6detail15normal_iteratorINSA_10device_ptrIxEEEEPS6_PKS6_NS0_5tupleIJSF_S6_EEENSJ_IJSG_SG_EEENS0_18inequality_wrapperI22is_equal_div_10_uniqueIxEEEPmJS6_EEE10hipError_tPvRmT3_T4_T5_T6_T7_T9_mT8_P12ihipStream_tbDpT10_ENKUlT_T0_E_clISt17integral_constantIbLb0EES1A_EEDaS15_S16_EUlS15_E_NS1_11comp_targetILNS1_3genE9ELNS1_11target_archE1100ELNS1_3gpuE3ELNS1_3repE0EEENS1_30default_config_static_selectorELNS0_4arch9wavefront6targetE1EEEvT1_.numbered_sgpr, 0
	.set _ZN7rocprim17ROCPRIM_400000_NS6detail17trampoline_kernelINS0_14default_configENS1_25partition_config_selectorILNS1_17partition_subalgoE8ExNS0_10empty_typeEbEEZZNS1_14partition_implILS5_8ELb0ES3_jN6thrust23THRUST_200600_302600_NS6detail15normal_iteratorINSA_10device_ptrIxEEEEPS6_PKS6_NS0_5tupleIJSF_S6_EEENSJ_IJSG_SG_EEENS0_18inequality_wrapperI22is_equal_div_10_uniqueIxEEEPmJS6_EEE10hipError_tPvRmT3_T4_T5_T6_T7_T9_mT8_P12ihipStream_tbDpT10_ENKUlT_T0_E_clISt17integral_constantIbLb0EES1A_EEDaS15_S16_EUlS15_E_NS1_11comp_targetILNS1_3genE9ELNS1_11target_archE1100ELNS1_3gpuE3ELNS1_3repE0EEENS1_30default_config_static_selectorELNS0_4arch9wavefront6targetE1EEEvT1_.num_named_barrier, 0
	.set _ZN7rocprim17ROCPRIM_400000_NS6detail17trampoline_kernelINS0_14default_configENS1_25partition_config_selectorILNS1_17partition_subalgoE8ExNS0_10empty_typeEbEEZZNS1_14partition_implILS5_8ELb0ES3_jN6thrust23THRUST_200600_302600_NS6detail15normal_iteratorINSA_10device_ptrIxEEEEPS6_PKS6_NS0_5tupleIJSF_S6_EEENSJ_IJSG_SG_EEENS0_18inequality_wrapperI22is_equal_div_10_uniqueIxEEEPmJS6_EEE10hipError_tPvRmT3_T4_T5_T6_T7_T9_mT8_P12ihipStream_tbDpT10_ENKUlT_T0_E_clISt17integral_constantIbLb0EES1A_EEDaS15_S16_EUlS15_E_NS1_11comp_targetILNS1_3genE9ELNS1_11target_archE1100ELNS1_3gpuE3ELNS1_3repE0EEENS1_30default_config_static_selectorELNS0_4arch9wavefront6targetE1EEEvT1_.private_seg_size, 0
	.set _ZN7rocprim17ROCPRIM_400000_NS6detail17trampoline_kernelINS0_14default_configENS1_25partition_config_selectorILNS1_17partition_subalgoE8ExNS0_10empty_typeEbEEZZNS1_14partition_implILS5_8ELb0ES3_jN6thrust23THRUST_200600_302600_NS6detail15normal_iteratorINSA_10device_ptrIxEEEEPS6_PKS6_NS0_5tupleIJSF_S6_EEENSJ_IJSG_SG_EEENS0_18inequality_wrapperI22is_equal_div_10_uniqueIxEEEPmJS6_EEE10hipError_tPvRmT3_T4_T5_T6_T7_T9_mT8_P12ihipStream_tbDpT10_ENKUlT_T0_E_clISt17integral_constantIbLb0EES1A_EEDaS15_S16_EUlS15_E_NS1_11comp_targetILNS1_3genE9ELNS1_11target_archE1100ELNS1_3gpuE3ELNS1_3repE0EEENS1_30default_config_static_selectorELNS0_4arch9wavefront6targetE1EEEvT1_.uses_vcc, 0
	.set _ZN7rocprim17ROCPRIM_400000_NS6detail17trampoline_kernelINS0_14default_configENS1_25partition_config_selectorILNS1_17partition_subalgoE8ExNS0_10empty_typeEbEEZZNS1_14partition_implILS5_8ELb0ES3_jN6thrust23THRUST_200600_302600_NS6detail15normal_iteratorINSA_10device_ptrIxEEEEPS6_PKS6_NS0_5tupleIJSF_S6_EEENSJ_IJSG_SG_EEENS0_18inequality_wrapperI22is_equal_div_10_uniqueIxEEEPmJS6_EEE10hipError_tPvRmT3_T4_T5_T6_T7_T9_mT8_P12ihipStream_tbDpT10_ENKUlT_T0_E_clISt17integral_constantIbLb0EES1A_EEDaS15_S16_EUlS15_E_NS1_11comp_targetILNS1_3genE9ELNS1_11target_archE1100ELNS1_3gpuE3ELNS1_3repE0EEENS1_30default_config_static_selectorELNS0_4arch9wavefront6targetE1EEEvT1_.uses_flat_scratch, 0
	.set _ZN7rocprim17ROCPRIM_400000_NS6detail17trampoline_kernelINS0_14default_configENS1_25partition_config_selectorILNS1_17partition_subalgoE8ExNS0_10empty_typeEbEEZZNS1_14partition_implILS5_8ELb0ES3_jN6thrust23THRUST_200600_302600_NS6detail15normal_iteratorINSA_10device_ptrIxEEEEPS6_PKS6_NS0_5tupleIJSF_S6_EEENSJ_IJSG_SG_EEENS0_18inequality_wrapperI22is_equal_div_10_uniqueIxEEEPmJS6_EEE10hipError_tPvRmT3_T4_T5_T6_T7_T9_mT8_P12ihipStream_tbDpT10_ENKUlT_T0_E_clISt17integral_constantIbLb0EES1A_EEDaS15_S16_EUlS15_E_NS1_11comp_targetILNS1_3genE9ELNS1_11target_archE1100ELNS1_3gpuE3ELNS1_3repE0EEENS1_30default_config_static_selectorELNS0_4arch9wavefront6targetE1EEEvT1_.has_dyn_sized_stack, 0
	.set _ZN7rocprim17ROCPRIM_400000_NS6detail17trampoline_kernelINS0_14default_configENS1_25partition_config_selectorILNS1_17partition_subalgoE8ExNS0_10empty_typeEbEEZZNS1_14partition_implILS5_8ELb0ES3_jN6thrust23THRUST_200600_302600_NS6detail15normal_iteratorINSA_10device_ptrIxEEEEPS6_PKS6_NS0_5tupleIJSF_S6_EEENSJ_IJSG_SG_EEENS0_18inequality_wrapperI22is_equal_div_10_uniqueIxEEEPmJS6_EEE10hipError_tPvRmT3_T4_T5_T6_T7_T9_mT8_P12ihipStream_tbDpT10_ENKUlT_T0_E_clISt17integral_constantIbLb0EES1A_EEDaS15_S16_EUlS15_E_NS1_11comp_targetILNS1_3genE9ELNS1_11target_archE1100ELNS1_3gpuE3ELNS1_3repE0EEENS1_30default_config_static_selectorELNS0_4arch9wavefront6targetE1EEEvT1_.has_recursion, 0
	.set _ZN7rocprim17ROCPRIM_400000_NS6detail17trampoline_kernelINS0_14default_configENS1_25partition_config_selectorILNS1_17partition_subalgoE8ExNS0_10empty_typeEbEEZZNS1_14partition_implILS5_8ELb0ES3_jN6thrust23THRUST_200600_302600_NS6detail15normal_iteratorINSA_10device_ptrIxEEEEPS6_PKS6_NS0_5tupleIJSF_S6_EEENSJ_IJSG_SG_EEENS0_18inequality_wrapperI22is_equal_div_10_uniqueIxEEEPmJS6_EEE10hipError_tPvRmT3_T4_T5_T6_T7_T9_mT8_P12ihipStream_tbDpT10_ENKUlT_T0_E_clISt17integral_constantIbLb0EES1A_EEDaS15_S16_EUlS15_E_NS1_11comp_targetILNS1_3genE9ELNS1_11target_archE1100ELNS1_3gpuE3ELNS1_3repE0EEENS1_30default_config_static_selectorELNS0_4arch9wavefront6targetE1EEEvT1_.has_indirect_call, 0
	.section	.AMDGPU.csdata,"",@progbits
; Kernel info:
; codeLenInByte = 0
; TotalNumSgprs: 4
; NumVgprs: 0
; ScratchSize: 0
; MemoryBound: 0
; FloatMode: 240
; IeeeMode: 1
; LDSByteSize: 0 bytes/workgroup (compile time only)
; SGPRBlocks: 0
; VGPRBlocks: 0
; NumSGPRsForWavesPerEU: 4
; NumVGPRsForWavesPerEU: 1
; Occupancy: 10
; WaveLimiterHint : 0
; COMPUTE_PGM_RSRC2:SCRATCH_EN: 0
; COMPUTE_PGM_RSRC2:USER_SGPR: 6
; COMPUTE_PGM_RSRC2:TRAP_HANDLER: 0
; COMPUTE_PGM_RSRC2:TGID_X_EN: 1
; COMPUTE_PGM_RSRC2:TGID_Y_EN: 0
; COMPUTE_PGM_RSRC2:TGID_Z_EN: 0
; COMPUTE_PGM_RSRC2:TIDIG_COMP_CNT: 0
	.section	.text._ZN7rocprim17ROCPRIM_400000_NS6detail17trampoline_kernelINS0_14default_configENS1_25partition_config_selectorILNS1_17partition_subalgoE8ExNS0_10empty_typeEbEEZZNS1_14partition_implILS5_8ELb0ES3_jN6thrust23THRUST_200600_302600_NS6detail15normal_iteratorINSA_10device_ptrIxEEEEPS6_PKS6_NS0_5tupleIJSF_S6_EEENSJ_IJSG_SG_EEENS0_18inequality_wrapperI22is_equal_div_10_uniqueIxEEEPmJS6_EEE10hipError_tPvRmT3_T4_T5_T6_T7_T9_mT8_P12ihipStream_tbDpT10_ENKUlT_T0_E_clISt17integral_constantIbLb0EES1A_EEDaS15_S16_EUlS15_E_NS1_11comp_targetILNS1_3genE8ELNS1_11target_archE1030ELNS1_3gpuE2ELNS1_3repE0EEENS1_30default_config_static_selectorELNS0_4arch9wavefront6targetE1EEEvT1_,"axG",@progbits,_ZN7rocprim17ROCPRIM_400000_NS6detail17trampoline_kernelINS0_14default_configENS1_25partition_config_selectorILNS1_17partition_subalgoE8ExNS0_10empty_typeEbEEZZNS1_14partition_implILS5_8ELb0ES3_jN6thrust23THRUST_200600_302600_NS6detail15normal_iteratorINSA_10device_ptrIxEEEEPS6_PKS6_NS0_5tupleIJSF_S6_EEENSJ_IJSG_SG_EEENS0_18inequality_wrapperI22is_equal_div_10_uniqueIxEEEPmJS6_EEE10hipError_tPvRmT3_T4_T5_T6_T7_T9_mT8_P12ihipStream_tbDpT10_ENKUlT_T0_E_clISt17integral_constantIbLb0EES1A_EEDaS15_S16_EUlS15_E_NS1_11comp_targetILNS1_3genE8ELNS1_11target_archE1030ELNS1_3gpuE2ELNS1_3repE0EEENS1_30default_config_static_selectorELNS0_4arch9wavefront6targetE1EEEvT1_,comdat
	.protected	_ZN7rocprim17ROCPRIM_400000_NS6detail17trampoline_kernelINS0_14default_configENS1_25partition_config_selectorILNS1_17partition_subalgoE8ExNS0_10empty_typeEbEEZZNS1_14partition_implILS5_8ELb0ES3_jN6thrust23THRUST_200600_302600_NS6detail15normal_iteratorINSA_10device_ptrIxEEEEPS6_PKS6_NS0_5tupleIJSF_S6_EEENSJ_IJSG_SG_EEENS0_18inequality_wrapperI22is_equal_div_10_uniqueIxEEEPmJS6_EEE10hipError_tPvRmT3_T4_T5_T6_T7_T9_mT8_P12ihipStream_tbDpT10_ENKUlT_T0_E_clISt17integral_constantIbLb0EES1A_EEDaS15_S16_EUlS15_E_NS1_11comp_targetILNS1_3genE8ELNS1_11target_archE1030ELNS1_3gpuE2ELNS1_3repE0EEENS1_30default_config_static_selectorELNS0_4arch9wavefront6targetE1EEEvT1_ ; -- Begin function _ZN7rocprim17ROCPRIM_400000_NS6detail17trampoline_kernelINS0_14default_configENS1_25partition_config_selectorILNS1_17partition_subalgoE8ExNS0_10empty_typeEbEEZZNS1_14partition_implILS5_8ELb0ES3_jN6thrust23THRUST_200600_302600_NS6detail15normal_iteratorINSA_10device_ptrIxEEEEPS6_PKS6_NS0_5tupleIJSF_S6_EEENSJ_IJSG_SG_EEENS0_18inequality_wrapperI22is_equal_div_10_uniqueIxEEEPmJS6_EEE10hipError_tPvRmT3_T4_T5_T6_T7_T9_mT8_P12ihipStream_tbDpT10_ENKUlT_T0_E_clISt17integral_constantIbLb0EES1A_EEDaS15_S16_EUlS15_E_NS1_11comp_targetILNS1_3genE8ELNS1_11target_archE1030ELNS1_3gpuE2ELNS1_3repE0EEENS1_30default_config_static_selectorELNS0_4arch9wavefront6targetE1EEEvT1_
	.globl	_ZN7rocprim17ROCPRIM_400000_NS6detail17trampoline_kernelINS0_14default_configENS1_25partition_config_selectorILNS1_17partition_subalgoE8ExNS0_10empty_typeEbEEZZNS1_14partition_implILS5_8ELb0ES3_jN6thrust23THRUST_200600_302600_NS6detail15normal_iteratorINSA_10device_ptrIxEEEEPS6_PKS6_NS0_5tupleIJSF_S6_EEENSJ_IJSG_SG_EEENS0_18inequality_wrapperI22is_equal_div_10_uniqueIxEEEPmJS6_EEE10hipError_tPvRmT3_T4_T5_T6_T7_T9_mT8_P12ihipStream_tbDpT10_ENKUlT_T0_E_clISt17integral_constantIbLb0EES1A_EEDaS15_S16_EUlS15_E_NS1_11comp_targetILNS1_3genE8ELNS1_11target_archE1030ELNS1_3gpuE2ELNS1_3repE0EEENS1_30default_config_static_selectorELNS0_4arch9wavefront6targetE1EEEvT1_
	.p2align	8
	.type	_ZN7rocprim17ROCPRIM_400000_NS6detail17trampoline_kernelINS0_14default_configENS1_25partition_config_selectorILNS1_17partition_subalgoE8ExNS0_10empty_typeEbEEZZNS1_14partition_implILS5_8ELb0ES3_jN6thrust23THRUST_200600_302600_NS6detail15normal_iteratorINSA_10device_ptrIxEEEEPS6_PKS6_NS0_5tupleIJSF_S6_EEENSJ_IJSG_SG_EEENS0_18inequality_wrapperI22is_equal_div_10_uniqueIxEEEPmJS6_EEE10hipError_tPvRmT3_T4_T5_T6_T7_T9_mT8_P12ihipStream_tbDpT10_ENKUlT_T0_E_clISt17integral_constantIbLb0EES1A_EEDaS15_S16_EUlS15_E_NS1_11comp_targetILNS1_3genE8ELNS1_11target_archE1030ELNS1_3gpuE2ELNS1_3repE0EEENS1_30default_config_static_selectorELNS0_4arch9wavefront6targetE1EEEvT1_,@function
_ZN7rocprim17ROCPRIM_400000_NS6detail17trampoline_kernelINS0_14default_configENS1_25partition_config_selectorILNS1_17partition_subalgoE8ExNS0_10empty_typeEbEEZZNS1_14partition_implILS5_8ELb0ES3_jN6thrust23THRUST_200600_302600_NS6detail15normal_iteratorINSA_10device_ptrIxEEEEPS6_PKS6_NS0_5tupleIJSF_S6_EEENSJ_IJSG_SG_EEENS0_18inequality_wrapperI22is_equal_div_10_uniqueIxEEEPmJS6_EEE10hipError_tPvRmT3_T4_T5_T6_T7_T9_mT8_P12ihipStream_tbDpT10_ENKUlT_T0_E_clISt17integral_constantIbLb0EES1A_EEDaS15_S16_EUlS15_E_NS1_11comp_targetILNS1_3genE8ELNS1_11target_archE1030ELNS1_3gpuE2ELNS1_3repE0EEENS1_30default_config_static_selectorELNS0_4arch9wavefront6targetE1EEEvT1_: ; @_ZN7rocprim17ROCPRIM_400000_NS6detail17trampoline_kernelINS0_14default_configENS1_25partition_config_selectorILNS1_17partition_subalgoE8ExNS0_10empty_typeEbEEZZNS1_14partition_implILS5_8ELb0ES3_jN6thrust23THRUST_200600_302600_NS6detail15normal_iteratorINSA_10device_ptrIxEEEEPS6_PKS6_NS0_5tupleIJSF_S6_EEENSJ_IJSG_SG_EEENS0_18inequality_wrapperI22is_equal_div_10_uniqueIxEEEPmJS6_EEE10hipError_tPvRmT3_T4_T5_T6_T7_T9_mT8_P12ihipStream_tbDpT10_ENKUlT_T0_E_clISt17integral_constantIbLb0EES1A_EEDaS15_S16_EUlS15_E_NS1_11comp_targetILNS1_3genE8ELNS1_11target_archE1030ELNS1_3gpuE2ELNS1_3repE0EEENS1_30default_config_static_selectorELNS0_4arch9wavefront6targetE1EEEvT1_
; %bb.0:
	.section	.rodata,"a",@progbits
	.p2align	6, 0x0
	.amdhsa_kernel _ZN7rocprim17ROCPRIM_400000_NS6detail17trampoline_kernelINS0_14default_configENS1_25partition_config_selectorILNS1_17partition_subalgoE8ExNS0_10empty_typeEbEEZZNS1_14partition_implILS5_8ELb0ES3_jN6thrust23THRUST_200600_302600_NS6detail15normal_iteratorINSA_10device_ptrIxEEEEPS6_PKS6_NS0_5tupleIJSF_S6_EEENSJ_IJSG_SG_EEENS0_18inequality_wrapperI22is_equal_div_10_uniqueIxEEEPmJS6_EEE10hipError_tPvRmT3_T4_T5_T6_T7_T9_mT8_P12ihipStream_tbDpT10_ENKUlT_T0_E_clISt17integral_constantIbLb0EES1A_EEDaS15_S16_EUlS15_E_NS1_11comp_targetILNS1_3genE8ELNS1_11target_archE1030ELNS1_3gpuE2ELNS1_3repE0EEENS1_30default_config_static_selectorELNS0_4arch9wavefront6targetE1EEEvT1_
		.amdhsa_group_segment_fixed_size 0
		.amdhsa_private_segment_fixed_size 0
		.amdhsa_kernarg_size 112
		.amdhsa_user_sgpr_count 6
		.amdhsa_user_sgpr_private_segment_buffer 1
		.amdhsa_user_sgpr_dispatch_ptr 0
		.amdhsa_user_sgpr_queue_ptr 0
		.amdhsa_user_sgpr_kernarg_segment_ptr 1
		.amdhsa_user_sgpr_dispatch_id 0
		.amdhsa_user_sgpr_flat_scratch_init 0
		.amdhsa_user_sgpr_private_segment_size 0
		.amdhsa_uses_dynamic_stack 0
		.amdhsa_system_sgpr_private_segment_wavefront_offset 0
		.amdhsa_system_sgpr_workgroup_id_x 1
		.amdhsa_system_sgpr_workgroup_id_y 0
		.amdhsa_system_sgpr_workgroup_id_z 0
		.amdhsa_system_sgpr_workgroup_info 0
		.amdhsa_system_vgpr_workitem_id 0
		.amdhsa_next_free_vgpr 1
		.amdhsa_next_free_sgpr 0
		.amdhsa_reserve_vcc 0
		.amdhsa_reserve_flat_scratch 0
		.amdhsa_float_round_mode_32 0
		.amdhsa_float_round_mode_16_64 0
		.amdhsa_float_denorm_mode_32 3
		.amdhsa_float_denorm_mode_16_64 3
		.amdhsa_dx10_clamp 1
		.amdhsa_ieee_mode 1
		.amdhsa_fp16_overflow 0
		.amdhsa_exception_fp_ieee_invalid_op 0
		.amdhsa_exception_fp_denorm_src 0
		.amdhsa_exception_fp_ieee_div_zero 0
		.amdhsa_exception_fp_ieee_overflow 0
		.amdhsa_exception_fp_ieee_underflow 0
		.amdhsa_exception_fp_ieee_inexact 0
		.amdhsa_exception_int_div_zero 0
	.end_amdhsa_kernel
	.section	.text._ZN7rocprim17ROCPRIM_400000_NS6detail17trampoline_kernelINS0_14default_configENS1_25partition_config_selectorILNS1_17partition_subalgoE8ExNS0_10empty_typeEbEEZZNS1_14partition_implILS5_8ELb0ES3_jN6thrust23THRUST_200600_302600_NS6detail15normal_iteratorINSA_10device_ptrIxEEEEPS6_PKS6_NS0_5tupleIJSF_S6_EEENSJ_IJSG_SG_EEENS0_18inequality_wrapperI22is_equal_div_10_uniqueIxEEEPmJS6_EEE10hipError_tPvRmT3_T4_T5_T6_T7_T9_mT8_P12ihipStream_tbDpT10_ENKUlT_T0_E_clISt17integral_constantIbLb0EES1A_EEDaS15_S16_EUlS15_E_NS1_11comp_targetILNS1_3genE8ELNS1_11target_archE1030ELNS1_3gpuE2ELNS1_3repE0EEENS1_30default_config_static_selectorELNS0_4arch9wavefront6targetE1EEEvT1_,"axG",@progbits,_ZN7rocprim17ROCPRIM_400000_NS6detail17trampoline_kernelINS0_14default_configENS1_25partition_config_selectorILNS1_17partition_subalgoE8ExNS0_10empty_typeEbEEZZNS1_14partition_implILS5_8ELb0ES3_jN6thrust23THRUST_200600_302600_NS6detail15normal_iteratorINSA_10device_ptrIxEEEEPS6_PKS6_NS0_5tupleIJSF_S6_EEENSJ_IJSG_SG_EEENS0_18inequality_wrapperI22is_equal_div_10_uniqueIxEEEPmJS6_EEE10hipError_tPvRmT3_T4_T5_T6_T7_T9_mT8_P12ihipStream_tbDpT10_ENKUlT_T0_E_clISt17integral_constantIbLb0EES1A_EEDaS15_S16_EUlS15_E_NS1_11comp_targetILNS1_3genE8ELNS1_11target_archE1030ELNS1_3gpuE2ELNS1_3repE0EEENS1_30default_config_static_selectorELNS0_4arch9wavefront6targetE1EEEvT1_,comdat
.Lfunc_end379:
	.size	_ZN7rocprim17ROCPRIM_400000_NS6detail17trampoline_kernelINS0_14default_configENS1_25partition_config_selectorILNS1_17partition_subalgoE8ExNS0_10empty_typeEbEEZZNS1_14partition_implILS5_8ELb0ES3_jN6thrust23THRUST_200600_302600_NS6detail15normal_iteratorINSA_10device_ptrIxEEEEPS6_PKS6_NS0_5tupleIJSF_S6_EEENSJ_IJSG_SG_EEENS0_18inequality_wrapperI22is_equal_div_10_uniqueIxEEEPmJS6_EEE10hipError_tPvRmT3_T4_T5_T6_T7_T9_mT8_P12ihipStream_tbDpT10_ENKUlT_T0_E_clISt17integral_constantIbLb0EES1A_EEDaS15_S16_EUlS15_E_NS1_11comp_targetILNS1_3genE8ELNS1_11target_archE1030ELNS1_3gpuE2ELNS1_3repE0EEENS1_30default_config_static_selectorELNS0_4arch9wavefront6targetE1EEEvT1_, .Lfunc_end379-_ZN7rocprim17ROCPRIM_400000_NS6detail17trampoline_kernelINS0_14default_configENS1_25partition_config_selectorILNS1_17partition_subalgoE8ExNS0_10empty_typeEbEEZZNS1_14partition_implILS5_8ELb0ES3_jN6thrust23THRUST_200600_302600_NS6detail15normal_iteratorINSA_10device_ptrIxEEEEPS6_PKS6_NS0_5tupleIJSF_S6_EEENSJ_IJSG_SG_EEENS0_18inequality_wrapperI22is_equal_div_10_uniqueIxEEEPmJS6_EEE10hipError_tPvRmT3_T4_T5_T6_T7_T9_mT8_P12ihipStream_tbDpT10_ENKUlT_T0_E_clISt17integral_constantIbLb0EES1A_EEDaS15_S16_EUlS15_E_NS1_11comp_targetILNS1_3genE8ELNS1_11target_archE1030ELNS1_3gpuE2ELNS1_3repE0EEENS1_30default_config_static_selectorELNS0_4arch9wavefront6targetE1EEEvT1_
                                        ; -- End function
	.set _ZN7rocprim17ROCPRIM_400000_NS6detail17trampoline_kernelINS0_14default_configENS1_25partition_config_selectorILNS1_17partition_subalgoE8ExNS0_10empty_typeEbEEZZNS1_14partition_implILS5_8ELb0ES3_jN6thrust23THRUST_200600_302600_NS6detail15normal_iteratorINSA_10device_ptrIxEEEEPS6_PKS6_NS0_5tupleIJSF_S6_EEENSJ_IJSG_SG_EEENS0_18inequality_wrapperI22is_equal_div_10_uniqueIxEEEPmJS6_EEE10hipError_tPvRmT3_T4_T5_T6_T7_T9_mT8_P12ihipStream_tbDpT10_ENKUlT_T0_E_clISt17integral_constantIbLb0EES1A_EEDaS15_S16_EUlS15_E_NS1_11comp_targetILNS1_3genE8ELNS1_11target_archE1030ELNS1_3gpuE2ELNS1_3repE0EEENS1_30default_config_static_selectorELNS0_4arch9wavefront6targetE1EEEvT1_.num_vgpr, 0
	.set _ZN7rocprim17ROCPRIM_400000_NS6detail17trampoline_kernelINS0_14default_configENS1_25partition_config_selectorILNS1_17partition_subalgoE8ExNS0_10empty_typeEbEEZZNS1_14partition_implILS5_8ELb0ES3_jN6thrust23THRUST_200600_302600_NS6detail15normal_iteratorINSA_10device_ptrIxEEEEPS6_PKS6_NS0_5tupleIJSF_S6_EEENSJ_IJSG_SG_EEENS0_18inequality_wrapperI22is_equal_div_10_uniqueIxEEEPmJS6_EEE10hipError_tPvRmT3_T4_T5_T6_T7_T9_mT8_P12ihipStream_tbDpT10_ENKUlT_T0_E_clISt17integral_constantIbLb0EES1A_EEDaS15_S16_EUlS15_E_NS1_11comp_targetILNS1_3genE8ELNS1_11target_archE1030ELNS1_3gpuE2ELNS1_3repE0EEENS1_30default_config_static_selectorELNS0_4arch9wavefront6targetE1EEEvT1_.num_agpr, 0
	.set _ZN7rocprim17ROCPRIM_400000_NS6detail17trampoline_kernelINS0_14default_configENS1_25partition_config_selectorILNS1_17partition_subalgoE8ExNS0_10empty_typeEbEEZZNS1_14partition_implILS5_8ELb0ES3_jN6thrust23THRUST_200600_302600_NS6detail15normal_iteratorINSA_10device_ptrIxEEEEPS6_PKS6_NS0_5tupleIJSF_S6_EEENSJ_IJSG_SG_EEENS0_18inequality_wrapperI22is_equal_div_10_uniqueIxEEEPmJS6_EEE10hipError_tPvRmT3_T4_T5_T6_T7_T9_mT8_P12ihipStream_tbDpT10_ENKUlT_T0_E_clISt17integral_constantIbLb0EES1A_EEDaS15_S16_EUlS15_E_NS1_11comp_targetILNS1_3genE8ELNS1_11target_archE1030ELNS1_3gpuE2ELNS1_3repE0EEENS1_30default_config_static_selectorELNS0_4arch9wavefront6targetE1EEEvT1_.numbered_sgpr, 0
	.set _ZN7rocprim17ROCPRIM_400000_NS6detail17trampoline_kernelINS0_14default_configENS1_25partition_config_selectorILNS1_17partition_subalgoE8ExNS0_10empty_typeEbEEZZNS1_14partition_implILS5_8ELb0ES3_jN6thrust23THRUST_200600_302600_NS6detail15normal_iteratorINSA_10device_ptrIxEEEEPS6_PKS6_NS0_5tupleIJSF_S6_EEENSJ_IJSG_SG_EEENS0_18inequality_wrapperI22is_equal_div_10_uniqueIxEEEPmJS6_EEE10hipError_tPvRmT3_T4_T5_T6_T7_T9_mT8_P12ihipStream_tbDpT10_ENKUlT_T0_E_clISt17integral_constantIbLb0EES1A_EEDaS15_S16_EUlS15_E_NS1_11comp_targetILNS1_3genE8ELNS1_11target_archE1030ELNS1_3gpuE2ELNS1_3repE0EEENS1_30default_config_static_selectorELNS0_4arch9wavefront6targetE1EEEvT1_.num_named_barrier, 0
	.set _ZN7rocprim17ROCPRIM_400000_NS6detail17trampoline_kernelINS0_14default_configENS1_25partition_config_selectorILNS1_17partition_subalgoE8ExNS0_10empty_typeEbEEZZNS1_14partition_implILS5_8ELb0ES3_jN6thrust23THRUST_200600_302600_NS6detail15normal_iteratorINSA_10device_ptrIxEEEEPS6_PKS6_NS0_5tupleIJSF_S6_EEENSJ_IJSG_SG_EEENS0_18inequality_wrapperI22is_equal_div_10_uniqueIxEEEPmJS6_EEE10hipError_tPvRmT3_T4_T5_T6_T7_T9_mT8_P12ihipStream_tbDpT10_ENKUlT_T0_E_clISt17integral_constantIbLb0EES1A_EEDaS15_S16_EUlS15_E_NS1_11comp_targetILNS1_3genE8ELNS1_11target_archE1030ELNS1_3gpuE2ELNS1_3repE0EEENS1_30default_config_static_selectorELNS0_4arch9wavefront6targetE1EEEvT1_.private_seg_size, 0
	.set _ZN7rocprim17ROCPRIM_400000_NS6detail17trampoline_kernelINS0_14default_configENS1_25partition_config_selectorILNS1_17partition_subalgoE8ExNS0_10empty_typeEbEEZZNS1_14partition_implILS5_8ELb0ES3_jN6thrust23THRUST_200600_302600_NS6detail15normal_iteratorINSA_10device_ptrIxEEEEPS6_PKS6_NS0_5tupleIJSF_S6_EEENSJ_IJSG_SG_EEENS0_18inequality_wrapperI22is_equal_div_10_uniqueIxEEEPmJS6_EEE10hipError_tPvRmT3_T4_T5_T6_T7_T9_mT8_P12ihipStream_tbDpT10_ENKUlT_T0_E_clISt17integral_constantIbLb0EES1A_EEDaS15_S16_EUlS15_E_NS1_11comp_targetILNS1_3genE8ELNS1_11target_archE1030ELNS1_3gpuE2ELNS1_3repE0EEENS1_30default_config_static_selectorELNS0_4arch9wavefront6targetE1EEEvT1_.uses_vcc, 0
	.set _ZN7rocprim17ROCPRIM_400000_NS6detail17trampoline_kernelINS0_14default_configENS1_25partition_config_selectorILNS1_17partition_subalgoE8ExNS0_10empty_typeEbEEZZNS1_14partition_implILS5_8ELb0ES3_jN6thrust23THRUST_200600_302600_NS6detail15normal_iteratorINSA_10device_ptrIxEEEEPS6_PKS6_NS0_5tupleIJSF_S6_EEENSJ_IJSG_SG_EEENS0_18inequality_wrapperI22is_equal_div_10_uniqueIxEEEPmJS6_EEE10hipError_tPvRmT3_T4_T5_T6_T7_T9_mT8_P12ihipStream_tbDpT10_ENKUlT_T0_E_clISt17integral_constantIbLb0EES1A_EEDaS15_S16_EUlS15_E_NS1_11comp_targetILNS1_3genE8ELNS1_11target_archE1030ELNS1_3gpuE2ELNS1_3repE0EEENS1_30default_config_static_selectorELNS0_4arch9wavefront6targetE1EEEvT1_.uses_flat_scratch, 0
	.set _ZN7rocprim17ROCPRIM_400000_NS6detail17trampoline_kernelINS0_14default_configENS1_25partition_config_selectorILNS1_17partition_subalgoE8ExNS0_10empty_typeEbEEZZNS1_14partition_implILS5_8ELb0ES3_jN6thrust23THRUST_200600_302600_NS6detail15normal_iteratorINSA_10device_ptrIxEEEEPS6_PKS6_NS0_5tupleIJSF_S6_EEENSJ_IJSG_SG_EEENS0_18inequality_wrapperI22is_equal_div_10_uniqueIxEEEPmJS6_EEE10hipError_tPvRmT3_T4_T5_T6_T7_T9_mT8_P12ihipStream_tbDpT10_ENKUlT_T0_E_clISt17integral_constantIbLb0EES1A_EEDaS15_S16_EUlS15_E_NS1_11comp_targetILNS1_3genE8ELNS1_11target_archE1030ELNS1_3gpuE2ELNS1_3repE0EEENS1_30default_config_static_selectorELNS0_4arch9wavefront6targetE1EEEvT1_.has_dyn_sized_stack, 0
	.set _ZN7rocprim17ROCPRIM_400000_NS6detail17trampoline_kernelINS0_14default_configENS1_25partition_config_selectorILNS1_17partition_subalgoE8ExNS0_10empty_typeEbEEZZNS1_14partition_implILS5_8ELb0ES3_jN6thrust23THRUST_200600_302600_NS6detail15normal_iteratorINSA_10device_ptrIxEEEEPS6_PKS6_NS0_5tupleIJSF_S6_EEENSJ_IJSG_SG_EEENS0_18inequality_wrapperI22is_equal_div_10_uniqueIxEEEPmJS6_EEE10hipError_tPvRmT3_T4_T5_T6_T7_T9_mT8_P12ihipStream_tbDpT10_ENKUlT_T0_E_clISt17integral_constantIbLb0EES1A_EEDaS15_S16_EUlS15_E_NS1_11comp_targetILNS1_3genE8ELNS1_11target_archE1030ELNS1_3gpuE2ELNS1_3repE0EEENS1_30default_config_static_selectorELNS0_4arch9wavefront6targetE1EEEvT1_.has_recursion, 0
	.set _ZN7rocprim17ROCPRIM_400000_NS6detail17trampoline_kernelINS0_14default_configENS1_25partition_config_selectorILNS1_17partition_subalgoE8ExNS0_10empty_typeEbEEZZNS1_14partition_implILS5_8ELb0ES3_jN6thrust23THRUST_200600_302600_NS6detail15normal_iteratorINSA_10device_ptrIxEEEEPS6_PKS6_NS0_5tupleIJSF_S6_EEENSJ_IJSG_SG_EEENS0_18inequality_wrapperI22is_equal_div_10_uniqueIxEEEPmJS6_EEE10hipError_tPvRmT3_T4_T5_T6_T7_T9_mT8_P12ihipStream_tbDpT10_ENKUlT_T0_E_clISt17integral_constantIbLb0EES1A_EEDaS15_S16_EUlS15_E_NS1_11comp_targetILNS1_3genE8ELNS1_11target_archE1030ELNS1_3gpuE2ELNS1_3repE0EEENS1_30default_config_static_selectorELNS0_4arch9wavefront6targetE1EEEvT1_.has_indirect_call, 0
	.section	.AMDGPU.csdata,"",@progbits
; Kernel info:
; codeLenInByte = 0
; TotalNumSgprs: 4
; NumVgprs: 0
; ScratchSize: 0
; MemoryBound: 0
; FloatMode: 240
; IeeeMode: 1
; LDSByteSize: 0 bytes/workgroup (compile time only)
; SGPRBlocks: 0
; VGPRBlocks: 0
; NumSGPRsForWavesPerEU: 4
; NumVGPRsForWavesPerEU: 1
; Occupancy: 10
; WaveLimiterHint : 0
; COMPUTE_PGM_RSRC2:SCRATCH_EN: 0
; COMPUTE_PGM_RSRC2:USER_SGPR: 6
; COMPUTE_PGM_RSRC2:TRAP_HANDLER: 0
; COMPUTE_PGM_RSRC2:TGID_X_EN: 1
; COMPUTE_PGM_RSRC2:TGID_Y_EN: 0
; COMPUTE_PGM_RSRC2:TGID_Z_EN: 0
; COMPUTE_PGM_RSRC2:TIDIG_COMP_CNT: 0
	.section	.text._ZN7rocprim17ROCPRIM_400000_NS6detail17trampoline_kernelINS0_14default_configENS1_25partition_config_selectorILNS1_17partition_subalgoE8ExNS0_10empty_typeEbEEZZNS1_14partition_implILS5_8ELb0ES3_jN6thrust23THRUST_200600_302600_NS6detail15normal_iteratorINSA_10device_ptrIxEEEEPS6_PKS6_NS0_5tupleIJSF_S6_EEENSJ_IJSG_SG_EEENS0_18inequality_wrapperI22is_equal_div_10_uniqueIxEEEPmJS6_EEE10hipError_tPvRmT3_T4_T5_T6_T7_T9_mT8_P12ihipStream_tbDpT10_ENKUlT_T0_E_clISt17integral_constantIbLb1EES1A_EEDaS15_S16_EUlS15_E_NS1_11comp_targetILNS1_3genE0ELNS1_11target_archE4294967295ELNS1_3gpuE0ELNS1_3repE0EEENS1_30default_config_static_selectorELNS0_4arch9wavefront6targetE1EEEvT1_,"axG",@progbits,_ZN7rocprim17ROCPRIM_400000_NS6detail17trampoline_kernelINS0_14default_configENS1_25partition_config_selectorILNS1_17partition_subalgoE8ExNS0_10empty_typeEbEEZZNS1_14partition_implILS5_8ELb0ES3_jN6thrust23THRUST_200600_302600_NS6detail15normal_iteratorINSA_10device_ptrIxEEEEPS6_PKS6_NS0_5tupleIJSF_S6_EEENSJ_IJSG_SG_EEENS0_18inequality_wrapperI22is_equal_div_10_uniqueIxEEEPmJS6_EEE10hipError_tPvRmT3_T4_T5_T6_T7_T9_mT8_P12ihipStream_tbDpT10_ENKUlT_T0_E_clISt17integral_constantIbLb1EES1A_EEDaS15_S16_EUlS15_E_NS1_11comp_targetILNS1_3genE0ELNS1_11target_archE4294967295ELNS1_3gpuE0ELNS1_3repE0EEENS1_30default_config_static_selectorELNS0_4arch9wavefront6targetE1EEEvT1_,comdat
	.protected	_ZN7rocprim17ROCPRIM_400000_NS6detail17trampoline_kernelINS0_14default_configENS1_25partition_config_selectorILNS1_17partition_subalgoE8ExNS0_10empty_typeEbEEZZNS1_14partition_implILS5_8ELb0ES3_jN6thrust23THRUST_200600_302600_NS6detail15normal_iteratorINSA_10device_ptrIxEEEEPS6_PKS6_NS0_5tupleIJSF_S6_EEENSJ_IJSG_SG_EEENS0_18inequality_wrapperI22is_equal_div_10_uniqueIxEEEPmJS6_EEE10hipError_tPvRmT3_T4_T5_T6_T7_T9_mT8_P12ihipStream_tbDpT10_ENKUlT_T0_E_clISt17integral_constantIbLb1EES1A_EEDaS15_S16_EUlS15_E_NS1_11comp_targetILNS1_3genE0ELNS1_11target_archE4294967295ELNS1_3gpuE0ELNS1_3repE0EEENS1_30default_config_static_selectorELNS0_4arch9wavefront6targetE1EEEvT1_ ; -- Begin function _ZN7rocprim17ROCPRIM_400000_NS6detail17trampoline_kernelINS0_14default_configENS1_25partition_config_selectorILNS1_17partition_subalgoE8ExNS0_10empty_typeEbEEZZNS1_14partition_implILS5_8ELb0ES3_jN6thrust23THRUST_200600_302600_NS6detail15normal_iteratorINSA_10device_ptrIxEEEEPS6_PKS6_NS0_5tupleIJSF_S6_EEENSJ_IJSG_SG_EEENS0_18inequality_wrapperI22is_equal_div_10_uniqueIxEEEPmJS6_EEE10hipError_tPvRmT3_T4_T5_T6_T7_T9_mT8_P12ihipStream_tbDpT10_ENKUlT_T0_E_clISt17integral_constantIbLb1EES1A_EEDaS15_S16_EUlS15_E_NS1_11comp_targetILNS1_3genE0ELNS1_11target_archE4294967295ELNS1_3gpuE0ELNS1_3repE0EEENS1_30default_config_static_selectorELNS0_4arch9wavefront6targetE1EEEvT1_
	.globl	_ZN7rocprim17ROCPRIM_400000_NS6detail17trampoline_kernelINS0_14default_configENS1_25partition_config_selectorILNS1_17partition_subalgoE8ExNS0_10empty_typeEbEEZZNS1_14partition_implILS5_8ELb0ES3_jN6thrust23THRUST_200600_302600_NS6detail15normal_iteratorINSA_10device_ptrIxEEEEPS6_PKS6_NS0_5tupleIJSF_S6_EEENSJ_IJSG_SG_EEENS0_18inequality_wrapperI22is_equal_div_10_uniqueIxEEEPmJS6_EEE10hipError_tPvRmT3_T4_T5_T6_T7_T9_mT8_P12ihipStream_tbDpT10_ENKUlT_T0_E_clISt17integral_constantIbLb1EES1A_EEDaS15_S16_EUlS15_E_NS1_11comp_targetILNS1_3genE0ELNS1_11target_archE4294967295ELNS1_3gpuE0ELNS1_3repE0EEENS1_30default_config_static_selectorELNS0_4arch9wavefront6targetE1EEEvT1_
	.p2align	8
	.type	_ZN7rocprim17ROCPRIM_400000_NS6detail17trampoline_kernelINS0_14default_configENS1_25partition_config_selectorILNS1_17partition_subalgoE8ExNS0_10empty_typeEbEEZZNS1_14partition_implILS5_8ELb0ES3_jN6thrust23THRUST_200600_302600_NS6detail15normal_iteratorINSA_10device_ptrIxEEEEPS6_PKS6_NS0_5tupleIJSF_S6_EEENSJ_IJSG_SG_EEENS0_18inequality_wrapperI22is_equal_div_10_uniqueIxEEEPmJS6_EEE10hipError_tPvRmT3_T4_T5_T6_T7_T9_mT8_P12ihipStream_tbDpT10_ENKUlT_T0_E_clISt17integral_constantIbLb1EES1A_EEDaS15_S16_EUlS15_E_NS1_11comp_targetILNS1_3genE0ELNS1_11target_archE4294967295ELNS1_3gpuE0ELNS1_3repE0EEENS1_30default_config_static_selectorELNS0_4arch9wavefront6targetE1EEEvT1_,@function
_ZN7rocprim17ROCPRIM_400000_NS6detail17trampoline_kernelINS0_14default_configENS1_25partition_config_selectorILNS1_17partition_subalgoE8ExNS0_10empty_typeEbEEZZNS1_14partition_implILS5_8ELb0ES3_jN6thrust23THRUST_200600_302600_NS6detail15normal_iteratorINSA_10device_ptrIxEEEEPS6_PKS6_NS0_5tupleIJSF_S6_EEENSJ_IJSG_SG_EEENS0_18inequality_wrapperI22is_equal_div_10_uniqueIxEEEPmJS6_EEE10hipError_tPvRmT3_T4_T5_T6_T7_T9_mT8_P12ihipStream_tbDpT10_ENKUlT_T0_E_clISt17integral_constantIbLb1EES1A_EEDaS15_S16_EUlS15_E_NS1_11comp_targetILNS1_3genE0ELNS1_11target_archE4294967295ELNS1_3gpuE0ELNS1_3repE0EEENS1_30default_config_static_selectorELNS0_4arch9wavefront6targetE1EEEvT1_: ; @_ZN7rocprim17ROCPRIM_400000_NS6detail17trampoline_kernelINS0_14default_configENS1_25partition_config_selectorILNS1_17partition_subalgoE8ExNS0_10empty_typeEbEEZZNS1_14partition_implILS5_8ELb0ES3_jN6thrust23THRUST_200600_302600_NS6detail15normal_iteratorINSA_10device_ptrIxEEEEPS6_PKS6_NS0_5tupleIJSF_S6_EEENSJ_IJSG_SG_EEENS0_18inequality_wrapperI22is_equal_div_10_uniqueIxEEEPmJS6_EEE10hipError_tPvRmT3_T4_T5_T6_T7_T9_mT8_P12ihipStream_tbDpT10_ENKUlT_T0_E_clISt17integral_constantIbLb1EES1A_EEDaS15_S16_EUlS15_E_NS1_11comp_targetILNS1_3genE0ELNS1_11target_archE4294967295ELNS1_3gpuE0ELNS1_3repE0EEENS1_30default_config_static_selectorELNS0_4arch9wavefront6targetE1EEEvT1_
; %bb.0:
	.section	.rodata,"a",@progbits
	.p2align	6, 0x0
	.amdhsa_kernel _ZN7rocprim17ROCPRIM_400000_NS6detail17trampoline_kernelINS0_14default_configENS1_25partition_config_selectorILNS1_17partition_subalgoE8ExNS0_10empty_typeEbEEZZNS1_14partition_implILS5_8ELb0ES3_jN6thrust23THRUST_200600_302600_NS6detail15normal_iteratorINSA_10device_ptrIxEEEEPS6_PKS6_NS0_5tupleIJSF_S6_EEENSJ_IJSG_SG_EEENS0_18inequality_wrapperI22is_equal_div_10_uniqueIxEEEPmJS6_EEE10hipError_tPvRmT3_T4_T5_T6_T7_T9_mT8_P12ihipStream_tbDpT10_ENKUlT_T0_E_clISt17integral_constantIbLb1EES1A_EEDaS15_S16_EUlS15_E_NS1_11comp_targetILNS1_3genE0ELNS1_11target_archE4294967295ELNS1_3gpuE0ELNS1_3repE0EEENS1_30default_config_static_selectorELNS0_4arch9wavefront6targetE1EEEvT1_
		.amdhsa_group_segment_fixed_size 0
		.amdhsa_private_segment_fixed_size 0
		.amdhsa_kernarg_size 128
		.amdhsa_user_sgpr_count 6
		.amdhsa_user_sgpr_private_segment_buffer 1
		.amdhsa_user_sgpr_dispatch_ptr 0
		.amdhsa_user_sgpr_queue_ptr 0
		.amdhsa_user_sgpr_kernarg_segment_ptr 1
		.amdhsa_user_sgpr_dispatch_id 0
		.amdhsa_user_sgpr_flat_scratch_init 0
		.amdhsa_user_sgpr_private_segment_size 0
		.amdhsa_uses_dynamic_stack 0
		.amdhsa_system_sgpr_private_segment_wavefront_offset 0
		.amdhsa_system_sgpr_workgroup_id_x 1
		.amdhsa_system_sgpr_workgroup_id_y 0
		.amdhsa_system_sgpr_workgroup_id_z 0
		.amdhsa_system_sgpr_workgroup_info 0
		.amdhsa_system_vgpr_workitem_id 0
		.amdhsa_next_free_vgpr 1
		.amdhsa_next_free_sgpr 0
		.amdhsa_reserve_vcc 0
		.amdhsa_reserve_flat_scratch 0
		.amdhsa_float_round_mode_32 0
		.amdhsa_float_round_mode_16_64 0
		.amdhsa_float_denorm_mode_32 3
		.amdhsa_float_denorm_mode_16_64 3
		.amdhsa_dx10_clamp 1
		.amdhsa_ieee_mode 1
		.amdhsa_fp16_overflow 0
		.amdhsa_exception_fp_ieee_invalid_op 0
		.amdhsa_exception_fp_denorm_src 0
		.amdhsa_exception_fp_ieee_div_zero 0
		.amdhsa_exception_fp_ieee_overflow 0
		.amdhsa_exception_fp_ieee_underflow 0
		.amdhsa_exception_fp_ieee_inexact 0
		.amdhsa_exception_int_div_zero 0
	.end_amdhsa_kernel
	.section	.text._ZN7rocprim17ROCPRIM_400000_NS6detail17trampoline_kernelINS0_14default_configENS1_25partition_config_selectorILNS1_17partition_subalgoE8ExNS0_10empty_typeEbEEZZNS1_14partition_implILS5_8ELb0ES3_jN6thrust23THRUST_200600_302600_NS6detail15normal_iteratorINSA_10device_ptrIxEEEEPS6_PKS6_NS0_5tupleIJSF_S6_EEENSJ_IJSG_SG_EEENS0_18inequality_wrapperI22is_equal_div_10_uniqueIxEEEPmJS6_EEE10hipError_tPvRmT3_T4_T5_T6_T7_T9_mT8_P12ihipStream_tbDpT10_ENKUlT_T0_E_clISt17integral_constantIbLb1EES1A_EEDaS15_S16_EUlS15_E_NS1_11comp_targetILNS1_3genE0ELNS1_11target_archE4294967295ELNS1_3gpuE0ELNS1_3repE0EEENS1_30default_config_static_selectorELNS0_4arch9wavefront6targetE1EEEvT1_,"axG",@progbits,_ZN7rocprim17ROCPRIM_400000_NS6detail17trampoline_kernelINS0_14default_configENS1_25partition_config_selectorILNS1_17partition_subalgoE8ExNS0_10empty_typeEbEEZZNS1_14partition_implILS5_8ELb0ES3_jN6thrust23THRUST_200600_302600_NS6detail15normal_iteratorINSA_10device_ptrIxEEEEPS6_PKS6_NS0_5tupleIJSF_S6_EEENSJ_IJSG_SG_EEENS0_18inequality_wrapperI22is_equal_div_10_uniqueIxEEEPmJS6_EEE10hipError_tPvRmT3_T4_T5_T6_T7_T9_mT8_P12ihipStream_tbDpT10_ENKUlT_T0_E_clISt17integral_constantIbLb1EES1A_EEDaS15_S16_EUlS15_E_NS1_11comp_targetILNS1_3genE0ELNS1_11target_archE4294967295ELNS1_3gpuE0ELNS1_3repE0EEENS1_30default_config_static_selectorELNS0_4arch9wavefront6targetE1EEEvT1_,comdat
.Lfunc_end380:
	.size	_ZN7rocprim17ROCPRIM_400000_NS6detail17trampoline_kernelINS0_14default_configENS1_25partition_config_selectorILNS1_17partition_subalgoE8ExNS0_10empty_typeEbEEZZNS1_14partition_implILS5_8ELb0ES3_jN6thrust23THRUST_200600_302600_NS6detail15normal_iteratorINSA_10device_ptrIxEEEEPS6_PKS6_NS0_5tupleIJSF_S6_EEENSJ_IJSG_SG_EEENS0_18inequality_wrapperI22is_equal_div_10_uniqueIxEEEPmJS6_EEE10hipError_tPvRmT3_T4_T5_T6_T7_T9_mT8_P12ihipStream_tbDpT10_ENKUlT_T0_E_clISt17integral_constantIbLb1EES1A_EEDaS15_S16_EUlS15_E_NS1_11comp_targetILNS1_3genE0ELNS1_11target_archE4294967295ELNS1_3gpuE0ELNS1_3repE0EEENS1_30default_config_static_selectorELNS0_4arch9wavefront6targetE1EEEvT1_, .Lfunc_end380-_ZN7rocprim17ROCPRIM_400000_NS6detail17trampoline_kernelINS0_14default_configENS1_25partition_config_selectorILNS1_17partition_subalgoE8ExNS0_10empty_typeEbEEZZNS1_14partition_implILS5_8ELb0ES3_jN6thrust23THRUST_200600_302600_NS6detail15normal_iteratorINSA_10device_ptrIxEEEEPS6_PKS6_NS0_5tupleIJSF_S6_EEENSJ_IJSG_SG_EEENS0_18inequality_wrapperI22is_equal_div_10_uniqueIxEEEPmJS6_EEE10hipError_tPvRmT3_T4_T5_T6_T7_T9_mT8_P12ihipStream_tbDpT10_ENKUlT_T0_E_clISt17integral_constantIbLb1EES1A_EEDaS15_S16_EUlS15_E_NS1_11comp_targetILNS1_3genE0ELNS1_11target_archE4294967295ELNS1_3gpuE0ELNS1_3repE0EEENS1_30default_config_static_selectorELNS0_4arch9wavefront6targetE1EEEvT1_
                                        ; -- End function
	.set _ZN7rocprim17ROCPRIM_400000_NS6detail17trampoline_kernelINS0_14default_configENS1_25partition_config_selectorILNS1_17partition_subalgoE8ExNS0_10empty_typeEbEEZZNS1_14partition_implILS5_8ELb0ES3_jN6thrust23THRUST_200600_302600_NS6detail15normal_iteratorINSA_10device_ptrIxEEEEPS6_PKS6_NS0_5tupleIJSF_S6_EEENSJ_IJSG_SG_EEENS0_18inequality_wrapperI22is_equal_div_10_uniqueIxEEEPmJS6_EEE10hipError_tPvRmT3_T4_T5_T6_T7_T9_mT8_P12ihipStream_tbDpT10_ENKUlT_T0_E_clISt17integral_constantIbLb1EES1A_EEDaS15_S16_EUlS15_E_NS1_11comp_targetILNS1_3genE0ELNS1_11target_archE4294967295ELNS1_3gpuE0ELNS1_3repE0EEENS1_30default_config_static_selectorELNS0_4arch9wavefront6targetE1EEEvT1_.num_vgpr, 0
	.set _ZN7rocprim17ROCPRIM_400000_NS6detail17trampoline_kernelINS0_14default_configENS1_25partition_config_selectorILNS1_17partition_subalgoE8ExNS0_10empty_typeEbEEZZNS1_14partition_implILS5_8ELb0ES3_jN6thrust23THRUST_200600_302600_NS6detail15normal_iteratorINSA_10device_ptrIxEEEEPS6_PKS6_NS0_5tupleIJSF_S6_EEENSJ_IJSG_SG_EEENS0_18inequality_wrapperI22is_equal_div_10_uniqueIxEEEPmJS6_EEE10hipError_tPvRmT3_T4_T5_T6_T7_T9_mT8_P12ihipStream_tbDpT10_ENKUlT_T0_E_clISt17integral_constantIbLb1EES1A_EEDaS15_S16_EUlS15_E_NS1_11comp_targetILNS1_3genE0ELNS1_11target_archE4294967295ELNS1_3gpuE0ELNS1_3repE0EEENS1_30default_config_static_selectorELNS0_4arch9wavefront6targetE1EEEvT1_.num_agpr, 0
	.set _ZN7rocprim17ROCPRIM_400000_NS6detail17trampoline_kernelINS0_14default_configENS1_25partition_config_selectorILNS1_17partition_subalgoE8ExNS0_10empty_typeEbEEZZNS1_14partition_implILS5_8ELb0ES3_jN6thrust23THRUST_200600_302600_NS6detail15normal_iteratorINSA_10device_ptrIxEEEEPS6_PKS6_NS0_5tupleIJSF_S6_EEENSJ_IJSG_SG_EEENS0_18inequality_wrapperI22is_equal_div_10_uniqueIxEEEPmJS6_EEE10hipError_tPvRmT3_T4_T5_T6_T7_T9_mT8_P12ihipStream_tbDpT10_ENKUlT_T0_E_clISt17integral_constantIbLb1EES1A_EEDaS15_S16_EUlS15_E_NS1_11comp_targetILNS1_3genE0ELNS1_11target_archE4294967295ELNS1_3gpuE0ELNS1_3repE0EEENS1_30default_config_static_selectorELNS0_4arch9wavefront6targetE1EEEvT1_.numbered_sgpr, 0
	.set _ZN7rocprim17ROCPRIM_400000_NS6detail17trampoline_kernelINS0_14default_configENS1_25partition_config_selectorILNS1_17partition_subalgoE8ExNS0_10empty_typeEbEEZZNS1_14partition_implILS5_8ELb0ES3_jN6thrust23THRUST_200600_302600_NS6detail15normal_iteratorINSA_10device_ptrIxEEEEPS6_PKS6_NS0_5tupleIJSF_S6_EEENSJ_IJSG_SG_EEENS0_18inequality_wrapperI22is_equal_div_10_uniqueIxEEEPmJS6_EEE10hipError_tPvRmT3_T4_T5_T6_T7_T9_mT8_P12ihipStream_tbDpT10_ENKUlT_T0_E_clISt17integral_constantIbLb1EES1A_EEDaS15_S16_EUlS15_E_NS1_11comp_targetILNS1_3genE0ELNS1_11target_archE4294967295ELNS1_3gpuE0ELNS1_3repE0EEENS1_30default_config_static_selectorELNS0_4arch9wavefront6targetE1EEEvT1_.num_named_barrier, 0
	.set _ZN7rocprim17ROCPRIM_400000_NS6detail17trampoline_kernelINS0_14default_configENS1_25partition_config_selectorILNS1_17partition_subalgoE8ExNS0_10empty_typeEbEEZZNS1_14partition_implILS5_8ELb0ES3_jN6thrust23THRUST_200600_302600_NS6detail15normal_iteratorINSA_10device_ptrIxEEEEPS6_PKS6_NS0_5tupleIJSF_S6_EEENSJ_IJSG_SG_EEENS0_18inequality_wrapperI22is_equal_div_10_uniqueIxEEEPmJS6_EEE10hipError_tPvRmT3_T4_T5_T6_T7_T9_mT8_P12ihipStream_tbDpT10_ENKUlT_T0_E_clISt17integral_constantIbLb1EES1A_EEDaS15_S16_EUlS15_E_NS1_11comp_targetILNS1_3genE0ELNS1_11target_archE4294967295ELNS1_3gpuE0ELNS1_3repE0EEENS1_30default_config_static_selectorELNS0_4arch9wavefront6targetE1EEEvT1_.private_seg_size, 0
	.set _ZN7rocprim17ROCPRIM_400000_NS6detail17trampoline_kernelINS0_14default_configENS1_25partition_config_selectorILNS1_17partition_subalgoE8ExNS0_10empty_typeEbEEZZNS1_14partition_implILS5_8ELb0ES3_jN6thrust23THRUST_200600_302600_NS6detail15normal_iteratorINSA_10device_ptrIxEEEEPS6_PKS6_NS0_5tupleIJSF_S6_EEENSJ_IJSG_SG_EEENS0_18inequality_wrapperI22is_equal_div_10_uniqueIxEEEPmJS6_EEE10hipError_tPvRmT3_T4_T5_T6_T7_T9_mT8_P12ihipStream_tbDpT10_ENKUlT_T0_E_clISt17integral_constantIbLb1EES1A_EEDaS15_S16_EUlS15_E_NS1_11comp_targetILNS1_3genE0ELNS1_11target_archE4294967295ELNS1_3gpuE0ELNS1_3repE0EEENS1_30default_config_static_selectorELNS0_4arch9wavefront6targetE1EEEvT1_.uses_vcc, 0
	.set _ZN7rocprim17ROCPRIM_400000_NS6detail17trampoline_kernelINS0_14default_configENS1_25partition_config_selectorILNS1_17partition_subalgoE8ExNS0_10empty_typeEbEEZZNS1_14partition_implILS5_8ELb0ES3_jN6thrust23THRUST_200600_302600_NS6detail15normal_iteratorINSA_10device_ptrIxEEEEPS6_PKS6_NS0_5tupleIJSF_S6_EEENSJ_IJSG_SG_EEENS0_18inequality_wrapperI22is_equal_div_10_uniqueIxEEEPmJS6_EEE10hipError_tPvRmT3_T4_T5_T6_T7_T9_mT8_P12ihipStream_tbDpT10_ENKUlT_T0_E_clISt17integral_constantIbLb1EES1A_EEDaS15_S16_EUlS15_E_NS1_11comp_targetILNS1_3genE0ELNS1_11target_archE4294967295ELNS1_3gpuE0ELNS1_3repE0EEENS1_30default_config_static_selectorELNS0_4arch9wavefront6targetE1EEEvT1_.uses_flat_scratch, 0
	.set _ZN7rocprim17ROCPRIM_400000_NS6detail17trampoline_kernelINS0_14default_configENS1_25partition_config_selectorILNS1_17partition_subalgoE8ExNS0_10empty_typeEbEEZZNS1_14partition_implILS5_8ELb0ES3_jN6thrust23THRUST_200600_302600_NS6detail15normal_iteratorINSA_10device_ptrIxEEEEPS6_PKS6_NS0_5tupleIJSF_S6_EEENSJ_IJSG_SG_EEENS0_18inequality_wrapperI22is_equal_div_10_uniqueIxEEEPmJS6_EEE10hipError_tPvRmT3_T4_T5_T6_T7_T9_mT8_P12ihipStream_tbDpT10_ENKUlT_T0_E_clISt17integral_constantIbLb1EES1A_EEDaS15_S16_EUlS15_E_NS1_11comp_targetILNS1_3genE0ELNS1_11target_archE4294967295ELNS1_3gpuE0ELNS1_3repE0EEENS1_30default_config_static_selectorELNS0_4arch9wavefront6targetE1EEEvT1_.has_dyn_sized_stack, 0
	.set _ZN7rocprim17ROCPRIM_400000_NS6detail17trampoline_kernelINS0_14default_configENS1_25partition_config_selectorILNS1_17partition_subalgoE8ExNS0_10empty_typeEbEEZZNS1_14partition_implILS5_8ELb0ES3_jN6thrust23THRUST_200600_302600_NS6detail15normal_iteratorINSA_10device_ptrIxEEEEPS6_PKS6_NS0_5tupleIJSF_S6_EEENSJ_IJSG_SG_EEENS0_18inequality_wrapperI22is_equal_div_10_uniqueIxEEEPmJS6_EEE10hipError_tPvRmT3_T4_T5_T6_T7_T9_mT8_P12ihipStream_tbDpT10_ENKUlT_T0_E_clISt17integral_constantIbLb1EES1A_EEDaS15_S16_EUlS15_E_NS1_11comp_targetILNS1_3genE0ELNS1_11target_archE4294967295ELNS1_3gpuE0ELNS1_3repE0EEENS1_30default_config_static_selectorELNS0_4arch9wavefront6targetE1EEEvT1_.has_recursion, 0
	.set _ZN7rocprim17ROCPRIM_400000_NS6detail17trampoline_kernelINS0_14default_configENS1_25partition_config_selectorILNS1_17partition_subalgoE8ExNS0_10empty_typeEbEEZZNS1_14partition_implILS5_8ELb0ES3_jN6thrust23THRUST_200600_302600_NS6detail15normal_iteratorINSA_10device_ptrIxEEEEPS6_PKS6_NS0_5tupleIJSF_S6_EEENSJ_IJSG_SG_EEENS0_18inequality_wrapperI22is_equal_div_10_uniqueIxEEEPmJS6_EEE10hipError_tPvRmT3_T4_T5_T6_T7_T9_mT8_P12ihipStream_tbDpT10_ENKUlT_T0_E_clISt17integral_constantIbLb1EES1A_EEDaS15_S16_EUlS15_E_NS1_11comp_targetILNS1_3genE0ELNS1_11target_archE4294967295ELNS1_3gpuE0ELNS1_3repE0EEENS1_30default_config_static_selectorELNS0_4arch9wavefront6targetE1EEEvT1_.has_indirect_call, 0
	.section	.AMDGPU.csdata,"",@progbits
; Kernel info:
; codeLenInByte = 0
; TotalNumSgprs: 4
; NumVgprs: 0
; ScratchSize: 0
; MemoryBound: 0
; FloatMode: 240
; IeeeMode: 1
; LDSByteSize: 0 bytes/workgroup (compile time only)
; SGPRBlocks: 0
; VGPRBlocks: 0
; NumSGPRsForWavesPerEU: 4
; NumVGPRsForWavesPerEU: 1
; Occupancy: 10
; WaveLimiterHint : 0
; COMPUTE_PGM_RSRC2:SCRATCH_EN: 0
; COMPUTE_PGM_RSRC2:USER_SGPR: 6
; COMPUTE_PGM_RSRC2:TRAP_HANDLER: 0
; COMPUTE_PGM_RSRC2:TGID_X_EN: 1
; COMPUTE_PGM_RSRC2:TGID_Y_EN: 0
; COMPUTE_PGM_RSRC2:TGID_Z_EN: 0
; COMPUTE_PGM_RSRC2:TIDIG_COMP_CNT: 0
	.section	.text._ZN7rocprim17ROCPRIM_400000_NS6detail17trampoline_kernelINS0_14default_configENS1_25partition_config_selectorILNS1_17partition_subalgoE8ExNS0_10empty_typeEbEEZZNS1_14partition_implILS5_8ELb0ES3_jN6thrust23THRUST_200600_302600_NS6detail15normal_iteratorINSA_10device_ptrIxEEEEPS6_PKS6_NS0_5tupleIJSF_S6_EEENSJ_IJSG_SG_EEENS0_18inequality_wrapperI22is_equal_div_10_uniqueIxEEEPmJS6_EEE10hipError_tPvRmT3_T4_T5_T6_T7_T9_mT8_P12ihipStream_tbDpT10_ENKUlT_T0_E_clISt17integral_constantIbLb1EES1A_EEDaS15_S16_EUlS15_E_NS1_11comp_targetILNS1_3genE5ELNS1_11target_archE942ELNS1_3gpuE9ELNS1_3repE0EEENS1_30default_config_static_selectorELNS0_4arch9wavefront6targetE1EEEvT1_,"axG",@progbits,_ZN7rocprim17ROCPRIM_400000_NS6detail17trampoline_kernelINS0_14default_configENS1_25partition_config_selectorILNS1_17partition_subalgoE8ExNS0_10empty_typeEbEEZZNS1_14partition_implILS5_8ELb0ES3_jN6thrust23THRUST_200600_302600_NS6detail15normal_iteratorINSA_10device_ptrIxEEEEPS6_PKS6_NS0_5tupleIJSF_S6_EEENSJ_IJSG_SG_EEENS0_18inequality_wrapperI22is_equal_div_10_uniqueIxEEEPmJS6_EEE10hipError_tPvRmT3_T4_T5_T6_T7_T9_mT8_P12ihipStream_tbDpT10_ENKUlT_T0_E_clISt17integral_constantIbLb1EES1A_EEDaS15_S16_EUlS15_E_NS1_11comp_targetILNS1_3genE5ELNS1_11target_archE942ELNS1_3gpuE9ELNS1_3repE0EEENS1_30default_config_static_selectorELNS0_4arch9wavefront6targetE1EEEvT1_,comdat
	.protected	_ZN7rocprim17ROCPRIM_400000_NS6detail17trampoline_kernelINS0_14default_configENS1_25partition_config_selectorILNS1_17partition_subalgoE8ExNS0_10empty_typeEbEEZZNS1_14partition_implILS5_8ELb0ES3_jN6thrust23THRUST_200600_302600_NS6detail15normal_iteratorINSA_10device_ptrIxEEEEPS6_PKS6_NS0_5tupleIJSF_S6_EEENSJ_IJSG_SG_EEENS0_18inequality_wrapperI22is_equal_div_10_uniqueIxEEEPmJS6_EEE10hipError_tPvRmT3_T4_T5_T6_T7_T9_mT8_P12ihipStream_tbDpT10_ENKUlT_T0_E_clISt17integral_constantIbLb1EES1A_EEDaS15_S16_EUlS15_E_NS1_11comp_targetILNS1_3genE5ELNS1_11target_archE942ELNS1_3gpuE9ELNS1_3repE0EEENS1_30default_config_static_selectorELNS0_4arch9wavefront6targetE1EEEvT1_ ; -- Begin function _ZN7rocprim17ROCPRIM_400000_NS6detail17trampoline_kernelINS0_14default_configENS1_25partition_config_selectorILNS1_17partition_subalgoE8ExNS0_10empty_typeEbEEZZNS1_14partition_implILS5_8ELb0ES3_jN6thrust23THRUST_200600_302600_NS6detail15normal_iteratorINSA_10device_ptrIxEEEEPS6_PKS6_NS0_5tupleIJSF_S6_EEENSJ_IJSG_SG_EEENS0_18inequality_wrapperI22is_equal_div_10_uniqueIxEEEPmJS6_EEE10hipError_tPvRmT3_T4_T5_T6_T7_T9_mT8_P12ihipStream_tbDpT10_ENKUlT_T0_E_clISt17integral_constantIbLb1EES1A_EEDaS15_S16_EUlS15_E_NS1_11comp_targetILNS1_3genE5ELNS1_11target_archE942ELNS1_3gpuE9ELNS1_3repE0EEENS1_30default_config_static_selectorELNS0_4arch9wavefront6targetE1EEEvT1_
	.globl	_ZN7rocprim17ROCPRIM_400000_NS6detail17trampoline_kernelINS0_14default_configENS1_25partition_config_selectorILNS1_17partition_subalgoE8ExNS0_10empty_typeEbEEZZNS1_14partition_implILS5_8ELb0ES3_jN6thrust23THRUST_200600_302600_NS6detail15normal_iteratorINSA_10device_ptrIxEEEEPS6_PKS6_NS0_5tupleIJSF_S6_EEENSJ_IJSG_SG_EEENS0_18inequality_wrapperI22is_equal_div_10_uniqueIxEEEPmJS6_EEE10hipError_tPvRmT3_T4_T5_T6_T7_T9_mT8_P12ihipStream_tbDpT10_ENKUlT_T0_E_clISt17integral_constantIbLb1EES1A_EEDaS15_S16_EUlS15_E_NS1_11comp_targetILNS1_3genE5ELNS1_11target_archE942ELNS1_3gpuE9ELNS1_3repE0EEENS1_30default_config_static_selectorELNS0_4arch9wavefront6targetE1EEEvT1_
	.p2align	8
	.type	_ZN7rocprim17ROCPRIM_400000_NS6detail17trampoline_kernelINS0_14default_configENS1_25partition_config_selectorILNS1_17partition_subalgoE8ExNS0_10empty_typeEbEEZZNS1_14partition_implILS5_8ELb0ES3_jN6thrust23THRUST_200600_302600_NS6detail15normal_iteratorINSA_10device_ptrIxEEEEPS6_PKS6_NS0_5tupleIJSF_S6_EEENSJ_IJSG_SG_EEENS0_18inequality_wrapperI22is_equal_div_10_uniqueIxEEEPmJS6_EEE10hipError_tPvRmT3_T4_T5_T6_T7_T9_mT8_P12ihipStream_tbDpT10_ENKUlT_T0_E_clISt17integral_constantIbLb1EES1A_EEDaS15_S16_EUlS15_E_NS1_11comp_targetILNS1_3genE5ELNS1_11target_archE942ELNS1_3gpuE9ELNS1_3repE0EEENS1_30default_config_static_selectorELNS0_4arch9wavefront6targetE1EEEvT1_,@function
_ZN7rocprim17ROCPRIM_400000_NS6detail17trampoline_kernelINS0_14default_configENS1_25partition_config_selectorILNS1_17partition_subalgoE8ExNS0_10empty_typeEbEEZZNS1_14partition_implILS5_8ELb0ES3_jN6thrust23THRUST_200600_302600_NS6detail15normal_iteratorINSA_10device_ptrIxEEEEPS6_PKS6_NS0_5tupleIJSF_S6_EEENSJ_IJSG_SG_EEENS0_18inequality_wrapperI22is_equal_div_10_uniqueIxEEEPmJS6_EEE10hipError_tPvRmT3_T4_T5_T6_T7_T9_mT8_P12ihipStream_tbDpT10_ENKUlT_T0_E_clISt17integral_constantIbLb1EES1A_EEDaS15_S16_EUlS15_E_NS1_11comp_targetILNS1_3genE5ELNS1_11target_archE942ELNS1_3gpuE9ELNS1_3repE0EEENS1_30default_config_static_selectorELNS0_4arch9wavefront6targetE1EEEvT1_: ; @_ZN7rocprim17ROCPRIM_400000_NS6detail17trampoline_kernelINS0_14default_configENS1_25partition_config_selectorILNS1_17partition_subalgoE8ExNS0_10empty_typeEbEEZZNS1_14partition_implILS5_8ELb0ES3_jN6thrust23THRUST_200600_302600_NS6detail15normal_iteratorINSA_10device_ptrIxEEEEPS6_PKS6_NS0_5tupleIJSF_S6_EEENSJ_IJSG_SG_EEENS0_18inequality_wrapperI22is_equal_div_10_uniqueIxEEEPmJS6_EEE10hipError_tPvRmT3_T4_T5_T6_T7_T9_mT8_P12ihipStream_tbDpT10_ENKUlT_T0_E_clISt17integral_constantIbLb1EES1A_EEDaS15_S16_EUlS15_E_NS1_11comp_targetILNS1_3genE5ELNS1_11target_archE942ELNS1_3gpuE9ELNS1_3repE0EEENS1_30default_config_static_selectorELNS0_4arch9wavefront6targetE1EEEvT1_
; %bb.0:
	.section	.rodata,"a",@progbits
	.p2align	6, 0x0
	.amdhsa_kernel _ZN7rocprim17ROCPRIM_400000_NS6detail17trampoline_kernelINS0_14default_configENS1_25partition_config_selectorILNS1_17partition_subalgoE8ExNS0_10empty_typeEbEEZZNS1_14partition_implILS5_8ELb0ES3_jN6thrust23THRUST_200600_302600_NS6detail15normal_iteratorINSA_10device_ptrIxEEEEPS6_PKS6_NS0_5tupleIJSF_S6_EEENSJ_IJSG_SG_EEENS0_18inequality_wrapperI22is_equal_div_10_uniqueIxEEEPmJS6_EEE10hipError_tPvRmT3_T4_T5_T6_T7_T9_mT8_P12ihipStream_tbDpT10_ENKUlT_T0_E_clISt17integral_constantIbLb1EES1A_EEDaS15_S16_EUlS15_E_NS1_11comp_targetILNS1_3genE5ELNS1_11target_archE942ELNS1_3gpuE9ELNS1_3repE0EEENS1_30default_config_static_selectorELNS0_4arch9wavefront6targetE1EEEvT1_
		.amdhsa_group_segment_fixed_size 0
		.amdhsa_private_segment_fixed_size 0
		.amdhsa_kernarg_size 128
		.amdhsa_user_sgpr_count 6
		.amdhsa_user_sgpr_private_segment_buffer 1
		.amdhsa_user_sgpr_dispatch_ptr 0
		.amdhsa_user_sgpr_queue_ptr 0
		.amdhsa_user_sgpr_kernarg_segment_ptr 1
		.amdhsa_user_sgpr_dispatch_id 0
		.amdhsa_user_sgpr_flat_scratch_init 0
		.amdhsa_user_sgpr_private_segment_size 0
		.amdhsa_uses_dynamic_stack 0
		.amdhsa_system_sgpr_private_segment_wavefront_offset 0
		.amdhsa_system_sgpr_workgroup_id_x 1
		.amdhsa_system_sgpr_workgroup_id_y 0
		.amdhsa_system_sgpr_workgroup_id_z 0
		.amdhsa_system_sgpr_workgroup_info 0
		.amdhsa_system_vgpr_workitem_id 0
		.amdhsa_next_free_vgpr 1
		.amdhsa_next_free_sgpr 0
		.amdhsa_reserve_vcc 0
		.amdhsa_reserve_flat_scratch 0
		.amdhsa_float_round_mode_32 0
		.amdhsa_float_round_mode_16_64 0
		.amdhsa_float_denorm_mode_32 3
		.amdhsa_float_denorm_mode_16_64 3
		.amdhsa_dx10_clamp 1
		.amdhsa_ieee_mode 1
		.amdhsa_fp16_overflow 0
		.amdhsa_exception_fp_ieee_invalid_op 0
		.amdhsa_exception_fp_denorm_src 0
		.amdhsa_exception_fp_ieee_div_zero 0
		.amdhsa_exception_fp_ieee_overflow 0
		.amdhsa_exception_fp_ieee_underflow 0
		.amdhsa_exception_fp_ieee_inexact 0
		.amdhsa_exception_int_div_zero 0
	.end_amdhsa_kernel
	.section	.text._ZN7rocprim17ROCPRIM_400000_NS6detail17trampoline_kernelINS0_14default_configENS1_25partition_config_selectorILNS1_17partition_subalgoE8ExNS0_10empty_typeEbEEZZNS1_14partition_implILS5_8ELb0ES3_jN6thrust23THRUST_200600_302600_NS6detail15normal_iteratorINSA_10device_ptrIxEEEEPS6_PKS6_NS0_5tupleIJSF_S6_EEENSJ_IJSG_SG_EEENS0_18inequality_wrapperI22is_equal_div_10_uniqueIxEEEPmJS6_EEE10hipError_tPvRmT3_T4_T5_T6_T7_T9_mT8_P12ihipStream_tbDpT10_ENKUlT_T0_E_clISt17integral_constantIbLb1EES1A_EEDaS15_S16_EUlS15_E_NS1_11comp_targetILNS1_3genE5ELNS1_11target_archE942ELNS1_3gpuE9ELNS1_3repE0EEENS1_30default_config_static_selectorELNS0_4arch9wavefront6targetE1EEEvT1_,"axG",@progbits,_ZN7rocprim17ROCPRIM_400000_NS6detail17trampoline_kernelINS0_14default_configENS1_25partition_config_selectorILNS1_17partition_subalgoE8ExNS0_10empty_typeEbEEZZNS1_14partition_implILS5_8ELb0ES3_jN6thrust23THRUST_200600_302600_NS6detail15normal_iteratorINSA_10device_ptrIxEEEEPS6_PKS6_NS0_5tupleIJSF_S6_EEENSJ_IJSG_SG_EEENS0_18inequality_wrapperI22is_equal_div_10_uniqueIxEEEPmJS6_EEE10hipError_tPvRmT3_T4_T5_T6_T7_T9_mT8_P12ihipStream_tbDpT10_ENKUlT_T0_E_clISt17integral_constantIbLb1EES1A_EEDaS15_S16_EUlS15_E_NS1_11comp_targetILNS1_3genE5ELNS1_11target_archE942ELNS1_3gpuE9ELNS1_3repE0EEENS1_30default_config_static_selectorELNS0_4arch9wavefront6targetE1EEEvT1_,comdat
.Lfunc_end381:
	.size	_ZN7rocprim17ROCPRIM_400000_NS6detail17trampoline_kernelINS0_14default_configENS1_25partition_config_selectorILNS1_17partition_subalgoE8ExNS0_10empty_typeEbEEZZNS1_14partition_implILS5_8ELb0ES3_jN6thrust23THRUST_200600_302600_NS6detail15normal_iteratorINSA_10device_ptrIxEEEEPS6_PKS6_NS0_5tupleIJSF_S6_EEENSJ_IJSG_SG_EEENS0_18inequality_wrapperI22is_equal_div_10_uniqueIxEEEPmJS6_EEE10hipError_tPvRmT3_T4_T5_T6_T7_T9_mT8_P12ihipStream_tbDpT10_ENKUlT_T0_E_clISt17integral_constantIbLb1EES1A_EEDaS15_S16_EUlS15_E_NS1_11comp_targetILNS1_3genE5ELNS1_11target_archE942ELNS1_3gpuE9ELNS1_3repE0EEENS1_30default_config_static_selectorELNS0_4arch9wavefront6targetE1EEEvT1_, .Lfunc_end381-_ZN7rocprim17ROCPRIM_400000_NS6detail17trampoline_kernelINS0_14default_configENS1_25partition_config_selectorILNS1_17partition_subalgoE8ExNS0_10empty_typeEbEEZZNS1_14partition_implILS5_8ELb0ES3_jN6thrust23THRUST_200600_302600_NS6detail15normal_iteratorINSA_10device_ptrIxEEEEPS6_PKS6_NS0_5tupleIJSF_S6_EEENSJ_IJSG_SG_EEENS0_18inequality_wrapperI22is_equal_div_10_uniqueIxEEEPmJS6_EEE10hipError_tPvRmT3_T4_T5_T6_T7_T9_mT8_P12ihipStream_tbDpT10_ENKUlT_T0_E_clISt17integral_constantIbLb1EES1A_EEDaS15_S16_EUlS15_E_NS1_11comp_targetILNS1_3genE5ELNS1_11target_archE942ELNS1_3gpuE9ELNS1_3repE0EEENS1_30default_config_static_selectorELNS0_4arch9wavefront6targetE1EEEvT1_
                                        ; -- End function
	.set _ZN7rocprim17ROCPRIM_400000_NS6detail17trampoline_kernelINS0_14default_configENS1_25partition_config_selectorILNS1_17partition_subalgoE8ExNS0_10empty_typeEbEEZZNS1_14partition_implILS5_8ELb0ES3_jN6thrust23THRUST_200600_302600_NS6detail15normal_iteratorINSA_10device_ptrIxEEEEPS6_PKS6_NS0_5tupleIJSF_S6_EEENSJ_IJSG_SG_EEENS0_18inequality_wrapperI22is_equal_div_10_uniqueIxEEEPmJS6_EEE10hipError_tPvRmT3_T4_T5_T6_T7_T9_mT8_P12ihipStream_tbDpT10_ENKUlT_T0_E_clISt17integral_constantIbLb1EES1A_EEDaS15_S16_EUlS15_E_NS1_11comp_targetILNS1_3genE5ELNS1_11target_archE942ELNS1_3gpuE9ELNS1_3repE0EEENS1_30default_config_static_selectorELNS0_4arch9wavefront6targetE1EEEvT1_.num_vgpr, 0
	.set _ZN7rocprim17ROCPRIM_400000_NS6detail17trampoline_kernelINS0_14default_configENS1_25partition_config_selectorILNS1_17partition_subalgoE8ExNS0_10empty_typeEbEEZZNS1_14partition_implILS5_8ELb0ES3_jN6thrust23THRUST_200600_302600_NS6detail15normal_iteratorINSA_10device_ptrIxEEEEPS6_PKS6_NS0_5tupleIJSF_S6_EEENSJ_IJSG_SG_EEENS0_18inequality_wrapperI22is_equal_div_10_uniqueIxEEEPmJS6_EEE10hipError_tPvRmT3_T4_T5_T6_T7_T9_mT8_P12ihipStream_tbDpT10_ENKUlT_T0_E_clISt17integral_constantIbLb1EES1A_EEDaS15_S16_EUlS15_E_NS1_11comp_targetILNS1_3genE5ELNS1_11target_archE942ELNS1_3gpuE9ELNS1_3repE0EEENS1_30default_config_static_selectorELNS0_4arch9wavefront6targetE1EEEvT1_.num_agpr, 0
	.set _ZN7rocprim17ROCPRIM_400000_NS6detail17trampoline_kernelINS0_14default_configENS1_25partition_config_selectorILNS1_17partition_subalgoE8ExNS0_10empty_typeEbEEZZNS1_14partition_implILS5_8ELb0ES3_jN6thrust23THRUST_200600_302600_NS6detail15normal_iteratorINSA_10device_ptrIxEEEEPS6_PKS6_NS0_5tupleIJSF_S6_EEENSJ_IJSG_SG_EEENS0_18inequality_wrapperI22is_equal_div_10_uniqueIxEEEPmJS6_EEE10hipError_tPvRmT3_T4_T5_T6_T7_T9_mT8_P12ihipStream_tbDpT10_ENKUlT_T0_E_clISt17integral_constantIbLb1EES1A_EEDaS15_S16_EUlS15_E_NS1_11comp_targetILNS1_3genE5ELNS1_11target_archE942ELNS1_3gpuE9ELNS1_3repE0EEENS1_30default_config_static_selectorELNS0_4arch9wavefront6targetE1EEEvT1_.numbered_sgpr, 0
	.set _ZN7rocprim17ROCPRIM_400000_NS6detail17trampoline_kernelINS0_14default_configENS1_25partition_config_selectorILNS1_17partition_subalgoE8ExNS0_10empty_typeEbEEZZNS1_14partition_implILS5_8ELb0ES3_jN6thrust23THRUST_200600_302600_NS6detail15normal_iteratorINSA_10device_ptrIxEEEEPS6_PKS6_NS0_5tupleIJSF_S6_EEENSJ_IJSG_SG_EEENS0_18inequality_wrapperI22is_equal_div_10_uniqueIxEEEPmJS6_EEE10hipError_tPvRmT3_T4_T5_T6_T7_T9_mT8_P12ihipStream_tbDpT10_ENKUlT_T0_E_clISt17integral_constantIbLb1EES1A_EEDaS15_S16_EUlS15_E_NS1_11comp_targetILNS1_3genE5ELNS1_11target_archE942ELNS1_3gpuE9ELNS1_3repE0EEENS1_30default_config_static_selectorELNS0_4arch9wavefront6targetE1EEEvT1_.num_named_barrier, 0
	.set _ZN7rocprim17ROCPRIM_400000_NS6detail17trampoline_kernelINS0_14default_configENS1_25partition_config_selectorILNS1_17partition_subalgoE8ExNS0_10empty_typeEbEEZZNS1_14partition_implILS5_8ELb0ES3_jN6thrust23THRUST_200600_302600_NS6detail15normal_iteratorINSA_10device_ptrIxEEEEPS6_PKS6_NS0_5tupleIJSF_S6_EEENSJ_IJSG_SG_EEENS0_18inequality_wrapperI22is_equal_div_10_uniqueIxEEEPmJS6_EEE10hipError_tPvRmT3_T4_T5_T6_T7_T9_mT8_P12ihipStream_tbDpT10_ENKUlT_T0_E_clISt17integral_constantIbLb1EES1A_EEDaS15_S16_EUlS15_E_NS1_11comp_targetILNS1_3genE5ELNS1_11target_archE942ELNS1_3gpuE9ELNS1_3repE0EEENS1_30default_config_static_selectorELNS0_4arch9wavefront6targetE1EEEvT1_.private_seg_size, 0
	.set _ZN7rocprim17ROCPRIM_400000_NS6detail17trampoline_kernelINS0_14default_configENS1_25partition_config_selectorILNS1_17partition_subalgoE8ExNS0_10empty_typeEbEEZZNS1_14partition_implILS5_8ELb0ES3_jN6thrust23THRUST_200600_302600_NS6detail15normal_iteratorINSA_10device_ptrIxEEEEPS6_PKS6_NS0_5tupleIJSF_S6_EEENSJ_IJSG_SG_EEENS0_18inequality_wrapperI22is_equal_div_10_uniqueIxEEEPmJS6_EEE10hipError_tPvRmT3_T4_T5_T6_T7_T9_mT8_P12ihipStream_tbDpT10_ENKUlT_T0_E_clISt17integral_constantIbLb1EES1A_EEDaS15_S16_EUlS15_E_NS1_11comp_targetILNS1_3genE5ELNS1_11target_archE942ELNS1_3gpuE9ELNS1_3repE0EEENS1_30default_config_static_selectorELNS0_4arch9wavefront6targetE1EEEvT1_.uses_vcc, 0
	.set _ZN7rocprim17ROCPRIM_400000_NS6detail17trampoline_kernelINS0_14default_configENS1_25partition_config_selectorILNS1_17partition_subalgoE8ExNS0_10empty_typeEbEEZZNS1_14partition_implILS5_8ELb0ES3_jN6thrust23THRUST_200600_302600_NS6detail15normal_iteratorINSA_10device_ptrIxEEEEPS6_PKS6_NS0_5tupleIJSF_S6_EEENSJ_IJSG_SG_EEENS0_18inequality_wrapperI22is_equal_div_10_uniqueIxEEEPmJS6_EEE10hipError_tPvRmT3_T4_T5_T6_T7_T9_mT8_P12ihipStream_tbDpT10_ENKUlT_T0_E_clISt17integral_constantIbLb1EES1A_EEDaS15_S16_EUlS15_E_NS1_11comp_targetILNS1_3genE5ELNS1_11target_archE942ELNS1_3gpuE9ELNS1_3repE0EEENS1_30default_config_static_selectorELNS0_4arch9wavefront6targetE1EEEvT1_.uses_flat_scratch, 0
	.set _ZN7rocprim17ROCPRIM_400000_NS6detail17trampoline_kernelINS0_14default_configENS1_25partition_config_selectorILNS1_17partition_subalgoE8ExNS0_10empty_typeEbEEZZNS1_14partition_implILS5_8ELb0ES3_jN6thrust23THRUST_200600_302600_NS6detail15normal_iteratorINSA_10device_ptrIxEEEEPS6_PKS6_NS0_5tupleIJSF_S6_EEENSJ_IJSG_SG_EEENS0_18inequality_wrapperI22is_equal_div_10_uniqueIxEEEPmJS6_EEE10hipError_tPvRmT3_T4_T5_T6_T7_T9_mT8_P12ihipStream_tbDpT10_ENKUlT_T0_E_clISt17integral_constantIbLb1EES1A_EEDaS15_S16_EUlS15_E_NS1_11comp_targetILNS1_3genE5ELNS1_11target_archE942ELNS1_3gpuE9ELNS1_3repE0EEENS1_30default_config_static_selectorELNS0_4arch9wavefront6targetE1EEEvT1_.has_dyn_sized_stack, 0
	.set _ZN7rocprim17ROCPRIM_400000_NS6detail17trampoline_kernelINS0_14default_configENS1_25partition_config_selectorILNS1_17partition_subalgoE8ExNS0_10empty_typeEbEEZZNS1_14partition_implILS5_8ELb0ES3_jN6thrust23THRUST_200600_302600_NS6detail15normal_iteratorINSA_10device_ptrIxEEEEPS6_PKS6_NS0_5tupleIJSF_S6_EEENSJ_IJSG_SG_EEENS0_18inequality_wrapperI22is_equal_div_10_uniqueIxEEEPmJS6_EEE10hipError_tPvRmT3_T4_T5_T6_T7_T9_mT8_P12ihipStream_tbDpT10_ENKUlT_T0_E_clISt17integral_constantIbLb1EES1A_EEDaS15_S16_EUlS15_E_NS1_11comp_targetILNS1_3genE5ELNS1_11target_archE942ELNS1_3gpuE9ELNS1_3repE0EEENS1_30default_config_static_selectorELNS0_4arch9wavefront6targetE1EEEvT1_.has_recursion, 0
	.set _ZN7rocprim17ROCPRIM_400000_NS6detail17trampoline_kernelINS0_14default_configENS1_25partition_config_selectorILNS1_17partition_subalgoE8ExNS0_10empty_typeEbEEZZNS1_14partition_implILS5_8ELb0ES3_jN6thrust23THRUST_200600_302600_NS6detail15normal_iteratorINSA_10device_ptrIxEEEEPS6_PKS6_NS0_5tupleIJSF_S6_EEENSJ_IJSG_SG_EEENS0_18inequality_wrapperI22is_equal_div_10_uniqueIxEEEPmJS6_EEE10hipError_tPvRmT3_T4_T5_T6_T7_T9_mT8_P12ihipStream_tbDpT10_ENKUlT_T0_E_clISt17integral_constantIbLb1EES1A_EEDaS15_S16_EUlS15_E_NS1_11comp_targetILNS1_3genE5ELNS1_11target_archE942ELNS1_3gpuE9ELNS1_3repE0EEENS1_30default_config_static_selectorELNS0_4arch9wavefront6targetE1EEEvT1_.has_indirect_call, 0
	.section	.AMDGPU.csdata,"",@progbits
; Kernel info:
; codeLenInByte = 0
; TotalNumSgprs: 4
; NumVgprs: 0
; ScratchSize: 0
; MemoryBound: 0
; FloatMode: 240
; IeeeMode: 1
; LDSByteSize: 0 bytes/workgroup (compile time only)
; SGPRBlocks: 0
; VGPRBlocks: 0
; NumSGPRsForWavesPerEU: 4
; NumVGPRsForWavesPerEU: 1
; Occupancy: 10
; WaveLimiterHint : 0
; COMPUTE_PGM_RSRC2:SCRATCH_EN: 0
; COMPUTE_PGM_RSRC2:USER_SGPR: 6
; COMPUTE_PGM_RSRC2:TRAP_HANDLER: 0
; COMPUTE_PGM_RSRC2:TGID_X_EN: 1
; COMPUTE_PGM_RSRC2:TGID_Y_EN: 0
; COMPUTE_PGM_RSRC2:TGID_Z_EN: 0
; COMPUTE_PGM_RSRC2:TIDIG_COMP_CNT: 0
	.section	.text._ZN7rocprim17ROCPRIM_400000_NS6detail17trampoline_kernelINS0_14default_configENS1_25partition_config_selectorILNS1_17partition_subalgoE8ExNS0_10empty_typeEbEEZZNS1_14partition_implILS5_8ELb0ES3_jN6thrust23THRUST_200600_302600_NS6detail15normal_iteratorINSA_10device_ptrIxEEEEPS6_PKS6_NS0_5tupleIJSF_S6_EEENSJ_IJSG_SG_EEENS0_18inequality_wrapperI22is_equal_div_10_uniqueIxEEEPmJS6_EEE10hipError_tPvRmT3_T4_T5_T6_T7_T9_mT8_P12ihipStream_tbDpT10_ENKUlT_T0_E_clISt17integral_constantIbLb1EES1A_EEDaS15_S16_EUlS15_E_NS1_11comp_targetILNS1_3genE4ELNS1_11target_archE910ELNS1_3gpuE8ELNS1_3repE0EEENS1_30default_config_static_selectorELNS0_4arch9wavefront6targetE1EEEvT1_,"axG",@progbits,_ZN7rocprim17ROCPRIM_400000_NS6detail17trampoline_kernelINS0_14default_configENS1_25partition_config_selectorILNS1_17partition_subalgoE8ExNS0_10empty_typeEbEEZZNS1_14partition_implILS5_8ELb0ES3_jN6thrust23THRUST_200600_302600_NS6detail15normal_iteratorINSA_10device_ptrIxEEEEPS6_PKS6_NS0_5tupleIJSF_S6_EEENSJ_IJSG_SG_EEENS0_18inequality_wrapperI22is_equal_div_10_uniqueIxEEEPmJS6_EEE10hipError_tPvRmT3_T4_T5_T6_T7_T9_mT8_P12ihipStream_tbDpT10_ENKUlT_T0_E_clISt17integral_constantIbLb1EES1A_EEDaS15_S16_EUlS15_E_NS1_11comp_targetILNS1_3genE4ELNS1_11target_archE910ELNS1_3gpuE8ELNS1_3repE0EEENS1_30default_config_static_selectorELNS0_4arch9wavefront6targetE1EEEvT1_,comdat
	.protected	_ZN7rocprim17ROCPRIM_400000_NS6detail17trampoline_kernelINS0_14default_configENS1_25partition_config_selectorILNS1_17partition_subalgoE8ExNS0_10empty_typeEbEEZZNS1_14partition_implILS5_8ELb0ES3_jN6thrust23THRUST_200600_302600_NS6detail15normal_iteratorINSA_10device_ptrIxEEEEPS6_PKS6_NS0_5tupleIJSF_S6_EEENSJ_IJSG_SG_EEENS0_18inequality_wrapperI22is_equal_div_10_uniqueIxEEEPmJS6_EEE10hipError_tPvRmT3_T4_T5_T6_T7_T9_mT8_P12ihipStream_tbDpT10_ENKUlT_T0_E_clISt17integral_constantIbLb1EES1A_EEDaS15_S16_EUlS15_E_NS1_11comp_targetILNS1_3genE4ELNS1_11target_archE910ELNS1_3gpuE8ELNS1_3repE0EEENS1_30default_config_static_selectorELNS0_4arch9wavefront6targetE1EEEvT1_ ; -- Begin function _ZN7rocprim17ROCPRIM_400000_NS6detail17trampoline_kernelINS0_14default_configENS1_25partition_config_selectorILNS1_17partition_subalgoE8ExNS0_10empty_typeEbEEZZNS1_14partition_implILS5_8ELb0ES3_jN6thrust23THRUST_200600_302600_NS6detail15normal_iteratorINSA_10device_ptrIxEEEEPS6_PKS6_NS0_5tupleIJSF_S6_EEENSJ_IJSG_SG_EEENS0_18inequality_wrapperI22is_equal_div_10_uniqueIxEEEPmJS6_EEE10hipError_tPvRmT3_T4_T5_T6_T7_T9_mT8_P12ihipStream_tbDpT10_ENKUlT_T0_E_clISt17integral_constantIbLb1EES1A_EEDaS15_S16_EUlS15_E_NS1_11comp_targetILNS1_3genE4ELNS1_11target_archE910ELNS1_3gpuE8ELNS1_3repE0EEENS1_30default_config_static_selectorELNS0_4arch9wavefront6targetE1EEEvT1_
	.globl	_ZN7rocprim17ROCPRIM_400000_NS6detail17trampoline_kernelINS0_14default_configENS1_25partition_config_selectorILNS1_17partition_subalgoE8ExNS0_10empty_typeEbEEZZNS1_14partition_implILS5_8ELb0ES3_jN6thrust23THRUST_200600_302600_NS6detail15normal_iteratorINSA_10device_ptrIxEEEEPS6_PKS6_NS0_5tupleIJSF_S6_EEENSJ_IJSG_SG_EEENS0_18inequality_wrapperI22is_equal_div_10_uniqueIxEEEPmJS6_EEE10hipError_tPvRmT3_T4_T5_T6_T7_T9_mT8_P12ihipStream_tbDpT10_ENKUlT_T0_E_clISt17integral_constantIbLb1EES1A_EEDaS15_S16_EUlS15_E_NS1_11comp_targetILNS1_3genE4ELNS1_11target_archE910ELNS1_3gpuE8ELNS1_3repE0EEENS1_30default_config_static_selectorELNS0_4arch9wavefront6targetE1EEEvT1_
	.p2align	8
	.type	_ZN7rocprim17ROCPRIM_400000_NS6detail17trampoline_kernelINS0_14default_configENS1_25partition_config_selectorILNS1_17partition_subalgoE8ExNS0_10empty_typeEbEEZZNS1_14partition_implILS5_8ELb0ES3_jN6thrust23THRUST_200600_302600_NS6detail15normal_iteratorINSA_10device_ptrIxEEEEPS6_PKS6_NS0_5tupleIJSF_S6_EEENSJ_IJSG_SG_EEENS0_18inequality_wrapperI22is_equal_div_10_uniqueIxEEEPmJS6_EEE10hipError_tPvRmT3_T4_T5_T6_T7_T9_mT8_P12ihipStream_tbDpT10_ENKUlT_T0_E_clISt17integral_constantIbLb1EES1A_EEDaS15_S16_EUlS15_E_NS1_11comp_targetILNS1_3genE4ELNS1_11target_archE910ELNS1_3gpuE8ELNS1_3repE0EEENS1_30default_config_static_selectorELNS0_4arch9wavefront6targetE1EEEvT1_,@function
_ZN7rocprim17ROCPRIM_400000_NS6detail17trampoline_kernelINS0_14default_configENS1_25partition_config_selectorILNS1_17partition_subalgoE8ExNS0_10empty_typeEbEEZZNS1_14partition_implILS5_8ELb0ES3_jN6thrust23THRUST_200600_302600_NS6detail15normal_iteratorINSA_10device_ptrIxEEEEPS6_PKS6_NS0_5tupleIJSF_S6_EEENSJ_IJSG_SG_EEENS0_18inequality_wrapperI22is_equal_div_10_uniqueIxEEEPmJS6_EEE10hipError_tPvRmT3_T4_T5_T6_T7_T9_mT8_P12ihipStream_tbDpT10_ENKUlT_T0_E_clISt17integral_constantIbLb1EES1A_EEDaS15_S16_EUlS15_E_NS1_11comp_targetILNS1_3genE4ELNS1_11target_archE910ELNS1_3gpuE8ELNS1_3repE0EEENS1_30default_config_static_selectorELNS0_4arch9wavefront6targetE1EEEvT1_: ; @_ZN7rocprim17ROCPRIM_400000_NS6detail17trampoline_kernelINS0_14default_configENS1_25partition_config_selectorILNS1_17partition_subalgoE8ExNS0_10empty_typeEbEEZZNS1_14partition_implILS5_8ELb0ES3_jN6thrust23THRUST_200600_302600_NS6detail15normal_iteratorINSA_10device_ptrIxEEEEPS6_PKS6_NS0_5tupleIJSF_S6_EEENSJ_IJSG_SG_EEENS0_18inequality_wrapperI22is_equal_div_10_uniqueIxEEEPmJS6_EEE10hipError_tPvRmT3_T4_T5_T6_T7_T9_mT8_P12ihipStream_tbDpT10_ENKUlT_T0_E_clISt17integral_constantIbLb1EES1A_EEDaS15_S16_EUlS15_E_NS1_11comp_targetILNS1_3genE4ELNS1_11target_archE910ELNS1_3gpuE8ELNS1_3repE0EEENS1_30default_config_static_selectorELNS0_4arch9wavefront6targetE1EEEvT1_
; %bb.0:
	.section	.rodata,"a",@progbits
	.p2align	6, 0x0
	.amdhsa_kernel _ZN7rocprim17ROCPRIM_400000_NS6detail17trampoline_kernelINS0_14default_configENS1_25partition_config_selectorILNS1_17partition_subalgoE8ExNS0_10empty_typeEbEEZZNS1_14partition_implILS5_8ELb0ES3_jN6thrust23THRUST_200600_302600_NS6detail15normal_iteratorINSA_10device_ptrIxEEEEPS6_PKS6_NS0_5tupleIJSF_S6_EEENSJ_IJSG_SG_EEENS0_18inequality_wrapperI22is_equal_div_10_uniqueIxEEEPmJS6_EEE10hipError_tPvRmT3_T4_T5_T6_T7_T9_mT8_P12ihipStream_tbDpT10_ENKUlT_T0_E_clISt17integral_constantIbLb1EES1A_EEDaS15_S16_EUlS15_E_NS1_11comp_targetILNS1_3genE4ELNS1_11target_archE910ELNS1_3gpuE8ELNS1_3repE0EEENS1_30default_config_static_selectorELNS0_4arch9wavefront6targetE1EEEvT1_
		.amdhsa_group_segment_fixed_size 0
		.amdhsa_private_segment_fixed_size 0
		.amdhsa_kernarg_size 128
		.amdhsa_user_sgpr_count 6
		.amdhsa_user_sgpr_private_segment_buffer 1
		.amdhsa_user_sgpr_dispatch_ptr 0
		.amdhsa_user_sgpr_queue_ptr 0
		.amdhsa_user_sgpr_kernarg_segment_ptr 1
		.amdhsa_user_sgpr_dispatch_id 0
		.amdhsa_user_sgpr_flat_scratch_init 0
		.amdhsa_user_sgpr_private_segment_size 0
		.amdhsa_uses_dynamic_stack 0
		.amdhsa_system_sgpr_private_segment_wavefront_offset 0
		.amdhsa_system_sgpr_workgroup_id_x 1
		.amdhsa_system_sgpr_workgroup_id_y 0
		.amdhsa_system_sgpr_workgroup_id_z 0
		.amdhsa_system_sgpr_workgroup_info 0
		.amdhsa_system_vgpr_workitem_id 0
		.amdhsa_next_free_vgpr 1
		.amdhsa_next_free_sgpr 0
		.amdhsa_reserve_vcc 0
		.amdhsa_reserve_flat_scratch 0
		.amdhsa_float_round_mode_32 0
		.amdhsa_float_round_mode_16_64 0
		.amdhsa_float_denorm_mode_32 3
		.amdhsa_float_denorm_mode_16_64 3
		.amdhsa_dx10_clamp 1
		.amdhsa_ieee_mode 1
		.amdhsa_fp16_overflow 0
		.amdhsa_exception_fp_ieee_invalid_op 0
		.amdhsa_exception_fp_denorm_src 0
		.amdhsa_exception_fp_ieee_div_zero 0
		.amdhsa_exception_fp_ieee_overflow 0
		.amdhsa_exception_fp_ieee_underflow 0
		.amdhsa_exception_fp_ieee_inexact 0
		.amdhsa_exception_int_div_zero 0
	.end_amdhsa_kernel
	.section	.text._ZN7rocprim17ROCPRIM_400000_NS6detail17trampoline_kernelINS0_14default_configENS1_25partition_config_selectorILNS1_17partition_subalgoE8ExNS0_10empty_typeEbEEZZNS1_14partition_implILS5_8ELb0ES3_jN6thrust23THRUST_200600_302600_NS6detail15normal_iteratorINSA_10device_ptrIxEEEEPS6_PKS6_NS0_5tupleIJSF_S6_EEENSJ_IJSG_SG_EEENS0_18inequality_wrapperI22is_equal_div_10_uniqueIxEEEPmJS6_EEE10hipError_tPvRmT3_T4_T5_T6_T7_T9_mT8_P12ihipStream_tbDpT10_ENKUlT_T0_E_clISt17integral_constantIbLb1EES1A_EEDaS15_S16_EUlS15_E_NS1_11comp_targetILNS1_3genE4ELNS1_11target_archE910ELNS1_3gpuE8ELNS1_3repE0EEENS1_30default_config_static_selectorELNS0_4arch9wavefront6targetE1EEEvT1_,"axG",@progbits,_ZN7rocprim17ROCPRIM_400000_NS6detail17trampoline_kernelINS0_14default_configENS1_25partition_config_selectorILNS1_17partition_subalgoE8ExNS0_10empty_typeEbEEZZNS1_14partition_implILS5_8ELb0ES3_jN6thrust23THRUST_200600_302600_NS6detail15normal_iteratorINSA_10device_ptrIxEEEEPS6_PKS6_NS0_5tupleIJSF_S6_EEENSJ_IJSG_SG_EEENS0_18inequality_wrapperI22is_equal_div_10_uniqueIxEEEPmJS6_EEE10hipError_tPvRmT3_T4_T5_T6_T7_T9_mT8_P12ihipStream_tbDpT10_ENKUlT_T0_E_clISt17integral_constantIbLb1EES1A_EEDaS15_S16_EUlS15_E_NS1_11comp_targetILNS1_3genE4ELNS1_11target_archE910ELNS1_3gpuE8ELNS1_3repE0EEENS1_30default_config_static_selectorELNS0_4arch9wavefront6targetE1EEEvT1_,comdat
.Lfunc_end382:
	.size	_ZN7rocprim17ROCPRIM_400000_NS6detail17trampoline_kernelINS0_14default_configENS1_25partition_config_selectorILNS1_17partition_subalgoE8ExNS0_10empty_typeEbEEZZNS1_14partition_implILS5_8ELb0ES3_jN6thrust23THRUST_200600_302600_NS6detail15normal_iteratorINSA_10device_ptrIxEEEEPS6_PKS6_NS0_5tupleIJSF_S6_EEENSJ_IJSG_SG_EEENS0_18inequality_wrapperI22is_equal_div_10_uniqueIxEEEPmJS6_EEE10hipError_tPvRmT3_T4_T5_T6_T7_T9_mT8_P12ihipStream_tbDpT10_ENKUlT_T0_E_clISt17integral_constantIbLb1EES1A_EEDaS15_S16_EUlS15_E_NS1_11comp_targetILNS1_3genE4ELNS1_11target_archE910ELNS1_3gpuE8ELNS1_3repE0EEENS1_30default_config_static_selectorELNS0_4arch9wavefront6targetE1EEEvT1_, .Lfunc_end382-_ZN7rocprim17ROCPRIM_400000_NS6detail17trampoline_kernelINS0_14default_configENS1_25partition_config_selectorILNS1_17partition_subalgoE8ExNS0_10empty_typeEbEEZZNS1_14partition_implILS5_8ELb0ES3_jN6thrust23THRUST_200600_302600_NS6detail15normal_iteratorINSA_10device_ptrIxEEEEPS6_PKS6_NS0_5tupleIJSF_S6_EEENSJ_IJSG_SG_EEENS0_18inequality_wrapperI22is_equal_div_10_uniqueIxEEEPmJS6_EEE10hipError_tPvRmT3_T4_T5_T6_T7_T9_mT8_P12ihipStream_tbDpT10_ENKUlT_T0_E_clISt17integral_constantIbLb1EES1A_EEDaS15_S16_EUlS15_E_NS1_11comp_targetILNS1_3genE4ELNS1_11target_archE910ELNS1_3gpuE8ELNS1_3repE0EEENS1_30default_config_static_selectorELNS0_4arch9wavefront6targetE1EEEvT1_
                                        ; -- End function
	.set _ZN7rocprim17ROCPRIM_400000_NS6detail17trampoline_kernelINS0_14default_configENS1_25partition_config_selectorILNS1_17partition_subalgoE8ExNS0_10empty_typeEbEEZZNS1_14partition_implILS5_8ELb0ES3_jN6thrust23THRUST_200600_302600_NS6detail15normal_iteratorINSA_10device_ptrIxEEEEPS6_PKS6_NS0_5tupleIJSF_S6_EEENSJ_IJSG_SG_EEENS0_18inequality_wrapperI22is_equal_div_10_uniqueIxEEEPmJS6_EEE10hipError_tPvRmT3_T4_T5_T6_T7_T9_mT8_P12ihipStream_tbDpT10_ENKUlT_T0_E_clISt17integral_constantIbLb1EES1A_EEDaS15_S16_EUlS15_E_NS1_11comp_targetILNS1_3genE4ELNS1_11target_archE910ELNS1_3gpuE8ELNS1_3repE0EEENS1_30default_config_static_selectorELNS0_4arch9wavefront6targetE1EEEvT1_.num_vgpr, 0
	.set _ZN7rocprim17ROCPRIM_400000_NS6detail17trampoline_kernelINS0_14default_configENS1_25partition_config_selectorILNS1_17partition_subalgoE8ExNS0_10empty_typeEbEEZZNS1_14partition_implILS5_8ELb0ES3_jN6thrust23THRUST_200600_302600_NS6detail15normal_iteratorINSA_10device_ptrIxEEEEPS6_PKS6_NS0_5tupleIJSF_S6_EEENSJ_IJSG_SG_EEENS0_18inequality_wrapperI22is_equal_div_10_uniqueIxEEEPmJS6_EEE10hipError_tPvRmT3_T4_T5_T6_T7_T9_mT8_P12ihipStream_tbDpT10_ENKUlT_T0_E_clISt17integral_constantIbLb1EES1A_EEDaS15_S16_EUlS15_E_NS1_11comp_targetILNS1_3genE4ELNS1_11target_archE910ELNS1_3gpuE8ELNS1_3repE0EEENS1_30default_config_static_selectorELNS0_4arch9wavefront6targetE1EEEvT1_.num_agpr, 0
	.set _ZN7rocprim17ROCPRIM_400000_NS6detail17trampoline_kernelINS0_14default_configENS1_25partition_config_selectorILNS1_17partition_subalgoE8ExNS0_10empty_typeEbEEZZNS1_14partition_implILS5_8ELb0ES3_jN6thrust23THRUST_200600_302600_NS6detail15normal_iteratorINSA_10device_ptrIxEEEEPS6_PKS6_NS0_5tupleIJSF_S6_EEENSJ_IJSG_SG_EEENS0_18inequality_wrapperI22is_equal_div_10_uniqueIxEEEPmJS6_EEE10hipError_tPvRmT3_T4_T5_T6_T7_T9_mT8_P12ihipStream_tbDpT10_ENKUlT_T0_E_clISt17integral_constantIbLb1EES1A_EEDaS15_S16_EUlS15_E_NS1_11comp_targetILNS1_3genE4ELNS1_11target_archE910ELNS1_3gpuE8ELNS1_3repE0EEENS1_30default_config_static_selectorELNS0_4arch9wavefront6targetE1EEEvT1_.numbered_sgpr, 0
	.set _ZN7rocprim17ROCPRIM_400000_NS6detail17trampoline_kernelINS0_14default_configENS1_25partition_config_selectorILNS1_17partition_subalgoE8ExNS0_10empty_typeEbEEZZNS1_14partition_implILS5_8ELb0ES3_jN6thrust23THRUST_200600_302600_NS6detail15normal_iteratorINSA_10device_ptrIxEEEEPS6_PKS6_NS0_5tupleIJSF_S6_EEENSJ_IJSG_SG_EEENS0_18inequality_wrapperI22is_equal_div_10_uniqueIxEEEPmJS6_EEE10hipError_tPvRmT3_T4_T5_T6_T7_T9_mT8_P12ihipStream_tbDpT10_ENKUlT_T0_E_clISt17integral_constantIbLb1EES1A_EEDaS15_S16_EUlS15_E_NS1_11comp_targetILNS1_3genE4ELNS1_11target_archE910ELNS1_3gpuE8ELNS1_3repE0EEENS1_30default_config_static_selectorELNS0_4arch9wavefront6targetE1EEEvT1_.num_named_barrier, 0
	.set _ZN7rocprim17ROCPRIM_400000_NS6detail17trampoline_kernelINS0_14default_configENS1_25partition_config_selectorILNS1_17partition_subalgoE8ExNS0_10empty_typeEbEEZZNS1_14partition_implILS5_8ELb0ES3_jN6thrust23THRUST_200600_302600_NS6detail15normal_iteratorINSA_10device_ptrIxEEEEPS6_PKS6_NS0_5tupleIJSF_S6_EEENSJ_IJSG_SG_EEENS0_18inequality_wrapperI22is_equal_div_10_uniqueIxEEEPmJS6_EEE10hipError_tPvRmT3_T4_T5_T6_T7_T9_mT8_P12ihipStream_tbDpT10_ENKUlT_T0_E_clISt17integral_constantIbLb1EES1A_EEDaS15_S16_EUlS15_E_NS1_11comp_targetILNS1_3genE4ELNS1_11target_archE910ELNS1_3gpuE8ELNS1_3repE0EEENS1_30default_config_static_selectorELNS0_4arch9wavefront6targetE1EEEvT1_.private_seg_size, 0
	.set _ZN7rocprim17ROCPRIM_400000_NS6detail17trampoline_kernelINS0_14default_configENS1_25partition_config_selectorILNS1_17partition_subalgoE8ExNS0_10empty_typeEbEEZZNS1_14partition_implILS5_8ELb0ES3_jN6thrust23THRUST_200600_302600_NS6detail15normal_iteratorINSA_10device_ptrIxEEEEPS6_PKS6_NS0_5tupleIJSF_S6_EEENSJ_IJSG_SG_EEENS0_18inequality_wrapperI22is_equal_div_10_uniqueIxEEEPmJS6_EEE10hipError_tPvRmT3_T4_T5_T6_T7_T9_mT8_P12ihipStream_tbDpT10_ENKUlT_T0_E_clISt17integral_constantIbLb1EES1A_EEDaS15_S16_EUlS15_E_NS1_11comp_targetILNS1_3genE4ELNS1_11target_archE910ELNS1_3gpuE8ELNS1_3repE0EEENS1_30default_config_static_selectorELNS0_4arch9wavefront6targetE1EEEvT1_.uses_vcc, 0
	.set _ZN7rocprim17ROCPRIM_400000_NS6detail17trampoline_kernelINS0_14default_configENS1_25partition_config_selectorILNS1_17partition_subalgoE8ExNS0_10empty_typeEbEEZZNS1_14partition_implILS5_8ELb0ES3_jN6thrust23THRUST_200600_302600_NS6detail15normal_iteratorINSA_10device_ptrIxEEEEPS6_PKS6_NS0_5tupleIJSF_S6_EEENSJ_IJSG_SG_EEENS0_18inequality_wrapperI22is_equal_div_10_uniqueIxEEEPmJS6_EEE10hipError_tPvRmT3_T4_T5_T6_T7_T9_mT8_P12ihipStream_tbDpT10_ENKUlT_T0_E_clISt17integral_constantIbLb1EES1A_EEDaS15_S16_EUlS15_E_NS1_11comp_targetILNS1_3genE4ELNS1_11target_archE910ELNS1_3gpuE8ELNS1_3repE0EEENS1_30default_config_static_selectorELNS0_4arch9wavefront6targetE1EEEvT1_.uses_flat_scratch, 0
	.set _ZN7rocprim17ROCPRIM_400000_NS6detail17trampoline_kernelINS0_14default_configENS1_25partition_config_selectorILNS1_17partition_subalgoE8ExNS0_10empty_typeEbEEZZNS1_14partition_implILS5_8ELb0ES3_jN6thrust23THRUST_200600_302600_NS6detail15normal_iteratorINSA_10device_ptrIxEEEEPS6_PKS6_NS0_5tupleIJSF_S6_EEENSJ_IJSG_SG_EEENS0_18inequality_wrapperI22is_equal_div_10_uniqueIxEEEPmJS6_EEE10hipError_tPvRmT3_T4_T5_T6_T7_T9_mT8_P12ihipStream_tbDpT10_ENKUlT_T0_E_clISt17integral_constantIbLb1EES1A_EEDaS15_S16_EUlS15_E_NS1_11comp_targetILNS1_3genE4ELNS1_11target_archE910ELNS1_3gpuE8ELNS1_3repE0EEENS1_30default_config_static_selectorELNS0_4arch9wavefront6targetE1EEEvT1_.has_dyn_sized_stack, 0
	.set _ZN7rocprim17ROCPRIM_400000_NS6detail17trampoline_kernelINS0_14default_configENS1_25partition_config_selectorILNS1_17partition_subalgoE8ExNS0_10empty_typeEbEEZZNS1_14partition_implILS5_8ELb0ES3_jN6thrust23THRUST_200600_302600_NS6detail15normal_iteratorINSA_10device_ptrIxEEEEPS6_PKS6_NS0_5tupleIJSF_S6_EEENSJ_IJSG_SG_EEENS0_18inequality_wrapperI22is_equal_div_10_uniqueIxEEEPmJS6_EEE10hipError_tPvRmT3_T4_T5_T6_T7_T9_mT8_P12ihipStream_tbDpT10_ENKUlT_T0_E_clISt17integral_constantIbLb1EES1A_EEDaS15_S16_EUlS15_E_NS1_11comp_targetILNS1_3genE4ELNS1_11target_archE910ELNS1_3gpuE8ELNS1_3repE0EEENS1_30default_config_static_selectorELNS0_4arch9wavefront6targetE1EEEvT1_.has_recursion, 0
	.set _ZN7rocprim17ROCPRIM_400000_NS6detail17trampoline_kernelINS0_14default_configENS1_25partition_config_selectorILNS1_17partition_subalgoE8ExNS0_10empty_typeEbEEZZNS1_14partition_implILS5_8ELb0ES3_jN6thrust23THRUST_200600_302600_NS6detail15normal_iteratorINSA_10device_ptrIxEEEEPS6_PKS6_NS0_5tupleIJSF_S6_EEENSJ_IJSG_SG_EEENS0_18inequality_wrapperI22is_equal_div_10_uniqueIxEEEPmJS6_EEE10hipError_tPvRmT3_T4_T5_T6_T7_T9_mT8_P12ihipStream_tbDpT10_ENKUlT_T0_E_clISt17integral_constantIbLb1EES1A_EEDaS15_S16_EUlS15_E_NS1_11comp_targetILNS1_3genE4ELNS1_11target_archE910ELNS1_3gpuE8ELNS1_3repE0EEENS1_30default_config_static_selectorELNS0_4arch9wavefront6targetE1EEEvT1_.has_indirect_call, 0
	.section	.AMDGPU.csdata,"",@progbits
; Kernel info:
; codeLenInByte = 0
; TotalNumSgprs: 4
; NumVgprs: 0
; ScratchSize: 0
; MemoryBound: 0
; FloatMode: 240
; IeeeMode: 1
; LDSByteSize: 0 bytes/workgroup (compile time only)
; SGPRBlocks: 0
; VGPRBlocks: 0
; NumSGPRsForWavesPerEU: 4
; NumVGPRsForWavesPerEU: 1
; Occupancy: 10
; WaveLimiterHint : 0
; COMPUTE_PGM_RSRC2:SCRATCH_EN: 0
; COMPUTE_PGM_RSRC2:USER_SGPR: 6
; COMPUTE_PGM_RSRC2:TRAP_HANDLER: 0
; COMPUTE_PGM_RSRC2:TGID_X_EN: 1
; COMPUTE_PGM_RSRC2:TGID_Y_EN: 0
; COMPUTE_PGM_RSRC2:TGID_Z_EN: 0
; COMPUTE_PGM_RSRC2:TIDIG_COMP_CNT: 0
	.section	.text._ZN7rocprim17ROCPRIM_400000_NS6detail17trampoline_kernelINS0_14default_configENS1_25partition_config_selectorILNS1_17partition_subalgoE8ExNS0_10empty_typeEbEEZZNS1_14partition_implILS5_8ELb0ES3_jN6thrust23THRUST_200600_302600_NS6detail15normal_iteratorINSA_10device_ptrIxEEEEPS6_PKS6_NS0_5tupleIJSF_S6_EEENSJ_IJSG_SG_EEENS0_18inequality_wrapperI22is_equal_div_10_uniqueIxEEEPmJS6_EEE10hipError_tPvRmT3_T4_T5_T6_T7_T9_mT8_P12ihipStream_tbDpT10_ENKUlT_T0_E_clISt17integral_constantIbLb1EES1A_EEDaS15_S16_EUlS15_E_NS1_11comp_targetILNS1_3genE3ELNS1_11target_archE908ELNS1_3gpuE7ELNS1_3repE0EEENS1_30default_config_static_selectorELNS0_4arch9wavefront6targetE1EEEvT1_,"axG",@progbits,_ZN7rocprim17ROCPRIM_400000_NS6detail17trampoline_kernelINS0_14default_configENS1_25partition_config_selectorILNS1_17partition_subalgoE8ExNS0_10empty_typeEbEEZZNS1_14partition_implILS5_8ELb0ES3_jN6thrust23THRUST_200600_302600_NS6detail15normal_iteratorINSA_10device_ptrIxEEEEPS6_PKS6_NS0_5tupleIJSF_S6_EEENSJ_IJSG_SG_EEENS0_18inequality_wrapperI22is_equal_div_10_uniqueIxEEEPmJS6_EEE10hipError_tPvRmT3_T4_T5_T6_T7_T9_mT8_P12ihipStream_tbDpT10_ENKUlT_T0_E_clISt17integral_constantIbLb1EES1A_EEDaS15_S16_EUlS15_E_NS1_11comp_targetILNS1_3genE3ELNS1_11target_archE908ELNS1_3gpuE7ELNS1_3repE0EEENS1_30default_config_static_selectorELNS0_4arch9wavefront6targetE1EEEvT1_,comdat
	.protected	_ZN7rocprim17ROCPRIM_400000_NS6detail17trampoline_kernelINS0_14default_configENS1_25partition_config_selectorILNS1_17partition_subalgoE8ExNS0_10empty_typeEbEEZZNS1_14partition_implILS5_8ELb0ES3_jN6thrust23THRUST_200600_302600_NS6detail15normal_iteratorINSA_10device_ptrIxEEEEPS6_PKS6_NS0_5tupleIJSF_S6_EEENSJ_IJSG_SG_EEENS0_18inequality_wrapperI22is_equal_div_10_uniqueIxEEEPmJS6_EEE10hipError_tPvRmT3_T4_T5_T6_T7_T9_mT8_P12ihipStream_tbDpT10_ENKUlT_T0_E_clISt17integral_constantIbLb1EES1A_EEDaS15_S16_EUlS15_E_NS1_11comp_targetILNS1_3genE3ELNS1_11target_archE908ELNS1_3gpuE7ELNS1_3repE0EEENS1_30default_config_static_selectorELNS0_4arch9wavefront6targetE1EEEvT1_ ; -- Begin function _ZN7rocprim17ROCPRIM_400000_NS6detail17trampoline_kernelINS0_14default_configENS1_25partition_config_selectorILNS1_17partition_subalgoE8ExNS0_10empty_typeEbEEZZNS1_14partition_implILS5_8ELb0ES3_jN6thrust23THRUST_200600_302600_NS6detail15normal_iteratorINSA_10device_ptrIxEEEEPS6_PKS6_NS0_5tupleIJSF_S6_EEENSJ_IJSG_SG_EEENS0_18inequality_wrapperI22is_equal_div_10_uniqueIxEEEPmJS6_EEE10hipError_tPvRmT3_T4_T5_T6_T7_T9_mT8_P12ihipStream_tbDpT10_ENKUlT_T0_E_clISt17integral_constantIbLb1EES1A_EEDaS15_S16_EUlS15_E_NS1_11comp_targetILNS1_3genE3ELNS1_11target_archE908ELNS1_3gpuE7ELNS1_3repE0EEENS1_30default_config_static_selectorELNS0_4arch9wavefront6targetE1EEEvT1_
	.globl	_ZN7rocprim17ROCPRIM_400000_NS6detail17trampoline_kernelINS0_14default_configENS1_25partition_config_selectorILNS1_17partition_subalgoE8ExNS0_10empty_typeEbEEZZNS1_14partition_implILS5_8ELb0ES3_jN6thrust23THRUST_200600_302600_NS6detail15normal_iteratorINSA_10device_ptrIxEEEEPS6_PKS6_NS0_5tupleIJSF_S6_EEENSJ_IJSG_SG_EEENS0_18inequality_wrapperI22is_equal_div_10_uniqueIxEEEPmJS6_EEE10hipError_tPvRmT3_T4_T5_T6_T7_T9_mT8_P12ihipStream_tbDpT10_ENKUlT_T0_E_clISt17integral_constantIbLb1EES1A_EEDaS15_S16_EUlS15_E_NS1_11comp_targetILNS1_3genE3ELNS1_11target_archE908ELNS1_3gpuE7ELNS1_3repE0EEENS1_30default_config_static_selectorELNS0_4arch9wavefront6targetE1EEEvT1_
	.p2align	8
	.type	_ZN7rocprim17ROCPRIM_400000_NS6detail17trampoline_kernelINS0_14default_configENS1_25partition_config_selectorILNS1_17partition_subalgoE8ExNS0_10empty_typeEbEEZZNS1_14partition_implILS5_8ELb0ES3_jN6thrust23THRUST_200600_302600_NS6detail15normal_iteratorINSA_10device_ptrIxEEEEPS6_PKS6_NS0_5tupleIJSF_S6_EEENSJ_IJSG_SG_EEENS0_18inequality_wrapperI22is_equal_div_10_uniqueIxEEEPmJS6_EEE10hipError_tPvRmT3_T4_T5_T6_T7_T9_mT8_P12ihipStream_tbDpT10_ENKUlT_T0_E_clISt17integral_constantIbLb1EES1A_EEDaS15_S16_EUlS15_E_NS1_11comp_targetILNS1_3genE3ELNS1_11target_archE908ELNS1_3gpuE7ELNS1_3repE0EEENS1_30default_config_static_selectorELNS0_4arch9wavefront6targetE1EEEvT1_,@function
_ZN7rocprim17ROCPRIM_400000_NS6detail17trampoline_kernelINS0_14default_configENS1_25partition_config_selectorILNS1_17partition_subalgoE8ExNS0_10empty_typeEbEEZZNS1_14partition_implILS5_8ELb0ES3_jN6thrust23THRUST_200600_302600_NS6detail15normal_iteratorINSA_10device_ptrIxEEEEPS6_PKS6_NS0_5tupleIJSF_S6_EEENSJ_IJSG_SG_EEENS0_18inequality_wrapperI22is_equal_div_10_uniqueIxEEEPmJS6_EEE10hipError_tPvRmT3_T4_T5_T6_T7_T9_mT8_P12ihipStream_tbDpT10_ENKUlT_T0_E_clISt17integral_constantIbLb1EES1A_EEDaS15_S16_EUlS15_E_NS1_11comp_targetILNS1_3genE3ELNS1_11target_archE908ELNS1_3gpuE7ELNS1_3repE0EEENS1_30default_config_static_selectorELNS0_4arch9wavefront6targetE1EEEvT1_: ; @_ZN7rocprim17ROCPRIM_400000_NS6detail17trampoline_kernelINS0_14default_configENS1_25partition_config_selectorILNS1_17partition_subalgoE8ExNS0_10empty_typeEbEEZZNS1_14partition_implILS5_8ELb0ES3_jN6thrust23THRUST_200600_302600_NS6detail15normal_iteratorINSA_10device_ptrIxEEEEPS6_PKS6_NS0_5tupleIJSF_S6_EEENSJ_IJSG_SG_EEENS0_18inequality_wrapperI22is_equal_div_10_uniqueIxEEEPmJS6_EEE10hipError_tPvRmT3_T4_T5_T6_T7_T9_mT8_P12ihipStream_tbDpT10_ENKUlT_T0_E_clISt17integral_constantIbLb1EES1A_EEDaS15_S16_EUlS15_E_NS1_11comp_targetILNS1_3genE3ELNS1_11target_archE908ELNS1_3gpuE7ELNS1_3repE0EEENS1_30default_config_static_selectorELNS0_4arch9wavefront6targetE1EEEvT1_
; %bb.0:
	.section	.rodata,"a",@progbits
	.p2align	6, 0x0
	.amdhsa_kernel _ZN7rocprim17ROCPRIM_400000_NS6detail17trampoline_kernelINS0_14default_configENS1_25partition_config_selectorILNS1_17partition_subalgoE8ExNS0_10empty_typeEbEEZZNS1_14partition_implILS5_8ELb0ES3_jN6thrust23THRUST_200600_302600_NS6detail15normal_iteratorINSA_10device_ptrIxEEEEPS6_PKS6_NS0_5tupleIJSF_S6_EEENSJ_IJSG_SG_EEENS0_18inequality_wrapperI22is_equal_div_10_uniqueIxEEEPmJS6_EEE10hipError_tPvRmT3_T4_T5_T6_T7_T9_mT8_P12ihipStream_tbDpT10_ENKUlT_T0_E_clISt17integral_constantIbLb1EES1A_EEDaS15_S16_EUlS15_E_NS1_11comp_targetILNS1_3genE3ELNS1_11target_archE908ELNS1_3gpuE7ELNS1_3repE0EEENS1_30default_config_static_selectorELNS0_4arch9wavefront6targetE1EEEvT1_
		.amdhsa_group_segment_fixed_size 0
		.amdhsa_private_segment_fixed_size 0
		.amdhsa_kernarg_size 128
		.amdhsa_user_sgpr_count 6
		.amdhsa_user_sgpr_private_segment_buffer 1
		.amdhsa_user_sgpr_dispatch_ptr 0
		.amdhsa_user_sgpr_queue_ptr 0
		.amdhsa_user_sgpr_kernarg_segment_ptr 1
		.amdhsa_user_sgpr_dispatch_id 0
		.amdhsa_user_sgpr_flat_scratch_init 0
		.amdhsa_user_sgpr_private_segment_size 0
		.amdhsa_uses_dynamic_stack 0
		.amdhsa_system_sgpr_private_segment_wavefront_offset 0
		.amdhsa_system_sgpr_workgroup_id_x 1
		.amdhsa_system_sgpr_workgroup_id_y 0
		.amdhsa_system_sgpr_workgroup_id_z 0
		.amdhsa_system_sgpr_workgroup_info 0
		.amdhsa_system_vgpr_workitem_id 0
		.amdhsa_next_free_vgpr 1
		.amdhsa_next_free_sgpr 0
		.amdhsa_reserve_vcc 0
		.amdhsa_reserve_flat_scratch 0
		.amdhsa_float_round_mode_32 0
		.amdhsa_float_round_mode_16_64 0
		.amdhsa_float_denorm_mode_32 3
		.amdhsa_float_denorm_mode_16_64 3
		.amdhsa_dx10_clamp 1
		.amdhsa_ieee_mode 1
		.amdhsa_fp16_overflow 0
		.amdhsa_exception_fp_ieee_invalid_op 0
		.amdhsa_exception_fp_denorm_src 0
		.amdhsa_exception_fp_ieee_div_zero 0
		.amdhsa_exception_fp_ieee_overflow 0
		.amdhsa_exception_fp_ieee_underflow 0
		.amdhsa_exception_fp_ieee_inexact 0
		.amdhsa_exception_int_div_zero 0
	.end_amdhsa_kernel
	.section	.text._ZN7rocprim17ROCPRIM_400000_NS6detail17trampoline_kernelINS0_14default_configENS1_25partition_config_selectorILNS1_17partition_subalgoE8ExNS0_10empty_typeEbEEZZNS1_14partition_implILS5_8ELb0ES3_jN6thrust23THRUST_200600_302600_NS6detail15normal_iteratorINSA_10device_ptrIxEEEEPS6_PKS6_NS0_5tupleIJSF_S6_EEENSJ_IJSG_SG_EEENS0_18inequality_wrapperI22is_equal_div_10_uniqueIxEEEPmJS6_EEE10hipError_tPvRmT3_T4_T5_T6_T7_T9_mT8_P12ihipStream_tbDpT10_ENKUlT_T0_E_clISt17integral_constantIbLb1EES1A_EEDaS15_S16_EUlS15_E_NS1_11comp_targetILNS1_3genE3ELNS1_11target_archE908ELNS1_3gpuE7ELNS1_3repE0EEENS1_30default_config_static_selectorELNS0_4arch9wavefront6targetE1EEEvT1_,"axG",@progbits,_ZN7rocprim17ROCPRIM_400000_NS6detail17trampoline_kernelINS0_14default_configENS1_25partition_config_selectorILNS1_17partition_subalgoE8ExNS0_10empty_typeEbEEZZNS1_14partition_implILS5_8ELb0ES3_jN6thrust23THRUST_200600_302600_NS6detail15normal_iteratorINSA_10device_ptrIxEEEEPS6_PKS6_NS0_5tupleIJSF_S6_EEENSJ_IJSG_SG_EEENS0_18inequality_wrapperI22is_equal_div_10_uniqueIxEEEPmJS6_EEE10hipError_tPvRmT3_T4_T5_T6_T7_T9_mT8_P12ihipStream_tbDpT10_ENKUlT_T0_E_clISt17integral_constantIbLb1EES1A_EEDaS15_S16_EUlS15_E_NS1_11comp_targetILNS1_3genE3ELNS1_11target_archE908ELNS1_3gpuE7ELNS1_3repE0EEENS1_30default_config_static_selectorELNS0_4arch9wavefront6targetE1EEEvT1_,comdat
.Lfunc_end383:
	.size	_ZN7rocprim17ROCPRIM_400000_NS6detail17trampoline_kernelINS0_14default_configENS1_25partition_config_selectorILNS1_17partition_subalgoE8ExNS0_10empty_typeEbEEZZNS1_14partition_implILS5_8ELb0ES3_jN6thrust23THRUST_200600_302600_NS6detail15normal_iteratorINSA_10device_ptrIxEEEEPS6_PKS6_NS0_5tupleIJSF_S6_EEENSJ_IJSG_SG_EEENS0_18inequality_wrapperI22is_equal_div_10_uniqueIxEEEPmJS6_EEE10hipError_tPvRmT3_T4_T5_T6_T7_T9_mT8_P12ihipStream_tbDpT10_ENKUlT_T0_E_clISt17integral_constantIbLb1EES1A_EEDaS15_S16_EUlS15_E_NS1_11comp_targetILNS1_3genE3ELNS1_11target_archE908ELNS1_3gpuE7ELNS1_3repE0EEENS1_30default_config_static_selectorELNS0_4arch9wavefront6targetE1EEEvT1_, .Lfunc_end383-_ZN7rocprim17ROCPRIM_400000_NS6detail17trampoline_kernelINS0_14default_configENS1_25partition_config_selectorILNS1_17partition_subalgoE8ExNS0_10empty_typeEbEEZZNS1_14partition_implILS5_8ELb0ES3_jN6thrust23THRUST_200600_302600_NS6detail15normal_iteratorINSA_10device_ptrIxEEEEPS6_PKS6_NS0_5tupleIJSF_S6_EEENSJ_IJSG_SG_EEENS0_18inequality_wrapperI22is_equal_div_10_uniqueIxEEEPmJS6_EEE10hipError_tPvRmT3_T4_T5_T6_T7_T9_mT8_P12ihipStream_tbDpT10_ENKUlT_T0_E_clISt17integral_constantIbLb1EES1A_EEDaS15_S16_EUlS15_E_NS1_11comp_targetILNS1_3genE3ELNS1_11target_archE908ELNS1_3gpuE7ELNS1_3repE0EEENS1_30default_config_static_selectorELNS0_4arch9wavefront6targetE1EEEvT1_
                                        ; -- End function
	.set _ZN7rocprim17ROCPRIM_400000_NS6detail17trampoline_kernelINS0_14default_configENS1_25partition_config_selectorILNS1_17partition_subalgoE8ExNS0_10empty_typeEbEEZZNS1_14partition_implILS5_8ELb0ES3_jN6thrust23THRUST_200600_302600_NS6detail15normal_iteratorINSA_10device_ptrIxEEEEPS6_PKS6_NS0_5tupleIJSF_S6_EEENSJ_IJSG_SG_EEENS0_18inequality_wrapperI22is_equal_div_10_uniqueIxEEEPmJS6_EEE10hipError_tPvRmT3_T4_T5_T6_T7_T9_mT8_P12ihipStream_tbDpT10_ENKUlT_T0_E_clISt17integral_constantIbLb1EES1A_EEDaS15_S16_EUlS15_E_NS1_11comp_targetILNS1_3genE3ELNS1_11target_archE908ELNS1_3gpuE7ELNS1_3repE0EEENS1_30default_config_static_selectorELNS0_4arch9wavefront6targetE1EEEvT1_.num_vgpr, 0
	.set _ZN7rocprim17ROCPRIM_400000_NS6detail17trampoline_kernelINS0_14default_configENS1_25partition_config_selectorILNS1_17partition_subalgoE8ExNS0_10empty_typeEbEEZZNS1_14partition_implILS5_8ELb0ES3_jN6thrust23THRUST_200600_302600_NS6detail15normal_iteratorINSA_10device_ptrIxEEEEPS6_PKS6_NS0_5tupleIJSF_S6_EEENSJ_IJSG_SG_EEENS0_18inequality_wrapperI22is_equal_div_10_uniqueIxEEEPmJS6_EEE10hipError_tPvRmT3_T4_T5_T6_T7_T9_mT8_P12ihipStream_tbDpT10_ENKUlT_T0_E_clISt17integral_constantIbLb1EES1A_EEDaS15_S16_EUlS15_E_NS1_11comp_targetILNS1_3genE3ELNS1_11target_archE908ELNS1_3gpuE7ELNS1_3repE0EEENS1_30default_config_static_selectorELNS0_4arch9wavefront6targetE1EEEvT1_.num_agpr, 0
	.set _ZN7rocprim17ROCPRIM_400000_NS6detail17trampoline_kernelINS0_14default_configENS1_25partition_config_selectorILNS1_17partition_subalgoE8ExNS0_10empty_typeEbEEZZNS1_14partition_implILS5_8ELb0ES3_jN6thrust23THRUST_200600_302600_NS6detail15normal_iteratorINSA_10device_ptrIxEEEEPS6_PKS6_NS0_5tupleIJSF_S6_EEENSJ_IJSG_SG_EEENS0_18inequality_wrapperI22is_equal_div_10_uniqueIxEEEPmJS6_EEE10hipError_tPvRmT3_T4_T5_T6_T7_T9_mT8_P12ihipStream_tbDpT10_ENKUlT_T0_E_clISt17integral_constantIbLb1EES1A_EEDaS15_S16_EUlS15_E_NS1_11comp_targetILNS1_3genE3ELNS1_11target_archE908ELNS1_3gpuE7ELNS1_3repE0EEENS1_30default_config_static_selectorELNS0_4arch9wavefront6targetE1EEEvT1_.numbered_sgpr, 0
	.set _ZN7rocprim17ROCPRIM_400000_NS6detail17trampoline_kernelINS0_14default_configENS1_25partition_config_selectorILNS1_17partition_subalgoE8ExNS0_10empty_typeEbEEZZNS1_14partition_implILS5_8ELb0ES3_jN6thrust23THRUST_200600_302600_NS6detail15normal_iteratorINSA_10device_ptrIxEEEEPS6_PKS6_NS0_5tupleIJSF_S6_EEENSJ_IJSG_SG_EEENS0_18inequality_wrapperI22is_equal_div_10_uniqueIxEEEPmJS6_EEE10hipError_tPvRmT3_T4_T5_T6_T7_T9_mT8_P12ihipStream_tbDpT10_ENKUlT_T0_E_clISt17integral_constantIbLb1EES1A_EEDaS15_S16_EUlS15_E_NS1_11comp_targetILNS1_3genE3ELNS1_11target_archE908ELNS1_3gpuE7ELNS1_3repE0EEENS1_30default_config_static_selectorELNS0_4arch9wavefront6targetE1EEEvT1_.num_named_barrier, 0
	.set _ZN7rocprim17ROCPRIM_400000_NS6detail17trampoline_kernelINS0_14default_configENS1_25partition_config_selectorILNS1_17partition_subalgoE8ExNS0_10empty_typeEbEEZZNS1_14partition_implILS5_8ELb0ES3_jN6thrust23THRUST_200600_302600_NS6detail15normal_iteratorINSA_10device_ptrIxEEEEPS6_PKS6_NS0_5tupleIJSF_S6_EEENSJ_IJSG_SG_EEENS0_18inequality_wrapperI22is_equal_div_10_uniqueIxEEEPmJS6_EEE10hipError_tPvRmT3_T4_T5_T6_T7_T9_mT8_P12ihipStream_tbDpT10_ENKUlT_T0_E_clISt17integral_constantIbLb1EES1A_EEDaS15_S16_EUlS15_E_NS1_11comp_targetILNS1_3genE3ELNS1_11target_archE908ELNS1_3gpuE7ELNS1_3repE0EEENS1_30default_config_static_selectorELNS0_4arch9wavefront6targetE1EEEvT1_.private_seg_size, 0
	.set _ZN7rocprim17ROCPRIM_400000_NS6detail17trampoline_kernelINS0_14default_configENS1_25partition_config_selectorILNS1_17partition_subalgoE8ExNS0_10empty_typeEbEEZZNS1_14partition_implILS5_8ELb0ES3_jN6thrust23THRUST_200600_302600_NS6detail15normal_iteratorINSA_10device_ptrIxEEEEPS6_PKS6_NS0_5tupleIJSF_S6_EEENSJ_IJSG_SG_EEENS0_18inequality_wrapperI22is_equal_div_10_uniqueIxEEEPmJS6_EEE10hipError_tPvRmT3_T4_T5_T6_T7_T9_mT8_P12ihipStream_tbDpT10_ENKUlT_T0_E_clISt17integral_constantIbLb1EES1A_EEDaS15_S16_EUlS15_E_NS1_11comp_targetILNS1_3genE3ELNS1_11target_archE908ELNS1_3gpuE7ELNS1_3repE0EEENS1_30default_config_static_selectorELNS0_4arch9wavefront6targetE1EEEvT1_.uses_vcc, 0
	.set _ZN7rocprim17ROCPRIM_400000_NS6detail17trampoline_kernelINS0_14default_configENS1_25partition_config_selectorILNS1_17partition_subalgoE8ExNS0_10empty_typeEbEEZZNS1_14partition_implILS5_8ELb0ES3_jN6thrust23THRUST_200600_302600_NS6detail15normal_iteratorINSA_10device_ptrIxEEEEPS6_PKS6_NS0_5tupleIJSF_S6_EEENSJ_IJSG_SG_EEENS0_18inequality_wrapperI22is_equal_div_10_uniqueIxEEEPmJS6_EEE10hipError_tPvRmT3_T4_T5_T6_T7_T9_mT8_P12ihipStream_tbDpT10_ENKUlT_T0_E_clISt17integral_constantIbLb1EES1A_EEDaS15_S16_EUlS15_E_NS1_11comp_targetILNS1_3genE3ELNS1_11target_archE908ELNS1_3gpuE7ELNS1_3repE0EEENS1_30default_config_static_selectorELNS0_4arch9wavefront6targetE1EEEvT1_.uses_flat_scratch, 0
	.set _ZN7rocprim17ROCPRIM_400000_NS6detail17trampoline_kernelINS0_14default_configENS1_25partition_config_selectorILNS1_17partition_subalgoE8ExNS0_10empty_typeEbEEZZNS1_14partition_implILS5_8ELb0ES3_jN6thrust23THRUST_200600_302600_NS6detail15normal_iteratorINSA_10device_ptrIxEEEEPS6_PKS6_NS0_5tupleIJSF_S6_EEENSJ_IJSG_SG_EEENS0_18inequality_wrapperI22is_equal_div_10_uniqueIxEEEPmJS6_EEE10hipError_tPvRmT3_T4_T5_T6_T7_T9_mT8_P12ihipStream_tbDpT10_ENKUlT_T0_E_clISt17integral_constantIbLb1EES1A_EEDaS15_S16_EUlS15_E_NS1_11comp_targetILNS1_3genE3ELNS1_11target_archE908ELNS1_3gpuE7ELNS1_3repE0EEENS1_30default_config_static_selectorELNS0_4arch9wavefront6targetE1EEEvT1_.has_dyn_sized_stack, 0
	.set _ZN7rocprim17ROCPRIM_400000_NS6detail17trampoline_kernelINS0_14default_configENS1_25partition_config_selectorILNS1_17partition_subalgoE8ExNS0_10empty_typeEbEEZZNS1_14partition_implILS5_8ELb0ES3_jN6thrust23THRUST_200600_302600_NS6detail15normal_iteratorINSA_10device_ptrIxEEEEPS6_PKS6_NS0_5tupleIJSF_S6_EEENSJ_IJSG_SG_EEENS0_18inequality_wrapperI22is_equal_div_10_uniqueIxEEEPmJS6_EEE10hipError_tPvRmT3_T4_T5_T6_T7_T9_mT8_P12ihipStream_tbDpT10_ENKUlT_T0_E_clISt17integral_constantIbLb1EES1A_EEDaS15_S16_EUlS15_E_NS1_11comp_targetILNS1_3genE3ELNS1_11target_archE908ELNS1_3gpuE7ELNS1_3repE0EEENS1_30default_config_static_selectorELNS0_4arch9wavefront6targetE1EEEvT1_.has_recursion, 0
	.set _ZN7rocprim17ROCPRIM_400000_NS6detail17trampoline_kernelINS0_14default_configENS1_25partition_config_selectorILNS1_17partition_subalgoE8ExNS0_10empty_typeEbEEZZNS1_14partition_implILS5_8ELb0ES3_jN6thrust23THRUST_200600_302600_NS6detail15normal_iteratorINSA_10device_ptrIxEEEEPS6_PKS6_NS0_5tupleIJSF_S6_EEENSJ_IJSG_SG_EEENS0_18inequality_wrapperI22is_equal_div_10_uniqueIxEEEPmJS6_EEE10hipError_tPvRmT3_T4_T5_T6_T7_T9_mT8_P12ihipStream_tbDpT10_ENKUlT_T0_E_clISt17integral_constantIbLb1EES1A_EEDaS15_S16_EUlS15_E_NS1_11comp_targetILNS1_3genE3ELNS1_11target_archE908ELNS1_3gpuE7ELNS1_3repE0EEENS1_30default_config_static_selectorELNS0_4arch9wavefront6targetE1EEEvT1_.has_indirect_call, 0
	.section	.AMDGPU.csdata,"",@progbits
; Kernel info:
; codeLenInByte = 0
; TotalNumSgprs: 4
; NumVgprs: 0
; ScratchSize: 0
; MemoryBound: 0
; FloatMode: 240
; IeeeMode: 1
; LDSByteSize: 0 bytes/workgroup (compile time only)
; SGPRBlocks: 0
; VGPRBlocks: 0
; NumSGPRsForWavesPerEU: 4
; NumVGPRsForWavesPerEU: 1
; Occupancy: 10
; WaveLimiterHint : 0
; COMPUTE_PGM_RSRC2:SCRATCH_EN: 0
; COMPUTE_PGM_RSRC2:USER_SGPR: 6
; COMPUTE_PGM_RSRC2:TRAP_HANDLER: 0
; COMPUTE_PGM_RSRC2:TGID_X_EN: 1
; COMPUTE_PGM_RSRC2:TGID_Y_EN: 0
; COMPUTE_PGM_RSRC2:TGID_Z_EN: 0
; COMPUTE_PGM_RSRC2:TIDIG_COMP_CNT: 0
	.section	.text._ZN7rocprim17ROCPRIM_400000_NS6detail17trampoline_kernelINS0_14default_configENS1_25partition_config_selectorILNS1_17partition_subalgoE8ExNS0_10empty_typeEbEEZZNS1_14partition_implILS5_8ELb0ES3_jN6thrust23THRUST_200600_302600_NS6detail15normal_iteratorINSA_10device_ptrIxEEEEPS6_PKS6_NS0_5tupleIJSF_S6_EEENSJ_IJSG_SG_EEENS0_18inequality_wrapperI22is_equal_div_10_uniqueIxEEEPmJS6_EEE10hipError_tPvRmT3_T4_T5_T6_T7_T9_mT8_P12ihipStream_tbDpT10_ENKUlT_T0_E_clISt17integral_constantIbLb1EES1A_EEDaS15_S16_EUlS15_E_NS1_11comp_targetILNS1_3genE2ELNS1_11target_archE906ELNS1_3gpuE6ELNS1_3repE0EEENS1_30default_config_static_selectorELNS0_4arch9wavefront6targetE1EEEvT1_,"axG",@progbits,_ZN7rocprim17ROCPRIM_400000_NS6detail17trampoline_kernelINS0_14default_configENS1_25partition_config_selectorILNS1_17partition_subalgoE8ExNS0_10empty_typeEbEEZZNS1_14partition_implILS5_8ELb0ES3_jN6thrust23THRUST_200600_302600_NS6detail15normal_iteratorINSA_10device_ptrIxEEEEPS6_PKS6_NS0_5tupleIJSF_S6_EEENSJ_IJSG_SG_EEENS0_18inequality_wrapperI22is_equal_div_10_uniqueIxEEEPmJS6_EEE10hipError_tPvRmT3_T4_T5_T6_T7_T9_mT8_P12ihipStream_tbDpT10_ENKUlT_T0_E_clISt17integral_constantIbLb1EES1A_EEDaS15_S16_EUlS15_E_NS1_11comp_targetILNS1_3genE2ELNS1_11target_archE906ELNS1_3gpuE6ELNS1_3repE0EEENS1_30default_config_static_selectorELNS0_4arch9wavefront6targetE1EEEvT1_,comdat
	.protected	_ZN7rocprim17ROCPRIM_400000_NS6detail17trampoline_kernelINS0_14default_configENS1_25partition_config_selectorILNS1_17partition_subalgoE8ExNS0_10empty_typeEbEEZZNS1_14partition_implILS5_8ELb0ES3_jN6thrust23THRUST_200600_302600_NS6detail15normal_iteratorINSA_10device_ptrIxEEEEPS6_PKS6_NS0_5tupleIJSF_S6_EEENSJ_IJSG_SG_EEENS0_18inequality_wrapperI22is_equal_div_10_uniqueIxEEEPmJS6_EEE10hipError_tPvRmT3_T4_T5_T6_T7_T9_mT8_P12ihipStream_tbDpT10_ENKUlT_T0_E_clISt17integral_constantIbLb1EES1A_EEDaS15_S16_EUlS15_E_NS1_11comp_targetILNS1_3genE2ELNS1_11target_archE906ELNS1_3gpuE6ELNS1_3repE0EEENS1_30default_config_static_selectorELNS0_4arch9wavefront6targetE1EEEvT1_ ; -- Begin function _ZN7rocprim17ROCPRIM_400000_NS6detail17trampoline_kernelINS0_14default_configENS1_25partition_config_selectorILNS1_17partition_subalgoE8ExNS0_10empty_typeEbEEZZNS1_14partition_implILS5_8ELb0ES3_jN6thrust23THRUST_200600_302600_NS6detail15normal_iteratorINSA_10device_ptrIxEEEEPS6_PKS6_NS0_5tupleIJSF_S6_EEENSJ_IJSG_SG_EEENS0_18inequality_wrapperI22is_equal_div_10_uniqueIxEEEPmJS6_EEE10hipError_tPvRmT3_T4_T5_T6_T7_T9_mT8_P12ihipStream_tbDpT10_ENKUlT_T0_E_clISt17integral_constantIbLb1EES1A_EEDaS15_S16_EUlS15_E_NS1_11comp_targetILNS1_3genE2ELNS1_11target_archE906ELNS1_3gpuE6ELNS1_3repE0EEENS1_30default_config_static_selectorELNS0_4arch9wavefront6targetE1EEEvT1_
	.globl	_ZN7rocprim17ROCPRIM_400000_NS6detail17trampoline_kernelINS0_14default_configENS1_25partition_config_selectorILNS1_17partition_subalgoE8ExNS0_10empty_typeEbEEZZNS1_14partition_implILS5_8ELb0ES3_jN6thrust23THRUST_200600_302600_NS6detail15normal_iteratorINSA_10device_ptrIxEEEEPS6_PKS6_NS0_5tupleIJSF_S6_EEENSJ_IJSG_SG_EEENS0_18inequality_wrapperI22is_equal_div_10_uniqueIxEEEPmJS6_EEE10hipError_tPvRmT3_T4_T5_T6_T7_T9_mT8_P12ihipStream_tbDpT10_ENKUlT_T0_E_clISt17integral_constantIbLb1EES1A_EEDaS15_S16_EUlS15_E_NS1_11comp_targetILNS1_3genE2ELNS1_11target_archE906ELNS1_3gpuE6ELNS1_3repE0EEENS1_30default_config_static_selectorELNS0_4arch9wavefront6targetE1EEEvT1_
	.p2align	8
	.type	_ZN7rocprim17ROCPRIM_400000_NS6detail17trampoline_kernelINS0_14default_configENS1_25partition_config_selectorILNS1_17partition_subalgoE8ExNS0_10empty_typeEbEEZZNS1_14partition_implILS5_8ELb0ES3_jN6thrust23THRUST_200600_302600_NS6detail15normal_iteratorINSA_10device_ptrIxEEEEPS6_PKS6_NS0_5tupleIJSF_S6_EEENSJ_IJSG_SG_EEENS0_18inequality_wrapperI22is_equal_div_10_uniqueIxEEEPmJS6_EEE10hipError_tPvRmT3_T4_T5_T6_T7_T9_mT8_P12ihipStream_tbDpT10_ENKUlT_T0_E_clISt17integral_constantIbLb1EES1A_EEDaS15_S16_EUlS15_E_NS1_11comp_targetILNS1_3genE2ELNS1_11target_archE906ELNS1_3gpuE6ELNS1_3repE0EEENS1_30default_config_static_selectorELNS0_4arch9wavefront6targetE1EEEvT1_,@function
_ZN7rocprim17ROCPRIM_400000_NS6detail17trampoline_kernelINS0_14default_configENS1_25partition_config_selectorILNS1_17partition_subalgoE8ExNS0_10empty_typeEbEEZZNS1_14partition_implILS5_8ELb0ES3_jN6thrust23THRUST_200600_302600_NS6detail15normal_iteratorINSA_10device_ptrIxEEEEPS6_PKS6_NS0_5tupleIJSF_S6_EEENSJ_IJSG_SG_EEENS0_18inequality_wrapperI22is_equal_div_10_uniqueIxEEEPmJS6_EEE10hipError_tPvRmT3_T4_T5_T6_T7_T9_mT8_P12ihipStream_tbDpT10_ENKUlT_T0_E_clISt17integral_constantIbLb1EES1A_EEDaS15_S16_EUlS15_E_NS1_11comp_targetILNS1_3genE2ELNS1_11target_archE906ELNS1_3gpuE6ELNS1_3repE0EEENS1_30default_config_static_selectorELNS0_4arch9wavefront6targetE1EEEvT1_: ; @_ZN7rocprim17ROCPRIM_400000_NS6detail17trampoline_kernelINS0_14default_configENS1_25partition_config_selectorILNS1_17partition_subalgoE8ExNS0_10empty_typeEbEEZZNS1_14partition_implILS5_8ELb0ES3_jN6thrust23THRUST_200600_302600_NS6detail15normal_iteratorINSA_10device_ptrIxEEEEPS6_PKS6_NS0_5tupleIJSF_S6_EEENSJ_IJSG_SG_EEENS0_18inequality_wrapperI22is_equal_div_10_uniqueIxEEEPmJS6_EEE10hipError_tPvRmT3_T4_T5_T6_T7_T9_mT8_P12ihipStream_tbDpT10_ENKUlT_T0_E_clISt17integral_constantIbLb1EES1A_EEDaS15_S16_EUlS15_E_NS1_11comp_targetILNS1_3genE2ELNS1_11target_archE906ELNS1_3gpuE6ELNS1_3repE0EEENS1_30default_config_static_selectorELNS0_4arch9wavefront6targetE1EEEvT1_
; %bb.0:
	s_endpgm
	.section	.rodata,"a",@progbits
	.p2align	6, 0x0
	.amdhsa_kernel _ZN7rocprim17ROCPRIM_400000_NS6detail17trampoline_kernelINS0_14default_configENS1_25partition_config_selectorILNS1_17partition_subalgoE8ExNS0_10empty_typeEbEEZZNS1_14partition_implILS5_8ELb0ES3_jN6thrust23THRUST_200600_302600_NS6detail15normal_iteratorINSA_10device_ptrIxEEEEPS6_PKS6_NS0_5tupleIJSF_S6_EEENSJ_IJSG_SG_EEENS0_18inequality_wrapperI22is_equal_div_10_uniqueIxEEEPmJS6_EEE10hipError_tPvRmT3_T4_T5_T6_T7_T9_mT8_P12ihipStream_tbDpT10_ENKUlT_T0_E_clISt17integral_constantIbLb1EES1A_EEDaS15_S16_EUlS15_E_NS1_11comp_targetILNS1_3genE2ELNS1_11target_archE906ELNS1_3gpuE6ELNS1_3repE0EEENS1_30default_config_static_selectorELNS0_4arch9wavefront6targetE1EEEvT1_
		.amdhsa_group_segment_fixed_size 0
		.amdhsa_private_segment_fixed_size 0
		.amdhsa_kernarg_size 128
		.amdhsa_user_sgpr_count 6
		.amdhsa_user_sgpr_private_segment_buffer 1
		.amdhsa_user_sgpr_dispatch_ptr 0
		.amdhsa_user_sgpr_queue_ptr 0
		.amdhsa_user_sgpr_kernarg_segment_ptr 1
		.amdhsa_user_sgpr_dispatch_id 0
		.amdhsa_user_sgpr_flat_scratch_init 0
		.amdhsa_user_sgpr_private_segment_size 0
		.amdhsa_uses_dynamic_stack 0
		.amdhsa_system_sgpr_private_segment_wavefront_offset 0
		.amdhsa_system_sgpr_workgroup_id_x 1
		.amdhsa_system_sgpr_workgroup_id_y 0
		.amdhsa_system_sgpr_workgroup_id_z 0
		.amdhsa_system_sgpr_workgroup_info 0
		.amdhsa_system_vgpr_workitem_id 0
		.amdhsa_next_free_vgpr 1
		.amdhsa_next_free_sgpr 0
		.amdhsa_reserve_vcc 0
		.amdhsa_reserve_flat_scratch 0
		.amdhsa_float_round_mode_32 0
		.amdhsa_float_round_mode_16_64 0
		.amdhsa_float_denorm_mode_32 3
		.amdhsa_float_denorm_mode_16_64 3
		.amdhsa_dx10_clamp 1
		.amdhsa_ieee_mode 1
		.amdhsa_fp16_overflow 0
		.amdhsa_exception_fp_ieee_invalid_op 0
		.amdhsa_exception_fp_denorm_src 0
		.amdhsa_exception_fp_ieee_div_zero 0
		.amdhsa_exception_fp_ieee_overflow 0
		.amdhsa_exception_fp_ieee_underflow 0
		.amdhsa_exception_fp_ieee_inexact 0
		.amdhsa_exception_int_div_zero 0
	.end_amdhsa_kernel
	.section	.text._ZN7rocprim17ROCPRIM_400000_NS6detail17trampoline_kernelINS0_14default_configENS1_25partition_config_selectorILNS1_17partition_subalgoE8ExNS0_10empty_typeEbEEZZNS1_14partition_implILS5_8ELb0ES3_jN6thrust23THRUST_200600_302600_NS6detail15normal_iteratorINSA_10device_ptrIxEEEEPS6_PKS6_NS0_5tupleIJSF_S6_EEENSJ_IJSG_SG_EEENS0_18inequality_wrapperI22is_equal_div_10_uniqueIxEEEPmJS6_EEE10hipError_tPvRmT3_T4_T5_T6_T7_T9_mT8_P12ihipStream_tbDpT10_ENKUlT_T0_E_clISt17integral_constantIbLb1EES1A_EEDaS15_S16_EUlS15_E_NS1_11comp_targetILNS1_3genE2ELNS1_11target_archE906ELNS1_3gpuE6ELNS1_3repE0EEENS1_30default_config_static_selectorELNS0_4arch9wavefront6targetE1EEEvT1_,"axG",@progbits,_ZN7rocprim17ROCPRIM_400000_NS6detail17trampoline_kernelINS0_14default_configENS1_25partition_config_selectorILNS1_17partition_subalgoE8ExNS0_10empty_typeEbEEZZNS1_14partition_implILS5_8ELb0ES3_jN6thrust23THRUST_200600_302600_NS6detail15normal_iteratorINSA_10device_ptrIxEEEEPS6_PKS6_NS0_5tupleIJSF_S6_EEENSJ_IJSG_SG_EEENS0_18inequality_wrapperI22is_equal_div_10_uniqueIxEEEPmJS6_EEE10hipError_tPvRmT3_T4_T5_T6_T7_T9_mT8_P12ihipStream_tbDpT10_ENKUlT_T0_E_clISt17integral_constantIbLb1EES1A_EEDaS15_S16_EUlS15_E_NS1_11comp_targetILNS1_3genE2ELNS1_11target_archE906ELNS1_3gpuE6ELNS1_3repE0EEENS1_30default_config_static_selectorELNS0_4arch9wavefront6targetE1EEEvT1_,comdat
.Lfunc_end384:
	.size	_ZN7rocprim17ROCPRIM_400000_NS6detail17trampoline_kernelINS0_14default_configENS1_25partition_config_selectorILNS1_17partition_subalgoE8ExNS0_10empty_typeEbEEZZNS1_14partition_implILS5_8ELb0ES3_jN6thrust23THRUST_200600_302600_NS6detail15normal_iteratorINSA_10device_ptrIxEEEEPS6_PKS6_NS0_5tupleIJSF_S6_EEENSJ_IJSG_SG_EEENS0_18inequality_wrapperI22is_equal_div_10_uniqueIxEEEPmJS6_EEE10hipError_tPvRmT3_T4_T5_T6_T7_T9_mT8_P12ihipStream_tbDpT10_ENKUlT_T0_E_clISt17integral_constantIbLb1EES1A_EEDaS15_S16_EUlS15_E_NS1_11comp_targetILNS1_3genE2ELNS1_11target_archE906ELNS1_3gpuE6ELNS1_3repE0EEENS1_30default_config_static_selectorELNS0_4arch9wavefront6targetE1EEEvT1_, .Lfunc_end384-_ZN7rocprim17ROCPRIM_400000_NS6detail17trampoline_kernelINS0_14default_configENS1_25partition_config_selectorILNS1_17partition_subalgoE8ExNS0_10empty_typeEbEEZZNS1_14partition_implILS5_8ELb0ES3_jN6thrust23THRUST_200600_302600_NS6detail15normal_iteratorINSA_10device_ptrIxEEEEPS6_PKS6_NS0_5tupleIJSF_S6_EEENSJ_IJSG_SG_EEENS0_18inequality_wrapperI22is_equal_div_10_uniqueIxEEEPmJS6_EEE10hipError_tPvRmT3_T4_T5_T6_T7_T9_mT8_P12ihipStream_tbDpT10_ENKUlT_T0_E_clISt17integral_constantIbLb1EES1A_EEDaS15_S16_EUlS15_E_NS1_11comp_targetILNS1_3genE2ELNS1_11target_archE906ELNS1_3gpuE6ELNS1_3repE0EEENS1_30default_config_static_selectorELNS0_4arch9wavefront6targetE1EEEvT1_
                                        ; -- End function
	.set _ZN7rocprim17ROCPRIM_400000_NS6detail17trampoline_kernelINS0_14default_configENS1_25partition_config_selectorILNS1_17partition_subalgoE8ExNS0_10empty_typeEbEEZZNS1_14partition_implILS5_8ELb0ES3_jN6thrust23THRUST_200600_302600_NS6detail15normal_iteratorINSA_10device_ptrIxEEEEPS6_PKS6_NS0_5tupleIJSF_S6_EEENSJ_IJSG_SG_EEENS0_18inequality_wrapperI22is_equal_div_10_uniqueIxEEEPmJS6_EEE10hipError_tPvRmT3_T4_T5_T6_T7_T9_mT8_P12ihipStream_tbDpT10_ENKUlT_T0_E_clISt17integral_constantIbLb1EES1A_EEDaS15_S16_EUlS15_E_NS1_11comp_targetILNS1_3genE2ELNS1_11target_archE906ELNS1_3gpuE6ELNS1_3repE0EEENS1_30default_config_static_selectorELNS0_4arch9wavefront6targetE1EEEvT1_.num_vgpr, 0
	.set _ZN7rocprim17ROCPRIM_400000_NS6detail17trampoline_kernelINS0_14default_configENS1_25partition_config_selectorILNS1_17partition_subalgoE8ExNS0_10empty_typeEbEEZZNS1_14partition_implILS5_8ELb0ES3_jN6thrust23THRUST_200600_302600_NS6detail15normal_iteratorINSA_10device_ptrIxEEEEPS6_PKS6_NS0_5tupleIJSF_S6_EEENSJ_IJSG_SG_EEENS0_18inequality_wrapperI22is_equal_div_10_uniqueIxEEEPmJS6_EEE10hipError_tPvRmT3_T4_T5_T6_T7_T9_mT8_P12ihipStream_tbDpT10_ENKUlT_T0_E_clISt17integral_constantIbLb1EES1A_EEDaS15_S16_EUlS15_E_NS1_11comp_targetILNS1_3genE2ELNS1_11target_archE906ELNS1_3gpuE6ELNS1_3repE0EEENS1_30default_config_static_selectorELNS0_4arch9wavefront6targetE1EEEvT1_.num_agpr, 0
	.set _ZN7rocprim17ROCPRIM_400000_NS6detail17trampoline_kernelINS0_14default_configENS1_25partition_config_selectorILNS1_17partition_subalgoE8ExNS0_10empty_typeEbEEZZNS1_14partition_implILS5_8ELb0ES3_jN6thrust23THRUST_200600_302600_NS6detail15normal_iteratorINSA_10device_ptrIxEEEEPS6_PKS6_NS0_5tupleIJSF_S6_EEENSJ_IJSG_SG_EEENS0_18inequality_wrapperI22is_equal_div_10_uniqueIxEEEPmJS6_EEE10hipError_tPvRmT3_T4_T5_T6_T7_T9_mT8_P12ihipStream_tbDpT10_ENKUlT_T0_E_clISt17integral_constantIbLb1EES1A_EEDaS15_S16_EUlS15_E_NS1_11comp_targetILNS1_3genE2ELNS1_11target_archE906ELNS1_3gpuE6ELNS1_3repE0EEENS1_30default_config_static_selectorELNS0_4arch9wavefront6targetE1EEEvT1_.numbered_sgpr, 0
	.set _ZN7rocprim17ROCPRIM_400000_NS6detail17trampoline_kernelINS0_14default_configENS1_25partition_config_selectorILNS1_17partition_subalgoE8ExNS0_10empty_typeEbEEZZNS1_14partition_implILS5_8ELb0ES3_jN6thrust23THRUST_200600_302600_NS6detail15normal_iteratorINSA_10device_ptrIxEEEEPS6_PKS6_NS0_5tupleIJSF_S6_EEENSJ_IJSG_SG_EEENS0_18inequality_wrapperI22is_equal_div_10_uniqueIxEEEPmJS6_EEE10hipError_tPvRmT3_T4_T5_T6_T7_T9_mT8_P12ihipStream_tbDpT10_ENKUlT_T0_E_clISt17integral_constantIbLb1EES1A_EEDaS15_S16_EUlS15_E_NS1_11comp_targetILNS1_3genE2ELNS1_11target_archE906ELNS1_3gpuE6ELNS1_3repE0EEENS1_30default_config_static_selectorELNS0_4arch9wavefront6targetE1EEEvT1_.num_named_barrier, 0
	.set _ZN7rocprim17ROCPRIM_400000_NS6detail17trampoline_kernelINS0_14default_configENS1_25partition_config_selectorILNS1_17partition_subalgoE8ExNS0_10empty_typeEbEEZZNS1_14partition_implILS5_8ELb0ES3_jN6thrust23THRUST_200600_302600_NS6detail15normal_iteratorINSA_10device_ptrIxEEEEPS6_PKS6_NS0_5tupleIJSF_S6_EEENSJ_IJSG_SG_EEENS0_18inequality_wrapperI22is_equal_div_10_uniqueIxEEEPmJS6_EEE10hipError_tPvRmT3_T4_T5_T6_T7_T9_mT8_P12ihipStream_tbDpT10_ENKUlT_T0_E_clISt17integral_constantIbLb1EES1A_EEDaS15_S16_EUlS15_E_NS1_11comp_targetILNS1_3genE2ELNS1_11target_archE906ELNS1_3gpuE6ELNS1_3repE0EEENS1_30default_config_static_selectorELNS0_4arch9wavefront6targetE1EEEvT1_.private_seg_size, 0
	.set _ZN7rocprim17ROCPRIM_400000_NS6detail17trampoline_kernelINS0_14default_configENS1_25partition_config_selectorILNS1_17partition_subalgoE8ExNS0_10empty_typeEbEEZZNS1_14partition_implILS5_8ELb0ES3_jN6thrust23THRUST_200600_302600_NS6detail15normal_iteratorINSA_10device_ptrIxEEEEPS6_PKS6_NS0_5tupleIJSF_S6_EEENSJ_IJSG_SG_EEENS0_18inequality_wrapperI22is_equal_div_10_uniqueIxEEEPmJS6_EEE10hipError_tPvRmT3_T4_T5_T6_T7_T9_mT8_P12ihipStream_tbDpT10_ENKUlT_T0_E_clISt17integral_constantIbLb1EES1A_EEDaS15_S16_EUlS15_E_NS1_11comp_targetILNS1_3genE2ELNS1_11target_archE906ELNS1_3gpuE6ELNS1_3repE0EEENS1_30default_config_static_selectorELNS0_4arch9wavefront6targetE1EEEvT1_.uses_vcc, 0
	.set _ZN7rocprim17ROCPRIM_400000_NS6detail17trampoline_kernelINS0_14default_configENS1_25partition_config_selectorILNS1_17partition_subalgoE8ExNS0_10empty_typeEbEEZZNS1_14partition_implILS5_8ELb0ES3_jN6thrust23THRUST_200600_302600_NS6detail15normal_iteratorINSA_10device_ptrIxEEEEPS6_PKS6_NS0_5tupleIJSF_S6_EEENSJ_IJSG_SG_EEENS0_18inequality_wrapperI22is_equal_div_10_uniqueIxEEEPmJS6_EEE10hipError_tPvRmT3_T4_T5_T6_T7_T9_mT8_P12ihipStream_tbDpT10_ENKUlT_T0_E_clISt17integral_constantIbLb1EES1A_EEDaS15_S16_EUlS15_E_NS1_11comp_targetILNS1_3genE2ELNS1_11target_archE906ELNS1_3gpuE6ELNS1_3repE0EEENS1_30default_config_static_selectorELNS0_4arch9wavefront6targetE1EEEvT1_.uses_flat_scratch, 0
	.set _ZN7rocprim17ROCPRIM_400000_NS6detail17trampoline_kernelINS0_14default_configENS1_25partition_config_selectorILNS1_17partition_subalgoE8ExNS0_10empty_typeEbEEZZNS1_14partition_implILS5_8ELb0ES3_jN6thrust23THRUST_200600_302600_NS6detail15normal_iteratorINSA_10device_ptrIxEEEEPS6_PKS6_NS0_5tupleIJSF_S6_EEENSJ_IJSG_SG_EEENS0_18inequality_wrapperI22is_equal_div_10_uniqueIxEEEPmJS6_EEE10hipError_tPvRmT3_T4_T5_T6_T7_T9_mT8_P12ihipStream_tbDpT10_ENKUlT_T0_E_clISt17integral_constantIbLb1EES1A_EEDaS15_S16_EUlS15_E_NS1_11comp_targetILNS1_3genE2ELNS1_11target_archE906ELNS1_3gpuE6ELNS1_3repE0EEENS1_30default_config_static_selectorELNS0_4arch9wavefront6targetE1EEEvT1_.has_dyn_sized_stack, 0
	.set _ZN7rocprim17ROCPRIM_400000_NS6detail17trampoline_kernelINS0_14default_configENS1_25partition_config_selectorILNS1_17partition_subalgoE8ExNS0_10empty_typeEbEEZZNS1_14partition_implILS5_8ELb0ES3_jN6thrust23THRUST_200600_302600_NS6detail15normal_iteratorINSA_10device_ptrIxEEEEPS6_PKS6_NS0_5tupleIJSF_S6_EEENSJ_IJSG_SG_EEENS0_18inequality_wrapperI22is_equal_div_10_uniqueIxEEEPmJS6_EEE10hipError_tPvRmT3_T4_T5_T6_T7_T9_mT8_P12ihipStream_tbDpT10_ENKUlT_T0_E_clISt17integral_constantIbLb1EES1A_EEDaS15_S16_EUlS15_E_NS1_11comp_targetILNS1_3genE2ELNS1_11target_archE906ELNS1_3gpuE6ELNS1_3repE0EEENS1_30default_config_static_selectorELNS0_4arch9wavefront6targetE1EEEvT1_.has_recursion, 0
	.set _ZN7rocprim17ROCPRIM_400000_NS6detail17trampoline_kernelINS0_14default_configENS1_25partition_config_selectorILNS1_17partition_subalgoE8ExNS0_10empty_typeEbEEZZNS1_14partition_implILS5_8ELb0ES3_jN6thrust23THRUST_200600_302600_NS6detail15normal_iteratorINSA_10device_ptrIxEEEEPS6_PKS6_NS0_5tupleIJSF_S6_EEENSJ_IJSG_SG_EEENS0_18inequality_wrapperI22is_equal_div_10_uniqueIxEEEPmJS6_EEE10hipError_tPvRmT3_T4_T5_T6_T7_T9_mT8_P12ihipStream_tbDpT10_ENKUlT_T0_E_clISt17integral_constantIbLb1EES1A_EEDaS15_S16_EUlS15_E_NS1_11comp_targetILNS1_3genE2ELNS1_11target_archE906ELNS1_3gpuE6ELNS1_3repE0EEENS1_30default_config_static_selectorELNS0_4arch9wavefront6targetE1EEEvT1_.has_indirect_call, 0
	.section	.AMDGPU.csdata,"",@progbits
; Kernel info:
; codeLenInByte = 4
; TotalNumSgprs: 4
; NumVgprs: 0
; ScratchSize: 0
; MemoryBound: 0
; FloatMode: 240
; IeeeMode: 1
; LDSByteSize: 0 bytes/workgroup (compile time only)
; SGPRBlocks: 0
; VGPRBlocks: 0
; NumSGPRsForWavesPerEU: 4
; NumVGPRsForWavesPerEU: 1
; Occupancy: 10
; WaveLimiterHint : 0
; COMPUTE_PGM_RSRC2:SCRATCH_EN: 0
; COMPUTE_PGM_RSRC2:USER_SGPR: 6
; COMPUTE_PGM_RSRC2:TRAP_HANDLER: 0
; COMPUTE_PGM_RSRC2:TGID_X_EN: 1
; COMPUTE_PGM_RSRC2:TGID_Y_EN: 0
; COMPUTE_PGM_RSRC2:TGID_Z_EN: 0
; COMPUTE_PGM_RSRC2:TIDIG_COMP_CNT: 0
	.section	.text._ZN7rocprim17ROCPRIM_400000_NS6detail17trampoline_kernelINS0_14default_configENS1_25partition_config_selectorILNS1_17partition_subalgoE8ExNS0_10empty_typeEbEEZZNS1_14partition_implILS5_8ELb0ES3_jN6thrust23THRUST_200600_302600_NS6detail15normal_iteratorINSA_10device_ptrIxEEEEPS6_PKS6_NS0_5tupleIJSF_S6_EEENSJ_IJSG_SG_EEENS0_18inequality_wrapperI22is_equal_div_10_uniqueIxEEEPmJS6_EEE10hipError_tPvRmT3_T4_T5_T6_T7_T9_mT8_P12ihipStream_tbDpT10_ENKUlT_T0_E_clISt17integral_constantIbLb1EES1A_EEDaS15_S16_EUlS15_E_NS1_11comp_targetILNS1_3genE10ELNS1_11target_archE1200ELNS1_3gpuE4ELNS1_3repE0EEENS1_30default_config_static_selectorELNS0_4arch9wavefront6targetE1EEEvT1_,"axG",@progbits,_ZN7rocprim17ROCPRIM_400000_NS6detail17trampoline_kernelINS0_14default_configENS1_25partition_config_selectorILNS1_17partition_subalgoE8ExNS0_10empty_typeEbEEZZNS1_14partition_implILS5_8ELb0ES3_jN6thrust23THRUST_200600_302600_NS6detail15normal_iteratorINSA_10device_ptrIxEEEEPS6_PKS6_NS0_5tupleIJSF_S6_EEENSJ_IJSG_SG_EEENS0_18inequality_wrapperI22is_equal_div_10_uniqueIxEEEPmJS6_EEE10hipError_tPvRmT3_T4_T5_T6_T7_T9_mT8_P12ihipStream_tbDpT10_ENKUlT_T0_E_clISt17integral_constantIbLb1EES1A_EEDaS15_S16_EUlS15_E_NS1_11comp_targetILNS1_3genE10ELNS1_11target_archE1200ELNS1_3gpuE4ELNS1_3repE0EEENS1_30default_config_static_selectorELNS0_4arch9wavefront6targetE1EEEvT1_,comdat
	.protected	_ZN7rocprim17ROCPRIM_400000_NS6detail17trampoline_kernelINS0_14default_configENS1_25partition_config_selectorILNS1_17partition_subalgoE8ExNS0_10empty_typeEbEEZZNS1_14partition_implILS5_8ELb0ES3_jN6thrust23THRUST_200600_302600_NS6detail15normal_iteratorINSA_10device_ptrIxEEEEPS6_PKS6_NS0_5tupleIJSF_S6_EEENSJ_IJSG_SG_EEENS0_18inequality_wrapperI22is_equal_div_10_uniqueIxEEEPmJS6_EEE10hipError_tPvRmT3_T4_T5_T6_T7_T9_mT8_P12ihipStream_tbDpT10_ENKUlT_T0_E_clISt17integral_constantIbLb1EES1A_EEDaS15_S16_EUlS15_E_NS1_11comp_targetILNS1_3genE10ELNS1_11target_archE1200ELNS1_3gpuE4ELNS1_3repE0EEENS1_30default_config_static_selectorELNS0_4arch9wavefront6targetE1EEEvT1_ ; -- Begin function _ZN7rocprim17ROCPRIM_400000_NS6detail17trampoline_kernelINS0_14default_configENS1_25partition_config_selectorILNS1_17partition_subalgoE8ExNS0_10empty_typeEbEEZZNS1_14partition_implILS5_8ELb0ES3_jN6thrust23THRUST_200600_302600_NS6detail15normal_iteratorINSA_10device_ptrIxEEEEPS6_PKS6_NS0_5tupleIJSF_S6_EEENSJ_IJSG_SG_EEENS0_18inequality_wrapperI22is_equal_div_10_uniqueIxEEEPmJS6_EEE10hipError_tPvRmT3_T4_T5_T6_T7_T9_mT8_P12ihipStream_tbDpT10_ENKUlT_T0_E_clISt17integral_constantIbLb1EES1A_EEDaS15_S16_EUlS15_E_NS1_11comp_targetILNS1_3genE10ELNS1_11target_archE1200ELNS1_3gpuE4ELNS1_3repE0EEENS1_30default_config_static_selectorELNS0_4arch9wavefront6targetE1EEEvT1_
	.globl	_ZN7rocprim17ROCPRIM_400000_NS6detail17trampoline_kernelINS0_14default_configENS1_25partition_config_selectorILNS1_17partition_subalgoE8ExNS0_10empty_typeEbEEZZNS1_14partition_implILS5_8ELb0ES3_jN6thrust23THRUST_200600_302600_NS6detail15normal_iteratorINSA_10device_ptrIxEEEEPS6_PKS6_NS0_5tupleIJSF_S6_EEENSJ_IJSG_SG_EEENS0_18inequality_wrapperI22is_equal_div_10_uniqueIxEEEPmJS6_EEE10hipError_tPvRmT3_T4_T5_T6_T7_T9_mT8_P12ihipStream_tbDpT10_ENKUlT_T0_E_clISt17integral_constantIbLb1EES1A_EEDaS15_S16_EUlS15_E_NS1_11comp_targetILNS1_3genE10ELNS1_11target_archE1200ELNS1_3gpuE4ELNS1_3repE0EEENS1_30default_config_static_selectorELNS0_4arch9wavefront6targetE1EEEvT1_
	.p2align	8
	.type	_ZN7rocprim17ROCPRIM_400000_NS6detail17trampoline_kernelINS0_14default_configENS1_25partition_config_selectorILNS1_17partition_subalgoE8ExNS0_10empty_typeEbEEZZNS1_14partition_implILS5_8ELb0ES3_jN6thrust23THRUST_200600_302600_NS6detail15normal_iteratorINSA_10device_ptrIxEEEEPS6_PKS6_NS0_5tupleIJSF_S6_EEENSJ_IJSG_SG_EEENS0_18inequality_wrapperI22is_equal_div_10_uniqueIxEEEPmJS6_EEE10hipError_tPvRmT3_T4_T5_T6_T7_T9_mT8_P12ihipStream_tbDpT10_ENKUlT_T0_E_clISt17integral_constantIbLb1EES1A_EEDaS15_S16_EUlS15_E_NS1_11comp_targetILNS1_3genE10ELNS1_11target_archE1200ELNS1_3gpuE4ELNS1_3repE0EEENS1_30default_config_static_selectorELNS0_4arch9wavefront6targetE1EEEvT1_,@function
_ZN7rocprim17ROCPRIM_400000_NS6detail17trampoline_kernelINS0_14default_configENS1_25partition_config_selectorILNS1_17partition_subalgoE8ExNS0_10empty_typeEbEEZZNS1_14partition_implILS5_8ELb0ES3_jN6thrust23THRUST_200600_302600_NS6detail15normal_iteratorINSA_10device_ptrIxEEEEPS6_PKS6_NS0_5tupleIJSF_S6_EEENSJ_IJSG_SG_EEENS0_18inequality_wrapperI22is_equal_div_10_uniqueIxEEEPmJS6_EEE10hipError_tPvRmT3_T4_T5_T6_T7_T9_mT8_P12ihipStream_tbDpT10_ENKUlT_T0_E_clISt17integral_constantIbLb1EES1A_EEDaS15_S16_EUlS15_E_NS1_11comp_targetILNS1_3genE10ELNS1_11target_archE1200ELNS1_3gpuE4ELNS1_3repE0EEENS1_30default_config_static_selectorELNS0_4arch9wavefront6targetE1EEEvT1_: ; @_ZN7rocprim17ROCPRIM_400000_NS6detail17trampoline_kernelINS0_14default_configENS1_25partition_config_selectorILNS1_17partition_subalgoE8ExNS0_10empty_typeEbEEZZNS1_14partition_implILS5_8ELb0ES3_jN6thrust23THRUST_200600_302600_NS6detail15normal_iteratorINSA_10device_ptrIxEEEEPS6_PKS6_NS0_5tupleIJSF_S6_EEENSJ_IJSG_SG_EEENS0_18inequality_wrapperI22is_equal_div_10_uniqueIxEEEPmJS6_EEE10hipError_tPvRmT3_T4_T5_T6_T7_T9_mT8_P12ihipStream_tbDpT10_ENKUlT_T0_E_clISt17integral_constantIbLb1EES1A_EEDaS15_S16_EUlS15_E_NS1_11comp_targetILNS1_3genE10ELNS1_11target_archE1200ELNS1_3gpuE4ELNS1_3repE0EEENS1_30default_config_static_selectorELNS0_4arch9wavefront6targetE1EEEvT1_
; %bb.0:
	.section	.rodata,"a",@progbits
	.p2align	6, 0x0
	.amdhsa_kernel _ZN7rocprim17ROCPRIM_400000_NS6detail17trampoline_kernelINS0_14default_configENS1_25partition_config_selectorILNS1_17partition_subalgoE8ExNS0_10empty_typeEbEEZZNS1_14partition_implILS5_8ELb0ES3_jN6thrust23THRUST_200600_302600_NS6detail15normal_iteratorINSA_10device_ptrIxEEEEPS6_PKS6_NS0_5tupleIJSF_S6_EEENSJ_IJSG_SG_EEENS0_18inequality_wrapperI22is_equal_div_10_uniqueIxEEEPmJS6_EEE10hipError_tPvRmT3_T4_T5_T6_T7_T9_mT8_P12ihipStream_tbDpT10_ENKUlT_T0_E_clISt17integral_constantIbLb1EES1A_EEDaS15_S16_EUlS15_E_NS1_11comp_targetILNS1_3genE10ELNS1_11target_archE1200ELNS1_3gpuE4ELNS1_3repE0EEENS1_30default_config_static_selectorELNS0_4arch9wavefront6targetE1EEEvT1_
		.amdhsa_group_segment_fixed_size 0
		.amdhsa_private_segment_fixed_size 0
		.amdhsa_kernarg_size 128
		.amdhsa_user_sgpr_count 6
		.amdhsa_user_sgpr_private_segment_buffer 1
		.amdhsa_user_sgpr_dispatch_ptr 0
		.amdhsa_user_sgpr_queue_ptr 0
		.amdhsa_user_sgpr_kernarg_segment_ptr 1
		.amdhsa_user_sgpr_dispatch_id 0
		.amdhsa_user_sgpr_flat_scratch_init 0
		.amdhsa_user_sgpr_private_segment_size 0
		.amdhsa_uses_dynamic_stack 0
		.amdhsa_system_sgpr_private_segment_wavefront_offset 0
		.amdhsa_system_sgpr_workgroup_id_x 1
		.amdhsa_system_sgpr_workgroup_id_y 0
		.amdhsa_system_sgpr_workgroup_id_z 0
		.amdhsa_system_sgpr_workgroup_info 0
		.amdhsa_system_vgpr_workitem_id 0
		.amdhsa_next_free_vgpr 1
		.amdhsa_next_free_sgpr 0
		.amdhsa_reserve_vcc 0
		.amdhsa_reserve_flat_scratch 0
		.amdhsa_float_round_mode_32 0
		.amdhsa_float_round_mode_16_64 0
		.amdhsa_float_denorm_mode_32 3
		.amdhsa_float_denorm_mode_16_64 3
		.amdhsa_dx10_clamp 1
		.amdhsa_ieee_mode 1
		.amdhsa_fp16_overflow 0
		.amdhsa_exception_fp_ieee_invalid_op 0
		.amdhsa_exception_fp_denorm_src 0
		.amdhsa_exception_fp_ieee_div_zero 0
		.amdhsa_exception_fp_ieee_overflow 0
		.amdhsa_exception_fp_ieee_underflow 0
		.amdhsa_exception_fp_ieee_inexact 0
		.amdhsa_exception_int_div_zero 0
	.end_amdhsa_kernel
	.section	.text._ZN7rocprim17ROCPRIM_400000_NS6detail17trampoline_kernelINS0_14default_configENS1_25partition_config_selectorILNS1_17partition_subalgoE8ExNS0_10empty_typeEbEEZZNS1_14partition_implILS5_8ELb0ES3_jN6thrust23THRUST_200600_302600_NS6detail15normal_iteratorINSA_10device_ptrIxEEEEPS6_PKS6_NS0_5tupleIJSF_S6_EEENSJ_IJSG_SG_EEENS0_18inequality_wrapperI22is_equal_div_10_uniqueIxEEEPmJS6_EEE10hipError_tPvRmT3_T4_T5_T6_T7_T9_mT8_P12ihipStream_tbDpT10_ENKUlT_T0_E_clISt17integral_constantIbLb1EES1A_EEDaS15_S16_EUlS15_E_NS1_11comp_targetILNS1_3genE10ELNS1_11target_archE1200ELNS1_3gpuE4ELNS1_3repE0EEENS1_30default_config_static_selectorELNS0_4arch9wavefront6targetE1EEEvT1_,"axG",@progbits,_ZN7rocprim17ROCPRIM_400000_NS6detail17trampoline_kernelINS0_14default_configENS1_25partition_config_selectorILNS1_17partition_subalgoE8ExNS0_10empty_typeEbEEZZNS1_14partition_implILS5_8ELb0ES3_jN6thrust23THRUST_200600_302600_NS6detail15normal_iteratorINSA_10device_ptrIxEEEEPS6_PKS6_NS0_5tupleIJSF_S6_EEENSJ_IJSG_SG_EEENS0_18inequality_wrapperI22is_equal_div_10_uniqueIxEEEPmJS6_EEE10hipError_tPvRmT3_T4_T5_T6_T7_T9_mT8_P12ihipStream_tbDpT10_ENKUlT_T0_E_clISt17integral_constantIbLb1EES1A_EEDaS15_S16_EUlS15_E_NS1_11comp_targetILNS1_3genE10ELNS1_11target_archE1200ELNS1_3gpuE4ELNS1_3repE0EEENS1_30default_config_static_selectorELNS0_4arch9wavefront6targetE1EEEvT1_,comdat
.Lfunc_end385:
	.size	_ZN7rocprim17ROCPRIM_400000_NS6detail17trampoline_kernelINS0_14default_configENS1_25partition_config_selectorILNS1_17partition_subalgoE8ExNS0_10empty_typeEbEEZZNS1_14partition_implILS5_8ELb0ES3_jN6thrust23THRUST_200600_302600_NS6detail15normal_iteratorINSA_10device_ptrIxEEEEPS6_PKS6_NS0_5tupleIJSF_S6_EEENSJ_IJSG_SG_EEENS0_18inequality_wrapperI22is_equal_div_10_uniqueIxEEEPmJS6_EEE10hipError_tPvRmT3_T4_T5_T6_T7_T9_mT8_P12ihipStream_tbDpT10_ENKUlT_T0_E_clISt17integral_constantIbLb1EES1A_EEDaS15_S16_EUlS15_E_NS1_11comp_targetILNS1_3genE10ELNS1_11target_archE1200ELNS1_3gpuE4ELNS1_3repE0EEENS1_30default_config_static_selectorELNS0_4arch9wavefront6targetE1EEEvT1_, .Lfunc_end385-_ZN7rocprim17ROCPRIM_400000_NS6detail17trampoline_kernelINS0_14default_configENS1_25partition_config_selectorILNS1_17partition_subalgoE8ExNS0_10empty_typeEbEEZZNS1_14partition_implILS5_8ELb0ES3_jN6thrust23THRUST_200600_302600_NS6detail15normal_iteratorINSA_10device_ptrIxEEEEPS6_PKS6_NS0_5tupleIJSF_S6_EEENSJ_IJSG_SG_EEENS0_18inequality_wrapperI22is_equal_div_10_uniqueIxEEEPmJS6_EEE10hipError_tPvRmT3_T4_T5_T6_T7_T9_mT8_P12ihipStream_tbDpT10_ENKUlT_T0_E_clISt17integral_constantIbLb1EES1A_EEDaS15_S16_EUlS15_E_NS1_11comp_targetILNS1_3genE10ELNS1_11target_archE1200ELNS1_3gpuE4ELNS1_3repE0EEENS1_30default_config_static_selectorELNS0_4arch9wavefront6targetE1EEEvT1_
                                        ; -- End function
	.set _ZN7rocprim17ROCPRIM_400000_NS6detail17trampoline_kernelINS0_14default_configENS1_25partition_config_selectorILNS1_17partition_subalgoE8ExNS0_10empty_typeEbEEZZNS1_14partition_implILS5_8ELb0ES3_jN6thrust23THRUST_200600_302600_NS6detail15normal_iteratorINSA_10device_ptrIxEEEEPS6_PKS6_NS0_5tupleIJSF_S6_EEENSJ_IJSG_SG_EEENS0_18inequality_wrapperI22is_equal_div_10_uniqueIxEEEPmJS6_EEE10hipError_tPvRmT3_T4_T5_T6_T7_T9_mT8_P12ihipStream_tbDpT10_ENKUlT_T0_E_clISt17integral_constantIbLb1EES1A_EEDaS15_S16_EUlS15_E_NS1_11comp_targetILNS1_3genE10ELNS1_11target_archE1200ELNS1_3gpuE4ELNS1_3repE0EEENS1_30default_config_static_selectorELNS0_4arch9wavefront6targetE1EEEvT1_.num_vgpr, 0
	.set _ZN7rocprim17ROCPRIM_400000_NS6detail17trampoline_kernelINS0_14default_configENS1_25partition_config_selectorILNS1_17partition_subalgoE8ExNS0_10empty_typeEbEEZZNS1_14partition_implILS5_8ELb0ES3_jN6thrust23THRUST_200600_302600_NS6detail15normal_iteratorINSA_10device_ptrIxEEEEPS6_PKS6_NS0_5tupleIJSF_S6_EEENSJ_IJSG_SG_EEENS0_18inequality_wrapperI22is_equal_div_10_uniqueIxEEEPmJS6_EEE10hipError_tPvRmT3_T4_T5_T6_T7_T9_mT8_P12ihipStream_tbDpT10_ENKUlT_T0_E_clISt17integral_constantIbLb1EES1A_EEDaS15_S16_EUlS15_E_NS1_11comp_targetILNS1_3genE10ELNS1_11target_archE1200ELNS1_3gpuE4ELNS1_3repE0EEENS1_30default_config_static_selectorELNS0_4arch9wavefront6targetE1EEEvT1_.num_agpr, 0
	.set _ZN7rocprim17ROCPRIM_400000_NS6detail17trampoline_kernelINS0_14default_configENS1_25partition_config_selectorILNS1_17partition_subalgoE8ExNS0_10empty_typeEbEEZZNS1_14partition_implILS5_8ELb0ES3_jN6thrust23THRUST_200600_302600_NS6detail15normal_iteratorINSA_10device_ptrIxEEEEPS6_PKS6_NS0_5tupleIJSF_S6_EEENSJ_IJSG_SG_EEENS0_18inequality_wrapperI22is_equal_div_10_uniqueIxEEEPmJS6_EEE10hipError_tPvRmT3_T4_T5_T6_T7_T9_mT8_P12ihipStream_tbDpT10_ENKUlT_T0_E_clISt17integral_constantIbLb1EES1A_EEDaS15_S16_EUlS15_E_NS1_11comp_targetILNS1_3genE10ELNS1_11target_archE1200ELNS1_3gpuE4ELNS1_3repE0EEENS1_30default_config_static_selectorELNS0_4arch9wavefront6targetE1EEEvT1_.numbered_sgpr, 0
	.set _ZN7rocprim17ROCPRIM_400000_NS6detail17trampoline_kernelINS0_14default_configENS1_25partition_config_selectorILNS1_17partition_subalgoE8ExNS0_10empty_typeEbEEZZNS1_14partition_implILS5_8ELb0ES3_jN6thrust23THRUST_200600_302600_NS6detail15normal_iteratorINSA_10device_ptrIxEEEEPS6_PKS6_NS0_5tupleIJSF_S6_EEENSJ_IJSG_SG_EEENS0_18inequality_wrapperI22is_equal_div_10_uniqueIxEEEPmJS6_EEE10hipError_tPvRmT3_T4_T5_T6_T7_T9_mT8_P12ihipStream_tbDpT10_ENKUlT_T0_E_clISt17integral_constantIbLb1EES1A_EEDaS15_S16_EUlS15_E_NS1_11comp_targetILNS1_3genE10ELNS1_11target_archE1200ELNS1_3gpuE4ELNS1_3repE0EEENS1_30default_config_static_selectorELNS0_4arch9wavefront6targetE1EEEvT1_.num_named_barrier, 0
	.set _ZN7rocprim17ROCPRIM_400000_NS6detail17trampoline_kernelINS0_14default_configENS1_25partition_config_selectorILNS1_17partition_subalgoE8ExNS0_10empty_typeEbEEZZNS1_14partition_implILS5_8ELb0ES3_jN6thrust23THRUST_200600_302600_NS6detail15normal_iteratorINSA_10device_ptrIxEEEEPS6_PKS6_NS0_5tupleIJSF_S6_EEENSJ_IJSG_SG_EEENS0_18inequality_wrapperI22is_equal_div_10_uniqueIxEEEPmJS6_EEE10hipError_tPvRmT3_T4_T5_T6_T7_T9_mT8_P12ihipStream_tbDpT10_ENKUlT_T0_E_clISt17integral_constantIbLb1EES1A_EEDaS15_S16_EUlS15_E_NS1_11comp_targetILNS1_3genE10ELNS1_11target_archE1200ELNS1_3gpuE4ELNS1_3repE0EEENS1_30default_config_static_selectorELNS0_4arch9wavefront6targetE1EEEvT1_.private_seg_size, 0
	.set _ZN7rocprim17ROCPRIM_400000_NS6detail17trampoline_kernelINS0_14default_configENS1_25partition_config_selectorILNS1_17partition_subalgoE8ExNS0_10empty_typeEbEEZZNS1_14partition_implILS5_8ELb0ES3_jN6thrust23THRUST_200600_302600_NS6detail15normal_iteratorINSA_10device_ptrIxEEEEPS6_PKS6_NS0_5tupleIJSF_S6_EEENSJ_IJSG_SG_EEENS0_18inequality_wrapperI22is_equal_div_10_uniqueIxEEEPmJS6_EEE10hipError_tPvRmT3_T4_T5_T6_T7_T9_mT8_P12ihipStream_tbDpT10_ENKUlT_T0_E_clISt17integral_constantIbLb1EES1A_EEDaS15_S16_EUlS15_E_NS1_11comp_targetILNS1_3genE10ELNS1_11target_archE1200ELNS1_3gpuE4ELNS1_3repE0EEENS1_30default_config_static_selectorELNS0_4arch9wavefront6targetE1EEEvT1_.uses_vcc, 0
	.set _ZN7rocprim17ROCPRIM_400000_NS6detail17trampoline_kernelINS0_14default_configENS1_25partition_config_selectorILNS1_17partition_subalgoE8ExNS0_10empty_typeEbEEZZNS1_14partition_implILS5_8ELb0ES3_jN6thrust23THRUST_200600_302600_NS6detail15normal_iteratorINSA_10device_ptrIxEEEEPS6_PKS6_NS0_5tupleIJSF_S6_EEENSJ_IJSG_SG_EEENS0_18inequality_wrapperI22is_equal_div_10_uniqueIxEEEPmJS6_EEE10hipError_tPvRmT3_T4_T5_T6_T7_T9_mT8_P12ihipStream_tbDpT10_ENKUlT_T0_E_clISt17integral_constantIbLb1EES1A_EEDaS15_S16_EUlS15_E_NS1_11comp_targetILNS1_3genE10ELNS1_11target_archE1200ELNS1_3gpuE4ELNS1_3repE0EEENS1_30default_config_static_selectorELNS0_4arch9wavefront6targetE1EEEvT1_.uses_flat_scratch, 0
	.set _ZN7rocprim17ROCPRIM_400000_NS6detail17trampoline_kernelINS0_14default_configENS1_25partition_config_selectorILNS1_17partition_subalgoE8ExNS0_10empty_typeEbEEZZNS1_14partition_implILS5_8ELb0ES3_jN6thrust23THRUST_200600_302600_NS6detail15normal_iteratorINSA_10device_ptrIxEEEEPS6_PKS6_NS0_5tupleIJSF_S6_EEENSJ_IJSG_SG_EEENS0_18inequality_wrapperI22is_equal_div_10_uniqueIxEEEPmJS6_EEE10hipError_tPvRmT3_T4_T5_T6_T7_T9_mT8_P12ihipStream_tbDpT10_ENKUlT_T0_E_clISt17integral_constantIbLb1EES1A_EEDaS15_S16_EUlS15_E_NS1_11comp_targetILNS1_3genE10ELNS1_11target_archE1200ELNS1_3gpuE4ELNS1_3repE0EEENS1_30default_config_static_selectorELNS0_4arch9wavefront6targetE1EEEvT1_.has_dyn_sized_stack, 0
	.set _ZN7rocprim17ROCPRIM_400000_NS6detail17trampoline_kernelINS0_14default_configENS1_25partition_config_selectorILNS1_17partition_subalgoE8ExNS0_10empty_typeEbEEZZNS1_14partition_implILS5_8ELb0ES3_jN6thrust23THRUST_200600_302600_NS6detail15normal_iteratorINSA_10device_ptrIxEEEEPS6_PKS6_NS0_5tupleIJSF_S6_EEENSJ_IJSG_SG_EEENS0_18inequality_wrapperI22is_equal_div_10_uniqueIxEEEPmJS6_EEE10hipError_tPvRmT3_T4_T5_T6_T7_T9_mT8_P12ihipStream_tbDpT10_ENKUlT_T0_E_clISt17integral_constantIbLb1EES1A_EEDaS15_S16_EUlS15_E_NS1_11comp_targetILNS1_3genE10ELNS1_11target_archE1200ELNS1_3gpuE4ELNS1_3repE0EEENS1_30default_config_static_selectorELNS0_4arch9wavefront6targetE1EEEvT1_.has_recursion, 0
	.set _ZN7rocprim17ROCPRIM_400000_NS6detail17trampoline_kernelINS0_14default_configENS1_25partition_config_selectorILNS1_17partition_subalgoE8ExNS0_10empty_typeEbEEZZNS1_14partition_implILS5_8ELb0ES3_jN6thrust23THRUST_200600_302600_NS6detail15normal_iteratorINSA_10device_ptrIxEEEEPS6_PKS6_NS0_5tupleIJSF_S6_EEENSJ_IJSG_SG_EEENS0_18inequality_wrapperI22is_equal_div_10_uniqueIxEEEPmJS6_EEE10hipError_tPvRmT3_T4_T5_T6_T7_T9_mT8_P12ihipStream_tbDpT10_ENKUlT_T0_E_clISt17integral_constantIbLb1EES1A_EEDaS15_S16_EUlS15_E_NS1_11comp_targetILNS1_3genE10ELNS1_11target_archE1200ELNS1_3gpuE4ELNS1_3repE0EEENS1_30default_config_static_selectorELNS0_4arch9wavefront6targetE1EEEvT1_.has_indirect_call, 0
	.section	.AMDGPU.csdata,"",@progbits
; Kernel info:
; codeLenInByte = 0
; TotalNumSgprs: 4
; NumVgprs: 0
; ScratchSize: 0
; MemoryBound: 0
; FloatMode: 240
; IeeeMode: 1
; LDSByteSize: 0 bytes/workgroup (compile time only)
; SGPRBlocks: 0
; VGPRBlocks: 0
; NumSGPRsForWavesPerEU: 4
; NumVGPRsForWavesPerEU: 1
; Occupancy: 10
; WaveLimiterHint : 0
; COMPUTE_PGM_RSRC2:SCRATCH_EN: 0
; COMPUTE_PGM_RSRC2:USER_SGPR: 6
; COMPUTE_PGM_RSRC2:TRAP_HANDLER: 0
; COMPUTE_PGM_RSRC2:TGID_X_EN: 1
; COMPUTE_PGM_RSRC2:TGID_Y_EN: 0
; COMPUTE_PGM_RSRC2:TGID_Z_EN: 0
; COMPUTE_PGM_RSRC2:TIDIG_COMP_CNT: 0
	.section	.text._ZN7rocprim17ROCPRIM_400000_NS6detail17trampoline_kernelINS0_14default_configENS1_25partition_config_selectorILNS1_17partition_subalgoE8ExNS0_10empty_typeEbEEZZNS1_14partition_implILS5_8ELb0ES3_jN6thrust23THRUST_200600_302600_NS6detail15normal_iteratorINSA_10device_ptrIxEEEEPS6_PKS6_NS0_5tupleIJSF_S6_EEENSJ_IJSG_SG_EEENS0_18inequality_wrapperI22is_equal_div_10_uniqueIxEEEPmJS6_EEE10hipError_tPvRmT3_T4_T5_T6_T7_T9_mT8_P12ihipStream_tbDpT10_ENKUlT_T0_E_clISt17integral_constantIbLb1EES1A_EEDaS15_S16_EUlS15_E_NS1_11comp_targetILNS1_3genE9ELNS1_11target_archE1100ELNS1_3gpuE3ELNS1_3repE0EEENS1_30default_config_static_selectorELNS0_4arch9wavefront6targetE1EEEvT1_,"axG",@progbits,_ZN7rocprim17ROCPRIM_400000_NS6detail17trampoline_kernelINS0_14default_configENS1_25partition_config_selectorILNS1_17partition_subalgoE8ExNS0_10empty_typeEbEEZZNS1_14partition_implILS5_8ELb0ES3_jN6thrust23THRUST_200600_302600_NS6detail15normal_iteratorINSA_10device_ptrIxEEEEPS6_PKS6_NS0_5tupleIJSF_S6_EEENSJ_IJSG_SG_EEENS0_18inequality_wrapperI22is_equal_div_10_uniqueIxEEEPmJS6_EEE10hipError_tPvRmT3_T4_T5_T6_T7_T9_mT8_P12ihipStream_tbDpT10_ENKUlT_T0_E_clISt17integral_constantIbLb1EES1A_EEDaS15_S16_EUlS15_E_NS1_11comp_targetILNS1_3genE9ELNS1_11target_archE1100ELNS1_3gpuE3ELNS1_3repE0EEENS1_30default_config_static_selectorELNS0_4arch9wavefront6targetE1EEEvT1_,comdat
	.protected	_ZN7rocprim17ROCPRIM_400000_NS6detail17trampoline_kernelINS0_14default_configENS1_25partition_config_selectorILNS1_17partition_subalgoE8ExNS0_10empty_typeEbEEZZNS1_14partition_implILS5_8ELb0ES3_jN6thrust23THRUST_200600_302600_NS6detail15normal_iteratorINSA_10device_ptrIxEEEEPS6_PKS6_NS0_5tupleIJSF_S6_EEENSJ_IJSG_SG_EEENS0_18inequality_wrapperI22is_equal_div_10_uniqueIxEEEPmJS6_EEE10hipError_tPvRmT3_T4_T5_T6_T7_T9_mT8_P12ihipStream_tbDpT10_ENKUlT_T0_E_clISt17integral_constantIbLb1EES1A_EEDaS15_S16_EUlS15_E_NS1_11comp_targetILNS1_3genE9ELNS1_11target_archE1100ELNS1_3gpuE3ELNS1_3repE0EEENS1_30default_config_static_selectorELNS0_4arch9wavefront6targetE1EEEvT1_ ; -- Begin function _ZN7rocprim17ROCPRIM_400000_NS6detail17trampoline_kernelINS0_14default_configENS1_25partition_config_selectorILNS1_17partition_subalgoE8ExNS0_10empty_typeEbEEZZNS1_14partition_implILS5_8ELb0ES3_jN6thrust23THRUST_200600_302600_NS6detail15normal_iteratorINSA_10device_ptrIxEEEEPS6_PKS6_NS0_5tupleIJSF_S6_EEENSJ_IJSG_SG_EEENS0_18inequality_wrapperI22is_equal_div_10_uniqueIxEEEPmJS6_EEE10hipError_tPvRmT3_T4_T5_T6_T7_T9_mT8_P12ihipStream_tbDpT10_ENKUlT_T0_E_clISt17integral_constantIbLb1EES1A_EEDaS15_S16_EUlS15_E_NS1_11comp_targetILNS1_3genE9ELNS1_11target_archE1100ELNS1_3gpuE3ELNS1_3repE0EEENS1_30default_config_static_selectorELNS0_4arch9wavefront6targetE1EEEvT1_
	.globl	_ZN7rocprim17ROCPRIM_400000_NS6detail17trampoline_kernelINS0_14default_configENS1_25partition_config_selectorILNS1_17partition_subalgoE8ExNS0_10empty_typeEbEEZZNS1_14partition_implILS5_8ELb0ES3_jN6thrust23THRUST_200600_302600_NS6detail15normal_iteratorINSA_10device_ptrIxEEEEPS6_PKS6_NS0_5tupleIJSF_S6_EEENSJ_IJSG_SG_EEENS0_18inequality_wrapperI22is_equal_div_10_uniqueIxEEEPmJS6_EEE10hipError_tPvRmT3_T4_T5_T6_T7_T9_mT8_P12ihipStream_tbDpT10_ENKUlT_T0_E_clISt17integral_constantIbLb1EES1A_EEDaS15_S16_EUlS15_E_NS1_11comp_targetILNS1_3genE9ELNS1_11target_archE1100ELNS1_3gpuE3ELNS1_3repE0EEENS1_30default_config_static_selectorELNS0_4arch9wavefront6targetE1EEEvT1_
	.p2align	8
	.type	_ZN7rocprim17ROCPRIM_400000_NS6detail17trampoline_kernelINS0_14default_configENS1_25partition_config_selectorILNS1_17partition_subalgoE8ExNS0_10empty_typeEbEEZZNS1_14partition_implILS5_8ELb0ES3_jN6thrust23THRUST_200600_302600_NS6detail15normal_iteratorINSA_10device_ptrIxEEEEPS6_PKS6_NS0_5tupleIJSF_S6_EEENSJ_IJSG_SG_EEENS0_18inequality_wrapperI22is_equal_div_10_uniqueIxEEEPmJS6_EEE10hipError_tPvRmT3_T4_T5_T6_T7_T9_mT8_P12ihipStream_tbDpT10_ENKUlT_T0_E_clISt17integral_constantIbLb1EES1A_EEDaS15_S16_EUlS15_E_NS1_11comp_targetILNS1_3genE9ELNS1_11target_archE1100ELNS1_3gpuE3ELNS1_3repE0EEENS1_30default_config_static_selectorELNS0_4arch9wavefront6targetE1EEEvT1_,@function
_ZN7rocprim17ROCPRIM_400000_NS6detail17trampoline_kernelINS0_14default_configENS1_25partition_config_selectorILNS1_17partition_subalgoE8ExNS0_10empty_typeEbEEZZNS1_14partition_implILS5_8ELb0ES3_jN6thrust23THRUST_200600_302600_NS6detail15normal_iteratorINSA_10device_ptrIxEEEEPS6_PKS6_NS0_5tupleIJSF_S6_EEENSJ_IJSG_SG_EEENS0_18inequality_wrapperI22is_equal_div_10_uniqueIxEEEPmJS6_EEE10hipError_tPvRmT3_T4_T5_T6_T7_T9_mT8_P12ihipStream_tbDpT10_ENKUlT_T0_E_clISt17integral_constantIbLb1EES1A_EEDaS15_S16_EUlS15_E_NS1_11comp_targetILNS1_3genE9ELNS1_11target_archE1100ELNS1_3gpuE3ELNS1_3repE0EEENS1_30default_config_static_selectorELNS0_4arch9wavefront6targetE1EEEvT1_: ; @_ZN7rocprim17ROCPRIM_400000_NS6detail17trampoline_kernelINS0_14default_configENS1_25partition_config_selectorILNS1_17partition_subalgoE8ExNS0_10empty_typeEbEEZZNS1_14partition_implILS5_8ELb0ES3_jN6thrust23THRUST_200600_302600_NS6detail15normal_iteratorINSA_10device_ptrIxEEEEPS6_PKS6_NS0_5tupleIJSF_S6_EEENSJ_IJSG_SG_EEENS0_18inequality_wrapperI22is_equal_div_10_uniqueIxEEEPmJS6_EEE10hipError_tPvRmT3_T4_T5_T6_T7_T9_mT8_P12ihipStream_tbDpT10_ENKUlT_T0_E_clISt17integral_constantIbLb1EES1A_EEDaS15_S16_EUlS15_E_NS1_11comp_targetILNS1_3genE9ELNS1_11target_archE1100ELNS1_3gpuE3ELNS1_3repE0EEENS1_30default_config_static_selectorELNS0_4arch9wavefront6targetE1EEEvT1_
; %bb.0:
	.section	.rodata,"a",@progbits
	.p2align	6, 0x0
	.amdhsa_kernel _ZN7rocprim17ROCPRIM_400000_NS6detail17trampoline_kernelINS0_14default_configENS1_25partition_config_selectorILNS1_17partition_subalgoE8ExNS0_10empty_typeEbEEZZNS1_14partition_implILS5_8ELb0ES3_jN6thrust23THRUST_200600_302600_NS6detail15normal_iteratorINSA_10device_ptrIxEEEEPS6_PKS6_NS0_5tupleIJSF_S6_EEENSJ_IJSG_SG_EEENS0_18inequality_wrapperI22is_equal_div_10_uniqueIxEEEPmJS6_EEE10hipError_tPvRmT3_T4_T5_T6_T7_T9_mT8_P12ihipStream_tbDpT10_ENKUlT_T0_E_clISt17integral_constantIbLb1EES1A_EEDaS15_S16_EUlS15_E_NS1_11comp_targetILNS1_3genE9ELNS1_11target_archE1100ELNS1_3gpuE3ELNS1_3repE0EEENS1_30default_config_static_selectorELNS0_4arch9wavefront6targetE1EEEvT1_
		.amdhsa_group_segment_fixed_size 0
		.amdhsa_private_segment_fixed_size 0
		.amdhsa_kernarg_size 128
		.amdhsa_user_sgpr_count 6
		.amdhsa_user_sgpr_private_segment_buffer 1
		.amdhsa_user_sgpr_dispatch_ptr 0
		.amdhsa_user_sgpr_queue_ptr 0
		.amdhsa_user_sgpr_kernarg_segment_ptr 1
		.amdhsa_user_sgpr_dispatch_id 0
		.amdhsa_user_sgpr_flat_scratch_init 0
		.amdhsa_user_sgpr_private_segment_size 0
		.amdhsa_uses_dynamic_stack 0
		.amdhsa_system_sgpr_private_segment_wavefront_offset 0
		.amdhsa_system_sgpr_workgroup_id_x 1
		.amdhsa_system_sgpr_workgroup_id_y 0
		.amdhsa_system_sgpr_workgroup_id_z 0
		.amdhsa_system_sgpr_workgroup_info 0
		.amdhsa_system_vgpr_workitem_id 0
		.amdhsa_next_free_vgpr 1
		.amdhsa_next_free_sgpr 0
		.amdhsa_reserve_vcc 0
		.amdhsa_reserve_flat_scratch 0
		.amdhsa_float_round_mode_32 0
		.amdhsa_float_round_mode_16_64 0
		.amdhsa_float_denorm_mode_32 3
		.amdhsa_float_denorm_mode_16_64 3
		.amdhsa_dx10_clamp 1
		.amdhsa_ieee_mode 1
		.amdhsa_fp16_overflow 0
		.amdhsa_exception_fp_ieee_invalid_op 0
		.amdhsa_exception_fp_denorm_src 0
		.amdhsa_exception_fp_ieee_div_zero 0
		.amdhsa_exception_fp_ieee_overflow 0
		.amdhsa_exception_fp_ieee_underflow 0
		.amdhsa_exception_fp_ieee_inexact 0
		.amdhsa_exception_int_div_zero 0
	.end_amdhsa_kernel
	.section	.text._ZN7rocprim17ROCPRIM_400000_NS6detail17trampoline_kernelINS0_14default_configENS1_25partition_config_selectorILNS1_17partition_subalgoE8ExNS0_10empty_typeEbEEZZNS1_14partition_implILS5_8ELb0ES3_jN6thrust23THRUST_200600_302600_NS6detail15normal_iteratorINSA_10device_ptrIxEEEEPS6_PKS6_NS0_5tupleIJSF_S6_EEENSJ_IJSG_SG_EEENS0_18inequality_wrapperI22is_equal_div_10_uniqueIxEEEPmJS6_EEE10hipError_tPvRmT3_T4_T5_T6_T7_T9_mT8_P12ihipStream_tbDpT10_ENKUlT_T0_E_clISt17integral_constantIbLb1EES1A_EEDaS15_S16_EUlS15_E_NS1_11comp_targetILNS1_3genE9ELNS1_11target_archE1100ELNS1_3gpuE3ELNS1_3repE0EEENS1_30default_config_static_selectorELNS0_4arch9wavefront6targetE1EEEvT1_,"axG",@progbits,_ZN7rocprim17ROCPRIM_400000_NS6detail17trampoline_kernelINS0_14default_configENS1_25partition_config_selectorILNS1_17partition_subalgoE8ExNS0_10empty_typeEbEEZZNS1_14partition_implILS5_8ELb0ES3_jN6thrust23THRUST_200600_302600_NS6detail15normal_iteratorINSA_10device_ptrIxEEEEPS6_PKS6_NS0_5tupleIJSF_S6_EEENSJ_IJSG_SG_EEENS0_18inequality_wrapperI22is_equal_div_10_uniqueIxEEEPmJS6_EEE10hipError_tPvRmT3_T4_T5_T6_T7_T9_mT8_P12ihipStream_tbDpT10_ENKUlT_T0_E_clISt17integral_constantIbLb1EES1A_EEDaS15_S16_EUlS15_E_NS1_11comp_targetILNS1_3genE9ELNS1_11target_archE1100ELNS1_3gpuE3ELNS1_3repE0EEENS1_30default_config_static_selectorELNS0_4arch9wavefront6targetE1EEEvT1_,comdat
.Lfunc_end386:
	.size	_ZN7rocprim17ROCPRIM_400000_NS6detail17trampoline_kernelINS0_14default_configENS1_25partition_config_selectorILNS1_17partition_subalgoE8ExNS0_10empty_typeEbEEZZNS1_14partition_implILS5_8ELb0ES3_jN6thrust23THRUST_200600_302600_NS6detail15normal_iteratorINSA_10device_ptrIxEEEEPS6_PKS6_NS0_5tupleIJSF_S6_EEENSJ_IJSG_SG_EEENS0_18inequality_wrapperI22is_equal_div_10_uniqueIxEEEPmJS6_EEE10hipError_tPvRmT3_T4_T5_T6_T7_T9_mT8_P12ihipStream_tbDpT10_ENKUlT_T0_E_clISt17integral_constantIbLb1EES1A_EEDaS15_S16_EUlS15_E_NS1_11comp_targetILNS1_3genE9ELNS1_11target_archE1100ELNS1_3gpuE3ELNS1_3repE0EEENS1_30default_config_static_selectorELNS0_4arch9wavefront6targetE1EEEvT1_, .Lfunc_end386-_ZN7rocprim17ROCPRIM_400000_NS6detail17trampoline_kernelINS0_14default_configENS1_25partition_config_selectorILNS1_17partition_subalgoE8ExNS0_10empty_typeEbEEZZNS1_14partition_implILS5_8ELb0ES3_jN6thrust23THRUST_200600_302600_NS6detail15normal_iteratorINSA_10device_ptrIxEEEEPS6_PKS6_NS0_5tupleIJSF_S6_EEENSJ_IJSG_SG_EEENS0_18inequality_wrapperI22is_equal_div_10_uniqueIxEEEPmJS6_EEE10hipError_tPvRmT3_T4_T5_T6_T7_T9_mT8_P12ihipStream_tbDpT10_ENKUlT_T0_E_clISt17integral_constantIbLb1EES1A_EEDaS15_S16_EUlS15_E_NS1_11comp_targetILNS1_3genE9ELNS1_11target_archE1100ELNS1_3gpuE3ELNS1_3repE0EEENS1_30default_config_static_selectorELNS0_4arch9wavefront6targetE1EEEvT1_
                                        ; -- End function
	.set _ZN7rocprim17ROCPRIM_400000_NS6detail17trampoline_kernelINS0_14default_configENS1_25partition_config_selectorILNS1_17partition_subalgoE8ExNS0_10empty_typeEbEEZZNS1_14partition_implILS5_8ELb0ES3_jN6thrust23THRUST_200600_302600_NS6detail15normal_iteratorINSA_10device_ptrIxEEEEPS6_PKS6_NS0_5tupleIJSF_S6_EEENSJ_IJSG_SG_EEENS0_18inequality_wrapperI22is_equal_div_10_uniqueIxEEEPmJS6_EEE10hipError_tPvRmT3_T4_T5_T6_T7_T9_mT8_P12ihipStream_tbDpT10_ENKUlT_T0_E_clISt17integral_constantIbLb1EES1A_EEDaS15_S16_EUlS15_E_NS1_11comp_targetILNS1_3genE9ELNS1_11target_archE1100ELNS1_3gpuE3ELNS1_3repE0EEENS1_30default_config_static_selectorELNS0_4arch9wavefront6targetE1EEEvT1_.num_vgpr, 0
	.set _ZN7rocprim17ROCPRIM_400000_NS6detail17trampoline_kernelINS0_14default_configENS1_25partition_config_selectorILNS1_17partition_subalgoE8ExNS0_10empty_typeEbEEZZNS1_14partition_implILS5_8ELb0ES3_jN6thrust23THRUST_200600_302600_NS6detail15normal_iteratorINSA_10device_ptrIxEEEEPS6_PKS6_NS0_5tupleIJSF_S6_EEENSJ_IJSG_SG_EEENS0_18inequality_wrapperI22is_equal_div_10_uniqueIxEEEPmJS6_EEE10hipError_tPvRmT3_T4_T5_T6_T7_T9_mT8_P12ihipStream_tbDpT10_ENKUlT_T0_E_clISt17integral_constantIbLb1EES1A_EEDaS15_S16_EUlS15_E_NS1_11comp_targetILNS1_3genE9ELNS1_11target_archE1100ELNS1_3gpuE3ELNS1_3repE0EEENS1_30default_config_static_selectorELNS0_4arch9wavefront6targetE1EEEvT1_.num_agpr, 0
	.set _ZN7rocprim17ROCPRIM_400000_NS6detail17trampoline_kernelINS0_14default_configENS1_25partition_config_selectorILNS1_17partition_subalgoE8ExNS0_10empty_typeEbEEZZNS1_14partition_implILS5_8ELb0ES3_jN6thrust23THRUST_200600_302600_NS6detail15normal_iteratorINSA_10device_ptrIxEEEEPS6_PKS6_NS0_5tupleIJSF_S6_EEENSJ_IJSG_SG_EEENS0_18inequality_wrapperI22is_equal_div_10_uniqueIxEEEPmJS6_EEE10hipError_tPvRmT3_T4_T5_T6_T7_T9_mT8_P12ihipStream_tbDpT10_ENKUlT_T0_E_clISt17integral_constantIbLb1EES1A_EEDaS15_S16_EUlS15_E_NS1_11comp_targetILNS1_3genE9ELNS1_11target_archE1100ELNS1_3gpuE3ELNS1_3repE0EEENS1_30default_config_static_selectorELNS0_4arch9wavefront6targetE1EEEvT1_.numbered_sgpr, 0
	.set _ZN7rocprim17ROCPRIM_400000_NS6detail17trampoline_kernelINS0_14default_configENS1_25partition_config_selectorILNS1_17partition_subalgoE8ExNS0_10empty_typeEbEEZZNS1_14partition_implILS5_8ELb0ES3_jN6thrust23THRUST_200600_302600_NS6detail15normal_iteratorINSA_10device_ptrIxEEEEPS6_PKS6_NS0_5tupleIJSF_S6_EEENSJ_IJSG_SG_EEENS0_18inequality_wrapperI22is_equal_div_10_uniqueIxEEEPmJS6_EEE10hipError_tPvRmT3_T4_T5_T6_T7_T9_mT8_P12ihipStream_tbDpT10_ENKUlT_T0_E_clISt17integral_constantIbLb1EES1A_EEDaS15_S16_EUlS15_E_NS1_11comp_targetILNS1_3genE9ELNS1_11target_archE1100ELNS1_3gpuE3ELNS1_3repE0EEENS1_30default_config_static_selectorELNS0_4arch9wavefront6targetE1EEEvT1_.num_named_barrier, 0
	.set _ZN7rocprim17ROCPRIM_400000_NS6detail17trampoline_kernelINS0_14default_configENS1_25partition_config_selectorILNS1_17partition_subalgoE8ExNS0_10empty_typeEbEEZZNS1_14partition_implILS5_8ELb0ES3_jN6thrust23THRUST_200600_302600_NS6detail15normal_iteratorINSA_10device_ptrIxEEEEPS6_PKS6_NS0_5tupleIJSF_S6_EEENSJ_IJSG_SG_EEENS0_18inequality_wrapperI22is_equal_div_10_uniqueIxEEEPmJS6_EEE10hipError_tPvRmT3_T4_T5_T6_T7_T9_mT8_P12ihipStream_tbDpT10_ENKUlT_T0_E_clISt17integral_constantIbLb1EES1A_EEDaS15_S16_EUlS15_E_NS1_11comp_targetILNS1_3genE9ELNS1_11target_archE1100ELNS1_3gpuE3ELNS1_3repE0EEENS1_30default_config_static_selectorELNS0_4arch9wavefront6targetE1EEEvT1_.private_seg_size, 0
	.set _ZN7rocprim17ROCPRIM_400000_NS6detail17trampoline_kernelINS0_14default_configENS1_25partition_config_selectorILNS1_17partition_subalgoE8ExNS0_10empty_typeEbEEZZNS1_14partition_implILS5_8ELb0ES3_jN6thrust23THRUST_200600_302600_NS6detail15normal_iteratorINSA_10device_ptrIxEEEEPS6_PKS6_NS0_5tupleIJSF_S6_EEENSJ_IJSG_SG_EEENS0_18inequality_wrapperI22is_equal_div_10_uniqueIxEEEPmJS6_EEE10hipError_tPvRmT3_T4_T5_T6_T7_T9_mT8_P12ihipStream_tbDpT10_ENKUlT_T0_E_clISt17integral_constantIbLb1EES1A_EEDaS15_S16_EUlS15_E_NS1_11comp_targetILNS1_3genE9ELNS1_11target_archE1100ELNS1_3gpuE3ELNS1_3repE0EEENS1_30default_config_static_selectorELNS0_4arch9wavefront6targetE1EEEvT1_.uses_vcc, 0
	.set _ZN7rocprim17ROCPRIM_400000_NS6detail17trampoline_kernelINS0_14default_configENS1_25partition_config_selectorILNS1_17partition_subalgoE8ExNS0_10empty_typeEbEEZZNS1_14partition_implILS5_8ELb0ES3_jN6thrust23THRUST_200600_302600_NS6detail15normal_iteratorINSA_10device_ptrIxEEEEPS6_PKS6_NS0_5tupleIJSF_S6_EEENSJ_IJSG_SG_EEENS0_18inequality_wrapperI22is_equal_div_10_uniqueIxEEEPmJS6_EEE10hipError_tPvRmT3_T4_T5_T6_T7_T9_mT8_P12ihipStream_tbDpT10_ENKUlT_T0_E_clISt17integral_constantIbLb1EES1A_EEDaS15_S16_EUlS15_E_NS1_11comp_targetILNS1_3genE9ELNS1_11target_archE1100ELNS1_3gpuE3ELNS1_3repE0EEENS1_30default_config_static_selectorELNS0_4arch9wavefront6targetE1EEEvT1_.uses_flat_scratch, 0
	.set _ZN7rocprim17ROCPRIM_400000_NS6detail17trampoline_kernelINS0_14default_configENS1_25partition_config_selectorILNS1_17partition_subalgoE8ExNS0_10empty_typeEbEEZZNS1_14partition_implILS5_8ELb0ES3_jN6thrust23THRUST_200600_302600_NS6detail15normal_iteratorINSA_10device_ptrIxEEEEPS6_PKS6_NS0_5tupleIJSF_S6_EEENSJ_IJSG_SG_EEENS0_18inequality_wrapperI22is_equal_div_10_uniqueIxEEEPmJS6_EEE10hipError_tPvRmT3_T4_T5_T6_T7_T9_mT8_P12ihipStream_tbDpT10_ENKUlT_T0_E_clISt17integral_constantIbLb1EES1A_EEDaS15_S16_EUlS15_E_NS1_11comp_targetILNS1_3genE9ELNS1_11target_archE1100ELNS1_3gpuE3ELNS1_3repE0EEENS1_30default_config_static_selectorELNS0_4arch9wavefront6targetE1EEEvT1_.has_dyn_sized_stack, 0
	.set _ZN7rocprim17ROCPRIM_400000_NS6detail17trampoline_kernelINS0_14default_configENS1_25partition_config_selectorILNS1_17partition_subalgoE8ExNS0_10empty_typeEbEEZZNS1_14partition_implILS5_8ELb0ES3_jN6thrust23THRUST_200600_302600_NS6detail15normal_iteratorINSA_10device_ptrIxEEEEPS6_PKS6_NS0_5tupleIJSF_S6_EEENSJ_IJSG_SG_EEENS0_18inequality_wrapperI22is_equal_div_10_uniqueIxEEEPmJS6_EEE10hipError_tPvRmT3_T4_T5_T6_T7_T9_mT8_P12ihipStream_tbDpT10_ENKUlT_T0_E_clISt17integral_constantIbLb1EES1A_EEDaS15_S16_EUlS15_E_NS1_11comp_targetILNS1_3genE9ELNS1_11target_archE1100ELNS1_3gpuE3ELNS1_3repE0EEENS1_30default_config_static_selectorELNS0_4arch9wavefront6targetE1EEEvT1_.has_recursion, 0
	.set _ZN7rocprim17ROCPRIM_400000_NS6detail17trampoline_kernelINS0_14default_configENS1_25partition_config_selectorILNS1_17partition_subalgoE8ExNS0_10empty_typeEbEEZZNS1_14partition_implILS5_8ELb0ES3_jN6thrust23THRUST_200600_302600_NS6detail15normal_iteratorINSA_10device_ptrIxEEEEPS6_PKS6_NS0_5tupleIJSF_S6_EEENSJ_IJSG_SG_EEENS0_18inequality_wrapperI22is_equal_div_10_uniqueIxEEEPmJS6_EEE10hipError_tPvRmT3_T4_T5_T6_T7_T9_mT8_P12ihipStream_tbDpT10_ENKUlT_T0_E_clISt17integral_constantIbLb1EES1A_EEDaS15_S16_EUlS15_E_NS1_11comp_targetILNS1_3genE9ELNS1_11target_archE1100ELNS1_3gpuE3ELNS1_3repE0EEENS1_30default_config_static_selectorELNS0_4arch9wavefront6targetE1EEEvT1_.has_indirect_call, 0
	.section	.AMDGPU.csdata,"",@progbits
; Kernel info:
; codeLenInByte = 0
; TotalNumSgprs: 4
; NumVgprs: 0
; ScratchSize: 0
; MemoryBound: 0
; FloatMode: 240
; IeeeMode: 1
; LDSByteSize: 0 bytes/workgroup (compile time only)
; SGPRBlocks: 0
; VGPRBlocks: 0
; NumSGPRsForWavesPerEU: 4
; NumVGPRsForWavesPerEU: 1
; Occupancy: 10
; WaveLimiterHint : 0
; COMPUTE_PGM_RSRC2:SCRATCH_EN: 0
; COMPUTE_PGM_RSRC2:USER_SGPR: 6
; COMPUTE_PGM_RSRC2:TRAP_HANDLER: 0
; COMPUTE_PGM_RSRC2:TGID_X_EN: 1
; COMPUTE_PGM_RSRC2:TGID_Y_EN: 0
; COMPUTE_PGM_RSRC2:TGID_Z_EN: 0
; COMPUTE_PGM_RSRC2:TIDIG_COMP_CNT: 0
	.section	.text._ZN7rocprim17ROCPRIM_400000_NS6detail17trampoline_kernelINS0_14default_configENS1_25partition_config_selectorILNS1_17partition_subalgoE8ExNS0_10empty_typeEbEEZZNS1_14partition_implILS5_8ELb0ES3_jN6thrust23THRUST_200600_302600_NS6detail15normal_iteratorINSA_10device_ptrIxEEEEPS6_PKS6_NS0_5tupleIJSF_S6_EEENSJ_IJSG_SG_EEENS0_18inequality_wrapperI22is_equal_div_10_uniqueIxEEEPmJS6_EEE10hipError_tPvRmT3_T4_T5_T6_T7_T9_mT8_P12ihipStream_tbDpT10_ENKUlT_T0_E_clISt17integral_constantIbLb1EES1A_EEDaS15_S16_EUlS15_E_NS1_11comp_targetILNS1_3genE8ELNS1_11target_archE1030ELNS1_3gpuE2ELNS1_3repE0EEENS1_30default_config_static_selectorELNS0_4arch9wavefront6targetE1EEEvT1_,"axG",@progbits,_ZN7rocprim17ROCPRIM_400000_NS6detail17trampoline_kernelINS0_14default_configENS1_25partition_config_selectorILNS1_17partition_subalgoE8ExNS0_10empty_typeEbEEZZNS1_14partition_implILS5_8ELb0ES3_jN6thrust23THRUST_200600_302600_NS6detail15normal_iteratorINSA_10device_ptrIxEEEEPS6_PKS6_NS0_5tupleIJSF_S6_EEENSJ_IJSG_SG_EEENS0_18inequality_wrapperI22is_equal_div_10_uniqueIxEEEPmJS6_EEE10hipError_tPvRmT3_T4_T5_T6_T7_T9_mT8_P12ihipStream_tbDpT10_ENKUlT_T0_E_clISt17integral_constantIbLb1EES1A_EEDaS15_S16_EUlS15_E_NS1_11comp_targetILNS1_3genE8ELNS1_11target_archE1030ELNS1_3gpuE2ELNS1_3repE0EEENS1_30default_config_static_selectorELNS0_4arch9wavefront6targetE1EEEvT1_,comdat
	.protected	_ZN7rocprim17ROCPRIM_400000_NS6detail17trampoline_kernelINS0_14default_configENS1_25partition_config_selectorILNS1_17partition_subalgoE8ExNS0_10empty_typeEbEEZZNS1_14partition_implILS5_8ELb0ES3_jN6thrust23THRUST_200600_302600_NS6detail15normal_iteratorINSA_10device_ptrIxEEEEPS6_PKS6_NS0_5tupleIJSF_S6_EEENSJ_IJSG_SG_EEENS0_18inequality_wrapperI22is_equal_div_10_uniqueIxEEEPmJS6_EEE10hipError_tPvRmT3_T4_T5_T6_T7_T9_mT8_P12ihipStream_tbDpT10_ENKUlT_T0_E_clISt17integral_constantIbLb1EES1A_EEDaS15_S16_EUlS15_E_NS1_11comp_targetILNS1_3genE8ELNS1_11target_archE1030ELNS1_3gpuE2ELNS1_3repE0EEENS1_30default_config_static_selectorELNS0_4arch9wavefront6targetE1EEEvT1_ ; -- Begin function _ZN7rocprim17ROCPRIM_400000_NS6detail17trampoline_kernelINS0_14default_configENS1_25partition_config_selectorILNS1_17partition_subalgoE8ExNS0_10empty_typeEbEEZZNS1_14partition_implILS5_8ELb0ES3_jN6thrust23THRUST_200600_302600_NS6detail15normal_iteratorINSA_10device_ptrIxEEEEPS6_PKS6_NS0_5tupleIJSF_S6_EEENSJ_IJSG_SG_EEENS0_18inequality_wrapperI22is_equal_div_10_uniqueIxEEEPmJS6_EEE10hipError_tPvRmT3_T4_T5_T6_T7_T9_mT8_P12ihipStream_tbDpT10_ENKUlT_T0_E_clISt17integral_constantIbLb1EES1A_EEDaS15_S16_EUlS15_E_NS1_11comp_targetILNS1_3genE8ELNS1_11target_archE1030ELNS1_3gpuE2ELNS1_3repE0EEENS1_30default_config_static_selectorELNS0_4arch9wavefront6targetE1EEEvT1_
	.globl	_ZN7rocprim17ROCPRIM_400000_NS6detail17trampoline_kernelINS0_14default_configENS1_25partition_config_selectorILNS1_17partition_subalgoE8ExNS0_10empty_typeEbEEZZNS1_14partition_implILS5_8ELb0ES3_jN6thrust23THRUST_200600_302600_NS6detail15normal_iteratorINSA_10device_ptrIxEEEEPS6_PKS6_NS0_5tupleIJSF_S6_EEENSJ_IJSG_SG_EEENS0_18inequality_wrapperI22is_equal_div_10_uniqueIxEEEPmJS6_EEE10hipError_tPvRmT3_T4_T5_T6_T7_T9_mT8_P12ihipStream_tbDpT10_ENKUlT_T0_E_clISt17integral_constantIbLb1EES1A_EEDaS15_S16_EUlS15_E_NS1_11comp_targetILNS1_3genE8ELNS1_11target_archE1030ELNS1_3gpuE2ELNS1_3repE0EEENS1_30default_config_static_selectorELNS0_4arch9wavefront6targetE1EEEvT1_
	.p2align	8
	.type	_ZN7rocprim17ROCPRIM_400000_NS6detail17trampoline_kernelINS0_14default_configENS1_25partition_config_selectorILNS1_17partition_subalgoE8ExNS0_10empty_typeEbEEZZNS1_14partition_implILS5_8ELb0ES3_jN6thrust23THRUST_200600_302600_NS6detail15normal_iteratorINSA_10device_ptrIxEEEEPS6_PKS6_NS0_5tupleIJSF_S6_EEENSJ_IJSG_SG_EEENS0_18inequality_wrapperI22is_equal_div_10_uniqueIxEEEPmJS6_EEE10hipError_tPvRmT3_T4_T5_T6_T7_T9_mT8_P12ihipStream_tbDpT10_ENKUlT_T0_E_clISt17integral_constantIbLb1EES1A_EEDaS15_S16_EUlS15_E_NS1_11comp_targetILNS1_3genE8ELNS1_11target_archE1030ELNS1_3gpuE2ELNS1_3repE0EEENS1_30default_config_static_selectorELNS0_4arch9wavefront6targetE1EEEvT1_,@function
_ZN7rocprim17ROCPRIM_400000_NS6detail17trampoline_kernelINS0_14default_configENS1_25partition_config_selectorILNS1_17partition_subalgoE8ExNS0_10empty_typeEbEEZZNS1_14partition_implILS5_8ELb0ES3_jN6thrust23THRUST_200600_302600_NS6detail15normal_iteratorINSA_10device_ptrIxEEEEPS6_PKS6_NS0_5tupleIJSF_S6_EEENSJ_IJSG_SG_EEENS0_18inequality_wrapperI22is_equal_div_10_uniqueIxEEEPmJS6_EEE10hipError_tPvRmT3_T4_T5_T6_T7_T9_mT8_P12ihipStream_tbDpT10_ENKUlT_T0_E_clISt17integral_constantIbLb1EES1A_EEDaS15_S16_EUlS15_E_NS1_11comp_targetILNS1_3genE8ELNS1_11target_archE1030ELNS1_3gpuE2ELNS1_3repE0EEENS1_30default_config_static_selectorELNS0_4arch9wavefront6targetE1EEEvT1_: ; @_ZN7rocprim17ROCPRIM_400000_NS6detail17trampoline_kernelINS0_14default_configENS1_25partition_config_selectorILNS1_17partition_subalgoE8ExNS0_10empty_typeEbEEZZNS1_14partition_implILS5_8ELb0ES3_jN6thrust23THRUST_200600_302600_NS6detail15normal_iteratorINSA_10device_ptrIxEEEEPS6_PKS6_NS0_5tupleIJSF_S6_EEENSJ_IJSG_SG_EEENS0_18inequality_wrapperI22is_equal_div_10_uniqueIxEEEPmJS6_EEE10hipError_tPvRmT3_T4_T5_T6_T7_T9_mT8_P12ihipStream_tbDpT10_ENKUlT_T0_E_clISt17integral_constantIbLb1EES1A_EEDaS15_S16_EUlS15_E_NS1_11comp_targetILNS1_3genE8ELNS1_11target_archE1030ELNS1_3gpuE2ELNS1_3repE0EEENS1_30default_config_static_selectorELNS0_4arch9wavefront6targetE1EEEvT1_
; %bb.0:
	.section	.rodata,"a",@progbits
	.p2align	6, 0x0
	.amdhsa_kernel _ZN7rocprim17ROCPRIM_400000_NS6detail17trampoline_kernelINS0_14default_configENS1_25partition_config_selectorILNS1_17partition_subalgoE8ExNS0_10empty_typeEbEEZZNS1_14partition_implILS5_8ELb0ES3_jN6thrust23THRUST_200600_302600_NS6detail15normal_iteratorINSA_10device_ptrIxEEEEPS6_PKS6_NS0_5tupleIJSF_S6_EEENSJ_IJSG_SG_EEENS0_18inequality_wrapperI22is_equal_div_10_uniqueIxEEEPmJS6_EEE10hipError_tPvRmT3_T4_T5_T6_T7_T9_mT8_P12ihipStream_tbDpT10_ENKUlT_T0_E_clISt17integral_constantIbLb1EES1A_EEDaS15_S16_EUlS15_E_NS1_11comp_targetILNS1_3genE8ELNS1_11target_archE1030ELNS1_3gpuE2ELNS1_3repE0EEENS1_30default_config_static_selectorELNS0_4arch9wavefront6targetE1EEEvT1_
		.amdhsa_group_segment_fixed_size 0
		.amdhsa_private_segment_fixed_size 0
		.amdhsa_kernarg_size 128
		.amdhsa_user_sgpr_count 6
		.amdhsa_user_sgpr_private_segment_buffer 1
		.amdhsa_user_sgpr_dispatch_ptr 0
		.amdhsa_user_sgpr_queue_ptr 0
		.amdhsa_user_sgpr_kernarg_segment_ptr 1
		.amdhsa_user_sgpr_dispatch_id 0
		.amdhsa_user_sgpr_flat_scratch_init 0
		.amdhsa_user_sgpr_private_segment_size 0
		.amdhsa_uses_dynamic_stack 0
		.amdhsa_system_sgpr_private_segment_wavefront_offset 0
		.amdhsa_system_sgpr_workgroup_id_x 1
		.amdhsa_system_sgpr_workgroup_id_y 0
		.amdhsa_system_sgpr_workgroup_id_z 0
		.amdhsa_system_sgpr_workgroup_info 0
		.amdhsa_system_vgpr_workitem_id 0
		.amdhsa_next_free_vgpr 1
		.amdhsa_next_free_sgpr 0
		.amdhsa_reserve_vcc 0
		.amdhsa_reserve_flat_scratch 0
		.amdhsa_float_round_mode_32 0
		.amdhsa_float_round_mode_16_64 0
		.amdhsa_float_denorm_mode_32 3
		.amdhsa_float_denorm_mode_16_64 3
		.amdhsa_dx10_clamp 1
		.amdhsa_ieee_mode 1
		.amdhsa_fp16_overflow 0
		.amdhsa_exception_fp_ieee_invalid_op 0
		.amdhsa_exception_fp_denorm_src 0
		.amdhsa_exception_fp_ieee_div_zero 0
		.amdhsa_exception_fp_ieee_overflow 0
		.amdhsa_exception_fp_ieee_underflow 0
		.amdhsa_exception_fp_ieee_inexact 0
		.amdhsa_exception_int_div_zero 0
	.end_amdhsa_kernel
	.section	.text._ZN7rocprim17ROCPRIM_400000_NS6detail17trampoline_kernelINS0_14default_configENS1_25partition_config_selectorILNS1_17partition_subalgoE8ExNS0_10empty_typeEbEEZZNS1_14partition_implILS5_8ELb0ES3_jN6thrust23THRUST_200600_302600_NS6detail15normal_iteratorINSA_10device_ptrIxEEEEPS6_PKS6_NS0_5tupleIJSF_S6_EEENSJ_IJSG_SG_EEENS0_18inequality_wrapperI22is_equal_div_10_uniqueIxEEEPmJS6_EEE10hipError_tPvRmT3_T4_T5_T6_T7_T9_mT8_P12ihipStream_tbDpT10_ENKUlT_T0_E_clISt17integral_constantIbLb1EES1A_EEDaS15_S16_EUlS15_E_NS1_11comp_targetILNS1_3genE8ELNS1_11target_archE1030ELNS1_3gpuE2ELNS1_3repE0EEENS1_30default_config_static_selectorELNS0_4arch9wavefront6targetE1EEEvT1_,"axG",@progbits,_ZN7rocprim17ROCPRIM_400000_NS6detail17trampoline_kernelINS0_14default_configENS1_25partition_config_selectorILNS1_17partition_subalgoE8ExNS0_10empty_typeEbEEZZNS1_14partition_implILS5_8ELb0ES3_jN6thrust23THRUST_200600_302600_NS6detail15normal_iteratorINSA_10device_ptrIxEEEEPS6_PKS6_NS0_5tupleIJSF_S6_EEENSJ_IJSG_SG_EEENS0_18inequality_wrapperI22is_equal_div_10_uniqueIxEEEPmJS6_EEE10hipError_tPvRmT3_T4_T5_T6_T7_T9_mT8_P12ihipStream_tbDpT10_ENKUlT_T0_E_clISt17integral_constantIbLb1EES1A_EEDaS15_S16_EUlS15_E_NS1_11comp_targetILNS1_3genE8ELNS1_11target_archE1030ELNS1_3gpuE2ELNS1_3repE0EEENS1_30default_config_static_selectorELNS0_4arch9wavefront6targetE1EEEvT1_,comdat
.Lfunc_end387:
	.size	_ZN7rocprim17ROCPRIM_400000_NS6detail17trampoline_kernelINS0_14default_configENS1_25partition_config_selectorILNS1_17partition_subalgoE8ExNS0_10empty_typeEbEEZZNS1_14partition_implILS5_8ELb0ES3_jN6thrust23THRUST_200600_302600_NS6detail15normal_iteratorINSA_10device_ptrIxEEEEPS6_PKS6_NS0_5tupleIJSF_S6_EEENSJ_IJSG_SG_EEENS0_18inequality_wrapperI22is_equal_div_10_uniqueIxEEEPmJS6_EEE10hipError_tPvRmT3_T4_T5_T6_T7_T9_mT8_P12ihipStream_tbDpT10_ENKUlT_T0_E_clISt17integral_constantIbLb1EES1A_EEDaS15_S16_EUlS15_E_NS1_11comp_targetILNS1_3genE8ELNS1_11target_archE1030ELNS1_3gpuE2ELNS1_3repE0EEENS1_30default_config_static_selectorELNS0_4arch9wavefront6targetE1EEEvT1_, .Lfunc_end387-_ZN7rocprim17ROCPRIM_400000_NS6detail17trampoline_kernelINS0_14default_configENS1_25partition_config_selectorILNS1_17partition_subalgoE8ExNS0_10empty_typeEbEEZZNS1_14partition_implILS5_8ELb0ES3_jN6thrust23THRUST_200600_302600_NS6detail15normal_iteratorINSA_10device_ptrIxEEEEPS6_PKS6_NS0_5tupleIJSF_S6_EEENSJ_IJSG_SG_EEENS0_18inequality_wrapperI22is_equal_div_10_uniqueIxEEEPmJS6_EEE10hipError_tPvRmT3_T4_T5_T6_T7_T9_mT8_P12ihipStream_tbDpT10_ENKUlT_T0_E_clISt17integral_constantIbLb1EES1A_EEDaS15_S16_EUlS15_E_NS1_11comp_targetILNS1_3genE8ELNS1_11target_archE1030ELNS1_3gpuE2ELNS1_3repE0EEENS1_30default_config_static_selectorELNS0_4arch9wavefront6targetE1EEEvT1_
                                        ; -- End function
	.set _ZN7rocprim17ROCPRIM_400000_NS6detail17trampoline_kernelINS0_14default_configENS1_25partition_config_selectorILNS1_17partition_subalgoE8ExNS0_10empty_typeEbEEZZNS1_14partition_implILS5_8ELb0ES3_jN6thrust23THRUST_200600_302600_NS6detail15normal_iteratorINSA_10device_ptrIxEEEEPS6_PKS6_NS0_5tupleIJSF_S6_EEENSJ_IJSG_SG_EEENS0_18inequality_wrapperI22is_equal_div_10_uniqueIxEEEPmJS6_EEE10hipError_tPvRmT3_T4_T5_T6_T7_T9_mT8_P12ihipStream_tbDpT10_ENKUlT_T0_E_clISt17integral_constantIbLb1EES1A_EEDaS15_S16_EUlS15_E_NS1_11comp_targetILNS1_3genE8ELNS1_11target_archE1030ELNS1_3gpuE2ELNS1_3repE0EEENS1_30default_config_static_selectorELNS0_4arch9wavefront6targetE1EEEvT1_.num_vgpr, 0
	.set _ZN7rocprim17ROCPRIM_400000_NS6detail17trampoline_kernelINS0_14default_configENS1_25partition_config_selectorILNS1_17partition_subalgoE8ExNS0_10empty_typeEbEEZZNS1_14partition_implILS5_8ELb0ES3_jN6thrust23THRUST_200600_302600_NS6detail15normal_iteratorINSA_10device_ptrIxEEEEPS6_PKS6_NS0_5tupleIJSF_S6_EEENSJ_IJSG_SG_EEENS0_18inequality_wrapperI22is_equal_div_10_uniqueIxEEEPmJS6_EEE10hipError_tPvRmT3_T4_T5_T6_T7_T9_mT8_P12ihipStream_tbDpT10_ENKUlT_T0_E_clISt17integral_constantIbLb1EES1A_EEDaS15_S16_EUlS15_E_NS1_11comp_targetILNS1_3genE8ELNS1_11target_archE1030ELNS1_3gpuE2ELNS1_3repE0EEENS1_30default_config_static_selectorELNS0_4arch9wavefront6targetE1EEEvT1_.num_agpr, 0
	.set _ZN7rocprim17ROCPRIM_400000_NS6detail17trampoline_kernelINS0_14default_configENS1_25partition_config_selectorILNS1_17partition_subalgoE8ExNS0_10empty_typeEbEEZZNS1_14partition_implILS5_8ELb0ES3_jN6thrust23THRUST_200600_302600_NS6detail15normal_iteratorINSA_10device_ptrIxEEEEPS6_PKS6_NS0_5tupleIJSF_S6_EEENSJ_IJSG_SG_EEENS0_18inequality_wrapperI22is_equal_div_10_uniqueIxEEEPmJS6_EEE10hipError_tPvRmT3_T4_T5_T6_T7_T9_mT8_P12ihipStream_tbDpT10_ENKUlT_T0_E_clISt17integral_constantIbLb1EES1A_EEDaS15_S16_EUlS15_E_NS1_11comp_targetILNS1_3genE8ELNS1_11target_archE1030ELNS1_3gpuE2ELNS1_3repE0EEENS1_30default_config_static_selectorELNS0_4arch9wavefront6targetE1EEEvT1_.numbered_sgpr, 0
	.set _ZN7rocprim17ROCPRIM_400000_NS6detail17trampoline_kernelINS0_14default_configENS1_25partition_config_selectorILNS1_17partition_subalgoE8ExNS0_10empty_typeEbEEZZNS1_14partition_implILS5_8ELb0ES3_jN6thrust23THRUST_200600_302600_NS6detail15normal_iteratorINSA_10device_ptrIxEEEEPS6_PKS6_NS0_5tupleIJSF_S6_EEENSJ_IJSG_SG_EEENS0_18inequality_wrapperI22is_equal_div_10_uniqueIxEEEPmJS6_EEE10hipError_tPvRmT3_T4_T5_T6_T7_T9_mT8_P12ihipStream_tbDpT10_ENKUlT_T0_E_clISt17integral_constantIbLb1EES1A_EEDaS15_S16_EUlS15_E_NS1_11comp_targetILNS1_3genE8ELNS1_11target_archE1030ELNS1_3gpuE2ELNS1_3repE0EEENS1_30default_config_static_selectorELNS0_4arch9wavefront6targetE1EEEvT1_.num_named_barrier, 0
	.set _ZN7rocprim17ROCPRIM_400000_NS6detail17trampoline_kernelINS0_14default_configENS1_25partition_config_selectorILNS1_17partition_subalgoE8ExNS0_10empty_typeEbEEZZNS1_14partition_implILS5_8ELb0ES3_jN6thrust23THRUST_200600_302600_NS6detail15normal_iteratorINSA_10device_ptrIxEEEEPS6_PKS6_NS0_5tupleIJSF_S6_EEENSJ_IJSG_SG_EEENS0_18inequality_wrapperI22is_equal_div_10_uniqueIxEEEPmJS6_EEE10hipError_tPvRmT3_T4_T5_T6_T7_T9_mT8_P12ihipStream_tbDpT10_ENKUlT_T0_E_clISt17integral_constantIbLb1EES1A_EEDaS15_S16_EUlS15_E_NS1_11comp_targetILNS1_3genE8ELNS1_11target_archE1030ELNS1_3gpuE2ELNS1_3repE0EEENS1_30default_config_static_selectorELNS0_4arch9wavefront6targetE1EEEvT1_.private_seg_size, 0
	.set _ZN7rocprim17ROCPRIM_400000_NS6detail17trampoline_kernelINS0_14default_configENS1_25partition_config_selectorILNS1_17partition_subalgoE8ExNS0_10empty_typeEbEEZZNS1_14partition_implILS5_8ELb0ES3_jN6thrust23THRUST_200600_302600_NS6detail15normal_iteratorINSA_10device_ptrIxEEEEPS6_PKS6_NS0_5tupleIJSF_S6_EEENSJ_IJSG_SG_EEENS0_18inequality_wrapperI22is_equal_div_10_uniqueIxEEEPmJS6_EEE10hipError_tPvRmT3_T4_T5_T6_T7_T9_mT8_P12ihipStream_tbDpT10_ENKUlT_T0_E_clISt17integral_constantIbLb1EES1A_EEDaS15_S16_EUlS15_E_NS1_11comp_targetILNS1_3genE8ELNS1_11target_archE1030ELNS1_3gpuE2ELNS1_3repE0EEENS1_30default_config_static_selectorELNS0_4arch9wavefront6targetE1EEEvT1_.uses_vcc, 0
	.set _ZN7rocprim17ROCPRIM_400000_NS6detail17trampoline_kernelINS0_14default_configENS1_25partition_config_selectorILNS1_17partition_subalgoE8ExNS0_10empty_typeEbEEZZNS1_14partition_implILS5_8ELb0ES3_jN6thrust23THRUST_200600_302600_NS6detail15normal_iteratorINSA_10device_ptrIxEEEEPS6_PKS6_NS0_5tupleIJSF_S6_EEENSJ_IJSG_SG_EEENS0_18inequality_wrapperI22is_equal_div_10_uniqueIxEEEPmJS6_EEE10hipError_tPvRmT3_T4_T5_T6_T7_T9_mT8_P12ihipStream_tbDpT10_ENKUlT_T0_E_clISt17integral_constantIbLb1EES1A_EEDaS15_S16_EUlS15_E_NS1_11comp_targetILNS1_3genE8ELNS1_11target_archE1030ELNS1_3gpuE2ELNS1_3repE0EEENS1_30default_config_static_selectorELNS0_4arch9wavefront6targetE1EEEvT1_.uses_flat_scratch, 0
	.set _ZN7rocprim17ROCPRIM_400000_NS6detail17trampoline_kernelINS0_14default_configENS1_25partition_config_selectorILNS1_17partition_subalgoE8ExNS0_10empty_typeEbEEZZNS1_14partition_implILS5_8ELb0ES3_jN6thrust23THRUST_200600_302600_NS6detail15normal_iteratorINSA_10device_ptrIxEEEEPS6_PKS6_NS0_5tupleIJSF_S6_EEENSJ_IJSG_SG_EEENS0_18inequality_wrapperI22is_equal_div_10_uniqueIxEEEPmJS6_EEE10hipError_tPvRmT3_T4_T5_T6_T7_T9_mT8_P12ihipStream_tbDpT10_ENKUlT_T0_E_clISt17integral_constantIbLb1EES1A_EEDaS15_S16_EUlS15_E_NS1_11comp_targetILNS1_3genE8ELNS1_11target_archE1030ELNS1_3gpuE2ELNS1_3repE0EEENS1_30default_config_static_selectorELNS0_4arch9wavefront6targetE1EEEvT1_.has_dyn_sized_stack, 0
	.set _ZN7rocprim17ROCPRIM_400000_NS6detail17trampoline_kernelINS0_14default_configENS1_25partition_config_selectorILNS1_17partition_subalgoE8ExNS0_10empty_typeEbEEZZNS1_14partition_implILS5_8ELb0ES3_jN6thrust23THRUST_200600_302600_NS6detail15normal_iteratorINSA_10device_ptrIxEEEEPS6_PKS6_NS0_5tupleIJSF_S6_EEENSJ_IJSG_SG_EEENS0_18inequality_wrapperI22is_equal_div_10_uniqueIxEEEPmJS6_EEE10hipError_tPvRmT3_T4_T5_T6_T7_T9_mT8_P12ihipStream_tbDpT10_ENKUlT_T0_E_clISt17integral_constantIbLb1EES1A_EEDaS15_S16_EUlS15_E_NS1_11comp_targetILNS1_3genE8ELNS1_11target_archE1030ELNS1_3gpuE2ELNS1_3repE0EEENS1_30default_config_static_selectorELNS0_4arch9wavefront6targetE1EEEvT1_.has_recursion, 0
	.set _ZN7rocprim17ROCPRIM_400000_NS6detail17trampoline_kernelINS0_14default_configENS1_25partition_config_selectorILNS1_17partition_subalgoE8ExNS0_10empty_typeEbEEZZNS1_14partition_implILS5_8ELb0ES3_jN6thrust23THRUST_200600_302600_NS6detail15normal_iteratorINSA_10device_ptrIxEEEEPS6_PKS6_NS0_5tupleIJSF_S6_EEENSJ_IJSG_SG_EEENS0_18inequality_wrapperI22is_equal_div_10_uniqueIxEEEPmJS6_EEE10hipError_tPvRmT3_T4_T5_T6_T7_T9_mT8_P12ihipStream_tbDpT10_ENKUlT_T0_E_clISt17integral_constantIbLb1EES1A_EEDaS15_S16_EUlS15_E_NS1_11comp_targetILNS1_3genE8ELNS1_11target_archE1030ELNS1_3gpuE2ELNS1_3repE0EEENS1_30default_config_static_selectorELNS0_4arch9wavefront6targetE1EEEvT1_.has_indirect_call, 0
	.section	.AMDGPU.csdata,"",@progbits
; Kernel info:
; codeLenInByte = 0
; TotalNumSgprs: 4
; NumVgprs: 0
; ScratchSize: 0
; MemoryBound: 0
; FloatMode: 240
; IeeeMode: 1
; LDSByteSize: 0 bytes/workgroup (compile time only)
; SGPRBlocks: 0
; VGPRBlocks: 0
; NumSGPRsForWavesPerEU: 4
; NumVGPRsForWavesPerEU: 1
; Occupancy: 10
; WaveLimiterHint : 0
; COMPUTE_PGM_RSRC2:SCRATCH_EN: 0
; COMPUTE_PGM_RSRC2:USER_SGPR: 6
; COMPUTE_PGM_RSRC2:TRAP_HANDLER: 0
; COMPUTE_PGM_RSRC2:TGID_X_EN: 1
; COMPUTE_PGM_RSRC2:TGID_Y_EN: 0
; COMPUTE_PGM_RSRC2:TGID_Z_EN: 0
; COMPUTE_PGM_RSRC2:TIDIG_COMP_CNT: 0
	.section	.text._ZN7rocprim17ROCPRIM_400000_NS6detail17trampoline_kernelINS0_14default_configENS1_25partition_config_selectorILNS1_17partition_subalgoE8ExNS0_10empty_typeEbEEZZNS1_14partition_implILS5_8ELb0ES3_jN6thrust23THRUST_200600_302600_NS6detail15normal_iteratorINSA_10device_ptrIxEEEEPS6_PKS6_NS0_5tupleIJSF_S6_EEENSJ_IJSG_SG_EEENS0_18inequality_wrapperI22is_equal_div_10_uniqueIxEEEPmJS6_EEE10hipError_tPvRmT3_T4_T5_T6_T7_T9_mT8_P12ihipStream_tbDpT10_ENKUlT_T0_E_clISt17integral_constantIbLb1EES19_IbLb0EEEEDaS15_S16_EUlS15_E_NS1_11comp_targetILNS1_3genE0ELNS1_11target_archE4294967295ELNS1_3gpuE0ELNS1_3repE0EEENS1_30default_config_static_selectorELNS0_4arch9wavefront6targetE1EEEvT1_,"axG",@progbits,_ZN7rocprim17ROCPRIM_400000_NS6detail17trampoline_kernelINS0_14default_configENS1_25partition_config_selectorILNS1_17partition_subalgoE8ExNS0_10empty_typeEbEEZZNS1_14partition_implILS5_8ELb0ES3_jN6thrust23THRUST_200600_302600_NS6detail15normal_iteratorINSA_10device_ptrIxEEEEPS6_PKS6_NS0_5tupleIJSF_S6_EEENSJ_IJSG_SG_EEENS0_18inequality_wrapperI22is_equal_div_10_uniqueIxEEEPmJS6_EEE10hipError_tPvRmT3_T4_T5_T6_T7_T9_mT8_P12ihipStream_tbDpT10_ENKUlT_T0_E_clISt17integral_constantIbLb1EES19_IbLb0EEEEDaS15_S16_EUlS15_E_NS1_11comp_targetILNS1_3genE0ELNS1_11target_archE4294967295ELNS1_3gpuE0ELNS1_3repE0EEENS1_30default_config_static_selectorELNS0_4arch9wavefront6targetE1EEEvT1_,comdat
	.protected	_ZN7rocprim17ROCPRIM_400000_NS6detail17trampoline_kernelINS0_14default_configENS1_25partition_config_selectorILNS1_17partition_subalgoE8ExNS0_10empty_typeEbEEZZNS1_14partition_implILS5_8ELb0ES3_jN6thrust23THRUST_200600_302600_NS6detail15normal_iteratorINSA_10device_ptrIxEEEEPS6_PKS6_NS0_5tupleIJSF_S6_EEENSJ_IJSG_SG_EEENS0_18inequality_wrapperI22is_equal_div_10_uniqueIxEEEPmJS6_EEE10hipError_tPvRmT3_T4_T5_T6_T7_T9_mT8_P12ihipStream_tbDpT10_ENKUlT_T0_E_clISt17integral_constantIbLb1EES19_IbLb0EEEEDaS15_S16_EUlS15_E_NS1_11comp_targetILNS1_3genE0ELNS1_11target_archE4294967295ELNS1_3gpuE0ELNS1_3repE0EEENS1_30default_config_static_selectorELNS0_4arch9wavefront6targetE1EEEvT1_ ; -- Begin function _ZN7rocprim17ROCPRIM_400000_NS6detail17trampoline_kernelINS0_14default_configENS1_25partition_config_selectorILNS1_17partition_subalgoE8ExNS0_10empty_typeEbEEZZNS1_14partition_implILS5_8ELb0ES3_jN6thrust23THRUST_200600_302600_NS6detail15normal_iteratorINSA_10device_ptrIxEEEEPS6_PKS6_NS0_5tupleIJSF_S6_EEENSJ_IJSG_SG_EEENS0_18inequality_wrapperI22is_equal_div_10_uniqueIxEEEPmJS6_EEE10hipError_tPvRmT3_T4_T5_T6_T7_T9_mT8_P12ihipStream_tbDpT10_ENKUlT_T0_E_clISt17integral_constantIbLb1EES19_IbLb0EEEEDaS15_S16_EUlS15_E_NS1_11comp_targetILNS1_3genE0ELNS1_11target_archE4294967295ELNS1_3gpuE0ELNS1_3repE0EEENS1_30default_config_static_selectorELNS0_4arch9wavefront6targetE1EEEvT1_
	.globl	_ZN7rocprim17ROCPRIM_400000_NS6detail17trampoline_kernelINS0_14default_configENS1_25partition_config_selectorILNS1_17partition_subalgoE8ExNS0_10empty_typeEbEEZZNS1_14partition_implILS5_8ELb0ES3_jN6thrust23THRUST_200600_302600_NS6detail15normal_iteratorINSA_10device_ptrIxEEEEPS6_PKS6_NS0_5tupleIJSF_S6_EEENSJ_IJSG_SG_EEENS0_18inequality_wrapperI22is_equal_div_10_uniqueIxEEEPmJS6_EEE10hipError_tPvRmT3_T4_T5_T6_T7_T9_mT8_P12ihipStream_tbDpT10_ENKUlT_T0_E_clISt17integral_constantIbLb1EES19_IbLb0EEEEDaS15_S16_EUlS15_E_NS1_11comp_targetILNS1_3genE0ELNS1_11target_archE4294967295ELNS1_3gpuE0ELNS1_3repE0EEENS1_30default_config_static_selectorELNS0_4arch9wavefront6targetE1EEEvT1_
	.p2align	8
	.type	_ZN7rocprim17ROCPRIM_400000_NS6detail17trampoline_kernelINS0_14default_configENS1_25partition_config_selectorILNS1_17partition_subalgoE8ExNS0_10empty_typeEbEEZZNS1_14partition_implILS5_8ELb0ES3_jN6thrust23THRUST_200600_302600_NS6detail15normal_iteratorINSA_10device_ptrIxEEEEPS6_PKS6_NS0_5tupleIJSF_S6_EEENSJ_IJSG_SG_EEENS0_18inequality_wrapperI22is_equal_div_10_uniqueIxEEEPmJS6_EEE10hipError_tPvRmT3_T4_T5_T6_T7_T9_mT8_P12ihipStream_tbDpT10_ENKUlT_T0_E_clISt17integral_constantIbLb1EES19_IbLb0EEEEDaS15_S16_EUlS15_E_NS1_11comp_targetILNS1_3genE0ELNS1_11target_archE4294967295ELNS1_3gpuE0ELNS1_3repE0EEENS1_30default_config_static_selectorELNS0_4arch9wavefront6targetE1EEEvT1_,@function
_ZN7rocprim17ROCPRIM_400000_NS6detail17trampoline_kernelINS0_14default_configENS1_25partition_config_selectorILNS1_17partition_subalgoE8ExNS0_10empty_typeEbEEZZNS1_14partition_implILS5_8ELb0ES3_jN6thrust23THRUST_200600_302600_NS6detail15normal_iteratorINSA_10device_ptrIxEEEEPS6_PKS6_NS0_5tupleIJSF_S6_EEENSJ_IJSG_SG_EEENS0_18inequality_wrapperI22is_equal_div_10_uniqueIxEEEPmJS6_EEE10hipError_tPvRmT3_T4_T5_T6_T7_T9_mT8_P12ihipStream_tbDpT10_ENKUlT_T0_E_clISt17integral_constantIbLb1EES19_IbLb0EEEEDaS15_S16_EUlS15_E_NS1_11comp_targetILNS1_3genE0ELNS1_11target_archE4294967295ELNS1_3gpuE0ELNS1_3repE0EEENS1_30default_config_static_selectorELNS0_4arch9wavefront6targetE1EEEvT1_: ; @_ZN7rocprim17ROCPRIM_400000_NS6detail17trampoline_kernelINS0_14default_configENS1_25partition_config_selectorILNS1_17partition_subalgoE8ExNS0_10empty_typeEbEEZZNS1_14partition_implILS5_8ELb0ES3_jN6thrust23THRUST_200600_302600_NS6detail15normal_iteratorINSA_10device_ptrIxEEEEPS6_PKS6_NS0_5tupleIJSF_S6_EEENSJ_IJSG_SG_EEENS0_18inequality_wrapperI22is_equal_div_10_uniqueIxEEEPmJS6_EEE10hipError_tPvRmT3_T4_T5_T6_T7_T9_mT8_P12ihipStream_tbDpT10_ENKUlT_T0_E_clISt17integral_constantIbLb1EES19_IbLb0EEEEDaS15_S16_EUlS15_E_NS1_11comp_targetILNS1_3genE0ELNS1_11target_archE4294967295ELNS1_3gpuE0ELNS1_3repE0EEENS1_30default_config_static_selectorELNS0_4arch9wavefront6targetE1EEEvT1_
; %bb.0:
	.section	.rodata,"a",@progbits
	.p2align	6, 0x0
	.amdhsa_kernel _ZN7rocprim17ROCPRIM_400000_NS6detail17trampoline_kernelINS0_14default_configENS1_25partition_config_selectorILNS1_17partition_subalgoE8ExNS0_10empty_typeEbEEZZNS1_14partition_implILS5_8ELb0ES3_jN6thrust23THRUST_200600_302600_NS6detail15normal_iteratorINSA_10device_ptrIxEEEEPS6_PKS6_NS0_5tupleIJSF_S6_EEENSJ_IJSG_SG_EEENS0_18inequality_wrapperI22is_equal_div_10_uniqueIxEEEPmJS6_EEE10hipError_tPvRmT3_T4_T5_T6_T7_T9_mT8_P12ihipStream_tbDpT10_ENKUlT_T0_E_clISt17integral_constantIbLb1EES19_IbLb0EEEEDaS15_S16_EUlS15_E_NS1_11comp_targetILNS1_3genE0ELNS1_11target_archE4294967295ELNS1_3gpuE0ELNS1_3repE0EEENS1_30default_config_static_selectorELNS0_4arch9wavefront6targetE1EEEvT1_
		.amdhsa_group_segment_fixed_size 0
		.amdhsa_private_segment_fixed_size 0
		.amdhsa_kernarg_size 112
		.amdhsa_user_sgpr_count 6
		.amdhsa_user_sgpr_private_segment_buffer 1
		.amdhsa_user_sgpr_dispatch_ptr 0
		.amdhsa_user_sgpr_queue_ptr 0
		.amdhsa_user_sgpr_kernarg_segment_ptr 1
		.amdhsa_user_sgpr_dispatch_id 0
		.amdhsa_user_sgpr_flat_scratch_init 0
		.amdhsa_user_sgpr_private_segment_size 0
		.amdhsa_uses_dynamic_stack 0
		.amdhsa_system_sgpr_private_segment_wavefront_offset 0
		.amdhsa_system_sgpr_workgroup_id_x 1
		.amdhsa_system_sgpr_workgroup_id_y 0
		.amdhsa_system_sgpr_workgroup_id_z 0
		.amdhsa_system_sgpr_workgroup_info 0
		.amdhsa_system_vgpr_workitem_id 0
		.amdhsa_next_free_vgpr 1
		.amdhsa_next_free_sgpr 0
		.amdhsa_reserve_vcc 0
		.amdhsa_reserve_flat_scratch 0
		.amdhsa_float_round_mode_32 0
		.amdhsa_float_round_mode_16_64 0
		.amdhsa_float_denorm_mode_32 3
		.amdhsa_float_denorm_mode_16_64 3
		.amdhsa_dx10_clamp 1
		.amdhsa_ieee_mode 1
		.amdhsa_fp16_overflow 0
		.amdhsa_exception_fp_ieee_invalid_op 0
		.amdhsa_exception_fp_denorm_src 0
		.amdhsa_exception_fp_ieee_div_zero 0
		.amdhsa_exception_fp_ieee_overflow 0
		.amdhsa_exception_fp_ieee_underflow 0
		.amdhsa_exception_fp_ieee_inexact 0
		.amdhsa_exception_int_div_zero 0
	.end_amdhsa_kernel
	.section	.text._ZN7rocprim17ROCPRIM_400000_NS6detail17trampoline_kernelINS0_14default_configENS1_25partition_config_selectorILNS1_17partition_subalgoE8ExNS0_10empty_typeEbEEZZNS1_14partition_implILS5_8ELb0ES3_jN6thrust23THRUST_200600_302600_NS6detail15normal_iteratorINSA_10device_ptrIxEEEEPS6_PKS6_NS0_5tupleIJSF_S6_EEENSJ_IJSG_SG_EEENS0_18inequality_wrapperI22is_equal_div_10_uniqueIxEEEPmJS6_EEE10hipError_tPvRmT3_T4_T5_T6_T7_T9_mT8_P12ihipStream_tbDpT10_ENKUlT_T0_E_clISt17integral_constantIbLb1EES19_IbLb0EEEEDaS15_S16_EUlS15_E_NS1_11comp_targetILNS1_3genE0ELNS1_11target_archE4294967295ELNS1_3gpuE0ELNS1_3repE0EEENS1_30default_config_static_selectorELNS0_4arch9wavefront6targetE1EEEvT1_,"axG",@progbits,_ZN7rocprim17ROCPRIM_400000_NS6detail17trampoline_kernelINS0_14default_configENS1_25partition_config_selectorILNS1_17partition_subalgoE8ExNS0_10empty_typeEbEEZZNS1_14partition_implILS5_8ELb0ES3_jN6thrust23THRUST_200600_302600_NS6detail15normal_iteratorINSA_10device_ptrIxEEEEPS6_PKS6_NS0_5tupleIJSF_S6_EEENSJ_IJSG_SG_EEENS0_18inequality_wrapperI22is_equal_div_10_uniqueIxEEEPmJS6_EEE10hipError_tPvRmT3_T4_T5_T6_T7_T9_mT8_P12ihipStream_tbDpT10_ENKUlT_T0_E_clISt17integral_constantIbLb1EES19_IbLb0EEEEDaS15_S16_EUlS15_E_NS1_11comp_targetILNS1_3genE0ELNS1_11target_archE4294967295ELNS1_3gpuE0ELNS1_3repE0EEENS1_30default_config_static_selectorELNS0_4arch9wavefront6targetE1EEEvT1_,comdat
.Lfunc_end388:
	.size	_ZN7rocprim17ROCPRIM_400000_NS6detail17trampoline_kernelINS0_14default_configENS1_25partition_config_selectorILNS1_17partition_subalgoE8ExNS0_10empty_typeEbEEZZNS1_14partition_implILS5_8ELb0ES3_jN6thrust23THRUST_200600_302600_NS6detail15normal_iteratorINSA_10device_ptrIxEEEEPS6_PKS6_NS0_5tupleIJSF_S6_EEENSJ_IJSG_SG_EEENS0_18inequality_wrapperI22is_equal_div_10_uniqueIxEEEPmJS6_EEE10hipError_tPvRmT3_T4_T5_T6_T7_T9_mT8_P12ihipStream_tbDpT10_ENKUlT_T0_E_clISt17integral_constantIbLb1EES19_IbLb0EEEEDaS15_S16_EUlS15_E_NS1_11comp_targetILNS1_3genE0ELNS1_11target_archE4294967295ELNS1_3gpuE0ELNS1_3repE0EEENS1_30default_config_static_selectorELNS0_4arch9wavefront6targetE1EEEvT1_, .Lfunc_end388-_ZN7rocprim17ROCPRIM_400000_NS6detail17trampoline_kernelINS0_14default_configENS1_25partition_config_selectorILNS1_17partition_subalgoE8ExNS0_10empty_typeEbEEZZNS1_14partition_implILS5_8ELb0ES3_jN6thrust23THRUST_200600_302600_NS6detail15normal_iteratorINSA_10device_ptrIxEEEEPS6_PKS6_NS0_5tupleIJSF_S6_EEENSJ_IJSG_SG_EEENS0_18inequality_wrapperI22is_equal_div_10_uniqueIxEEEPmJS6_EEE10hipError_tPvRmT3_T4_T5_T6_T7_T9_mT8_P12ihipStream_tbDpT10_ENKUlT_T0_E_clISt17integral_constantIbLb1EES19_IbLb0EEEEDaS15_S16_EUlS15_E_NS1_11comp_targetILNS1_3genE0ELNS1_11target_archE4294967295ELNS1_3gpuE0ELNS1_3repE0EEENS1_30default_config_static_selectorELNS0_4arch9wavefront6targetE1EEEvT1_
                                        ; -- End function
	.set _ZN7rocprim17ROCPRIM_400000_NS6detail17trampoline_kernelINS0_14default_configENS1_25partition_config_selectorILNS1_17partition_subalgoE8ExNS0_10empty_typeEbEEZZNS1_14partition_implILS5_8ELb0ES3_jN6thrust23THRUST_200600_302600_NS6detail15normal_iteratorINSA_10device_ptrIxEEEEPS6_PKS6_NS0_5tupleIJSF_S6_EEENSJ_IJSG_SG_EEENS0_18inequality_wrapperI22is_equal_div_10_uniqueIxEEEPmJS6_EEE10hipError_tPvRmT3_T4_T5_T6_T7_T9_mT8_P12ihipStream_tbDpT10_ENKUlT_T0_E_clISt17integral_constantIbLb1EES19_IbLb0EEEEDaS15_S16_EUlS15_E_NS1_11comp_targetILNS1_3genE0ELNS1_11target_archE4294967295ELNS1_3gpuE0ELNS1_3repE0EEENS1_30default_config_static_selectorELNS0_4arch9wavefront6targetE1EEEvT1_.num_vgpr, 0
	.set _ZN7rocprim17ROCPRIM_400000_NS6detail17trampoline_kernelINS0_14default_configENS1_25partition_config_selectorILNS1_17partition_subalgoE8ExNS0_10empty_typeEbEEZZNS1_14partition_implILS5_8ELb0ES3_jN6thrust23THRUST_200600_302600_NS6detail15normal_iteratorINSA_10device_ptrIxEEEEPS6_PKS6_NS0_5tupleIJSF_S6_EEENSJ_IJSG_SG_EEENS0_18inequality_wrapperI22is_equal_div_10_uniqueIxEEEPmJS6_EEE10hipError_tPvRmT3_T4_T5_T6_T7_T9_mT8_P12ihipStream_tbDpT10_ENKUlT_T0_E_clISt17integral_constantIbLb1EES19_IbLb0EEEEDaS15_S16_EUlS15_E_NS1_11comp_targetILNS1_3genE0ELNS1_11target_archE4294967295ELNS1_3gpuE0ELNS1_3repE0EEENS1_30default_config_static_selectorELNS0_4arch9wavefront6targetE1EEEvT1_.num_agpr, 0
	.set _ZN7rocprim17ROCPRIM_400000_NS6detail17trampoline_kernelINS0_14default_configENS1_25partition_config_selectorILNS1_17partition_subalgoE8ExNS0_10empty_typeEbEEZZNS1_14partition_implILS5_8ELb0ES3_jN6thrust23THRUST_200600_302600_NS6detail15normal_iteratorINSA_10device_ptrIxEEEEPS6_PKS6_NS0_5tupleIJSF_S6_EEENSJ_IJSG_SG_EEENS0_18inequality_wrapperI22is_equal_div_10_uniqueIxEEEPmJS6_EEE10hipError_tPvRmT3_T4_T5_T6_T7_T9_mT8_P12ihipStream_tbDpT10_ENKUlT_T0_E_clISt17integral_constantIbLb1EES19_IbLb0EEEEDaS15_S16_EUlS15_E_NS1_11comp_targetILNS1_3genE0ELNS1_11target_archE4294967295ELNS1_3gpuE0ELNS1_3repE0EEENS1_30default_config_static_selectorELNS0_4arch9wavefront6targetE1EEEvT1_.numbered_sgpr, 0
	.set _ZN7rocprim17ROCPRIM_400000_NS6detail17trampoline_kernelINS0_14default_configENS1_25partition_config_selectorILNS1_17partition_subalgoE8ExNS0_10empty_typeEbEEZZNS1_14partition_implILS5_8ELb0ES3_jN6thrust23THRUST_200600_302600_NS6detail15normal_iteratorINSA_10device_ptrIxEEEEPS6_PKS6_NS0_5tupleIJSF_S6_EEENSJ_IJSG_SG_EEENS0_18inequality_wrapperI22is_equal_div_10_uniqueIxEEEPmJS6_EEE10hipError_tPvRmT3_T4_T5_T6_T7_T9_mT8_P12ihipStream_tbDpT10_ENKUlT_T0_E_clISt17integral_constantIbLb1EES19_IbLb0EEEEDaS15_S16_EUlS15_E_NS1_11comp_targetILNS1_3genE0ELNS1_11target_archE4294967295ELNS1_3gpuE0ELNS1_3repE0EEENS1_30default_config_static_selectorELNS0_4arch9wavefront6targetE1EEEvT1_.num_named_barrier, 0
	.set _ZN7rocprim17ROCPRIM_400000_NS6detail17trampoline_kernelINS0_14default_configENS1_25partition_config_selectorILNS1_17partition_subalgoE8ExNS0_10empty_typeEbEEZZNS1_14partition_implILS5_8ELb0ES3_jN6thrust23THRUST_200600_302600_NS6detail15normal_iteratorINSA_10device_ptrIxEEEEPS6_PKS6_NS0_5tupleIJSF_S6_EEENSJ_IJSG_SG_EEENS0_18inequality_wrapperI22is_equal_div_10_uniqueIxEEEPmJS6_EEE10hipError_tPvRmT3_T4_T5_T6_T7_T9_mT8_P12ihipStream_tbDpT10_ENKUlT_T0_E_clISt17integral_constantIbLb1EES19_IbLb0EEEEDaS15_S16_EUlS15_E_NS1_11comp_targetILNS1_3genE0ELNS1_11target_archE4294967295ELNS1_3gpuE0ELNS1_3repE0EEENS1_30default_config_static_selectorELNS0_4arch9wavefront6targetE1EEEvT1_.private_seg_size, 0
	.set _ZN7rocprim17ROCPRIM_400000_NS6detail17trampoline_kernelINS0_14default_configENS1_25partition_config_selectorILNS1_17partition_subalgoE8ExNS0_10empty_typeEbEEZZNS1_14partition_implILS5_8ELb0ES3_jN6thrust23THRUST_200600_302600_NS6detail15normal_iteratorINSA_10device_ptrIxEEEEPS6_PKS6_NS0_5tupleIJSF_S6_EEENSJ_IJSG_SG_EEENS0_18inequality_wrapperI22is_equal_div_10_uniqueIxEEEPmJS6_EEE10hipError_tPvRmT3_T4_T5_T6_T7_T9_mT8_P12ihipStream_tbDpT10_ENKUlT_T0_E_clISt17integral_constantIbLb1EES19_IbLb0EEEEDaS15_S16_EUlS15_E_NS1_11comp_targetILNS1_3genE0ELNS1_11target_archE4294967295ELNS1_3gpuE0ELNS1_3repE0EEENS1_30default_config_static_selectorELNS0_4arch9wavefront6targetE1EEEvT1_.uses_vcc, 0
	.set _ZN7rocprim17ROCPRIM_400000_NS6detail17trampoline_kernelINS0_14default_configENS1_25partition_config_selectorILNS1_17partition_subalgoE8ExNS0_10empty_typeEbEEZZNS1_14partition_implILS5_8ELb0ES3_jN6thrust23THRUST_200600_302600_NS6detail15normal_iteratorINSA_10device_ptrIxEEEEPS6_PKS6_NS0_5tupleIJSF_S6_EEENSJ_IJSG_SG_EEENS0_18inequality_wrapperI22is_equal_div_10_uniqueIxEEEPmJS6_EEE10hipError_tPvRmT3_T4_T5_T6_T7_T9_mT8_P12ihipStream_tbDpT10_ENKUlT_T0_E_clISt17integral_constantIbLb1EES19_IbLb0EEEEDaS15_S16_EUlS15_E_NS1_11comp_targetILNS1_3genE0ELNS1_11target_archE4294967295ELNS1_3gpuE0ELNS1_3repE0EEENS1_30default_config_static_selectorELNS0_4arch9wavefront6targetE1EEEvT1_.uses_flat_scratch, 0
	.set _ZN7rocprim17ROCPRIM_400000_NS6detail17trampoline_kernelINS0_14default_configENS1_25partition_config_selectorILNS1_17partition_subalgoE8ExNS0_10empty_typeEbEEZZNS1_14partition_implILS5_8ELb0ES3_jN6thrust23THRUST_200600_302600_NS6detail15normal_iteratorINSA_10device_ptrIxEEEEPS6_PKS6_NS0_5tupleIJSF_S6_EEENSJ_IJSG_SG_EEENS0_18inequality_wrapperI22is_equal_div_10_uniqueIxEEEPmJS6_EEE10hipError_tPvRmT3_T4_T5_T6_T7_T9_mT8_P12ihipStream_tbDpT10_ENKUlT_T0_E_clISt17integral_constantIbLb1EES19_IbLb0EEEEDaS15_S16_EUlS15_E_NS1_11comp_targetILNS1_3genE0ELNS1_11target_archE4294967295ELNS1_3gpuE0ELNS1_3repE0EEENS1_30default_config_static_selectorELNS0_4arch9wavefront6targetE1EEEvT1_.has_dyn_sized_stack, 0
	.set _ZN7rocprim17ROCPRIM_400000_NS6detail17trampoline_kernelINS0_14default_configENS1_25partition_config_selectorILNS1_17partition_subalgoE8ExNS0_10empty_typeEbEEZZNS1_14partition_implILS5_8ELb0ES3_jN6thrust23THRUST_200600_302600_NS6detail15normal_iteratorINSA_10device_ptrIxEEEEPS6_PKS6_NS0_5tupleIJSF_S6_EEENSJ_IJSG_SG_EEENS0_18inequality_wrapperI22is_equal_div_10_uniqueIxEEEPmJS6_EEE10hipError_tPvRmT3_T4_T5_T6_T7_T9_mT8_P12ihipStream_tbDpT10_ENKUlT_T0_E_clISt17integral_constantIbLb1EES19_IbLb0EEEEDaS15_S16_EUlS15_E_NS1_11comp_targetILNS1_3genE0ELNS1_11target_archE4294967295ELNS1_3gpuE0ELNS1_3repE0EEENS1_30default_config_static_selectorELNS0_4arch9wavefront6targetE1EEEvT1_.has_recursion, 0
	.set _ZN7rocprim17ROCPRIM_400000_NS6detail17trampoline_kernelINS0_14default_configENS1_25partition_config_selectorILNS1_17partition_subalgoE8ExNS0_10empty_typeEbEEZZNS1_14partition_implILS5_8ELb0ES3_jN6thrust23THRUST_200600_302600_NS6detail15normal_iteratorINSA_10device_ptrIxEEEEPS6_PKS6_NS0_5tupleIJSF_S6_EEENSJ_IJSG_SG_EEENS0_18inequality_wrapperI22is_equal_div_10_uniqueIxEEEPmJS6_EEE10hipError_tPvRmT3_T4_T5_T6_T7_T9_mT8_P12ihipStream_tbDpT10_ENKUlT_T0_E_clISt17integral_constantIbLb1EES19_IbLb0EEEEDaS15_S16_EUlS15_E_NS1_11comp_targetILNS1_3genE0ELNS1_11target_archE4294967295ELNS1_3gpuE0ELNS1_3repE0EEENS1_30default_config_static_selectorELNS0_4arch9wavefront6targetE1EEEvT1_.has_indirect_call, 0
	.section	.AMDGPU.csdata,"",@progbits
; Kernel info:
; codeLenInByte = 0
; TotalNumSgprs: 4
; NumVgprs: 0
; ScratchSize: 0
; MemoryBound: 0
; FloatMode: 240
; IeeeMode: 1
; LDSByteSize: 0 bytes/workgroup (compile time only)
; SGPRBlocks: 0
; VGPRBlocks: 0
; NumSGPRsForWavesPerEU: 4
; NumVGPRsForWavesPerEU: 1
; Occupancy: 10
; WaveLimiterHint : 0
; COMPUTE_PGM_RSRC2:SCRATCH_EN: 0
; COMPUTE_PGM_RSRC2:USER_SGPR: 6
; COMPUTE_PGM_RSRC2:TRAP_HANDLER: 0
; COMPUTE_PGM_RSRC2:TGID_X_EN: 1
; COMPUTE_PGM_RSRC2:TGID_Y_EN: 0
; COMPUTE_PGM_RSRC2:TGID_Z_EN: 0
; COMPUTE_PGM_RSRC2:TIDIG_COMP_CNT: 0
	.section	.text._ZN7rocprim17ROCPRIM_400000_NS6detail17trampoline_kernelINS0_14default_configENS1_25partition_config_selectorILNS1_17partition_subalgoE8ExNS0_10empty_typeEbEEZZNS1_14partition_implILS5_8ELb0ES3_jN6thrust23THRUST_200600_302600_NS6detail15normal_iteratorINSA_10device_ptrIxEEEEPS6_PKS6_NS0_5tupleIJSF_S6_EEENSJ_IJSG_SG_EEENS0_18inequality_wrapperI22is_equal_div_10_uniqueIxEEEPmJS6_EEE10hipError_tPvRmT3_T4_T5_T6_T7_T9_mT8_P12ihipStream_tbDpT10_ENKUlT_T0_E_clISt17integral_constantIbLb1EES19_IbLb0EEEEDaS15_S16_EUlS15_E_NS1_11comp_targetILNS1_3genE5ELNS1_11target_archE942ELNS1_3gpuE9ELNS1_3repE0EEENS1_30default_config_static_selectorELNS0_4arch9wavefront6targetE1EEEvT1_,"axG",@progbits,_ZN7rocprim17ROCPRIM_400000_NS6detail17trampoline_kernelINS0_14default_configENS1_25partition_config_selectorILNS1_17partition_subalgoE8ExNS0_10empty_typeEbEEZZNS1_14partition_implILS5_8ELb0ES3_jN6thrust23THRUST_200600_302600_NS6detail15normal_iteratorINSA_10device_ptrIxEEEEPS6_PKS6_NS0_5tupleIJSF_S6_EEENSJ_IJSG_SG_EEENS0_18inequality_wrapperI22is_equal_div_10_uniqueIxEEEPmJS6_EEE10hipError_tPvRmT3_T4_T5_T6_T7_T9_mT8_P12ihipStream_tbDpT10_ENKUlT_T0_E_clISt17integral_constantIbLb1EES19_IbLb0EEEEDaS15_S16_EUlS15_E_NS1_11comp_targetILNS1_3genE5ELNS1_11target_archE942ELNS1_3gpuE9ELNS1_3repE0EEENS1_30default_config_static_selectorELNS0_4arch9wavefront6targetE1EEEvT1_,comdat
	.protected	_ZN7rocprim17ROCPRIM_400000_NS6detail17trampoline_kernelINS0_14default_configENS1_25partition_config_selectorILNS1_17partition_subalgoE8ExNS0_10empty_typeEbEEZZNS1_14partition_implILS5_8ELb0ES3_jN6thrust23THRUST_200600_302600_NS6detail15normal_iteratorINSA_10device_ptrIxEEEEPS6_PKS6_NS0_5tupleIJSF_S6_EEENSJ_IJSG_SG_EEENS0_18inequality_wrapperI22is_equal_div_10_uniqueIxEEEPmJS6_EEE10hipError_tPvRmT3_T4_T5_T6_T7_T9_mT8_P12ihipStream_tbDpT10_ENKUlT_T0_E_clISt17integral_constantIbLb1EES19_IbLb0EEEEDaS15_S16_EUlS15_E_NS1_11comp_targetILNS1_3genE5ELNS1_11target_archE942ELNS1_3gpuE9ELNS1_3repE0EEENS1_30default_config_static_selectorELNS0_4arch9wavefront6targetE1EEEvT1_ ; -- Begin function _ZN7rocprim17ROCPRIM_400000_NS6detail17trampoline_kernelINS0_14default_configENS1_25partition_config_selectorILNS1_17partition_subalgoE8ExNS0_10empty_typeEbEEZZNS1_14partition_implILS5_8ELb0ES3_jN6thrust23THRUST_200600_302600_NS6detail15normal_iteratorINSA_10device_ptrIxEEEEPS6_PKS6_NS0_5tupleIJSF_S6_EEENSJ_IJSG_SG_EEENS0_18inequality_wrapperI22is_equal_div_10_uniqueIxEEEPmJS6_EEE10hipError_tPvRmT3_T4_T5_T6_T7_T9_mT8_P12ihipStream_tbDpT10_ENKUlT_T0_E_clISt17integral_constantIbLb1EES19_IbLb0EEEEDaS15_S16_EUlS15_E_NS1_11comp_targetILNS1_3genE5ELNS1_11target_archE942ELNS1_3gpuE9ELNS1_3repE0EEENS1_30default_config_static_selectorELNS0_4arch9wavefront6targetE1EEEvT1_
	.globl	_ZN7rocprim17ROCPRIM_400000_NS6detail17trampoline_kernelINS0_14default_configENS1_25partition_config_selectorILNS1_17partition_subalgoE8ExNS0_10empty_typeEbEEZZNS1_14partition_implILS5_8ELb0ES3_jN6thrust23THRUST_200600_302600_NS6detail15normal_iteratorINSA_10device_ptrIxEEEEPS6_PKS6_NS0_5tupleIJSF_S6_EEENSJ_IJSG_SG_EEENS0_18inequality_wrapperI22is_equal_div_10_uniqueIxEEEPmJS6_EEE10hipError_tPvRmT3_T4_T5_T6_T7_T9_mT8_P12ihipStream_tbDpT10_ENKUlT_T0_E_clISt17integral_constantIbLb1EES19_IbLb0EEEEDaS15_S16_EUlS15_E_NS1_11comp_targetILNS1_3genE5ELNS1_11target_archE942ELNS1_3gpuE9ELNS1_3repE0EEENS1_30default_config_static_selectorELNS0_4arch9wavefront6targetE1EEEvT1_
	.p2align	8
	.type	_ZN7rocprim17ROCPRIM_400000_NS6detail17trampoline_kernelINS0_14default_configENS1_25partition_config_selectorILNS1_17partition_subalgoE8ExNS0_10empty_typeEbEEZZNS1_14partition_implILS5_8ELb0ES3_jN6thrust23THRUST_200600_302600_NS6detail15normal_iteratorINSA_10device_ptrIxEEEEPS6_PKS6_NS0_5tupleIJSF_S6_EEENSJ_IJSG_SG_EEENS0_18inequality_wrapperI22is_equal_div_10_uniqueIxEEEPmJS6_EEE10hipError_tPvRmT3_T4_T5_T6_T7_T9_mT8_P12ihipStream_tbDpT10_ENKUlT_T0_E_clISt17integral_constantIbLb1EES19_IbLb0EEEEDaS15_S16_EUlS15_E_NS1_11comp_targetILNS1_3genE5ELNS1_11target_archE942ELNS1_3gpuE9ELNS1_3repE0EEENS1_30default_config_static_selectorELNS0_4arch9wavefront6targetE1EEEvT1_,@function
_ZN7rocprim17ROCPRIM_400000_NS6detail17trampoline_kernelINS0_14default_configENS1_25partition_config_selectorILNS1_17partition_subalgoE8ExNS0_10empty_typeEbEEZZNS1_14partition_implILS5_8ELb0ES3_jN6thrust23THRUST_200600_302600_NS6detail15normal_iteratorINSA_10device_ptrIxEEEEPS6_PKS6_NS0_5tupleIJSF_S6_EEENSJ_IJSG_SG_EEENS0_18inequality_wrapperI22is_equal_div_10_uniqueIxEEEPmJS6_EEE10hipError_tPvRmT3_T4_T5_T6_T7_T9_mT8_P12ihipStream_tbDpT10_ENKUlT_T0_E_clISt17integral_constantIbLb1EES19_IbLb0EEEEDaS15_S16_EUlS15_E_NS1_11comp_targetILNS1_3genE5ELNS1_11target_archE942ELNS1_3gpuE9ELNS1_3repE0EEENS1_30default_config_static_selectorELNS0_4arch9wavefront6targetE1EEEvT1_: ; @_ZN7rocprim17ROCPRIM_400000_NS6detail17trampoline_kernelINS0_14default_configENS1_25partition_config_selectorILNS1_17partition_subalgoE8ExNS0_10empty_typeEbEEZZNS1_14partition_implILS5_8ELb0ES3_jN6thrust23THRUST_200600_302600_NS6detail15normal_iteratorINSA_10device_ptrIxEEEEPS6_PKS6_NS0_5tupleIJSF_S6_EEENSJ_IJSG_SG_EEENS0_18inequality_wrapperI22is_equal_div_10_uniqueIxEEEPmJS6_EEE10hipError_tPvRmT3_T4_T5_T6_T7_T9_mT8_P12ihipStream_tbDpT10_ENKUlT_T0_E_clISt17integral_constantIbLb1EES19_IbLb0EEEEDaS15_S16_EUlS15_E_NS1_11comp_targetILNS1_3genE5ELNS1_11target_archE942ELNS1_3gpuE9ELNS1_3repE0EEENS1_30default_config_static_selectorELNS0_4arch9wavefront6targetE1EEEvT1_
; %bb.0:
	.section	.rodata,"a",@progbits
	.p2align	6, 0x0
	.amdhsa_kernel _ZN7rocprim17ROCPRIM_400000_NS6detail17trampoline_kernelINS0_14default_configENS1_25partition_config_selectorILNS1_17partition_subalgoE8ExNS0_10empty_typeEbEEZZNS1_14partition_implILS5_8ELb0ES3_jN6thrust23THRUST_200600_302600_NS6detail15normal_iteratorINSA_10device_ptrIxEEEEPS6_PKS6_NS0_5tupleIJSF_S6_EEENSJ_IJSG_SG_EEENS0_18inequality_wrapperI22is_equal_div_10_uniqueIxEEEPmJS6_EEE10hipError_tPvRmT3_T4_T5_T6_T7_T9_mT8_P12ihipStream_tbDpT10_ENKUlT_T0_E_clISt17integral_constantIbLb1EES19_IbLb0EEEEDaS15_S16_EUlS15_E_NS1_11comp_targetILNS1_3genE5ELNS1_11target_archE942ELNS1_3gpuE9ELNS1_3repE0EEENS1_30default_config_static_selectorELNS0_4arch9wavefront6targetE1EEEvT1_
		.amdhsa_group_segment_fixed_size 0
		.amdhsa_private_segment_fixed_size 0
		.amdhsa_kernarg_size 112
		.amdhsa_user_sgpr_count 6
		.amdhsa_user_sgpr_private_segment_buffer 1
		.amdhsa_user_sgpr_dispatch_ptr 0
		.amdhsa_user_sgpr_queue_ptr 0
		.amdhsa_user_sgpr_kernarg_segment_ptr 1
		.amdhsa_user_sgpr_dispatch_id 0
		.amdhsa_user_sgpr_flat_scratch_init 0
		.amdhsa_user_sgpr_private_segment_size 0
		.amdhsa_uses_dynamic_stack 0
		.amdhsa_system_sgpr_private_segment_wavefront_offset 0
		.amdhsa_system_sgpr_workgroup_id_x 1
		.amdhsa_system_sgpr_workgroup_id_y 0
		.amdhsa_system_sgpr_workgroup_id_z 0
		.amdhsa_system_sgpr_workgroup_info 0
		.amdhsa_system_vgpr_workitem_id 0
		.amdhsa_next_free_vgpr 1
		.amdhsa_next_free_sgpr 0
		.amdhsa_reserve_vcc 0
		.amdhsa_reserve_flat_scratch 0
		.amdhsa_float_round_mode_32 0
		.amdhsa_float_round_mode_16_64 0
		.amdhsa_float_denorm_mode_32 3
		.amdhsa_float_denorm_mode_16_64 3
		.amdhsa_dx10_clamp 1
		.amdhsa_ieee_mode 1
		.amdhsa_fp16_overflow 0
		.amdhsa_exception_fp_ieee_invalid_op 0
		.amdhsa_exception_fp_denorm_src 0
		.amdhsa_exception_fp_ieee_div_zero 0
		.amdhsa_exception_fp_ieee_overflow 0
		.amdhsa_exception_fp_ieee_underflow 0
		.amdhsa_exception_fp_ieee_inexact 0
		.amdhsa_exception_int_div_zero 0
	.end_amdhsa_kernel
	.section	.text._ZN7rocprim17ROCPRIM_400000_NS6detail17trampoline_kernelINS0_14default_configENS1_25partition_config_selectorILNS1_17partition_subalgoE8ExNS0_10empty_typeEbEEZZNS1_14partition_implILS5_8ELb0ES3_jN6thrust23THRUST_200600_302600_NS6detail15normal_iteratorINSA_10device_ptrIxEEEEPS6_PKS6_NS0_5tupleIJSF_S6_EEENSJ_IJSG_SG_EEENS0_18inequality_wrapperI22is_equal_div_10_uniqueIxEEEPmJS6_EEE10hipError_tPvRmT3_T4_T5_T6_T7_T9_mT8_P12ihipStream_tbDpT10_ENKUlT_T0_E_clISt17integral_constantIbLb1EES19_IbLb0EEEEDaS15_S16_EUlS15_E_NS1_11comp_targetILNS1_3genE5ELNS1_11target_archE942ELNS1_3gpuE9ELNS1_3repE0EEENS1_30default_config_static_selectorELNS0_4arch9wavefront6targetE1EEEvT1_,"axG",@progbits,_ZN7rocprim17ROCPRIM_400000_NS6detail17trampoline_kernelINS0_14default_configENS1_25partition_config_selectorILNS1_17partition_subalgoE8ExNS0_10empty_typeEbEEZZNS1_14partition_implILS5_8ELb0ES3_jN6thrust23THRUST_200600_302600_NS6detail15normal_iteratorINSA_10device_ptrIxEEEEPS6_PKS6_NS0_5tupleIJSF_S6_EEENSJ_IJSG_SG_EEENS0_18inequality_wrapperI22is_equal_div_10_uniqueIxEEEPmJS6_EEE10hipError_tPvRmT3_T4_T5_T6_T7_T9_mT8_P12ihipStream_tbDpT10_ENKUlT_T0_E_clISt17integral_constantIbLb1EES19_IbLb0EEEEDaS15_S16_EUlS15_E_NS1_11comp_targetILNS1_3genE5ELNS1_11target_archE942ELNS1_3gpuE9ELNS1_3repE0EEENS1_30default_config_static_selectorELNS0_4arch9wavefront6targetE1EEEvT1_,comdat
.Lfunc_end389:
	.size	_ZN7rocprim17ROCPRIM_400000_NS6detail17trampoline_kernelINS0_14default_configENS1_25partition_config_selectorILNS1_17partition_subalgoE8ExNS0_10empty_typeEbEEZZNS1_14partition_implILS5_8ELb0ES3_jN6thrust23THRUST_200600_302600_NS6detail15normal_iteratorINSA_10device_ptrIxEEEEPS6_PKS6_NS0_5tupleIJSF_S6_EEENSJ_IJSG_SG_EEENS0_18inequality_wrapperI22is_equal_div_10_uniqueIxEEEPmJS6_EEE10hipError_tPvRmT3_T4_T5_T6_T7_T9_mT8_P12ihipStream_tbDpT10_ENKUlT_T0_E_clISt17integral_constantIbLb1EES19_IbLb0EEEEDaS15_S16_EUlS15_E_NS1_11comp_targetILNS1_3genE5ELNS1_11target_archE942ELNS1_3gpuE9ELNS1_3repE0EEENS1_30default_config_static_selectorELNS0_4arch9wavefront6targetE1EEEvT1_, .Lfunc_end389-_ZN7rocprim17ROCPRIM_400000_NS6detail17trampoline_kernelINS0_14default_configENS1_25partition_config_selectorILNS1_17partition_subalgoE8ExNS0_10empty_typeEbEEZZNS1_14partition_implILS5_8ELb0ES3_jN6thrust23THRUST_200600_302600_NS6detail15normal_iteratorINSA_10device_ptrIxEEEEPS6_PKS6_NS0_5tupleIJSF_S6_EEENSJ_IJSG_SG_EEENS0_18inequality_wrapperI22is_equal_div_10_uniqueIxEEEPmJS6_EEE10hipError_tPvRmT3_T4_T5_T6_T7_T9_mT8_P12ihipStream_tbDpT10_ENKUlT_T0_E_clISt17integral_constantIbLb1EES19_IbLb0EEEEDaS15_S16_EUlS15_E_NS1_11comp_targetILNS1_3genE5ELNS1_11target_archE942ELNS1_3gpuE9ELNS1_3repE0EEENS1_30default_config_static_selectorELNS0_4arch9wavefront6targetE1EEEvT1_
                                        ; -- End function
	.set _ZN7rocprim17ROCPRIM_400000_NS6detail17trampoline_kernelINS0_14default_configENS1_25partition_config_selectorILNS1_17partition_subalgoE8ExNS0_10empty_typeEbEEZZNS1_14partition_implILS5_8ELb0ES3_jN6thrust23THRUST_200600_302600_NS6detail15normal_iteratorINSA_10device_ptrIxEEEEPS6_PKS6_NS0_5tupleIJSF_S6_EEENSJ_IJSG_SG_EEENS0_18inequality_wrapperI22is_equal_div_10_uniqueIxEEEPmJS6_EEE10hipError_tPvRmT3_T4_T5_T6_T7_T9_mT8_P12ihipStream_tbDpT10_ENKUlT_T0_E_clISt17integral_constantIbLb1EES19_IbLb0EEEEDaS15_S16_EUlS15_E_NS1_11comp_targetILNS1_3genE5ELNS1_11target_archE942ELNS1_3gpuE9ELNS1_3repE0EEENS1_30default_config_static_selectorELNS0_4arch9wavefront6targetE1EEEvT1_.num_vgpr, 0
	.set _ZN7rocprim17ROCPRIM_400000_NS6detail17trampoline_kernelINS0_14default_configENS1_25partition_config_selectorILNS1_17partition_subalgoE8ExNS0_10empty_typeEbEEZZNS1_14partition_implILS5_8ELb0ES3_jN6thrust23THRUST_200600_302600_NS6detail15normal_iteratorINSA_10device_ptrIxEEEEPS6_PKS6_NS0_5tupleIJSF_S6_EEENSJ_IJSG_SG_EEENS0_18inequality_wrapperI22is_equal_div_10_uniqueIxEEEPmJS6_EEE10hipError_tPvRmT3_T4_T5_T6_T7_T9_mT8_P12ihipStream_tbDpT10_ENKUlT_T0_E_clISt17integral_constantIbLb1EES19_IbLb0EEEEDaS15_S16_EUlS15_E_NS1_11comp_targetILNS1_3genE5ELNS1_11target_archE942ELNS1_3gpuE9ELNS1_3repE0EEENS1_30default_config_static_selectorELNS0_4arch9wavefront6targetE1EEEvT1_.num_agpr, 0
	.set _ZN7rocprim17ROCPRIM_400000_NS6detail17trampoline_kernelINS0_14default_configENS1_25partition_config_selectorILNS1_17partition_subalgoE8ExNS0_10empty_typeEbEEZZNS1_14partition_implILS5_8ELb0ES3_jN6thrust23THRUST_200600_302600_NS6detail15normal_iteratorINSA_10device_ptrIxEEEEPS6_PKS6_NS0_5tupleIJSF_S6_EEENSJ_IJSG_SG_EEENS0_18inequality_wrapperI22is_equal_div_10_uniqueIxEEEPmJS6_EEE10hipError_tPvRmT3_T4_T5_T6_T7_T9_mT8_P12ihipStream_tbDpT10_ENKUlT_T0_E_clISt17integral_constantIbLb1EES19_IbLb0EEEEDaS15_S16_EUlS15_E_NS1_11comp_targetILNS1_3genE5ELNS1_11target_archE942ELNS1_3gpuE9ELNS1_3repE0EEENS1_30default_config_static_selectorELNS0_4arch9wavefront6targetE1EEEvT1_.numbered_sgpr, 0
	.set _ZN7rocprim17ROCPRIM_400000_NS6detail17trampoline_kernelINS0_14default_configENS1_25partition_config_selectorILNS1_17partition_subalgoE8ExNS0_10empty_typeEbEEZZNS1_14partition_implILS5_8ELb0ES3_jN6thrust23THRUST_200600_302600_NS6detail15normal_iteratorINSA_10device_ptrIxEEEEPS6_PKS6_NS0_5tupleIJSF_S6_EEENSJ_IJSG_SG_EEENS0_18inequality_wrapperI22is_equal_div_10_uniqueIxEEEPmJS6_EEE10hipError_tPvRmT3_T4_T5_T6_T7_T9_mT8_P12ihipStream_tbDpT10_ENKUlT_T0_E_clISt17integral_constantIbLb1EES19_IbLb0EEEEDaS15_S16_EUlS15_E_NS1_11comp_targetILNS1_3genE5ELNS1_11target_archE942ELNS1_3gpuE9ELNS1_3repE0EEENS1_30default_config_static_selectorELNS0_4arch9wavefront6targetE1EEEvT1_.num_named_barrier, 0
	.set _ZN7rocprim17ROCPRIM_400000_NS6detail17trampoline_kernelINS0_14default_configENS1_25partition_config_selectorILNS1_17partition_subalgoE8ExNS0_10empty_typeEbEEZZNS1_14partition_implILS5_8ELb0ES3_jN6thrust23THRUST_200600_302600_NS6detail15normal_iteratorINSA_10device_ptrIxEEEEPS6_PKS6_NS0_5tupleIJSF_S6_EEENSJ_IJSG_SG_EEENS0_18inequality_wrapperI22is_equal_div_10_uniqueIxEEEPmJS6_EEE10hipError_tPvRmT3_T4_T5_T6_T7_T9_mT8_P12ihipStream_tbDpT10_ENKUlT_T0_E_clISt17integral_constantIbLb1EES19_IbLb0EEEEDaS15_S16_EUlS15_E_NS1_11comp_targetILNS1_3genE5ELNS1_11target_archE942ELNS1_3gpuE9ELNS1_3repE0EEENS1_30default_config_static_selectorELNS0_4arch9wavefront6targetE1EEEvT1_.private_seg_size, 0
	.set _ZN7rocprim17ROCPRIM_400000_NS6detail17trampoline_kernelINS0_14default_configENS1_25partition_config_selectorILNS1_17partition_subalgoE8ExNS0_10empty_typeEbEEZZNS1_14partition_implILS5_8ELb0ES3_jN6thrust23THRUST_200600_302600_NS6detail15normal_iteratorINSA_10device_ptrIxEEEEPS6_PKS6_NS0_5tupleIJSF_S6_EEENSJ_IJSG_SG_EEENS0_18inequality_wrapperI22is_equal_div_10_uniqueIxEEEPmJS6_EEE10hipError_tPvRmT3_T4_T5_T6_T7_T9_mT8_P12ihipStream_tbDpT10_ENKUlT_T0_E_clISt17integral_constantIbLb1EES19_IbLb0EEEEDaS15_S16_EUlS15_E_NS1_11comp_targetILNS1_3genE5ELNS1_11target_archE942ELNS1_3gpuE9ELNS1_3repE0EEENS1_30default_config_static_selectorELNS0_4arch9wavefront6targetE1EEEvT1_.uses_vcc, 0
	.set _ZN7rocprim17ROCPRIM_400000_NS6detail17trampoline_kernelINS0_14default_configENS1_25partition_config_selectorILNS1_17partition_subalgoE8ExNS0_10empty_typeEbEEZZNS1_14partition_implILS5_8ELb0ES3_jN6thrust23THRUST_200600_302600_NS6detail15normal_iteratorINSA_10device_ptrIxEEEEPS6_PKS6_NS0_5tupleIJSF_S6_EEENSJ_IJSG_SG_EEENS0_18inequality_wrapperI22is_equal_div_10_uniqueIxEEEPmJS6_EEE10hipError_tPvRmT3_T4_T5_T6_T7_T9_mT8_P12ihipStream_tbDpT10_ENKUlT_T0_E_clISt17integral_constantIbLb1EES19_IbLb0EEEEDaS15_S16_EUlS15_E_NS1_11comp_targetILNS1_3genE5ELNS1_11target_archE942ELNS1_3gpuE9ELNS1_3repE0EEENS1_30default_config_static_selectorELNS0_4arch9wavefront6targetE1EEEvT1_.uses_flat_scratch, 0
	.set _ZN7rocprim17ROCPRIM_400000_NS6detail17trampoline_kernelINS0_14default_configENS1_25partition_config_selectorILNS1_17partition_subalgoE8ExNS0_10empty_typeEbEEZZNS1_14partition_implILS5_8ELb0ES3_jN6thrust23THRUST_200600_302600_NS6detail15normal_iteratorINSA_10device_ptrIxEEEEPS6_PKS6_NS0_5tupleIJSF_S6_EEENSJ_IJSG_SG_EEENS0_18inequality_wrapperI22is_equal_div_10_uniqueIxEEEPmJS6_EEE10hipError_tPvRmT3_T4_T5_T6_T7_T9_mT8_P12ihipStream_tbDpT10_ENKUlT_T0_E_clISt17integral_constantIbLb1EES19_IbLb0EEEEDaS15_S16_EUlS15_E_NS1_11comp_targetILNS1_3genE5ELNS1_11target_archE942ELNS1_3gpuE9ELNS1_3repE0EEENS1_30default_config_static_selectorELNS0_4arch9wavefront6targetE1EEEvT1_.has_dyn_sized_stack, 0
	.set _ZN7rocprim17ROCPRIM_400000_NS6detail17trampoline_kernelINS0_14default_configENS1_25partition_config_selectorILNS1_17partition_subalgoE8ExNS0_10empty_typeEbEEZZNS1_14partition_implILS5_8ELb0ES3_jN6thrust23THRUST_200600_302600_NS6detail15normal_iteratorINSA_10device_ptrIxEEEEPS6_PKS6_NS0_5tupleIJSF_S6_EEENSJ_IJSG_SG_EEENS0_18inequality_wrapperI22is_equal_div_10_uniqueIxEEEPmJS6_EEE10hipError_tPvRmT3_T4_T5_T6_T7_T9_mT8_P12ihipStream_tbDpT10_ENKUlT_T0_E_clISt17integral_constantIbLb1EES19_IbLb0EEEEDaS15_S16_EUlS15_E_NS1_11comp_targetILNS1_3genE5ELNS1_11target_archE942ELNS1_3gpuE9ELNS1_3repE0EEENS1_30default_config_static_selectorELNS0_4arch9wavefront6targetE1EEEvT1_.has_recursion, 0
	.set _ZN7rocprim17ROCPRIM_400000_NS6detail17trampoline_kernelINS0_14default_configENS1_25partition_config_selectorILNS1_17partition_subalgoE8ExNS0_10empty_typeEbEEZZNS1_14partition_implILS5_8ELb0ES3_jN6thrust23THRUST_200600_302600_NS6detail15normal_iteratorINSA_10device_ptrIxEEEEPS6_PKS6_NS0_5tupleIJSF_S6_EEENSJ_IJSG_SG_EEENS0_18inequality_wrapperI22is_equal_div_10_uniqueIxEEEPmJS6_EEE10hipError_tPvRmT3_T4_T5_T6_T7_T9_mT8_P12ihipStream_tbDpT10_ENKUlT_T0_E_clISt17integral_constantIbLb1EES19_IbLb0EEEEDaS15_S16_EUlS15_E_NS1_11comp_targetILNS1_3genE5ELNS1_11target_archE942ELNS1_3gpuE9ELNS1_3repE0EEENS1_30default_config_static_selectorELNS0_4arch9wavefront6targetE1EEEvT1_.has_indirect_call, 0
	.section	.AMDGPU.csdata,"",@progbits
; Kernel info:
; codeLenInByte = 0
; TotalNumSgprs: 4
; NumVgprs: 0
; ScratchSize: 0
; MemoryBound: 0
; FloatMode: 240
; IeeeMode: 1
; LDSByteSize: 0 bytes/workgroup (compile time only)
; SGPRBlocks: 0
; VGPRBlocks: 0
; NumSGPRsForWavesPerEU: 4
; NumVGPRsForWavesPerEU: 1
; Occupancy: 10
; WaveLimiterHint : 0
; COMPUTE_PGM_RSRC2:SCRATCH_EN: 0
; COMPUTE_PGM_RSRC2:USER_SGPR: 6
; COMPUTE_PGM_RSRC2:TRAP_HANDLER: 0
; COMPUTE_PGM_RSRC2:TGID_X_EN: 1
; COMPUTE_PGM_RSRC2:TGID_Y_EN: 0
; COMPUTE_PGM_RSRC2:TGID_Z_EN: 0
; COMPUTE_PGM_RSRC2:TIDIG_COMP_CNT: 0
	.section	.text._ZN7rocprim17ROCPRIM_400000_NS6detail17trampoline_kernelINS0_14default_configENS1_25partition_config_selectorILNS1_17partition_subalgoE8ExNS0_10empty_typeEbEEZZNS1_14partition_implILS5_8ELb0ES3_jN6thrust23THRUST_200600_302600_NS6detail15normal_iteratorINSA_10device_ptrIxEEEEPS6_PKS6_NS0_5tupleIJSF_S6_EEENSJ_IJSG_SG_EEENS0_18inequality_wrapperI22is_equal_div_10_uniqueIxEEEPmJS6_EEE10hipError_tPvRmT3_T4_T5_T6_T7_T9_mT8_P12ihipStream_tbDpT10_ENKUlT_T0_E_clISt17integral_constantIbLb1EES19_IbLb0EEEEDaS15_S16_EUlS15_E_NS1_11comp_targetILNS1_3genE4ELNS1_11target_archE910ELNS1_3gpuE8ELNS1_3repE0EEENS1_30default_config_static_selectorELNS0_4arch9wavefront6targetE1EEEvT1_,"axG",@progbits,_ZN7rocprim17ROCPRIM_400000_NS6detail17trampoline_kernelINS0_14default_configENS1_25partition_config_selectorILNS1_17partition_subalgoE8ExNS0_10empty_typeEbEEZZNS1_14partition_implILS5_8ELb0ES3_jN6thrust23THRUST_200600_302600_NS6detail15normal_iteratorINSA_10device_ptrIxEEEEPS6_PKS6_NS0_5tupleIJSF_S6_EEENSJ_IJSG_SG_EEENS0_18inequality_wrapperI22is_equal_div_10_uniqueIxEEEPmJS6_EEE10hipError_tPvRmT3_T4_T5_T6_T7_T9_mT8_P12ihipStream_tbDpT10_ENKUlT_T0_E_clISt17integral_constantIbLb1EES19_IbLb0EEEEDaS15_S16_EUlS15_E_NS1_11comp_targetILNS1_3genE4ELNS1_11target_archE910ELNS1_3gpuE8ELNS1_3repE0EEENS1_30default_config_static_selectorELNS0_4arch9wavefront6targetE1EEEvT1_,comdat
	.protected	_ZN7rocprim17ROCPRIM_400000_NS6detail17trampoline_kernelINS0_14default_configENS1_25partition_config_selectorILNS1_17partition_subalgoE8ExNS0_10empty_typeEbEEZZNS1_14partition_implILS5_8ELb0ES3_jN6thrust23THRUST_200600_302600_NS6detail15normal_iteratorINSA_10device_ptrIxEEEEPS6_PKS6_NS0_5tupleIJSF_S6_EEENSJ_IJSG_SG_EEENS0_18inequality_wrapperI22is_equal_div_10_uniqueIxEEEPmJS6_EEE10hipError_tPvRmT3_T4_T5_T6_T7_T9_mT8_P12ihipStream_tbDpT10_ENKUlT_T0_E_clISt17integral_constantIbLb1EES19_IbLb0EEEEDaS15_S16_EUlS15_E_NS1_11comp_targetILNS1_3genE4ELNS1_11target_archE910ELNS1_3gpuE8ELNS1_3repE0EEENS1_30default_config_static_selectorELNS0_4arch9wavefront6targetE1EEEvT1_ ; -- Begin function _ZN7rocprim17ROCPRIM_400000_NS6detail17trampoline_kernelINS0_14default_configENS1_25partition_config_selectorILNS1_17partition_subalgoE8ExNS0_10empty_typeEbEEZZNS1_14partition_implILS5_8ELb0ES3_jN6thrust23THRUST_200600_302600_NS6detail15normal_iteratorINSA_10device_ptrIxEEEEPS6_PKS6_NS0_5tupleIJSF_S6_EEENSJ_IJSG_SG_EEENS0_18inequality_wrapperI22is_equal_div_10_uniqueIxEEEPmJS6_EEE10hipError_tPvRmT3_T4_T5_T6_T7_T9_mT8_P12ihipStream_tbDpT10_ENKUlT_T0_E_clISt17integral_constantIbLb1EES19_IbLb0EEEEDaS15_S16_EUlS15_E_NS1_11comp_targetILNS1_3genE4ELNS1_11target_archE910ELNS1_3gpuE8ELNS1_3repE0EEENS1_30default_config_static_selectorELNS0_4arch9wavefront6targetE1EEEvT1_
	.globl	_ZN7rocprim17ROCPRIM_400000_NS6detail17trampoline_kernelINS0_14default_configENS1_25partition_config_selectorILNS1_17partition_subalgoE8ExNS0_10empty_typeEbEEZZNS1_14partition_implILS5_8ELb0ES3_jN6thrust23THRUST_200600_302600_NS6detail15normal_iteratorINSA_10device_ptrIxEEEEPS6_PKS6_NS0_5tupleIJSF_S6_EEENSJ_IJSG_SG_EEENS0_18inequality_wrapperI22is_equal_div_10_uniqueIxEEEPmJS6_EEE10hipError_tPvRmT3_T4_T5_T6_T7_T9_mT8_P12ihipStream_tbDpT10_ENKUlT_T0_E_clISt17integral_constantIbLb1EES19_IbLb0EEEEDaS15_S16_EUlS15_E_NS1_11comp_targetILNS1_3genE4ELNS1_11target_archE910ELNS1_3gpuE8ELNS1_3repE0EEENS1_30default_config_static_selectorELNS0_4arch9wavefront6targetE1EEEvT1_
	.p2align	8
	.type	_ZN7rocprim17ROCPRIM_400000_NS6detail17trampoline_kernelINS0_14default_configENS1_25partition_config_selectorILNS1_17partition_subalgoE8ExNS0_10empty_typeEbEEZZNS1_14partition_implILS5_8ELb0ES3_jN6thrust23THRUST_200600_302600_NS6detail15normal_iteratorINSA_10device_ptrIxEEEEPS6_PKS6_NS0_5tupleIJSF_S6_EEENSJ_IJSG_SG_EEENS0_18inequality_wrapperI22is_equal_div_10_uniqueIxEEEPmJS6_EEE10hipError_tPvRmT3_T4_T5_T6_T7_T9_mT8_P12ihipStream_tbDpT10_ENKUlT_T0_E_clISt17integral_constantIbLb1EES19_IbLb0EEEEDaS15_S16_EUlS15_E_NS1_11comp_targetILNS1_3genE4ELNS1_11target_archE910ELNS1_3gpuE8ELNS1_3repE0EEENS1_30default_config_static_selectorELNS0_4arch9wavefront6targetE1EEEvT1_,@function
_ZN7rocprim17ROCPRIM_400000_NS6detail17trampoline_kernelINS0_14default_configENS1_25partition_config_selectorILNS1_17partition_subalgoE8ExNS0_10empty_typeEbEEZZNS1_14partition_implILS5_8ELb0ES3_jN6thrust23THRUST_200600_302600_NS6detail15normal_iteratorINSA_10device_ptrIxEEEEPS6_PKS6_NS0_5tupleIJSF_S6_EEENSJ_IJSG_SG_EEENS0_18inequality_wrapperI22is_equal_div_10_uniqueIxEEEPmJS6_EEE10hipError_tPvRmT3_T4_T5_T6_T7_T9_mT8_P12ihipStream_tbDpT10_ENKUlT_T0_E_clISt17integral_constantIbLb1EES19_IbLb0EEEEDaS15_S16_EUlS15_E_NS1_11comp_targetILNS1_3genE4ELNS1_11target_archE910ELNS1_3gpuE8ELNS1_3repE0EEENS1_30default_config_static_selectorELNS0_4arch9wavefront6targetE1EEEvT1_: ; @_ZN7rocprim17ROCPRIM_400000_NS6detail17trampoline_kernelINS0_14default_configENS1_25partition_config_selectorILNS1_17partition_subalgoE8ExNS0_10empty_typeEbEEZZNS1_14partition_implILS5_8ELb0ES3_jN6thrust23THRUST_200600_302600_NS6detail15normal_iteratorINSA_10device_ptrIxEEEEPS6_PKS6_NS0_5tupleIJSF_S6_EEENSJ_IJSG_SG_EEENS0_18inequality_wrapperI22is_equal_div_10_uniqueIxEEEPmJS6_EEE10hipError_tPvRmT3_T4_T5_T6_T7_T9_mT8_P12ihipStream_tbDpT10_ENKUlT_T0_E_clISt17integral_constantIbLb1EES19_IbLb0EEEEDaS15_S16_EUlS15_E_NS1_11comp_targetILNS1_3genE4ELNS1_11target_archE910ELNS1_3gpuE8ELNS1_3repE0EEENS1_30default_config_static_selectorELNS0_4arch9wavefront6targetE1EEEvT1_
; %bb.0:
	.section	.rodata,"a",@progbits
	.p2align	6, 0x0
	.amdhsa_kernel _ZN7rocprim17ROCPRIM_400000_NS6detail17trampoline_kernelINS0_14default_configENS1_25partition_config_selectorILNS1_17partition_subalgoE8ExNS0_10empty_typeEbEEZZNS1_14partition_implILS5_8ELb0ES3_jN6thrust23THRUST_200600_302600_NS6detail15normal_iteratorINSA_10device_ptrIxEEEEPS6_PKS6_NS0_5tupleIJSF_S6_EEENSJ_IJSG_SG_EEENS0_18inequality_wrapperI22is_equal_div_10_uniqueIxEEEPmJS6_EEE10hipError_tPvRmT3_T4_T5_T6_T7_T9_mT8_P12ihipStream_tbDpT10_ENKUlT_T0_E_clISt17integral_constantIbLb1EES19_IbLb0EEEEDaS15_S16_EUlS15_E_NS1_11comp_targetILNS1_3genE4ELNS1_11target_archE910ELNS1_3gpuE8ELNS1_3repE0EEENS1_30default_config_static_selectorELNS0_4arch9wavefront6targetE1EEEvT1_
		.amdhsa_group_segment_fixed_size 0
		.amdhsa_private_segment_fixed_size 0
		.amdhsa_kernarg_size 112
		.amdhsa_user_sgpr_count 6
		.amdhsa_user_sgpr_private_segment_buffer 1
		.amdhsa_user_sgpr_dispatch_ptr 0
		.amdhsa_user_sgpr_queue_ptr 0
		.amdhsa_user_sgpr_kernarg_segment_ptr 1
		.amdhsa_user_sgpr_dispatch_id 0
		.amdhsa_user_sgpr_flat_scratch_init 0
		.amdhsa_user_sgpr_private_segment_size 0
		.amdhsa_uses_dynamic_stack 0
		.amdhsa_system_sgpr_private_segment_wavefront_offset 0
		.amdhsa_system_sgpr_workgroup_id_x 1
		.amdhsa_system_sgpr_workgroup_id_y 0
		.amdhsa_system_sgpr_workgroup_id_z 0
		.amdhsa_system_sgpr_workgroup_info 0
		.amdhsa_system_vgpr_workitem_id 0
		.amdhsa_next_free_vgpr 1
		.amdhsa_next_free_sgpr 0
		.amdhsa_reserve_vcc 0
		.amdhsa_reserve_flat_scratch 0
		.amdhsa_float_round_mode_32 0
		.amdhsa_float_round_mode_16_64 0
		.amdhsa_float_denorm_mode_32 3
		.amdhsa_float_denorm_mode_16_64 3
		.amdhsa_dx10_clamp 1
		.amdhsa_ieee_mode 1
		.amdhsa_fp16_overflow 0
		.amdhsa_exception_fp_ieee_invalid_op 0
		.amdhsa_exception_fp_denorm_src 0
		.amdhsa_exception_fp_ieee_div_zero 0
		.amdhsa_exception_fp_ieee_overflow 0
		.amdhsa_exception_fp_ieee_underflow 0
		.amdhsa_exception_fp_ieee_inexact 0
		.amdhsa_exception_int_div_zero 0
	.end_amdhsa_kernel
	.section	.text._ZN7rocprim17ROCPRIM_400000_NS6detail17trampoline_kernelINS0_14default_configENS1_25partition_config_selectorILNS1_17partition_subalgoE8ExNS0_10empty_typeEbEEZZNS1_14partition_implILS5_8ELb0ES3_jN6thrust23THRUST_200600_302600_NS6detail15normal_iteratorINSA_10device_ptrIxEEEEPS6_PKS6_NS0_5tupleIJSF_S6_EEENSJ_IJSG_SG_EEENS0_18inequality_wrapperI22is_equal_div_10_uniqueIxEEEPmJS6_EEE10hipError_tPvRmT3_T4_T5_T6_T7_T9_mT8_P12ihipStream_tbDpT10_ENKUlT_T0_E_clISt17integral_constantIbLb1EES19_IbLb0EEEEDaS15_S16_EUlS15_E_NS1_11comp_targetILNS1_3genE4ELNS1_11target_archE910ELNS1_3gpuE8ELNS1_3repE0EEENS1_30default_config_static_selectorELNS0_4arch9wavefront6targetE1EEEvT1_,"axG",@progbits,_ZN7rocprim17ROCPRIM_400000_NS6detail17trampoline_kernelINS0_14default_configENS1_25partition_config_selectorILNS1_17partition_subalgoE8ExNS0_10empty_typeEbEEZZNS1_14partition_implILS5_8ELb0ES3_jN6thrust23THRUST_200600_302600_NS6detail15normal_iteratorINSA_10device_ptrIxEEEEPS6_PKS6_NS0_5tupleIJSF_S6_EEENSJ_IJSG_SG_EEENS0_18inequality_wrapperI22is_equal_div_10_uniqueIxEEEPmJS6_EEE10hipError_tPvRmT3_T4_T5_T6_T7_T9_mT8_P12ihipStream_tbDpT10_ENKUlT_T0_E_clISt17integral_constantIbLb1EES19_IbLb0EEEEDaS15_S16_EUlS15_E_NS1_11comp_targetILNS1_3genE4ELNS1_11target_archE910ELNS1_3gpuE8ELNS1_3repE0EEENS1_30default_config_static_selectorELNS0_4arch9wavefront6targetE1EEEvT1_,comdat
.Lfunc_end390:
	.size	_ZN7rocprim17ROCPRIM_400000_NS6detail17trampoline_kernelINS0_14default_configENS1_25partition_config_selectorILNS1_17partition_subalgoE8ExNS0_10empty_typeEbEEZZNS1_14partition_implILS5_8ELb0ES3_jN6thrust23THRUST_200600_302600_NS6detail15normal_iteratorINSA_10device_ptrIxEEEEPS6_PKS6_NS0_5tupleIJSF_S6_EEENSJ_IJSG_SG_EEENS0_18inequality_wrapperI22is_equal_div_10_uniqueIxEEEPmJS6_EEE10hipError_tPvRmT3_T4_T5_T6_T7_T9_mT8_P12ihipStream_tbDpT10_ENKUlT_T0_E_clISt17integral_constantIbLb1EES19_IbLb0EEEEDaS15_S16_EUlS15_E_NS1_11comp_targetILNS1_3genE4ELNS1_11target_archE910ELNS1_3gpuE8ELNS1_3repE0EEENS1_30default_config_static_selectorELNS0_4arch9wavefront6targetE1EEEvT1_, .Lfunc_end390-_ZN7rocprim17ROCPRIM_400000_NS6detail17trampoline_kernelINS0_14default_configENS1_25partition_config_selectorILNS1_17partition_subalgoE8ExNS0_10empty_typeEbEEZZNS1_14partition_implILS5_8ELb0ES3_jN6thrust23THRUST_200600_302600_NS6detail15normal_iteratorINSA_10device_ptrIxEEEEPS6_PKS6_NS0_5tupleIJSF_S6_EEENSJ_IJSG_SG_EEENS0_18inequality_wrapperI22is_equal_div_10_uniqueIxEEEPmJS6_EEE10hipError_tPvRmT3_T4_T5_T6_T7_T9_mT8_P12ihipStream_tbDpT10_ENKUlT_T0_E_clISt17integral_constantIbLb1EES19_IbLb0EEEEDaS15_S16_EUlS15_E_NS1_11comp_targetILNS1_3genE4ELNS1_11target_archE910ELNS1_3gpuE8ELNS1_3repE0EEENS1_30default_config_static_selectorELNS0_4arch9wavefront6targetE1EEEvT1_
                                        ; -- End function
	.set _ZN7rocprim17ROCPRIM_400000_NS6detail17trampoline_kernelINS0_14default_configENS1_25partition_config_selectorILNS1_17partition_subalgoE8ExNS0_10empty_typeEbEEZZNS1_14partition_implILS5_8ELb0ES3_jN6thrust23THRUST_200600_302600_NS6detail15normal_iteratorINSA_10device_ptrIxEEEEPS6_PKS6_NS0_5tupleIJSF_S6_EEENSJ_IJSG_SG_EEENS0_18inequality_wrapperI22is_equal_div_10_uniqueIxEEEPmJS6_EEE10hipError_tPvRmT3_T4_T5_T6_T7_T9_mT8_P12ihipStream_tbDpT10_ENKUlT_T0_E_clISt17integral_constantIbLb1EES19_IbLb0EEEEDaS15_S16_EUlS15_E_NS1_11comp_targetILNS1_3genE4ELNS1_11target_archE910ELNS1_3gpuE8ELNS1_3repE0EEENS1_30default_config_static_selectorELNS0_4arch9wavefront6targetE1EEEvT1_.num_vgpr, 0
	.set _ZN7rocprim17ROCPRIM_400000_NS6detail17trampoline_kernelINS0_14default_configENS1_25partition_config_selectorILNS1_17partition_subalgoE8ExNS0_10empty_typeEbEEZZNS1_14partition_implILS5_8ELb0ES3_jN6thrust23THRUST_200600_302600_NS6detail15normal_iteratorINSA_10device_ptrIxEEEEPS6_PKS6_NS0_5tupleIJSF_S6_EEENSJ_IJSG_SG_EEENS0_18inequality_wrapperI22is_equal_div_10_uniqueIxEEEPmJS6_EEE10hipError_tPvRmT3_T4_T5_T6_T7_T9_mT8_P12ihipStream_tbDpT10_ENKUlT_T0_E_clISt17integral_constantIbLb1EES19_IbLb0EEEEDaS15_S16_EUlS15_E_NS1_11comp_targetILNS1_3genE4ELNS1_11target_archE910ELNS1_3gpuE8ELNS1_3repE0EEENS1_30default_config_static_selectorELNS0_4arch9wavefront6targetE1EEEvT1_.num_agpr, 0
	.set _ZN7rocprim17ROCPRIM_400000_NS6detail17trampoline_kernelINS0_14default_configENS1_25partition_config_selectorILNS1_17partition_subalgoE8ExNS0_10empty_typeEbEEZZNS1_14partition_implILS5_8ELb0ES3_jN6thrust23THRUST_200600_302600_NS6detail15normal_iteratorINSA_10device_ptrIxEEEEPS6_PKS6_NS0_5tupleIJSF_S6_EEENSJ_IJSG_SG_EEENS0_18inequality_wrapperI22is_equal_div_10_uniqueIxEEEPmJS6_EEE10hipError_tPvRmT3_T4_T5_T6_T7_T9_mT8_P12ihipStream_tbDpT10_ENKUlT_T0_E_clISt17integral_constantIbLb1EES19_IbLb0EEEEDaS15_S16_EUlS15_E_NS1_11comp_targetILNS1_3genE4ELNS1_11target_archE910ELNS1_3gpuE8ELNS1_3repE0EEENS1_30default_config_static_selectorELNS0_4arch9wavefront6targetE1EEEvT1_.numbered_sgpr, 0
	.set _ZN7rocprim17ROCPRIM_400000_NS6detail17trampoline_kernelINS0_14default_configENS1_25partition_config_selectorILNS1_17partition_subalgoE8ExNS0_10empty_typeEbEEZZNS1_14partition_implILS5_8ELb0ES3_jN6thrust23THRUST_200600_302600_NS6detail15normal_iteratorINSA_10device_ptrIxEEEEPS6_PKS6_NS0_5tupleIJSF_S6_EEENSJ_IJSG_SG_EEENS0_18inequality_wrapperI22is_equal_div_10_uniqueIxEEEPmJS6_EEE10hipError_tPvRmT3_T4_T5_T6_T7_T9_mT8_P12ihipStream_tbDpT10_ENKUlT_T0_E_clISt17integral_constantIbLb1EES19_IbLb0EEEEDaS15_S16_EUlS15_E_NS1_11comp_targetILNS1_3genE4ELNS1_11target_archE910ELNS1_3gpuE8ELNS1_3repE0EEENS1_30default_config_static_selectorELNS0_4arch9wavefront6targetE1EEEvT1_.num_named_barrier, 0
	.set _ZN7rocprim17ROCPRIM_400000_NS6detail17trampoline_kernelINS0_14default_configENS1_25partition_config_selectorILNS1_17partition_subalgoE8ExNS0_10empty_typeEbEEZZNS1_14partition_implILS5_8ELb0ES3_jN6thrust23THRUST_200600_302600_NS6detail15normal_iteratorINSA_10device_ptrIxEEEEPS6_PKS6_NS0_5tupleIJSF_S6_EEENSJ_IJSG_SG_EEENS0_18inequality_wrapperI22is_equal_div_10_uniqueIxEEEPmJS6_EEE10hipError_tPvRmT3_T4_T5_T6_T7_T9_mT8_P12ihipStream_tbDpT10_ENKUlT_T0_E_clISt17integral_constantIbLb1EES19_IbLb0EEEEDaS15_S16_EUlS15_E_NS1_11comp_targetILNS1_3genE4ELNS1_11target_archE910ELNS1_3gpuE8ELNS1_3repE0EEENS1_30default_config_static_selectorELNS0_4arch9wavefront6targetE1EEEvT1_.private_seg_size, 0
	.set _ZN7rocprim17ROCPRIM_400000_NS6detail17trampoline_kernelINS0_14default_configENS1_25partition_config_selectorILNS1_17partition_subalgoE8ExNS0_10empty_typeEbEEZZNS1_14partition_implILS5_8ELb0ES3_jN6thrust23THRUST_200600_302600_NS6detail15normal_iteratorINSA_10device_ptrIxEEEEPS6_PKS6_NS0_5tupleIJSF_S6_EEENSJ_IJSG_SG_EEENS0_18inequality_wrapperI22is_equal_div_10_uniqueIxEEEPmJS6_EEE10hipError_tPvRmT3_T4_T5_T6_T7_T9_mT8_P12ihipStream_tbDpT10_ENKUlT_T0_E_clISt17integral_constantIbLb1EES19_IbLb0EEEEDaS15_S16_EUlS15_E_NS1_11comp_targetILNS1_3genE4ELNS1_11target_archE910ELNS1_3gpuE8ELNS1_3repE0EEENS1_30default_config_static_selectorELNS0_4arch9wavefront6targetE1EEEvT1_.uses_vcc, 0
	.set _ZN7rocprim17ROCPRIM_400000_NS6detail17trampoline_kernelINS0_14default_configENS1_25partition_config_selectorILNS1_17partition_subalgoE8ExNS0_10empty_typeEbEEZZNS1_14partition_implILS5_8ELb0ES3_jN6thrust23THRUST_200600_302600_NS6detail15normal_iteratorINSA_10device_ptrIxEEEEPS6_PKS6_NS0_5tupleIJSF_S6_EEENSJ_IJSG_SG_EEENS0_18inequality_wrapperI22is_equal_div_10_uniqueIxEEEPmJS6_EEE10hipError_tPvRmT3_T4_T5_T6_T7_T9_mT8_P12ihipStream_tbDpT10_ENKUlT_T0_E_clISt17integral_constantIbLb1EES19_IbLb0EEEEDaS15_S16_EUlS15_E_NS1_11comp_targetILNS1_3genE4ELNS1_11target_archE910ELNS1_3gpuE8ELNS1_3repE0EEENS1_30default_config_static_selectorELNS0_4arch9wavefront6targetE1EEEvT1_.uses_flat_scratch, 0
	.set _ZN7rocprim17ROCPRIM_400000_NS6detail17trampoline_kernelINS0_14default_configENS1_25partition_config_selectorILNS1_17partition_subalgoE8ExNS0_10empty_typeEbEEZZNS1_14partition_implILS5_8ELb0ES3_jN6thrust23THRUST_200600_302600_NS6detail15normal_iteratorINSA_10device_ptrIxEEEEPS6_PKS6_NS0_5tupleIJSF_S6_EEENSJ_IJSG_SG_EEENS0_18inequality_wrapperI22is_equal_div_10_uniqueIxEEEPmJS6_EEE10hipError_tPvRmT3_T4_T5_T6_T7_T9_mT8_P12ihipStream_tbDpT10_ENKUlT_T0_E_clISt17integral_constantIbLb1EES19_IbLb0EEEEDaS15_S16_EUlS15_E_NS1_11comp_targetILNS1_3genE4ELNS1_11target_archE910ELNS1_3gpuE8ELNS1_3repE0EEENS1_30default_config_static_selectorELNS0_4arch9wavefront6targetE1EEEvT1_.has_dyn_sized_stack, 0
	.set _ZN7rocprim17ROCPRIM_400000_NS6detail17trampoline_kernelINS0_14default_configENS1_25partition_config_selectorILNS1_17partition_subalgoE8ExNS0_10empty_typeEbEEZZNS1_14partition_implILS5_8ELb0ES3_jN6thrust23THRUST_200600_302600_NS6detail15normal_iteratorINSA_10device_ptrIxEEEEPS6_PKS6_NS0_5tupleIJSF_S6_EEENSJ_IJSG_SG_EEENS0_18inequality_wrapperI22is_equal_div_10_uniqueIxEEEPmJS6_EEE10hipError_tPvRmT3_T4_T5_T6_T7_T9_mT8_P12ihipStream_tbDpT10_ENKUlT_T0_E_clISt17integral_constantIbLb1EES19_IbLb0EEEEDaS15_S16_EUlS15_E_NS1_11comp_targetILNS1_3genE4ELNS1_11target_archE910ELNS1_3gpuE8ELNS1_3repE0EEENS1_30default_config_static_selectorELNS0_4arch9wavefront6targetE1EEEvT1_.has_recursion, 0
	.set _ZN7rocprim17ROCPRIM_400000_NS6detail17trampoline_kernelINS0_14default_configENS1_25partition_config_selectorILNS1_17partition_subalgoE8ExNS0_10empty_typeEbEEZZNS1_14partition_implILS5_8ELb0ES3_jN6thrust23THRUST_200600_302600_NS6detail15normal_iteratorINSA_10device_ptrIxEEEEPS6_PKS6_NS0_5tupleIJSF_S6_EEENSJ_IJSG_SG_EEENS0_18inequality_wrapperI22is_equal_div_10_uniqueIxEEEPmJS6_EEE10hipError_tPvRmT3_T4_T5_T6_T7_T9_mT8_P12ihipStream_tbDpT10_ENKUlT_T0_E_clISt17integral_constantIbLb1EES19_IbLb0EEEEDaS15_S16_EUlS15_E_NS1_11comp_targetILNS1_3genE4ELNS1_11target_archE910ELNS1_3gpuE8ELNS1_3repE0EEENS1_30default_config_static_selectorELNS0_4arch9wavefront6targetE1EEEvT1_.has_indirect_call, 0
	.section	.AMDGPU.csdata,"",@progbits
; Kernel info:
; codeLenInByte = 0
; TotalNumSgprs: 4
; NumVgprs: 0
; ScratchSize: 0
; MemoryBound: 0
; FloatMode: 240
; IeeeMode: 1
; LDSByteSize: 0 bytes/workgroup (compile time only)
; SGPRBlocks: 0
; VGPRBlocks: 0
; NumSGPRsForWavesPerEU: 4
; NumVGPRsForWavesPerEU: 1
; Occupancy: 10
; WaveLimiterHint : 0
; COMPUTE_PGM_RSRC2:SCRATCH_EN: 0
; COMPUTE_PGM_RSRC2:USER_SGPR: 6
; COMPUTE_PGM_RSRC2:TRAP_HANDLER: 0
; COMPUTE_PGM_RSRC2:TGID_X_EN: 1
; COMPUTE_PGM_RSRC2:TGID_Y_EN: 0
; COMPUTE_PGM_RSRC2:TGID_Z_EN: 0
; COMPUTE_PGM_RSRC2:TIDIG_COMP_CNT: 0
	.section	.text._ZN7rocprim17ROCPRIM_400000_NS6detail17trampoline_kernelINS0_14default_configENS1_25partition_config_selectorILNS1_17partition_subalgoE8ExNS0_10empty_typeEbEEZZNS1_14partition_implILS5_8ELb0ES3_jN6thrust23THRUST_200600_302600_NS6detail15normal_iteratorINSA_10device_ptrIxEEEEPS6_PKS6_NS0_5tupleIJSF_S6_EEENSJ_IJSG_SG_EEENS0_18inequality_wrapperI22is_equal_div_10_uniqueIxEEEPmJS6_EEE10hipError_tPvRmT3_T4_T5_T6_T7_T9_mT8_P12ihipStream_tbDpT10_ENKUlT_T0_E_clISt17integral_constantIbLb1EES19_IbLb0EEEEDaS15_S16_EUlS15_E_NS1_11comp_targetILNS1_3genE3ELNS1_11target_archE908ELNS1_3gpuE7ELNS1_3repE0EEENS1_30default_config_static_selectorELNS0_4arch9wavefront6targetE1EEEvT1_,"axG",@progbits,_ZN7rocprim17ROCPRIM_400000_NS6detail17trampoline_kernelINS0_14default_configENS1_25partition_config_selectorILNS1_17partition_subalgoE8ExNS0_10empty_typeEbEEZZNS1_14partition_implILS5_8ELb0ES3_jN6thrust23THRUST_200600_302600_NS6detail15normal_iteratorINSA_10device_ptrIxEEEEPS6_PKS6_NS0_5tupleIJSF_S6_EEENSJ_IJSG_SG_EEENS0_18inequality_wrapperI22is_equal_div_10_uniqueIxEEEPmJS6_EEE10hipError_tPvRmT3_T4_T5_T6_T7_T9_mT8_P12ihipStream_tbDpT10_ENKUlT_T0_E_clISt17integral_constantIbLb1EES19_IbLb0EEEEDaS15_S16_EUlS15_E_NS1_11comp_targetILNS1_3genE3ELNS1_11target_archE908ELNS1_3gpuE7ELNS1_3repE0EEENS1_30default_config_static_selectorELNS0_4arch9wavefront6targetE1EEEvT1_,comdat
	.protected	_ZN7rocprim17ROCPRIM_400000_NS6detail17trampoline_kernelINS0_14default_configENS1_25partition_config_selectorILNS1_17partition_subalgoE8ExNS0_10empty_typeEbEEZZNS1_14partition_implILS5_8ELb0ES3_jN6thrust23THRUST_200600_302600_NS6detail15normal_iteratorINSA_10device_ptrIxEEEEPS6_PKS6_NS0_5tupleIJSF_S6_EEENSJ_IJSG_SG_EEENS0_18inequality_wrapperI22is_equal_div_10_uniqueIxEEEPmJS6_EEE10hipError_tPvRmT3_T4_T5_T6_T7_T9_mT8_P12ihipStream_tbDpT10_ENKUlT_T0_E_clISt17integral_constantIbLb1EES19_IbLb0EEEEDaS15_S16_EUlS15_E_NS1_11comp_targetILNS1_3genE3ELNS1_11target_archE908ELNS1_3gpuE7ELNS1_3repE0EEENS1_30default_config_static_selectorELNS0_4arch9wavefront6targetE1EEEvT1_ ; -- Begin function _ZN7rocprim17ROCPRIM_400000_NS6detail17trampoline_kernelINS0_14default_configENS1_25partition_config_selectorILNS1_17partition_subalgoE8ExNS0_10empty_typeEbEEZZNS1_14partition_implILS5_8ELb0ES3_jN6thrust23THRUST_200600_302600_NS6detail15normal_iteratorINSA_10device_ptrIxEEEEPS6_PKS6_NS0_5tupleIJSF_S6_EEENSJ_IJSG_SG_EEENS0_18inequality_wrapperI22is_equal_div_10_uniqueIxEEEPmJS6_EEE10hipError_tPvRmT3_T4_T5_T6_T7_T9_mT8_P12ihipStream_tbDpT10_ENKUlT_T0_E_clISt17integral_constantIbLb1EES19_IbLb0EEEEDaS15_S16_EUlS15_E_NS1_11comp_targetILNS1_3genE3ELNS1_11target_archE908ELNS1_3gpuE7ELNS1_3repE0EEENS1_30default_config_static_selectorELNS0_4arch9wavefront6targetE1EEEvT1_
	.globl	_ZN7rocprim17ROCPRIM_400000_NS6detail17trampoline_kernelINS0_14default_configENS1_25partition_config_selectorILNS1_17partition_subalgoE8ExNS0_10empty_typeEbEEZZNS1_14partition_implILS5_8ELb0ES3_jN6thrust23THRUST_200600_302600_NS6detail15normal_iteratorINSA_10device_ptrIxEEEEPS6_PKS6_NS0_5tupleIJSF_S6_EEENSJ_IJSG_SG_EEENS0_18inequality_wrapperI22is_equal_div_10_uniqueIxEEEPmJS6_EEE10hipError_tPvRmT3_T4_T5_T6_T7_T9_mT8_P12ihipStream_tbDpT10_ENKUlT_T0_E_clISt17integral_constantIbLb1EES19_IbLb0EEEEDaS15_S16_EUlS15_E_NS1_11comp_targetILNS1_3genE3ELNS1_11target_archE908ELNS1_3gpuE7ELNS1_3repE0EEENS1_30default_config_static_selectorELNS0_4arch9wavefront6targetE1EEEvT1_
	.p2align	8
	.type	_ZN7rocprim17ROCPRIM_400000_NS6detail17trampoline_kernelINS0_14default_configENS1_25partition_config_selectorILNS1_17partition_subalgoE8ExNS0_10empty_typeEbEEZZNS1_14partition_implILS5_8ELb0ES3_jN6thrust23THRUST_200600_302600_NS6detail15normal_iteratorINSA_10device_ptrIxEEEEPS6_PKS6_NS0_5tupleIJSF_S6_EEENSJ_IJSG_SG_EEENS0_18inequality_wrapperI22is_equal_div_10_uniqueIxEEEPmJS6_EEE10hipError_tPvRmT3_T4_T5_T6_T7_T9_mT8_P12ihipStream_tbDpT10_ENKUlT_T0_E_clISt17integral_constantIbLb1EES19_IbLb0EEEEDaS15_S16_EUlS15_E_NS1_11comp_targetILNS1_3genE3ELNS1_11target_archE908ELNS1_3gpuE7ELNS1_3repE0EEENS1_30default_config_static_selectorELNS0_4arch9wavefront6targetE1EEEvT1_,@function
_ZN7rocprim17ROCPRIM_400000_NS6detail17trampoline_kernelINS0_14default_configENS1_25partition_config_selectorILNS1_17partition_subalgoE8ExNS0_10empty_typeEbEEZZNS1_14partition_implILS5_8ELb0ES3_jN6thrust23THRUST_200600_302600_NS6detail15normal_iteratorINSA_10device_ptrIxEEEEPS6_PKS6_NS0_5tupleIJSF_S6_EEENSJ_IJSG_SG_EEENS0_18inequality_wrapperI22is_equal_div_10_uniqueIxEEEPmJS6_EEE10hipError_tPvRmT3_T4_T5_T6_T7_T9_mT8_P12ihipStream_tbDpT10_ENKUlT_T0_E_clISt17integral_constantIbLb1EES19_IbLb0EEEEDaS15_S16_EUlS15_E_NS1_11comp_targetILNS1_3genE3ELNS1_11target_archE908ELNS1_3gpuE7ELNS1_3repE0EEENS1_30default_config_static_selectorELNS0_4arch9wavefront6targetE1EEEvT1_: ; @_ZN7rocprim17ROCPRIM_400000_NS6detail17trampoline_kernelINS0_14default_configENS1_25partition_config_selectorILNS1_17partition_subalgoE8ExNS0_10empty_typeEbEEZZNS1_14partition_implILS5_8ELb0ES3_jN6thrust23THRUST_200600_302600_NS6detail15normal_iteratorINSA_10device_ptrIxEEEEPS6_PKS6_NS0_5tupleIJSF_S6_EEENSJ_IJSG_SG_EEENS0_18inequality_wrapperI22is_equal_div_10_uniqueIxEEEPmJS6_EEE10hipError_tPvRmT3_T4_T5_T6_T7_T9_mT8_P12ihipStream_tbDpT10_ENKUlT_T0_E_clISt17integral_constantIbLb1EES19_IbLb0EEEEDaS15_S16_EUlS15_E_NS1_11comp_targetILNS1_3genE3ELNS1_11target_archE908ELNS1_3gpuE7ELNS1_3repE0EEENS1_30default_config_static_selectorELNS0_4arch9wavefront6targetE1EEEvT1_
; %bb.0:
	.section	.rodata,"a",@progbits
	.p2align	6, 0x0
	.amdhsa_kernel _ZN7rocprim17ROCPRIM_400000_NS6detail17trampoline_kernelINS0_14default_configENS1_25partition_config_selectorILNS1_17partition_subalgoE8ExNS0_10empty_typeEbEEZZNS1_14partition_implILS5_8ELb0ES3_jN6thrust23THRUST_200600_302600_NS6detail15normal_iteratorINSA_10device_ptrIxEEEEPS6_PKS6_NS0_5tupleIJSF_S6_EEENSJ_IJSG_SG_EEENS0_18inequality_wrapperI22is_equal_div_10_uniqueIxEEEPmJS6_EEE10hipError_tPvRmT3_T4_T5_T6_T7_T9_mT8_P12ihipStream_tbDpT10_ENKUlT_T0_E_clISt17integral_constantIbLb1EES19_IbLb0EEEEDaS15_S16_EUlS15_E_NS1_11comp_targetILNS1_3genE3ELNS1_11target_archE908ELNS1_3gpuE7ELNS1_3repE0EEENS1_30default_config_static_selectorELNS0_4arch9wavefront6targetE1EEEvT1_
		.amdhsa_group_segment_fixed_size 0
		.amdhsa_private_segment_fixed_size 0
		.amdhsa_kernarg_size 112
		.amdhsa_user_sgpr_count 6
		.amdhsa_user_sgpr_private_segment_buffer 1
		.amdhsa_user_sgpr_dispatch_ptr 0
		.amdhsa_user_sgpr_queue_ptr 0
		.amdhsa_user_sgpr_kernarg_segment_ptr 1
		.amdhsa_user_sgpr_dispatch_id 0
		.amdhsa_user_sgpr_flat_scratch_init 0
		.amdhsa_user_sgpr_private_segment_size 0
		.amdhsa_uses_dynamic_stack 0
		.amdhsa_system_sgpr_private_segment_wavefront_offset 0
		.amdhsa_system_sgpr_workgroup_id_x 1
		.amdhsa_system_sgpr_workgroup_id_y 0
		.amdhsa_system_sgpr_workgroup_id_z 0
		.amdhsa_system_sgpr_workgroup_info 0
		.amdhsa_system_vgpr_workitem_id 0
		.amdhsa_next_free_vgpr 1
		.amdhsa_next_free_sgpr 0
		.amdhsa_reserve_vcc 0
		.amdhsa_reserve_flat_scratch 0
		.amdhsa_float_round_mode_32 0
		.amdhsa_float_round_mode_16_64 0
		.amdhsa_float_denorm_mode_32 3
		.amdhsa_float_denorm_mode_16_64 3
		.amdhsa_dx10_clamp 1
		.amdhsa_ieee_mode 1
		.amdhsa_fp16_overflow 0
		.amdhsa_exception_fp_ieee_invalid_op 0
		.amdhsa_exception_fp_denorm_src 0
		.amdhsa_exception_fp_ieee_div_zero 0
		.amdhsa_exception_fp_ieee_overflow 0
		.amdhsa_exception_fp_ieee_underflow 0
		.amdhsa_exception_fp_ieee_inexact 0
		.amdhsa_exception_int_div_zero 0
	.end_amdhsa_kernel
	.section	.text._ZN7rocprim17ROCPRIM_400000_NS6detail17trampoline_kernelINS0_14default_configENS1_25partition_config_selectorILNS1_17partition_subalgoE8ExNS0_10empty_typeEbEEZZNS1_14partition_implILS5_8ELb0ES3_jN6thrust23THRUST_200600_302600_NS6detail15normal_iteratorINSA_10device_ptrIxEEEEPS6_PKS6_NS0_5tupleIJSF_S6_EEENSJ_IJSG_SG_EEENS0_18inequality_wrapperI22is_equal_div_10_uniqueIxEEEPmJS6_EEE10hipError_tPvRmT3_T4_T5_T6_T7_T9_mT8_P12ihipStream_tbDpT10_ENKUlT_T0_E_clISt17integral_constantIbLb1EES19_IbLb0EEEEDaS15_S16_EUlS15_E_NS1_11comp_targetILNS1_3genE3ELNS1_11target_archE908ELNS1_3gpuE7ELNS1_3repE0EEENS1_30default_config_static_selectorELNS0_4arch9wavefront6targetE1EEEvT1_,"axG",@progbits,_ZN7rocprim17ROCPRIM_400000_NS6detail17trampoline_kernelINS0_14default_configENS1_25partition_config_selectorILNS1_17partition_subalgoE8ExNS0_10empty_typeEbEEZZNS1_14partition_implILS5_8ELb0ES3_jN6thrust23THRUST_200600_302600_NS6detail15normal_iteratorINSA_10device_ptrIxEEEEPS6_PKS6_NS0_5tupleIJSF_S6_EEENSJ_IJSG_SG_EEENS0_18inequality_wrapperI22is_equal_div_10_uniqueIxEEEPmJS6_EEE10hipError_tPvRmT3_T4_T5_T6_T7_T9_mT8_P12ihipStream_tbDpT10_ENKUlT_T0_E_clISt17integral_constantIbLb1EES19_IbLb0EEEEDaS15_S16_EUlS15_E_NS1_11comp_targetILNS1_3genE3ELNS1_11target_archE908ELNS1_3gpuE7ELNS1_3repE0EEENS1_30default_config_static_selectorELNS0_4arch9wavefront6targetE1EEEvT1_,comdat
.Lfunc_end391:
	.size	_ZN7rocprim17ROCPRIM_400000_NS6detail17trampoline_kernelINS0_14default_configENS1_25partition_config_selectorILNS1_17partition_subalgoE8ExNS0_10empty_typeEbEEZZNS1_14partition_implILS5_8ELb0ES3_jN6thrust23THRUST_200600_302600_NS6detail15normal_iteratorINSA_10device_ptrIxEEEEPS6_PKS6_NS0_5tupleIJSF_S6_EEENSJ_IJSG_SG_EEENS0_18inequality_wrapperI22is_equal_div_10_uniqueIxEEEPmJS6_EEE10hipError_tPvRmT3_T4_T5_T6_T7_T9_mT8_P12ihipStream_tbDpT10_ENKUlT_T0_E_clISt17integral_constantIbLb1EES19_IbLb0EEEEDaS15_S16_EUlS15_E_NS1_11comp_targetILNS1_3genE3ELNS1_11target_archE908ELNS1_3gpuE7ELNS1_3repE0EEENS1_30default_config_static_selectorELNS0_4arch9wavefront6targetE1EEEvT1_, .Lfunc_end391-_ZN7rocprim17ROCPRIM_400000_NS6detail17trampoline_kernelINS0_14default_configENS1_25partition_config_selectorILNS1_17partition_subalgoE8ExNS0_10empty_typeEbEEZZNS1_14partition_implILS5_8ELb0ES3_jN6thrust23THRUST_200600_302600_NS6detail15normal_iteratorINSA_10device_ptrIxEEEEPS6_PKS6_NS0_5tupleIJSF_S6_EEENSJ_IJSG_SG_EEENS0_18inequality_wrapperI22is_equal_div_10_uniqueIxEEEPmJS6_EEE10hipError_tPvRmT3_T4_T5_T6_T7_T9_mT8_P12ihipStream_tbDpT10_ENKUlT_T0_E_clISt17integral_constantIbLb1EES19_IbLb0EEEEDaS15_S16_EUlS15_E_NS1_11comp_targetILNS1_3genE3ELNS1_11target_archE908ELNS1_3gpuE7ELNS1_3repE0EEENS1_30default_config_static_selectorELNS0_4arch9wavefront6targetE1EEEvT1_
                                        ; -- End function
	.set _ZN7rocprim17ROCPRIM_400000_NS6detail17trampoline_kernelINS0_14default_configENS1_25partition_config_selectorILNS1_17partition_subalgoE8ExNS0_10empty_typeEbEEZZNS1_14partition_implILS5_8ELb0ES3_jN6thrust23THRUST_200600_302600_NS6detail15normal_iteratorINSA_10device_ptrIxEEEEPS6_PKS6_NS0_5tupleIJSF_S6_EEENSJ_IJSG_SG_EEENS0_18inequality_wrapperI22is_equal_div_10_uniqueIxEEEPmJS6_EEE10hipError_tPvRmT3_T4_T5_T6_T7_T9_mT8_P12ihipStream_tbDpT10_ENKUlT_T0_E_clISt17integral_constantIbLb1EES19_IbLb0EEEEDaS15_S16_EUlS15_E_NS1_11comp_targetILNS1_3genE3ELNS1_11target_archE908ELNS1_3gpuE7ELNS1_3repE0EEENS1_30default_config_static_selectorELNS0_4arch9wavefront6targetE1EEEvT1_.num_vgpr, 0
	.set _ZN7rocprim17ROCPRIM_400000_NS6detail17trampoline_kernelINS0_14default_configENS1_25partition_config_selectorILNS1_17partition_subalgoE8ExNS0_10empty_typeEbEEZZNS1_14partition_implILS5_8ELb0ES3_jN6thrust23THRUST_200600_302600_NS6detail15normal_iteratorINSA_10device_ptrIxEEEEPS6_PKS6_NS0_5tupleIJSF_S6_EEENSJ_IJSG_SG_EEENS0_18inequality_wrapperI22is_equal_div_10_uniqueIxEEEPmJS6_EEE10hipError_tPvRmT3_T4_T5_T6_T7_T9_mT8_P12ihipStream_tbDpT10_ENKUlT_T0_E_clISt17integral_constantIbLb1EES19_IbLb0EEEEDaS15_S16_EUlS15_E_NS1_11comp_targetILNS1_3genE3ELNS1_11target_archE908ELNS1_3gpuE7ELNS1_3repE0EEENS1_30default_config_static_selectorELNS0_4arch9wavefront6targetE1EEEvT1_.num_agpr, 0
	.set _ZN7rocprim17ROCPRIM_400000_NS6detail17trampoline_kernelINS0_14default_configENS1_25partition_config_selectorILNS1_17partition_subalgoE8ExNS0_10empty_typeEbEEZZNS1_14partition_implILS5_8ELb0ES3_jN6thrust23THRUST_200600_302600_NS6detail15normal_iteratorINSA_10device_ptrIxEEEEPS6_PKS6_NS0_5tupleIJSF_S6_EEENSJ_IJSG_SG_EEENS0_18inequality_wrapperI22is_equal_div_10_uniqueIxEEEPmJS6_EEE10hipError_tPvRmT3_T4_T5_T6_T7_T9_mT8_P12ihipStream_tbDpT10_ENKUlT_T0_E_clISt17integral_constantIbLb1EES19_IbLb0EEEEDaS15_S16_EUlS15_E_NS1_11comp_targetILNS1_3genE3ELNS1_11target_archE908ELNS1_3gpuE7ELNS1_3repE0EEENS1_30default_config_static_selectorELNS0_4arch9wavefront6targetE1EEEvT1_.numbered_sgpr, 0
	.set _ZN7rocprim17ROCPRIM_400000_NS6detail17trampoline_kernelINS0_14default_configENS1_25partition_config_selectorILNS1_17partition_subalgoE8ExNS0_10empty_typeEbEEZZNS1_14partition_implILS5_8ELb0ES3_jN6thrust23THRUST_200600_302600_NS6detail15normal_iteratorINSA_10device_ptrIxEEEEPS6_PKS6_NS0_5tupleIJSF_S6_EEENSJ_IJSG_SG_EEENS0_18inequality_wrapperI22is_equal_div_10_uniqueIxEEEPmJS6_EEE10hipError_tPvRmT3_T4_T5_T6_T7_T9_mT8_P12ihipStream_tbDpT10_ENKUlT_T0_E_clISt17integral_constantIbLb1EES19_IbLb0EEEEDaS15_S16_EUlS15_E_NS1_11comp_targetILNS1_3genE3ELNS1_11target_archE908ELNS1_3gpuE7ELNS1_3repE0EEENS1_30default_config_static_selectorELNS0_4arch9wavefront6targetE1EEEvT1_.num_named_barrier, 0
	.set _ZN7rocprim17ROCPRIM_400000_NS6detail17trampoline_kernelINS0_14default_configENS1_25partition_config_selectorILNS1_17partition_subalgoE8ExNS0_10empty_typeEbEEZZNS1_14partition_implILS5_8ELb0ES3_jN6thrust23THRUST_200600_302600_NS6detail15normal_iteratorINSA_10device_ptrIxEEEEPS6_PKS6_NS0_5tupleIJSF_S6_EEENSJ_IJSG_SG_EEENS0_18inequality_wrapperI22is_equal_div_10_uniqueIxEEEPmJS6_EEE10hipError_tPvRmT3_T4_T5_T6_T7_T9_mT8_P12ihipStream_tbDpT10_ENKUlT_T0_E_clISt17integral_constantIbLb1EES19_IbLb0EEEEDaS15_S16_EUlS15_E_NS1_11comp_targetILNS1_3genE3ELNS1_11target_archE908ELNS1_3gpuE7ELNS1_3repE0EEENS1_30default_config_static_selectorELNS0_4arch9wavefront6targetE1EEEvT1_.private_seg_size, 0
	.set _ZN7rocprim17ROCPRIM_400000_NS6detail17trampoline_kernelINS0_14default_configENS1_25partition_config_selectorILNS1_17partition_subalgoE8ExNS0_10empty_typeEbEEZZNS1_14partition_implILS5_8ELb0ES3_jN6thrust23THRUST_200600_302600_NS6detail15normal_iteratorINSA_10device_ptrIxEEEEPS6_PKS6_NS0_5tupleIJSF_S6_EEENSJ_IJSG_SG_EEENS0_18inequality_wrapperI22is_equal_div_10_uniqueIxEEEPmJS6_EEE10hipError_tPvRmT3_T4_T5_T6_T7_T9_mT8_P12ihipStream_tbDpT10_ENKUlT_T0_E_clISt17integral_constantIbLb1EES19_IbLb0EEEEDaS15_S16_EUlS15_E_NS1_11comp_targetILNS1_3genE3ELNS1_11target_archE908ELNS1_3gpuE7ELNS1_3repE0EEENS1_30default_config_static_selectorELNS0_4arch9wavefront6targetE1EEEvT1_.uses_vcc, 0
	.set _ZN7rocprim17ROCPRIM_400000_NS6detail17trampoline_kernelINS0_14default_configENS1_25partition_config_selectorILNS1_17partition_subalgoE8ExNS0_10empty_typeEbEEZZNS1_14partition_implILS5_8ELb0ES3_jN6thrust23THRUST_200600_302600_NS6detail15normal_iteratorINSA_10device_ptrIxEEEEPS6_PKS6_NS0_5tupleIJSF_S6_EEENSJ_IJSG_SG_EEENS0_18inequality_wrapperI22is_equal_div_10_uniqueIxEEEPmJS6_EEE10hipError_tPvRmT3_T4_T5_T6_T7_T9_mT8_P12ihipStream_tbDpT10_ENKUlT_T0_E_clISt17integral_constantIbLb1EES19_IbLb0EEEEDaS15_S16_EUlS15_E_NS1_11comp_targetILNS1_3genE3ELNS1_11target_archE908ELNS1_3gpuE7ELNS1_3repE0EEENS1_30default_config_static_selectorELNS0_4arch9wavefront6targetE1EEEvT1_.uses_flat_scratch, 0
	.set _ZN7rocprim17ROCPRIM_400000_NS6detail17trampoline_kernelINS0_14default_configENS1_25partition_config_selectorILNS1_17partition_subalgoE8ExNS0_10empty_typeEbEEZZNS1_14partition_implILS5_8ELb0ES3_jN6thrust23THRUST_200600_302600_NS6detail15normal_iteratorINSA_10device_ptrIxEEEEPS6_PKS6_NS0_5tupleIJSF_S6_EEENSJ_IJSG_SG_EEENS0_18inequality_wrapperI22is_equal_div_10_uniqueIxEEEPmJS6_EEE10hipError_tPvRmT3_T4_T5_T6_T7_T9_mT8_P12ihipStream_tbDpT10_ENKUlT_T0_E_clISt17integral_constantIbLb1EES19_IbLb0EEEEDaS15_S16_EUlS15_E_NS1_11comp_targetILNS1_3genE3ELNS1_11target_archE908ELNS1_3gpuE7ELNS1_3repE0EEENS1_30default_config_static_selectorELNS0_4arch9wavefront6targetE1EEEvT1_.has_dyn_sized_stack, 0
	.set _ZN7rocprim17ROCPRIM_400000_NS6detail17trampoline_kernelINS0_14default_configENS1_25partition_config_selectorILNS1_17partition_subalgoE8ExNS0_10empty_typeEbEEZZNS1_14partition_implILS5_8ELb0ES3_jN6thrust23THRUST_200600_302600_NS6detail15normal_iteratorINSA_10device_ptrIxEEEEPS6_PKS6_NS0_5tupleIJSF_S6_EEENSJ_IJSG_SG_EEENS0_18inequality_wrapperI22is_equal_div_10_uniqueIxEEEPmJS6_EEE10hipError_tPvRmT3_T4_T5_T6_T7_T9_mT8_P12ihipStream_tbDpT10_ENKUlT_T0_E_clISt17integral_constantIbLb1EES19_IbLb0EEEEDaS15_S16_EUlS15_E_NS1_11comp_targetILNS1_3genE3ELNS1_11target_archE908ELNS1_3gpuE7ELNS1_3repE0EEENS1_30default_config_static_selectorELNS0_4arch9wavefront6targetE1EEEvT1_.has_recursion, 0
	.set _ZN7rocprim17ROCPRIM_400000_NS6detail17trampoline_kernelINS0_14default_configENS1_25partition_config_selectorILNS1_17partition_subalgoE8ExNS0_10empty_typeEbEEZZNS1_14partition_implILS5_8ELb0ES3_jN6thrust23THRUST_200600_302600_NS6detail15normal_iteratorINSA_10device_ptrIxEEEEPS6_PKS6_NS0_5tupleIJSF_S6_EEENSJ_IJSG_SG_EEENS0_18inequality_wrapperI22is_equal_div_10_uniqueIxEEEPmJS6_EEE10hipError_tPvRmT3_T4_T5_T6_T7_T9_mT8_P12ihipStream_tbDpT10_ENKUlT_T0_E_clISt17integral_constantIbLb1EES19_IbLb0EEEEDaS15_S16_EUlS15_E_NS1_11comp_targetILNS1_3genE3ELNS1_11target_archE908ELNS1_3gpuE7ELNS1_3repE0EEENS1_30default_config_static_selectorELNS0_4arch9wavefront6targetE1EEEvT1_.has_indirect_call, 0
	.section	.AMDGPU.csdata,"",@progbits
; Kernel info:
; codeLenInByte = 0
; TotalNumSgprs: 4
; NumVgprs: 0
; ScratchSize: 0
; MemoryBound: 0
; FloatMode: 240
; IeeeMode: 1
; LDSByteSize: 0 bytes/workgroup (compile time only)
; SGPRBlocks: 0
; VGPRBlocks: 0
; NumSGPRsForWavesPerEU: 4
; NumVGPRsForWavesPerEU: 1
; Occupancy: 10
; WaveLimiterHint : 0
; COMPUTE_PGM_RSRC2:SCRATCH_EN: 0
; COMPUTE_PGM_RSRC2:USER_SGPR: 6
; COMPUTE_PGM_RSRC2:TRAP_HANDLER: 0
; COMPUTE_PGM_RSRC2:TGID_X_EN: 1
; COMPUTE_PGM_RSRC2:TGID_Y_EN: 0
; COMPUTE_PGM_RSRC2:TGID_Z_EN: 0
; COMPUTE_PGM_RSRC2:TIDIG_COMP_CNT: 0
	.section	.text._ZN7rocprim17ROCPRIM_400000_NS6detail17trampoline_kernelINS0_14default_configENS1_25partition_config_selectorILNS1_17partition_subalgoE8ExNS0_10empty_typeEbEEZZNS1_14partition_implILS5_8ELb0ES3_jN6thrust23THRUST_200600_302600_NS6detail15normal_iteratorINSA_10device_ptrIxEEEEPS6_PKS6_NS0_5tupleIJSF_S6_EEENSJ_IJSG_SG_EEENS0_18inequality_wrapperI22is_equal_div_10_uniqueIxEEEPmJS6_EEE10hipError_tPvRmT3_T4_T5_T6_T7_T9_mT8_P12ihipStream_tbDpT10_ENKUlT_T0_E_clISt17integral_constantIbLb1EES19_IbLb0EEEEDaS15_S16_EUlS15_E_NS1_11comp_targetILNS1_3genE2ELNS1_11target_archE906ELNS1_3gpuE6ELNS1_3repE0EEENS1_30default_config_static_selectorELNS0_4arch9wavefront6targetE1EEEvT1_,"axG",@progbits,_ZN7rocprim17ROCPRIM_400000_NS6detail17trampoline_kernelINS0_14default_configENS1_25partition_config_selectorILNS1_17partition_subalgoE8ExNS0_10empty_typeEbEEZZNS1_14partition_implILS5_8ELb0ES3_jN6thrust23THRUST_200600_302600_NS6detail15normal_iteratorINSA_10device_ptrIxEEEEPS6_PKS6_NS0_5tupleIJSF_S6_EEENSJ_IJSG_SG_EEENS0_18inequality_wrapperI22is_equal_div_10_uniqueIxEEEPmJS6_EEE10hipError_tPvRmT3_T4_T5_T6_T7_T9_mT8_P12ihipStream_tbDpT10_ENKUlT_T0_E_clISt17integral_constantIbLb1EES19_IbLb0EEEEDaS15_S16_EUlS15_E_NS1_11comp_targetILNS1_3genE2ELNS1_11target_archE906ELNS1_3gpuE6ELNS1_3repE0EEENS1_30default_config_static_selectorELNS0_4arch9wavefront6targetE1EEEvT1_,comdat
	.protected	_ZN7rocprim17ROCPRIM_400000_NS6detail17trampoline_kernelINS0_14default_configENS1_25partition_config_selectorILNS1_17partition_subalgoE8ExNS0_10empty_typeEbEEZZNS1_14partition_implILS5_8ELb0ES3_jN6thrust23THRUST_200600_302600_NS6detail15normal_iteratorINSA_10device_ptrIxEEEEPS6_PKS6_NS0_5tupleIJSF_S6_EEENSJ_IJSG_SG_EEENS0_18inequality_wrapperI22is_equal_div_10_uniqueIxEEEPmJS6_EEE10hipError_tPvRmT3_T4_T5_T6_T7_T9_mT8_P12ihipStream_tbDpT10_ENKUlT_T0_E_clISt17integral_constantIbLb1EES19_IbLb0EEEEDaS15_S16_EUlS15_E_NS1_11comp_targetILNS1_3genE2ELNS1_11target_archE906ELNS1_3gpuE6ELNS1_3repE0EEENS1_30default_config_static_selectorELNS0_4arch9wavefront6targetE1EEEvT1_ ; -- Begin function _ZN7rocprim17ROCPRIM_400000_NS6detail17trampoline_kernelINS0_14default_configENS1_25partition_config_selectorILNS1_17partition_subalgoE8ExNS0_10empty_typeEbEEZZNS1_14partition_implILS5_8ELb0ES3_jN6thrust23THRUST_200600_302600_NS6detail15normal_iteratorINSA_10device_ptrIxEEEEPS6_PKS6_NS0_5tupleIJSF_S6_EEENSJ_IJSG_SG_EEENS0_18inequality_wrapperI22is_equal_div_10_uniqueIxEEEPmJS6_EEE10hipError_tPvRmT3_T4_T5_T6_T7_T9_mT8_P12ihipStream_tbDpT10_ENKUlT_T0_E_clISt17integral_constantIbLb1EES19_IbLb0EEEEDaS15_S16_EUlS15_E_NS1_11comp_targetILNS1_3genE2ELNS1_11target_archE906ELNS1_3gpuE6ELNS1_3repE0EEENS1_30default_config_static_selectorELNS0_4arch9wavefront6targetE1EEEvT1_
	.globl	_ZN7rocprim17ROCPRIM_400000_NS6detail17trampoline_kernelINS0_14default_configENS1_25partition_config_selectorILNS1_17partition_subalgoE8ExNS0_10empty_typeEbEEZZNS1_14partition_implILS5_8ELb0ES3_jN6thrust23THRUST_200600_302600_NS6detail15normal_iteratorINSA_10device_ptrIxEEEEPS6_PKS6_NS0_5tupleIJSF_S6_EEENSJ_IJSG_SG_EEENS0_18inequality_wrapperI22is_equal_div_10_uniqueIxEEEPmJS6_EEE10hipError_tPvRmT3_T4_T5_T6_T7_T9_mT8_P12ihipStream_tbDpT10_ENKUlT_T0_E_clISt17integral_constantIbLb1EES19_IbLb0EEEEDaS15_S16_EUlS15_E_NS1_11comp_targetILNS1_3genE2ELNS1_11target_archE906ELNS1_3gpuE6ELNS1_3repE0EEENS1_30default_config_static_selectorELNS0_4arch9wavefront6targetE1EEEvT1_
	.p2align	8
	.type	_ZN7rocprim17ROCPRIM_400000_NS6detail17trampoline_kernelINS0_14default_configENS1_25partition_config_selectorILNS1_17partition_subalgoE8ExNS0_10empty_typeEbEEZZNS1_14partition_implILS5_8ELb0ES3_jN6thrust23THRUST_200600_302600_NS6detail15normal_iteratorINSA_10device_ptrIxEEEEPS6_PKS6_NS0_5tupleIJSF_S6_EEENSJ_IJSG_SG_EEENS0_18inequality_wrapperI22is_equal_div_10_uniqueIxEEEPmJS6_EEE10hipError_tPvRmT3_T4_T5_T6_T7_T9_mT8_P12ihipStream_tbDpT10_ENKUlT_T0_E_clISt17integral_constantIbLb1EES19_IbLb0EEEEDaS15_S16_EUlS15_E_NS1_11comp_targetILNS1_3genE2ELNS1_11target_archE906ELNS1_3gpuE6ELNS1_3repE0EEENS1_30default_config_static_selectorELNS0_4arch9wavefront6targetE1EEEvT1_,@function
_ZN7rocprim17ROCPRIM_400000_NS6detail17trampoline_kernelINS0_14default_configENS1_25partition_config_selectorILNS1_17partition_subalgoE8ExNS0_10empty_typeEbEEZZNS1_14partition_implILS5_8ELb0ES3_jN6thrust23THRUST_200600_302600_NS6detail15normal_iteratorINSA_10device_ptrIxEEEEPS6_PKS6_NS0_5tupleIJSF_S6_EEENSJ_IJSG_SG_EEENS0_18inequality_wrapperI22is_equal_div_10_uniqueIxEEEPmJS6_EEE10hipError_tPvRmT3_T4_T5_T6_T7_T9_mT8_P12ihipStream_tbDpT10_ENKUlT_T0_E_clISt17integral_constantIbLb1EES19_IbLb0EEEEDaS15_S16_EUlS15_E_NS1_11comp_targetILNS1_3genE2ELNS1_11target_archE906ELNS1_3gpuE6ELNS1_3repE0EEENS1_30default_config_static_selectorELNS0_4arch9wavefront6targetE1EEEvT1_: ; @_ZN7rocprim17ROCPRIM_400000_NS6detail17trampoline_kernelINS0_14default_configENS1_25partition_config_selectorILNS1_17partition_subalgoE8ExNS0_10empty_typeEbEEZZNS1_14partition_implILS5_8ELb0ES3_jN6thrust23THRUST_200600_302600_NS6detail15normal_iteratorINSA_10device_ptrIxEEEEPS6_PKS6_NS0_5tupleIJSF_S6_EEENSJ_IJSG_SG_EEENS0_18inequality_wrapperI22is_equal_div_10_uniqueIxEEEPmJS6_EEE10hipError_tPvRmT3_T4_T5_T6_T7_T9_mT8_P12ihipStream_tbDpT10_ENKUlT_T0_E_clISt17integral_constantIbLb1EES19_IbLb0EEEEDaS15_S16_EUlS15_E_NS1_11comp_targetILNS1_3genE2ELNS1_11target_archE906ELNS1_3gpuE6ELNS1_3repE0EEENS1_30default_config_static_selectorELNS0_4arch9wavefront6targetE1EEEvT1_
; %bb.0:
	s_endpgm
	.section	.rodata,"a",@progbits
	.p2align	6, 0x0
	.amdhsa_kernel _ZN7rocprim17ROCPRIM_400000_NS6detail17trampoline_kernelINS0_14default_configENS1_25partition_config_selectorILNS1_17partition_subalgoE8ExNS0_10empty_typeEbEEZZNS1_14partition_implILS5_8ELb0ES3_jN6thrust23THRUST_200600_302600_NS6detail15normal_iteratorINSA_10device_ptrIxEEEEPS6_PKS6_NS0_5tupleIJSF_S6_EEENSJ_IJSG_SG_EEENS0_18inequality_wrapperI22is_equal_div_10_uniqueIxEEEPmJS6_EEE10hipError_tPvRmT3_T4_T5_T6_T7_T9_mT8_P12ihipStream_tbDpT10_ENKUlT_T0_E_clISt17integral_constantIbLb1EES19_IbLb0EEEEDaS15_S16_EUlS15_E_NS1_11comp_targetILNS1_3genE2ELNS1_11target_archE906ELNS1_3gpuE6ELNS1_3repE0EEENS1_30default_config_static_selectorELNS0_4arch9wavefront6targetE1EEEvT1_
		.amdhsa_group_segment_fixed_size 0
		.amdhsa_private_segment_fixed_size 0
		.amdhsa_kernarg_size 112
		.amdhsa_user_sgpr_count 6
		.amdhsa_user_sgpr_private_segment_buffer 1
		.amdhsa_user_sgpr_dispatch_ptr 0
		.amdhsa_user_sgpr_queue_ptr 0
		.amdhsa_user_sgpr_kernarg_segment_ptr 1
		.amdhsa_user_sgpr_dispatch_id 0
		.amdhsa_user_sgpr_flat_scratch_init 0
		.amdhsa_user_sgpr_private_segment_size 0
		.amdhsa_uses_dynamic_stack 0
		.amdhsa_system_sgpr_private_segment_wavefront_offset 0
		.amdhsa_system_sgpr_workgroup_id_x 1
		.amdhsa_system_sgpr_workgroup_id_y 0
		.amdhsa_system_sgpr_workgroup_id_z 0
		.amdhsa_system_sgpr_workgroup_info 0
		.amdhsa_system_vgpr_workitem_id 0
		.amdhsa_next_free_vgpr 1
		.amdhsa_next_free_sgpr 0
		.amdhsa_reserve_vcc 0
		.amdhsa_reserve_flat_scratch 0
		.amdhsa_float_round_mode_32 0
		.amdhsa_float_round_mode_16_64 0
		.amdhsa_float_denorm_mode_32 3
		.amdhsa_float_denorm_mode_16_64 3
		.amdhsa_dx10_clamp 1
		.amdhsa_ieee_mode 1
		.amdhsa_fp16_overflow 0
		.amdhsa_exception_fp_ieee_invalid_op 0
		.amdhsa_exception_fp_denorm_src 0
		.amdhsa_exception_fp_ieee_div_zero 0
		.amdhsa_exception_fp_ieee_overflow 0
		.amdhsa_exception_fp_ieee_underflow 0
		.amdhsa_exception_fp_ieee_inexact 0
		.amdhsa_exception_int_div_zero 0
	.end_amdhsa_kernel
	.section	.text._ZN7rocprim17ROCPRIM_400000_NS6detail17trampoline_kernelINS0_14default_configENS1_25partition_config_selectorILNS1_17partition_subalgoE8ExNS0_10empty_typeEbEEZZNS1_14partition_implILS5_8ELb0ES3_jN6thrust23THRUST_200600_302600_NS6detail15normal_iteratorINSA_10device_ptrIxEEEEPS6_PKS6_NS0_5tupleIJSF_S6_EEENSJ_IJSG_SG_EEENS0_18inequality_wrapperI22is_equal_div_10_uniqueIxEEEPmJS6_EEE10hipError_tPvRmT3_T4_T5_T6_T7_T9_mT8_P12ihipStream_tbDpT10_ENKUlT_T0_E_clISt17integral_constantIbLb1EES19_IbLb0EEEEDaS15_S16_EUlS15_E_NS1_11comp_targetILNS1_3genE2ELNS1_11target_archE906ELNS1_3gpuE6ELNS1_3repE0EEENS1_30default_config_static_selectorELNS0_4arch9wavefront6targetE1EEEvT1_,"axG",@progbits,_ZN7rocprim17ROCPRIM_400000_NS6detail17trampoline_kernelINS0_14default_configENS1_25partition_config_selectorILNS1_17partition_subalgoE8ExNS0_10empty_typeEbEEZZNS1_14partition_implILS5_8ELb0ES3_jN6thrust23THRUST_200600_302600_NS6detail15normal_iteratorINSA_10device_ptrIxEEEEPS6_PKS6_NS0_5tupleIJSF_S6_EEENSJ_IJSG_SG_EEENS0_18inequality_wrapperI22is_equal_div_10_uniqueIxEEEPmJS6_EEE10hipError_tPvRmT3_T4_T5_T6_T7_T9_mT8_P12ihipStream_tbDpT10_ENKUlT_T0_E_clISt17integral_constantIbLb1EES19_IbLb0EEEEDaS15_S16_EUlS15_E_NS1_11comp_targetILNS1_3genE2ELNS1_11target_archE906ELNS1_3gpuE6ELNS1_3repE0EEENS1_30default_config_static_selectorELNS0_4arch9wavefront6targetE1EEEvT1_,comdat
.Lfunc_end392:
	.size	_ZN7rocprim17ROCPRIM_400000_NS6detail17trampoline_kernelINS0_14default_configENS1_25partition_config_selectorILNS1_17partition_subalgoE8ExNS0_10empty_typeEbEEZZNS1_14partition_implILS5_8ELb0ES3_jN6thrust23THRUST_200600_302600_NS6detail15normal_iteratorINSA_10device_ptrIxEEEEPS6_PKS6_NS0_5tupleIJSF_S6_EEENSJ_IJSG_SG_EEENS0_18inequality_wrapperI22is_equal_div_10_uniqueIxEEEPmJS6_EEE10hipError_tPvRmT3_T4_T5_T6_T7_T9_mT8_P12ihipStream_tbDpT10_ENKUlT_T0_E_clISt17integral_constantIbLb1EES19_IbLb0EEEEDaS15_S16_EUlS15_E_NS1_11comp_targetILNS1_3genE2ELNS1_11target_archE906ELNS1_3gpuE6ELNS1_3repE0EEENS1_30default_config_static_selectorELNS0_4arch9wavefront6targetE1EEEvT1_, .Lfunc_end392-_ZN7rocprim17ROCPRIM_400000_NS6detail17trampoline_kernelINS0_14default_configENS1_25partition_config_selectorILNS1_17partition_subalgoE8ExNS0_10empty_typeEbEEZZNS1_14partition_implILS5_8ELb0ES3_jN6thrust23THRUST_200600_302600_NS6detail15normal_iteratorINSA_10device_ptrIxEEEEPS6_PKS6_NS0_5tupleIJSF_S6_EEENSJ_IJSG_SG_EEENS0_18inequality_wrapperI22is_equal_div_10_uniqueIxEEEPmJS6_EEE10hipError_tPvRmT3_T4_T5_T6_T7_T9_mT8_P12ihipStream_tbDpT10_ENKUlT_T0_E_clISt17integral_constantIbLb1EES19_IbLb0EEEEDaS15_S16_EUlS15_E_NS1_11comp_targetILNS1_3genE2ELNS1_11target_archE906ELNS1_3gpuE6ELNS1_3repE0EEENS1_30default_config_static_selectorELNS0_4arch9wavefront6targetE1EEEvT1_
                                        ; -- End function
	.set _ZN7rocprim17ROCPRIM_400000_NS6detail17trampoline_kernelINS0_14default_configENS1_25partition_config_selectorILNS1_17partition_subalgoE8ExNS0_10empty_typeEbEEZZNS1_14partition_implILS5_8ELb0ES3_jN6thrust23THRUST_200600_302600_NS6detail15normal_iteratorINSA_10device_ptrIxEEEEPS6_PKS6_NS0_5tupleIJSF_S6_EEENSJ_IJSG_SG_EEENS0_18inequality_wrapperI22is_equal_div_10_uniqueIxEEEPmJS6_EEE10hipError_tPvRmT3_T4_T5_T6_T7_T9_mT8_P12ihipStream_tbDpT10_ENKUlT_T0_E_clISt17integral_constantIbLb1EES19_IbLb0EEEEDaS15_S16_EUlS15_E_NS1_11comp_targetILNS1_3genE2ELNS1_11target_archE906ELNS1_3gpuE6ELNS1_3repE0EEENS1_30default_config_static_selectorELNS0_4arch9wavefront6targetE1EEEvT1_.num_vgpr, 0
	.set _ZN7rocprim17ROCPRIM_400000_NS6detail17trampoline_kernelINS0_14default_configENS1_25partition_config_selectorILNS1_17partition_subalgoE8ExNS0_10empty_typeEbEEZZNS1_14partition_implILS5_8ELb0ES3_jN6thrust23THRUST_200600_302600_NS6detail15normal_iteratorINSA_10device_ptrIxEEEEPS6_PKS6_NS0_5tupleIJSF_S6_EEENSJ_IJSG_SG_EEENS0_18inequality_wrapperI22is_equal_div_10_uniqueIxEEEPmJS6_EEE10hipError_tPvRmT3_T4_T5_T6_T7_T9_mT8_P12ihipStream_tbDpT10_ENKUlT_T0_E_clISt17integral_constantIbLb1EES19_IbLb0EEEEDaS15_S16_EUlS15_E_NS1_11comp_targetILNS1_3genE2ELNS1_11target_archE906ELNS1_3gpuE6ELNS1_3repE0EEENS1_30default_config_static_selectorELNS0_4arch9wavefront6targetE1EEEvT1_.num_agpr, 0
	.set _ZN7rocprim17ROCPRIM_400000_NS6detail17trampoline_kernelINS0_14default_configENS1_25partition_config_selectorILNS1_17partition_subalgoE8ExNS0_10empty_typeEbEEZZNS1_14partition_implILS5_8ELb0ES3_jN6thrust23THRUST_200600_302600_NS6detail15normal_iteratorINSA_10device_ptrIxEEEEPS6_PKS6_NS0_5tupleIJSF_S6_EEENSJ_IJSG_SG_EEENS0_18inequality_wrapperI22is_equal_div_10_uniqueIxEEEPmJS6_EEE10hipError_tPvRmT3_T4_T5_T6_T7_T9_mT8_P12ihipStream_tbDpT10_ENKUlT_T0_E_clISt17integral_constantIbLb1EES19_IbLb0EEEEDaS15_S16_EUlS15_E_NS1_11comp_targetILNS1_3genE2ELNS1_11target_archE906ELNS1_3gpuE6ELNS1_3repE0EEENS1_30default_config_static_selectorELNS0_4arch9wavefront6targetE1EEEvT1_.numbered_sgpr, 0
	.set _ZN7rocprim17ROCPRIM_400000_NS6detail17trampoline_kernelINS0_14default_configENS1_25partition_config_selectorILNS1_17partition_subalgoE8ExNS0_10empty_typeEbEEZZNS1_14partition_implILS5_8ELb0ES3_jN6thrust23THRUST_200600_302600_NS6detail15normal_iteratorINSA_10device_ptrIxEEEEPS6_PKS6_NS0_5tupleIJSF_S6_EEENSJ_IJSG_SG_EEENS0_18inequality_wrapperI22is_equal_div_10_uniqueIxEEEPmJS6_EEE10hipError_tPvRmT3_T4_T5_T6_T7_T9_mT8_P12ihipStream_tbDpT10_ENKUlT_T0_E_clISt17integral_constantIbLb1EES19_IbLb0EEEEDaS15_S16_EUlS15_E_NS1_11comp_targetILNS1_3genE2ELNS1_11target_archE906ELNS1_3gpuE6ELNS1_3repE0EEENS1_30default_config_static_selectorELNS0_4arch9wavefront6targetE1EEEvT1_.num_named_barrier, 0
	.set _ZN7rocprim17ROCPRIM_400000_NS6detail17trampoline_kernelINS0_14default_configENS1_25partition_config_selectorILNS1_17partition_subalgoE8ExNS0_10empty_typeEbEEZZNS1_14partition_implILS5_8ELb0ES3_jN6thrust23THRUST_200600_302600_NS6detail15normal_iteratorINSA_10device_ptrIxEEEEPS6_PKS6_NS0_5tupleIJSF_S6_EEENSJ_IJSG_SG_EEENS0_18inequality_wrapperI22is_equal_div_10_uniqueIxEEEPmJS6_EEE10hipError_tPvRmT3_T4_T5_T6_T7_T9_mT8_P12ihipStream_tbDpT10_ENKUlT_T0_E_clISt17integral_constantIbLb1EES19_IbLb0EEEEDaS15_S16_EUlS15_E_NS1_11comp_targetILNS1_3genE2ELNS1_11target_archE906ELNS1_3gpuE6ELNS1_3repE0EEENS1_30default_config_static_selectorELNS0_4arch9wavefront6targetE1EEEvT1_.private_seg_size, 0
	.set _ZN7rocprim17ROCPRIM_400000_NS6detail17trampoline_kernelINS0_14default_configENS1_25partition_config_selectorILNS1_17partition_subalgoE8ExNS0_10empty_typeEbEEZZNS1_14partition_implILS5_8ELb0ES3_jN6thrust23THRUST_200600_302600_NS6detail15normal_iteratorINSA_10device_ptrIxEEEEPS6_PKS6_NS0_5tupleIJSF_S6_EEENSJ_IJSG_SG_EEENS0_18inequality_wrapperI22is_equal_div_10_uniqueIxEEEPmJS6_EEE10hipError_tPvRmT3_T4_T5_T6_T7_T9_mT8_P12ihipStream_tbDpT10_ENKUlT_T0_E_clISt17integral_constantIbLb1EES19_IbLb0EEEEDaS15_S16_EUlS15_E_NS1_11comp_targetILNS1_3genE2ELNS1_11target_archE906ELNS1_3gpuE6ELNS1_3repE0EEENS1_30default_config_static_selectorELNS0_4arch9wavefront6targetE1EEEvT1_.uses_vcc, 0
	.set _ZN7rocprim17ROCPRIM_400000_NS6detail17trampoline_kernelINS0_14default_configENS1_25partition_config_selectorILNS1_17partition_subalgoE8ExNS0_10empty_typeEbEEZZNS1_14partition_implILS5_8ELb0ES3_jN6thrust23THRUST_200600_302600_NS6detail15normal_iteratorINSA_10device_ptrIxEEEEPS6_PKS6_NS0_5tupleIJSF_S6_EEENSJ_IJSG_SG_EEENS0_18inequality_wrapperI22is_equal_div_10_uniqueIxEEEPmJS6_EEE10hipError_tPvRmT3_T4_T5_T6_T7_T9_mT8_P12ihipStream_tbDpT10_ENKUlT_T0_E_clISt17integral_constantIbLb1EES19_IbLb0EEEEDaS15_S16_EUlS15_E_NS1_11comp_targetILNS1_3genE2ELNS1_11target_archE906ELNS1_3gpuE6ELNS1_3repE0EEENS1_30default_config_static_selectorELNS0_4arch9wavefront6targetE1EEEvT1_.uses_flat_scratch, 0
	.set _ZN7rocprim17ROCPRIM_400000_NS6detail17trampoline_kernelINS0_14default_configENS1_25partition_config_selectorILNS1_17partition_subalgoE8ExNS0_10empty_typeEbEEZZNS1_14partition_implILS5_8ELb0ES3_jN6thrust23THRUST_200600_302600_NS6detail15normal_iteratorINSA_10device_ptrIxEEEEPS6_PKS6_NS0_5tupleIJSF_S6_EEENSJ_IJSG_SG_EEENS0_18inequality_wrapperI22is_equal_div_10_uniqueIxEEEPmJS6_EEE10hipError_tPvRmT3_T4_T5_T6_T7_T9_mT8_P12ihipStream_tbDpT10_ENKUlT_T0_E_clISt17integral_constantIbLb1EES19_IbLb0EEEEDaS15_S16_EUlS15_E_NS1_11comp_targetILNS1_3genE2ELNS1_11target_archE906ELNS1_3gpuE6ELNS1_3repE0EEENS1_30default_config_static_selectorELNS0_4arch9wavefront6targetE1EEEvT1_.has_dyn_sized_stack, 0
	.set _ZN7rocprim17ROCPRIM_400000_NS6detail17trampoline_kernelINS0_14default_configENS1_25partition_config_selectorILNS1_17partition_subalgoE8ExNS0_10empty_typeEbEEZZNS1_14partition_implILS5_8ELb0ES3_jN6thrust23THRUST_200600_302600_NS6detail15normal_iteratorINSA_10device_ptrIxEEEEPS6_PKS6_NS0_5tupleIJSF_S6_EEENSJ_IJSG_SG_EEENS0_18inequality_wrapperI22is_equal_div_10_uniqueIxEEEPmJS6_EEE10hipError_tPvRmT3_T4_T5_T6_T7_T9_mT8_P12ihipStream_tbDpT10_ENKUlT_T0_E_clISt17integral_constantIbLb1EES19_IbLb0EEEEDaS15_S16_EUlS15_E_NS1_11comp_targetILNS1_3genE2ELNS1_11target_archE906ELNS1_3gpuE6ELNS1_3repE0EEENS1_30default_config_static_selectorELNS0_4arch9wavefront6targetE1EEEvT1_.has_recursion, 0
	.set _ZN7rocprim17ROCPRIM_400000_NS6detail17trampoline_kernelINS0_14default_configENS1_25partition_config_selectorILNS1_17partition_subalgoE8ExNS0_10empty_typeEbEEZZNS1_14partition_implILS5_8ELb0ES3_jN6thrust23THRUST_200600_302600_NS6detail15normal_iteratorINSA_10device_ptrIxEEEEPS6_PKS6_NS0_5tupleIJSF_S6_EEENSJ_IJSG_SG_EEENS0_18inequality_wrapperI22is_equal_div_10_uniqueIxEEEPmJS6_EEE10hipError_tPvRmT3_T4_T5_T6_T7_T9_mT8_P12ihipStream_tbDpT10_ENKUlT_T0_E_clISt17integral_constantIbLb1EES19_IbLb0EEEEDaS15_S16_EUlS15_E_NS1_11comp_targetILNS1_3genE2ELNS1_11target_archE906ELNS1_3gpuE6ELNS1_3repE0EEENS1_30default_config_static_selectorELNS0_4arch9wavefront6targetE1EEEvT1_.has_indirect_call, 0
	.section	.AMDGPU.csdata,"",@progbits
; Kernel info:
; codeLenInByte = 4
; TotalNumSgprs: 4
; NumVgprs: 0
; ScratchSize: 0
; MemoryBound: 0
; FloatMode: 240
; IeeeMode: 1
; LDSByteSize: 0 bytes/workgroup (compile time only)
; SGPRBlocks: 0
; VGPRBlocks: 0
; NumSGPRsForWavesPerEU: 4
; NumVGPRsForWavesPerEU: 1
; Occupancy: 10
; WaveLimiterHint : 0
; COMPUTE_PGM_RSRC2:SCRATCH_EN: 0
; COMPUTE_PGM_RSRC2:USER_SGPR: 6
; COMPUTE_PGM_RSRC2:TRAP_HANDLER: 0
; COMPUTE_PGM_RSRC2:TGID_X_EN: 1
; COMPUTE_PGM_RSRC2:TGID_Y_EN: 0
; COMPUTE_PGM_RSRC2:TGID_Z_EN: 0
; COMPUTE_PGM_RSRC2:TIDIG_COMP_CNT: 0
	.section	.text._ZN7rocprim17ROCPRIM_400000_NS6detail17trampoline_kernelINS0_14default_configENS1_25partition_config_selectorILNS1_17partition_subalgoE8ExNS0_10empty_typeEbEEZZNS1_14partition_implILS5_8ELb0ES3_jN6thrust23THRUST_200600_302600_NS6detail15normal_iteratorINSA_10device_ptrIxEEEEPS6_PKS6_NS0_5tupleIJSF_S6_EEENSJ_IJSG_SG_EEENS0_18inequality_wrapperI22is_equal_div_10_uniqueIxEEEPmJS6_EEE10hipError_tPvRmT3_T4_T5_T6_T7_T9_mT8_P12ihipStream_tbDpT10_ENKUlT_T0_E_clISt17integral_constantIbLb1EES19_IbLb0EEEEDaS15_S16_EUlS15_E_NS1_11comp_targetILNS1_3genE10ELNS1_11target_archE1200ELNS1_3gpuE4ELNS1_3repE0EEENS1_30default_config_static_selectorELNS0_4arch9wavefront6targetE1EEEvT1_,"axG",@progbits,_ZN7rocprim17ROCPRIM_400000_NS6detail17trampoline_kernelINS0_14default_configENS1_25partition_config_selectorILNS1_17partition_subalgoE8ExNS0_10empty_typeEbEEZZNS1_14partition_implILS5_8ELb0ES3_jN6thrust23THRUST_200600_302600_NS6detail15normal_iteratorINSA_10device_ptrIxEEEEPS6_PKS6_NS0_5tupleIJSF_S6_EEENSJ_IJSG_SG_EEENS0_18inequality_wrapperI22is_equal_div_10_uniqueIxEEEPmJS6_EEE10hipError_tPvRmT3_T4_T5_T6_T7_T9_mT8_P12ihipStream_tbDpT10_ENKUlT_T0_E_clISt17integral_constantIbLb1EES19_IbLb0EEEEDaS15_S16_EUlS15_E_NS1_11comp_targetILNS1_3genE10ELNS1_11target_archE1200ELNS1_3gpuE4ELNS1_3repE0EEENS1_30default_config_static_selectorELNS0_4arch9wavefront6targetE1EEEvT1_,comdat
	.protected	_ZN7rocprim17ROCPRIM_400000_NS6detail17trampoline_kernelINS0_14default_configENS1_25partition_config_selectorILNS1_17partition_subalgoE8ExNS0_10empty_typeEbEEZZNS1_14partition_implILS5_8ELb0ES3_jN6thrust23THRUST_200600_302600_NS6detail15normal_iteratorINSA_10device_ptrIxEEEEPS6_PKS6_NS0_5tupleIJSF_S6_EEENSJ_IJSG_SG_EEENS0_18inequality_wrapperI22is_equal_div_10_uniqueIxEEEPmJS6_EEE10hipError_tPvRmT3_T4_T5_T6_T7_T9_mT8_P12ihipStream_tbDpT10_ENKUlT_T0_E_clISt17integral_constantIbLb1EES19_IbLb0EEEEDaS15_S16_EUlS15_E_NS1_11comp_targetILNS1_3genE10ELNS1_11target_archE1200ELNS1_3gpuE4ELNS1_3repE0EEENS1_30default_config_static_selectorELNS0_4arch9wavefront6targetE1EEEvT1_ ; -- Begin function _ZN7rocprim17ROCPRIM_400000_NS6detail17trampoline_kernelINS0_14default_configENS1_25partition_config_selectorILNS1_17partition_subalgoE8ExNS0_10empty_typeEbEEZZNS1_14partition_implILS5_8ELb0ES3_jN6thrust23THRUST_200600_302600_NS6detail15normal_iteratorINSA_10device_ptrIxEEEEPS6_PKS6_NS0_5tupleIJSF_S6_EEENSJ_IJSG_SG_EEENS0_18inequality_wrapperI22is_equal_div_10_uniqueIxEEEPmJS6_EEE10hipError_tPvRmT3_T4_T5_T6_T7_T9_mT8_P12ihipStream_tbDpT10_ENKUlT_T0_E_clISt17integral_constantIbLb1EES19_IbLb0EEEEDaS15_S16_EUlS15_E_NS1_11comp_targetILNS1_3genE10ELNS1_11target_archE1200ELNS1_3gpuE4ELNS1_3repE0EEENS1_30default_config_static_selectorELNS0_4arch9wavefront6targetE1EEEvT1_
	.globl	_ZN7rocprim17ROCPRIM_400000_NS6detail17trampoline_kernelINS0_14default_configENS1_25partition_config_selectorILNS1_17partition_subalgoE8ExNS0_10empty_typeEbEEZZNS1_14partition_implILS5_8ELb0ES3_jN6thrust23THRUST_200600_302600_NS6detail15normal_iteratorINSA_10device_ptrIxEEEEPS6_PKS6_NS0_5tupleIJSF_S6_EEENSJ_IJSG_SG_EEENS0_18inequality_wrapperI22is_equal_div_10_uniqueIxEEEPmJS6_EEE10hipError_tPvRmT3_T4_T5_T6_T7_T9_mT8_P12ihipStream_tbDpT10_ENKUlT_T0_E_clISt17integral_constantIbLb1EES19_IbLb0EEEEDaS15_S16_EUlS15_E_NS1_11comp_targetILNS1_3genE10ELNS1_11target_archE1200ELNS1_3gpuE4ELNS1_3repE0EEENS1_30default_config_static_selectorELNS0_4arch9wavefront6targetE1EEEvT1_
	.p2align	8
	.type	_ZN7rocprim17ROCPRIM_400000_NS6detail17trampoline_kernelINS0_14default_configENS1_25partition_config_selectorILNS1_17partition_subalgoE8ExNS0_10empty_typeEbEEZZNS1_14partition_implILS5_8ELb0ES3_jN6thrust23THRUST_200600_302600_NS6detail15normal_iteratorINSA_10device_ptrIxEEEEPS6_PKS6_NS0_5tupleIJSF_S6_EEENSJ_IJSG_SG_EEENS0_18inequality_wrapperI22is_equal_div_10_uniqueIxEEEPmJS6_EEE10hipError_tPvRmT3_T4_T5_T6_T7_T9_mT8_P12ihipStream_tbDpT10_ENKUlT_T0_E_clISt17integral_constantIbLb1EES19_IbLb0EEEEDaS15_S16_EUlS15_E_NS1_11comp_targetILNS1_3genE10ELNS1_11target_archE1200ELNS1_3gpuE4ELNS1_3repE0EEENS1_30default_config_static_selectorELNS0_4arch9wavefront6targetE1EEEvT1_,@function
_ZN7rocprim17ROCPRIM_400000_NS6detail17trampoline_kernelINS0_14default_configENS1_25partition_config_selectorILNS1_17partition_subalgoE8ExNS0_10empty_typeEbEEZZNS1_14partition_implILS5_8ELb0ES3_jN6thrust23THRUST_200600_302600_NS6detail15normal_iteratorINSA_10device_ptrIxEEEEPS6_PKS6_NS0_5tupleIJSF_S6_EEENSJ_IJSG_SG_EEENS0_18inequality_wrapperI22is_equal_div_10_uniqueIxEEEPmJS6_EEE10hipError_tPvRmT3_T4_T5_T6_T7_T9_mT8_P12ihipStream_tbDpT10_ENKUlT_T0_E_clISt17integral_constantIbLb1EES19_IbLb0EEEEDaS15_S16_EUlS15_E_NS1_11comp_targetILNS1_3genE10ELNS1_11target_archE1200ELNS1_3gpuE4ELNS1_3repE0EEENS1_30default_config_static_selectorELNS0_4arch9wavefront6targetE1EEEvT1_: ; @_ZN7rocprim17ROCPRIM_400000_NS6detail17trampoline_kernelINS0_14default_configENS1_25partition_config_selectorILNS1_17partition_subalgoE8ExNS0_10empty_typeEbEEZZNS1_14partition_implILS5_8ELb0ES3_jN6thrust23THRUST_200600_302600_NS6detail15normal_iteratorINSA_10device_ptrIxEEEEPS6_PKS6_NS0_5tupleIJSF_S6_EEENSJ_IJSG_SG_EEENS0_18inequality_wrapperI22is_equal_div_10_uniqueIxEEEPmJS6_EEE10hipError_tPvRmT3_T4_T5_T6_T7_T9_mT8_P12ihipStream_tbDpT10_ENKUlT_T0_E_clISt17integral_constantIbLb1EES19_IbLb0EEEEDaS15_S16_EUlS15_E_NS1_11comp_targetILNS1_3genE10ELNS1_11target_archE1200ELNS1_3gpuE4ELNS1_3repE0EEENS1_30default_config_static_selectorELNS0_4arch9wavefront6targetE1EEEvT1_
; %bb.0:
	.section	.rodata,"a",@progbits
	.p2align	6, 0x0
	.amdhsa_kernel _ZN7rocprim17ROCPRIM_400000_NS6detail17trampoline_kernelINS0_14default_configENS1_25partition_config_selectorILNS1_17partition_subalgoE8ExNS0_10empty_typeEbEEZZNS1_14partition_implILS5_8ELb0ES3_jN6thrust23THRUST_200600_302600_NS6detail15normal_iteratorINSA_10device_ptrIxEEEEPS6_PKS6_NS0_5tupleIJSF_S6_EEENSJ_IJSG_SG_EEENS0_18inequality_wrapperI22is_equal_div_10_uniqueIxEEEPmJS6_EEE10hipError_tPvRmT3_T4_T5_T6_T7_T9_mT8_P12ihipStream_tbDpT10_ENKUlT_T0_E_clISt17integral_constantIbLb1EES19_IbLb0EEEEDaS15_S16_EUlS15_E_NS1_11comp_targetILNS1_3genE10ELNS1_11target_archE1200ELNS1_3gpuE4ELNS1_3repE0EEENS1_30default_config_static_selectorELNS0_4arch9wavefront6targetE1EEEvT1_
		.amdhsa_group_segment_fixed_size 0
		.amdhsa_private_segment_fixed_size 0
		.amdhsa_kernarg_size 112
		.amdhsa_user_sgpr_count 6
		.amdhsa_user_sgpr_private_segment_buffer 1
		.amdhsa_user_sgpr_dispatch_ptr 0
		.amdhsa_user_sgpr_queue_ptr 0
		.amdhsa_user_sgpr_kernarg_segment_ptr 1
		.amdhsa_user_sgpr_dispatch_id 0
		.amdhsa_user_sgpr_flat_scratch_init 0
		.amdhsa_user_sgpr_private_segment_size 0
		.amdhsa_uses_dynamic_stack 0
		.amdhsa_system_sgpr_private_segment_wavefront_offset 0
		.amdhsa_system_sgpr_workgroup_id_x 1
		.amdhsa_system_sgpr_workgroup_id_y 0
		.amdhsa_system_sgpr_workgroup_id_z 0
		.amdhsa_system_sgpr_workgroup_info 0
		.amdhsa_system_vgpr_workitem_id 0
		.amdhsa_next_free_vgpr 1
		.amdhsa_next_free_sgpr 0
		.amdhsa_reserve_vcc 0
		.amdhsa_reserve_flat_scratch 0
		.amdhsa_float_round_mode_32 0
		.amdhsa_float_round_mode_16_64 0
		.amdhsa_float_denorm_mode_32 3
		.amdhsa_float_denorm_mode_16_64 3
		.amdhsa_dx10_clamp 1
		.amdhsa_ieee_mode 1
		.amdhsa_fp16_overflow 0
		.amdhsa_exception_fp_ieee_invalid_op 0
		.amdhsa_exception_fp_denorm_src 0
		.amdhsa_exception_fp_ieee_div_zero 0
		.amdhsa_exception_fp_ieee_overflow 0
		.amdhsa_exception_fp_ieee_underflow 0
		.amdhsa_exception_fp_ieee_inexact 0
		.amdhsa_exception_int_div_zero 0
	.end_amdhsa_kernel
	.section	.text._ZN7rocprim17ROCPRIM_400000_NS6detail17trampoline_kernelINS0_14default_configENS1_25partition_config_selectorILNS1_17partition_subalgoE8ExNS0_10empty_typeEbEEZZNS1_14partition_implILS5_8ELb0ES3_jN6thrust23THRUST_200600_302600_NS6detail15normal_iteratorINSA_10device_ptrIxEEEEPS6_PKS6_NS0_5tupleIJSF_S6_EEENSJ_IJSG_SG_EEENS0_18inequality_wrapperI22is_equal_div_10_uniqueIxEEEPmJS6_EEE10hipError_tPvRmT3_T4_T5_T6_T7_T9_mT8_P12ihipStream_tbDpT10_ENKUlT_T0_E_clISt17integral_constantIbLb1EES19_IbLb0EEEEDaS15_S16_EUlS15_E_NS1_11comp_targetILNS1_3genE10ELNS1_11target_archE1200ELNS1_3gpuE4ELNS1_3repE0EEENS1_30default_config_static_selectorELNS0_4arch9wavefront6targetE1EEEvT1_,"axG",@progbits,_ZN7rocprim17ROCPRIM_400000_NS6detail17trampoline_kernelINS0_14default_configENS1_25partition_config_selectorILNS1_17partition_subalgoE8ExNS0_10empty_typeEbEEZZNS1_14partition_implILS5_8ELb0ES3_jN6thrust23THRUST_200600_302600_NS6detail15normal_iteratorINSA_10device_ptrIxEEEEPS6_PKS6_NS0_5tupleIJSF_S6_EEENSJ_IJSG_SG_EEENS0_18inequality_wrapperI22is_equal_div_10_uniqueIxEEEPmJS6_EEE10hipError_tPvRmT3_T4_T5_T6_T7_T9_mT8_P12ihipStream_tbDpT10_ENKUlT_T0_E_clISt17integral_constantIbLb1EES19_IbLb0EEEEDaS15_S16_EUlS15_E_NS1_11comp_targetILNS1_3genE10ELNS1_11target_archE1200ELNS1_3gpuE4ELNS1_3repE0EEENS1_30default_config_static_selectorELNS0_4arch9wavefront6targetE1EEEvT1_,comdat
.Lfunc_end393:
	.size	_ZN7rocprim17ROCPRIM_400000_NS6detail17trampoline_kernelINS0_14default_configENS1_25partition_config_selectorILNS1_17partition_subalgoE8ExNS0_10empty_typeEbEEZZNS1_14partition_implILS5_8ELb0ES3_jN6thrust23THRUST_200600_302600_NS6detail15normal_iteratorINSA_10device_ptrIxEEEEPS6_PKS6_NS0_5tupleIJSF_S6_EEENSJ_IJSG_SG_EEENS0_18inequality_wrapperI22is_equal_div_10_uniqueIxEEEPmJS6_EEE10hipError_tPvRmT3_T4_T5_T6_T7_T9_mT8_P12ihipStream_tbDpT10_ENKUlT_T0_E_clISt17integral_constantIbLb1EES19_IbLb0EEEEDaS15_S16_EUlS15_E_NS1_11comp_targetILNS1_3genE10ELNS1_11target_archE1200ELNS1_3gpuE4ELNS1_3repE0EEENS1_30default_config_static_selectorELNS0_4arch9wavefront6targetE1EEEvT1_, .Lfunc_end393-_ZN7rocprim17ROCPRIM_400000_NS6detail17trampoline_kernelINS0_14default_configENS1_25partition_config_selectorILNS1_17partition_subalgoE8ExNS0_10empty_typeEbEEZZNS1_14partition_implILS5_8ELb0ES3_jN6thrust23THRUST_200600_302600_NS6detail15normal_iteratorINSA_10device_ptrIxEEEEPS6_PKS6_NS0_5tupleIJSF_S6_EEENSJ_IJSG_SG_EEENS0_18inequality_wrapperI22is_equal_div_10_uniqueIxEEEPmJS6_EEE10hipError_tPvRmT3_T4_T5_T6_T7_T9_mT8_P12ihipStream_tbDpT10_ENKUlT_T0_E_clISt17integral_constantIbLb1EES19_IbLb0EEEEDaS15_S16_EUlS15_E_NS1_11comp_targetILNS1_3genE10ELNS1_11target_archE1200ELNS1_3gpuE4ELNS1_3repE0EEENS1_30default_config_static_selectorELNS0_4arch9wavefront6targetE1EEEvT1_
                                        ; -- End function
	.set _ZN7rocprim17ROCPRIM_400000_NS6detail17trampoline_kernelINS0_14default_configENS1_25partition_config_selectorILNS1_17partition_subalgoE8ExNS0_10empty_typeEbEEZZNS1_14partition_implILS5_8ELb0ES3_jN6thrust23THRUST_200600_302600_NS6detail15normal_iteratorINSA_10device_ptrIxEEEEPS6_PKS6_NS0_5tupleIJSF_S6_EEENSJ_IJSG_SG_EEENS0_18inequality_wrapperI22is_equal_div_10_uniqueIxEEEPmJS6_EEE10hipError_tPvRmT3_T4_T5_T6_T7_T9_mT8_P12ihipStream_tbDpT10_ENKUlT_T0_E_clISt17integral_constantIbLb1EES19_IbLb0EEEEDaS15_S16_EUlS15_E_NS1_11comp_targetILNS1_3genE10ELNS1_11target_archE1200ELNS1_3gpuE4ELNS1_3repE0EEENS1_30default_config_static_selectorELNS0_4arch9wavefront6targetE1EEEvT1_.num_vgpr, 0
	.set _ZN7rocprim17ROCPRIM_400000_NS6detail17trampoline_kernelINS0_14default_configENS1_25partition_config_selectorILNS1_17partition_subalgoE8ExNS0_10empty_typeEbEEZZNS1_14partition_implILS5_8ELb0ES3_jN6thrust23THRUST_200600_302600_NS6detail15normal_iteratorINSA_10device_ptrIxEEEEPS6_PKS6_NS0_5tupleIJSF_S6_EEENSJ_IJSG_SG_EEENS0_18inequality_wrapperI22is_equal_div_10_uniqueIxEEEPmJS6_EEE10hipError_tPvRmT3_T4_T5_T6_T7_T9_mT8_P12ihipStream_tbDpT10_ENKUlT_T0_E_clISt17integral_constantIbLb1EES19_IbLb0EEEEDaS15_S16_EUlS15_E_NS1_11comp_targetILNS1_3genE10ELNS1_11target_archE1200ELNS1_3gpuE4ELNS1_3repE0EEENS1_30default_config_static_selectorELNS0_4arch9wavefront6targetE1EEEvT1_.num_agpr, 0
	.set _ZN7rocprim17ROCPRIM_400000_NS6detail17trampoline_kernelINS0_14default_configENS1_25partition_config_selectorILNS1_17partition_subalgoE8ExNS0_10empty_typeEbEEZZNS1_14partition_implILS5_8ELb0ES3_jN6thrust23THRUST_200600_302600_NS6detail15normal_iteratorINSA_10device_ptrIxEEEEPS6_PKS6_NS0_5tupleIJSF_S6_EEENSJ_IJSG_SG_EEENS0_18inequality_wrapperI22is_equal_div_10_uniqueIxEEEPmJS6_EEE10hipError_tPvRmT3_T4_T5_T6_T7_T9_mT8_P12ihipStream_tbDpT10_ENKUlT_T0_E_clISt17integral_constantIbLb1EES19_IbLb0EEEEDaS15_S16_EUlS15_E_NS1_11comp_targetILNS1_3genE10ELNS1_11target_archE1200ELNS1_3gpuE4ELNS1_3repE0EEENS1_30default_config_static_selectorELNS0_4arch9wavefront6targetE1EEEvT1_.numbered_sgpr, 0
	.set _ZN7rocprim17ROCPRIM_400000_NS6detail17trampoline_kernelINS0_14default_configENS1_25partition_config_selectorILNS1_17partition_subalgoE8ExNS0_10empty_typeEbEEZZNS1_14partition_implILS5_8ELb0ES3_jN6thrust23THRUST_200600_302600_NS6detail15normal_iteratorINSA_10device_ptrIxEEEEPS6_PKS6_NS0_5tupleIJSF_S6_EEENSJ_IJSG_SG_EEENS0_18inequality_wrapperI22is_equal_div_10_uniqueIxEEEPmJS6_EEE10hipError_tPvRmT3_T4_T5_T6_T7_T9_mT8_P12ihipStream_tbDpT10_ENKUlT_T0_E_clISt17integral_constantIbLb1EES19_IbLb0EEEEDaS15_S16_EUlS15_E_NS1_11comp_targetILNS1_3genE10ELNS1_11target_archE1200ELNS1_3gpuE4ELNS1_3repE0EEENS1_30default_config_static_selectorELNS0_4arch9wavefront6targetE1EEEvT1_.num_named_barrier, 0
	.set _ZN7rocprim17ROCPRIM_400000_NS6detail17trampoline_kernelINS0_14default_configENS1_25partition_config_selectorILNS1_17partition_subalgoE8ExNS0_10empty_typeEbEEZZNS1_14partition_implILS5_8ELb0ES3_jN6thrust23THRUST_200600_302600_NS6detail15normal_iteratorINSA_10device_ptrIxEEEEPS6_PKS6_NS0_5tupleIJSF_S6_EEENSJ_IJSG_SG_EEENS0_18inequality_wrapperI22is_equal_div_10_uniqueIxEEEPmJS6_EEE10hipError_tPvRmT3_T4_T5_T6_T7_T9_mT8_P12ihipStream_tbDpT10_ENKUlT_T0_E_clISt17integral_constantIbLb1EES19_IbLb0EEEEDaS15_S16_EUlS15_E_NS1_11comp_targetILNS1_3genE10ELNS1_11target_archE1200ELNS1_3gpuE4ELNS1_3repE0EEENS1_30default_config_static_selectorELNS0_4arch9wavefront6targetE1EEEvT1_.private_seg_size, 0
	.set _ZN7rocprim17ROCPRIM_400000_NS6detail17trampoline_kernelINS0_14default_configENS1_25partition_config_selectorILNS1_17partition_subalgoE8ExNS0_10empty_typeEbEEZZNS1_14partition_implILS5_8ELb0ES3_jN6thrust23THRUST_200600_302600_NS6detail15normal_iteratorINSA_10device_ptrIxEEEEPS6_PKS6_NS0_5tupleIJSF_S6_EEENSJ_IJSG_SG_EEENS0_18inequality_wrapperI22is_equal_div_10_uniqueIxEEEPmJS6_EEE10hipError_tPvRmT3_T4_T5_T6_T7_T9_mT8_P12ihipStream_tbDpT10_ENKUlT_T0_E_clISt17integral_constantIbLb1EES19_IbLb0EEEEDaS15_S16_EUlS15_E_NS1_11comp_targetILNS1_3genE10ELNS1_11target_archE1200ELNS1_3gpuE4ELNS1_3repE0EEENS1_30default_config_static_selectorELNS0_4arch9wavefront6targetE1EEEvT1_.uses_vcc, 0
	.set _ZN7rocprim17ROCPRIM_400000_NS6detail17trampoline_kernelINS0_14default_configENS1_25partition_config_selectorILNS1_17partition_subalgoE8ExNS0_10empty_typeEbEEZZNS1_14partition_implILS5_8ELb0ES3_jN6thrust23THRUST_200600_302600_NS6detail15normal_iteratorINSA_10device_ptrIxEEEEPS6_PKS6_NS0_5tupleIJSF_S6_EEENSJ_IJSG_SG_EEENS0_18inequality_wrapperI22is_equal_div_10_uniqueIxEEEPmJS6_EEE10hipError_tPvRmT3_T4_T5_T6_T7_T9_mT8_P12ihipStream_tbDpT10_ENKUlT_T0_E_clISt17integral_constantIbLb1EES19_IbLb0EEEEDaS15_S16_EUlS15_E_NS1_11comp_targetILNS1_3genE10ELNS1_11target_archE1200ELNS1_3gpuE4ELNS1_3repE0EEENS1_30default_config_static_selectorELNS0_4arch9wavefront6targetE1EEEvT1_.uses_flat_scratch, 0
	.set _ZN7rocprim17ROCPRIM_400000_NS6detail17trampoline_kernelINS0_14default_configENS1_25partition_config_selectorILNS1_17partition_subalgoE8ExNS0_10empty_typeEbEEZZNS1_14partition_implILS5_8ELb0ES3_jN6thrust23THRUST_200600_302600_NS6detail15normal_iteratorINSA_10device_ptrIxEEEEPS6_PKS6_NS0_5tupleIJSF_S6_EEENSJ_IJSG_SG_EEENS0_18inequality_wrapperI22is_equal_div_10_uniqueIxEEEPmJS6_EEE10hipError_tPvRmT3_T4_T5_T6_T7_T9_mT8_P12ihipStream_tbDpT10_ENKUlT_T0_E_clISt17integral_constantIbLb1EES19_IbLb0EEEEDaS15_S16_EUlS15_E_NS1_11comp_targetILNS1_3genE10ELNS1_11target_archE1200ELNS1_3gpuE4ELNS1_3repE0EEENS1_30default_config_static_selectorELNS0_4arch9wavefront6targetE1EEEvT1_.has_dyn_sized_stack, 0
	.set _ZN7rocprim17ROCPRIM_400000_NS6detail17trampoline_kernelINS0_14default_configENS1_25partition_config_selectorILNS1_17partition_subalgoE8ExNS0_10empty_typeEbEEZZNS1_14partition_implILS5_8ELb0ES3_jN6thrust23THRUST_200600_302600_NS6detail15normal_iteratorINSA_10device_ptrIxEEEEPS6_PKS6_NS0_5tupleIJSF_S6_EEENSJ_IJSG_SG_EEENS0_18inequality_wrapperI22is_equal_div_10_uniqueIxEEEPmJS6_EEE10hipError_tPvRmT3_T4_T5_T6_T7_T9_mT8_P12ihipStream_tbDpT10_ENKUlT_T0_E_clISt17integral_constantIbLb1EES19_IbLb0EEEEDaS15_S16_EUlS15_E_NS1_11comp_targetILNS1_3genE10ELNS1_11target_archE1200ELNS1_3gpuE4ELNS1_3repE0EEENS1_30default_config_static_selectorELNS0_4arch9wavefront6targetE1EEEvT1_.has_recursion, 0
	.set _ZN7rocprim17ROCPRIM_400000_NS6detail17trampoline_kernelINS0_14default_configENS1_25partition_config_selectorILNS1_17partition_subalgoE8ExNS0_10empty_typeEbEEZZNS1_14partition_implILS5_8ELb0ES3_jN6thrust23THRUST_200600_302600_NS6detail15normal_iteratorINSA_10device_ptrIxEEEEPS6_PKS6_NS0_5tupleIJSF_S6_EEENSJ_IJSG_SG_EEENS0_18inequality_wrapperI22is_equal_div_10_uniqueIxEEEPmJS6_EEE10hipError_tPvRmT3_T4_T5_T6_T7_T9_mT8_P12ihipStream_tbDpT10_ENKUlT_T0_E_clISt17integral_constantIbLb1EES19_IbLb0EEEEDaS15_S16_EUlS15_E_NS1_11comp_targetILNS1_3genE10ELNS1_11target_archE1200ELNS1_3gpuE4ELNS1_3repE0EEENS1_30default_config_static_selectorELNS0_4arch9wavefront6targetE1EEEvT1_.has_indirect_call, 0
	.section	.AMDGPU.csdata,"",@progbits
; Kernel info:
; codeLenInByte = 0
; TotalNumSgprs: 4
; NumVgprs: 0
; ScratchSize: 0
; MemoryBound: 0
; FloatMode: 240
; IeeeMode: 1
; LDSByteSize: 0 bytes/workgroup (compile time only)
; SGPRBlocks: 0
; VGPRBlocks: 0
; NumSGPRsForWavesPerEU: 4
; NumVGPRsForWavesPerEU: 1
; Occupancy: 10
; WaveLimiterHint : 0
; COMPUTE_PGM_RSRC2:SCRATCH_EN: 0
; COMPUTE_PGM_RSRC2:USER_SGPR: 6
; COMPUTE_PGM_RSRC2:TRAP_HANDLER: 0
; COMPUTE_PGM_RSRC2:TGID_X_EN: 1
; COMPUTE_PGM_RSRC2:TGID_Y_EN: 0
; COMPUTE_PGM_RSRC2:TGID_Z_EN: 0
; COMPUTE_PGM_RSRC2:TIDIG_COMP_CNT: 0
	.section	.text._ZN7rocprim17ROCPRIM_400000_NS6detail17trampoline_kernelINS0_14default_configENS1_25partition_config_selectorILNS1_17partition_subalgoE8ExNS0_10empty_typeEbEEZZNS1_14partition_implILS5_8ELb0ES3_jN6thrust23THRUST_200600_302600_NS6detail15normal_iteratorINSA_10device_ptrIxEEEEPS6_PKS6_NS0_5tupleIJSF_S6_EEENSJ_IJSG_SG_EEENS0_18inequality_wrapperI22is_equal_div_10_uniqueIxEEEPmJS6_EEE10hipError_tPvRmT3_T4_T5_T6_T7_T9_mT8_P12ihipStream_tbDpT10_ENKUlT_T0_E_clISt17integral_constantIbLb1EES19_IbLb0EEEEDaS15_S16_EUlS15_E_NS1_11comp_targetILNS1_3genE9ELNS1_11target_archE1100ELNS1_3gpuE3ELNS1_3repE0EEENS1_30default_config_static_selectorELNS0_4arch9wavefront6targetE1EEEvT1_,"axG",@progbits,_ZN7rocprim17ROCPRIM_400000_NS6detail17trampoline_kernelINS0_14default_configENS1_25partition_config_selectorILNS1_17partition_subalgoE8ExNS0_10empty_typeEbEEZZNS1_14partition_implILS5_8ELb0ES3_jN6thrust23THRUST_200600_302600_NS6detail15normal_iteratorINSA_10device_ptrIxEEEEPS6_PKS6_NS0_5tupleIJSF_S6_EEENSJ_IJSG_SG_EEENS0_18inequality_wrapperI22is_equal_div_10_uniqueIxEEEPmJS6_EEE10hipError_tPvRmT3_T4_T5_T6_T7_T9_mT8_P12ihipStream_tbDpT10_ENKUlT_T0_E_clISt17integral_constantIbLb1EES19_IbLb0EEEEDaS15_S16_EUlS15_E_NS1_11comp_targetILNS1_3genE9ELNS1_11target_archE1100ELNS1_3gpuE3ELNS1_3repE0EEENS1_30default_config_static_selectorELNS0_4arch9wavefront6targetE1EEEvT1_,comdat
	.protected	_ZN7rocprim17ROCPRIM_400000_NS6detail17trampoline_kernelINS0_14default_configENS1_25partition_config_selectorILNS1_17partition_subalgoE8ExNS0_10empty_typeEbEEZZNS1_14partition_implILS5_8ELb0ES3_jN6thrust23THRUST_200600_302600_NS6detail15normal_iteratorINSA_10device_ptrIxEEEEPS6_PKS6_NS0_5tupleIJSF_S6_EEENSJ_IJSG_SG_EEENS0_18inequality_wrapperI22is_equal_div_10_uniqueIxEEEPmJS6_EEE10hipError_tPvRmT3_T4_T5_T6_T7_T9_mT8_P12ihipStream_tbDpT10_ENKUlT_T0_E_clISt17integral_constantIbLb1EES19_IbLb0EEEEDaS15_S16_EUlS15_E_NS1_11comp_targetILNS1_3genE9ELNS1_11target_archE1100ELNS1_3gpuE3ELNS1_3repE0EEENS1_30default_config_static_selectorELNS0_4arch9wavefront6targetE1EEEvT1_ ; -- Begin function _ZN7rocprim17ROCPRIM_400000_NS6detail17trampoline_kernelINS0_14default_configENS1_25partition_config_selectorILNS1_17partition_subalgoE8ExNS0_10empty_typeEbEEZZNS1_14partition_implILS5_8ELb0ES3_jN6thrust23THRUST_200600_302600_NS6detail15normal_iteratorINSA_10device_ptrIxEEEEPS6_PKS6_NS0_5tupleIJSF_S6_EEENSJ_IJSG_SG_EEENS0_18inequality_wrapperI22is_equal_div_10_uniqueIxEEEPmJS6_EEE10hipError_tPvRmT3_T4_T5_T6_T7_T9_mT8_P12ihipStream_tbDpT10_ENKUlT_T0_E_clISt17integral_constantIbLb1EES19_IbLb0EEEEDaS15_S16_EUlS15_E_NS1_11comp_targetILNS1_3genE9ELNS1_11target_archE1100ELNS1_3gpuE3ELNS1_3repE0EEENS1_30default_config_static_selectorELNS0_4arch9wavefront6targetE1EEEvT1_
	.globl	_ZN7rocprim17ROCPRIM_400000_NS6detail17trampoline_kernelINS0_14default_configENS1_25partition_config_selectorILNS1_17partition_subalgoE8ExNS0_10empty_typeEbEEZZNS1_14partition_implILS5_8ELb0ES3_jN6thrust23THRUST_200600_302600_NS6detail15normal_iteratorINSA_10device_ptrIxEEEEPS6_PKS6_NS0_5tupleIJSF_S6_EEENSJ_IJSG_SG_EEENS0_18inequality_wrapperI22is_equal_div_10_uniqueIxEEEPmJS6_EEE10hipError_tPvRmT3_T4_T5_T6_T7_T9_mT8_P12ihipStream_tbDpT10_ENKUlT_T0_E_clISt17integral_constantIbLb1EES19_IbLb0EEEEDaS15_S16_EUlS15_E_NS1_11comp_targetILNS1_3genE9ELNS1_11target_archE1100ELNS1_3gpuE3ELNS1_3repE0EEENS1_30default_config_static_selectorELNS0_4arch9wavefront6targetE1EEEvT1_
	.p2align	8
	.type	_ZN7rocprim17ROCPRIM_400000_NS6detail17trampoline_kernelINS0_14default_configENS1_25partition_config_selectorILNS1_17partition_subalgoE8ExNS0_10empty_typeEbEEZZNS1_14partition_implILS5_8ELb0ES3_jN6thrust23THRUST_200600_302600_NS6detail15normal_iteratorINSA_10device_ptrIxEEEEPS6_PKS6_NS0_5tupleIJSF_S6_EEENSJ_IJSG_SG_EEENS0_18inequality_wrapperI22is_equal_div_10_uniqueIxEEEPmJS6_EEE10hipError_tPvRmT3_T4_T5_T6_T7_T9_mT8_P12ihipStream_tbDpT10_ENKUlT_T0_E_clISt17integral_constantIbLb1EES19_IbLb0EEEEDaS15_S16_EUlS15_E_NS1_11comp_targetILNS1_3genE9ELNS1_11target_archE1100ELNS1_3gpuE3ELNS1_3repE0EEENS1_30default_config_static_selectorELNS0_4arch9wavefront6targetE1EEEvT1_,@function
_ZN7rocprim17ROCPRIM_400000_NS6detail17trampoline_kernelINS0_14default_configENS1_25partition_config_selectorILNS1_17partition_subalgoE8ExNS0_10empty_typeEbEEZZNS1_14partition_implILS5_8ELb0ES3_jN6thrust23THRUST_200600_302600_NS6detail15normal_iteratorINSA_10device_ptrIxEEEEPS6_PKS6_NS0_5tupleIJSF_S6_EEENSJ_IJSG_SG_EEENS0_18inequality_wrapperI22is_equal_div_10_uniqueIxEEEPmJS6_EEE10hipError_tPvRmT3_T4_T5_T6_T7_T9_mT8_P12ihipStream_tbDpT10_ENKUlT_T0_E_clISt17integral_constantIbLb1EES19_IbLb0EEEEDaS15_S16_EUlS15_E_NS1_11comp_targetILNS1_3genE9ELNS1_11target_archE1100ELNS1_3gpuE3ELNS1_3repE0EEENS1_30default_config_static_selectorELNS0_4arch9wavefront6targetE1EEEvT1_: ; @_ZN7rocprim17ROCPRIM_400000_NS6detail17trampoline_kernelINS0_14default_configENS1_25partition_config_selectorILNS1_17partition_subalgoE8ExNS0_10empty_typeEbEEZZNS1_14partition_implILS5_8ELb0ES3_jN6thrust23THRUST_200600_302600_NS6detail15normal_iteratorINSA_10device_ptrIxEEEEPS6_PKS6_NS0_5tupleIJSF_S6_EEENSJ_IJSG_SG_EEENS0_18inequality_wrapperI22is_equal_div_10_uniqueIxEEEPmJS6_EEE10hipError_tPvRmT3_T4_T5_T6_T7_T9_mT8_P12ihipStream_tbDpT10_ENKUlT_T0_E_clISt17integral_constantIbLb1EES19_IbLb0EEEEDaS15_S16_EUlS15_E_NS1_11comp_targetILNS1_3genE9ELNS1_11target_archE1100ELNS1_3gpuE3ELNS1_3repE0EEENS1_30default_config_static_selectorELNS0_4arch9wavefront6targetE1EEEvT1_
; %bb.0:
	.section	.rodata,"a",@progbits
	.p2align	6, 0x0
	.amdhsa_kernel _ZN7rocprim17ROCPRIM_400000_NS6detail17trampoline_kernelINS0_14default_configENS1_25partition_config_selectorILNS1_17partition_subalgoE8ExNS0_10empty_typeEbEEZZNS1_14partition_implILS5_8ELb0ES3_jN6thrust23THRUST_200600_302600_NS6detail15normal_iteratorINSA_10device_ptrIxEEEEPS6_PKS6_NS0_5tupleIJSF_S6_EEENSJ_IJSG_SG_EEENS0_18inequality_wrapperI22is_equal_div_10_uniqueIxEEEPmJS6_EEE10hipError_tPvRmT3_T4_T5_T6_T7_T9_mT8_P12ihipStream_tbDpT10_ENKUlT_T0_E_clISt17integral_constantIbLb1EES19_IbLb0EEEEDaS15_S16_EUlS15_E_NS1_11comp_targetILNS1_3genE9ELNS1_11target_archE1100ELNS1_3gpuE3ELNS1_3repE0EEENS1_30default_config_static_selectorELNS0_4arch9wavefront6targetE1EEEvT1_
		.amdhsa_group_segment_fixed_size 0
		.amdhsa_private_segment_fixed_size 0
		.amdhsa_kernarg_size 112
		.amdhsa_user_sgpr_count 6
		.amdhsa_user_sgpr_private_segment_buffer 1
		.amdhsa_user_sgpr_dispatch_ptr 0
		.amdhsa_user_sgpr_queue_ptr 0
		.amdhsa_user_sgpr_kernarg_segment_ptr 1
		.amdhsa_user_sgpr_dispatch_id 0
		.amdhsa_user_sgpr_flat_scratch_init 0
		.amdhsa_user_sgpr_private_segment_size 0
		.amdhsa_uses_dynamic_stack 0
		.amdhsa_system_sgpr_private_segment_wavefront_offset 0
		.amdhsa_system_sgpr_workgroup_id_x 1
		.amdhsa_system_sgpr_workgroup_id_y 0
		.amdhsa_system_sgpr_workgroup_id_z 0
		.amdhsa_system_sgpr_workgroup_info 0
		.amdhsa_system_vgpr_workitem_id 0
		.amdhsa_next_free_vgpr 1
		.amdhsa_next_free_sgpr 0
		.amdhsa_reserve_vcc 0
		.amdhsa_reserve_flat_scratch 0
		.amdhsa_float_round_mode_32 0
		.amdhsa_float_round_mode_16_64 0
		.amdhsa_float_denorm_mode_32 3
		.amdhsa_float_denorm_mode_16_64 3
		.amdhsa_dx10_clamp 1
		.amdhsa_ieee_mode 1
		.amdhsa_fp16_overflow 0
		.amdhsa_exception_fp_ieee_invalid_op 0
		.amdhsa_exception_fp_denorm_src 0
		.amdhsa_exception_fp_ieee_div_zero 0
		.amdhsa_exception_fp_ieee_overflow 0
		.amdhsa_exception_fp_ieee_underflow 0
		.amdhsa_exception_fp_ieee_inexact 0
		.amdhsa_exception_int_div_zero 0
	.end_amdhsa_kernel
	.section	.text._ZN7rocprim17ROCPRIM_400000_NS6detail17trampoline_kernelINS0_14default_configENS1_25partition_config_selectorILNS1_17partition_subalgoE8ExNS0_10empty_typeEbEEZZNS1_14partition_implILS5_8ELb0ES3_jN6thrust23THRUST_200600_302600_NS6detail15normal_iteratorINSA_10device_ptrIxEEEEPS6_PKS6_NS0_5tupleIJSF_S6_EEENSJ_IJSG_SG_EEENS0_18inequality_wrapperI22is_equal_div_10_uniqueIxEEEPmJS6_EEE10hipError_tPvRmT3_T4_T5_T6_T7_T9_mT8_P12ihipStream_tbDpT10_ENKUlT_T0_E_clISt17integral_constantIbLb1EES19_IbLb0EEEEDaS15_S16_EUlS15_E_NS1_11comp_targetILNS1_3genE9ELNS1_11target_archE1100ELNS1_3gpuE3ELNS1_3repE0EEENS1_30default_config_static_selectorELNS0_4arch9wavefront6targetE1EEEvT1_,"axG",@progbits,_ZN7rocprim17ROCPRIM_400000_NS6detail17trampoline_kernelINS0_14default_configENS1_25partition_config_selectorILNS1_17partition_subalgoE8ExNS0_10empty_typeEbEEZZNS1_14partition_implILS5_8ELb0ES3_jN6thrust23THRUST_200600_302600_NS6detail15normal_iteratorINSA_10device_ptrIxEEEEPS6_PKS6_NS0_5tupleIJSF_S6_EEENSJ_IJSG_SG_EEENS0_18inequality_wrapperI22is_equal_div_10_uniqueIxEEEPmJS6_EEE10hipError_tPvRmT3_T4_T5_T6_T7_T9_mT8_P12ihipStream_tbDpT10_ENKUlT_T0_E_clISt17integral_constantIbLb1EES19_IbLb0EEEEDaS15_S16_EUlS15_E_NS1_11comp_targetILNS1_3genE9ELNS1_11target_archE1100ELNS1_3gpuE3ELNS1_3repE0EEENS1_30default_config_static_selectorELNS0_4arch9wavefront6targetE1EEEvT1_,comdat
.Lfunc_end394:
	.size	_ZN7rocprim17ROCPRIM_400000_NS6detail17trampoline_kernelINS0_14default_configENS1_25partition_config_selectorILNS1_17partition_subalgoE8ExNS0_10empty_typeEbEEZZNS1_14partition_implILS5_8ELb0ES3_jN6thrust23THRUST_200600_302600_NS6detail15normal_iteratorINSA_10device_ptrIxEEEEPS6_PKS6_NS0_5tupleIJSF_S6_EEENSJ_IJSG_SG_EEENS0_18inequality_wrapperI22is_equal_div_10_uniqueIxEEEPmJS6_EEE10hipError_tPvRmT3_T4_T5_T6_T7_T9_mT8_P12ihipStream_tbDpT10_ENKUlT_T0_E_clISt17integral_constantIbLb1EES19_IbLb0EEEEDaS15_S16_EUlS15_E_NS1_11comp_targetILNS1_3genE9ELNS1_11target_archE1100ELNS1_3gpuE3ELNS1_3repE0EEENS1_30default_config_static_selectorELNS0_4arch9wavefront6targetE1EEEvT1_, .Lfunc_end394-_ZN7rocprim17ROCPRIM_400000_NS6detail17trampoline_kernelINS0_14default_configENS1_25partition_config_selectorILNS1_17partition_subalgoE8ExNS0_10empty_typeEbEEZZNS1_14partition_implILS5_8ELb0ES3_jN6thrust23THRUST_200600_302600_NS6detail15normal_iteratorINSA_10device_ptrIxEEEEPS6_PKS6_NS0_5tupleIJSF_S6_EEENSJ_IJSG_SG_EEENS0_18inequality_wrapperI22is_equal_div_10_uniqueIxEEEPmJS6_EEE10hipError_tPvRmT3_T4_T5_T6_T7_T9_mT8_P12ihipStream_tbDpT10_ENKUlT_T0_E_clISt17integral_constantIbLb1EES19_IbLb0EEEEDaS15_S16_EUlS15_E_NS1_11comp_targetILNS1_3genE9ELNS1_11target_archE1100ELNS1_3gpuE3ELNS1_3repE0EEENS1_30default_config_static_selectorELNS0_4arch9wavefront6targetE1EEEvT1_
                                        ; -- End function
	.set _ZN7rocprim17ROCPRIM_400000_NS6detail17trampoline_kernelINS0_14default_configENS1_25partition_config_selectorILNS1_17partition_subalgoE8ExNS0_10empty_typeEbEEZZNS1_14partition_implILS5_8ELb0ES3_jN6thrust23THRUST_200600_302600_NS6detail15normal_iteratorINSA_10device_ptrIxEEEEPS6_PKS6_NS0_5tupleIJSF_S6_EEENSJ_IJSG_SG_EEENS0_18inequality_wrapperI22is_equal_div_10_uniqueIxEEEPmJS6_EEE10hipError_tPvRmT3_T4_T5_T6_T7_T9_mT8_P12ihipStream_tbDpT10_ENKUlT_T0_E_clISt17integral_constantIbLb1EES19_IbLb0EEEEDaS15_S16_EUlS15_E_NS1_11comp_targetILNS1_3genE9ELNS1_11target_archE1100ELNS1_3gpuE3ELNS1_3repE0EEENS1_30default_config_static_selectorELNS0_4arch9wavefront6targetE1EEEvT1_.num_vgpr, 0
	.set _ZN7rocprim17ROCPRIM_400000_NS6detail17trampoline_kernelINS0_14default_configENS1_25partition_config_selectorILNS1_17partition_subalgoE8ExNS0_10empty_typeEbEEZZNS1_14partition_implILS5_8ELb0ES3_jN6thrust23THRUST_200600_302600_NS6detail15normal_iteratorINSA_10device_ptrIxEEEEPS6_PKS6_NS0_5tupleIJSF_S6_EEENSJ_IJSG_SG_EEENS0_18inequality_wrapperI22is_equal_div_10_uniqueIxEEEPmJS6_EEE10hipError_tPvRmT3_T4_T5_T6_T7_T9_mT8_P12ihipStream_tbDpT10_ENKUlT_T0_E_clISt17integral_constantIbLb1EES19_IbLb0EEEEDaS15_S16_EUlS15_E_NS1_11comp_targetILNS1_3genE9ELNS1_11target_archE1100ELNS1_3gpuE3ELNS1_3repE0EEENS1_30default_config_static_selectorELNS0_4arch9wavefront6targetE1EEEvT1_.num_agpr, 0
	.set _ZN7rocprim17ROCPRIM_400000_NS6detail17trampoline_kernelINS0_14default_configENS1_25partition_config_selectorILNS1_17partition_subalgoE8ExNS0_10empty_typeEbEEZZNS1_14partition_implILS5_8ELb0ES3_jN6thrust23THRUST_200600_302600_NS6detail15normal_iteratorINSA_10device_ptrIxEEEEPS6_PKS6_NS0_5tupleIJSF_S6_EEENSJ_IJSG_SG_EEENS0_18inequality_wrapperI22is_equal_div_10_uniqueIxEEEPmJS6_EEE10hipError_tPvRmT3_T4_T5_T6_T7_T9_mT8_P12ihipStream_tbDpT10_ENKUlT_T0_E_clISt17integral_constantIbLb1EES19_IbLb0EEEEDaS15_S16_EUlS15_E_NS1_11comp_targetILNS1_3genE9ELNS1_11target_archE1100ELNS1_3gpuE3ELNS1_3repE0EEENS1_30default_config_static_selectorELNS0_4arch9wavefront6targetE1EEEvT1_.numbered_sgpr, 0
	.set _ZN7rocprim17ROCPRIM_400000_NS6detail17trampoline_kernelINS0_14default_configENS1_25partition_config_selectorILNS1_17partition_subalgoE8ExNS0_10empty_typeEbEEZZNS1_14partition_implILS5_8ELb0ES3_jN6thrust23THRUST_200600_302600_NS6detail15normal_iteratorINSA_10device_ptrIxEEEEPS6_PKS6_NS0_5tupleIJSF_S6_EEENSJ_IJSG_SG_EEENS0_18inequality_wrapperI22is_equal_div_10_uniqueIxEEEPmJS6_EEE10hipError_tPvRmT3_T4_T5_T6_T7_T9_mT8_P12ihipStream_tbDpT10_ENKUlT_T0_E_clISt17integral_constantIbLb1EES19_IbLb0EEEEDaS15_S16_EUlS15_E_NS1_11comp_targetILNS1_3genE9ELNS1_11target_archE1100ELNS1_3gpuE3ELNS1_3repE0EEENS1_30default_config_static_selectorELNS0_4arch9wavefront6targetE1EEEvT1_.num_named_barrier, 0
	.set _ZN7rocprim17ROCPRIM_400000_NS6detail17trampoline_kernelINS0_14default_configENS1_25partition_config_selectorILNS1_17partition_subalgoE8ExNS0_10empty_typeEbEEZZNS1_14partition_implILS5_8ELb0ES3_jN6thrust23THRUST_200600_302600_NS6detail15normal_iteratorINSA_10device_ptrIxEEEEPS6_PKS6_NS0_5tupleIJSF_S6_EEENSJ_IJSG_SG_EEENS0_18inequality_wrapperI22is_equal_div_10_uniqueIxEEEPmJS6_EEE10hipError_tPvRmT3_T4_T5_T6_T7_T9_mT8_P12ihipStream_tbDpT10_ENKUlT_T0_E_clISt17integral_constantIbLb1EES19_IbLb0EEEEDaS15_S16_EUlS15_E_NS1_11comp_targetILNS1_3genE9ELNS1_11target_archE1100ELNS1_3gpuE3ELNS1_3repE0EEENS1_30default_config_static_selectorELNS0_4arch9wavefront6targetE1EEEvT1_.private_seg_size, 0
	.set _ZN7rocprim17ROCPRIM_400000_NS6detail17trampoline_kernelINS0_14default_configENS1_25partition_config_selectorILNS1_17partition_subalgoE8ExNS0_10empty_typeEbEEZZNS1_14partition_implILS5_8ELb0ES3_jN6thrust23THRUST_200600_302600_NS6detail15normal_iteratorINSA_10device_ptrIxEEEEPS6_PKS6_NS0_5tupleIJSF_S6_EEENSJ_IJSG_SG_EEENS0_18inequality_wrapperI22is_equal_div_10_uniqueIxEEEPmJS6_EEE10hipError_tPvRmT3_T4_T5_T6_T7_T9_mT8_P12ihipStream_tbDpT10_ENKUlT_T0_E_clISt17integral_constantIbLb1EES19_IbLb0EEEEDaS15_S16_EUlS15_E_NS1_11comp_targetILNS1_3genE9ELNS1_11target_archE1100ELNS1_3gpuE3ELNS1_3repE0EEENS1_30default_config_static_selectorELNS0_4arch9wavefront6targetE1EEEvT1_.uses_vcc, 0
	.set _ZN7rocprim17ROCPRIM_400000_NS6detail17trampoline_kernelINS0_14default_configENS1_25partition_config_selectorILNS1_17partition_subalgoE8ExNS0_10empty_typeEbEEZZNS1_14partition_implILS5_8ELb0ES3_jN6thrust23THRUST_200600_302600_NS6detail15normal_iteratorINSA_10device_ptrIxEEEEPS6_PKS6_NS0_5tupleIJSF_S6_EEENSJ_IJSG_SG_EEENS0_18inequality_wrapperI22is_equal_div_10_uniqueIxEEEPmJS6_EEE10hipError_tPvRmT3_T4_T5_T6_T7_T9_mT8_P12ihipStream_tbDpT10_ENKUlT_T0_E_clISt17integral_constantIbLb1EES19_IbLb0EEEEDaS15_S16_EUlS15_E_NS1_11comp_targetILNS1_3genE9ELNS1_11target_archE1100ELNS1_3gpuE3ELNS1_3repE0EEENS1_30default_config_static_selectorELNS0_4arch9wavefront6targetE1EEEvT1_.uses_flat_scratch, 0
	.set _ZN7rocprim17ROCPRIM_400000_NS6detail17trampoline_kernelINS0_14default_configENS1_25partition_config_selectorILNS1_17partition_subalgoE8ExNS0_10empty_typeEbEEZZNS1_14partition_implILS5_8ELb0ES3_jN6thrust23THRUST_200600_302600_NS6detail15normal_iteratorINSA_10device_ptrIxEEEEPS6_PKS6_NS0_5tupleIJSF_S6_EEENSJ_IJSG_SG_EEENS0_18inequality_wrapperI22is_equal_div_10_uniqueIxEEEPmJS6_EEE10hipError_tPvRmT3_T4_T5_T6_T7_T9_mT8_P12ihipStream_tbDpT10_ENKUlT_T0_E_clISt17integral_constantIbLb1EES19_IbLb0EEEEDaS15_S16_EUlS15_E_NS1_11comp_targetILNS1_3genE9ELNS1_11target_archE1100ELNS1_3gpuE3ELNS1_3repE0EEENS1_30default_config_static_selectorELNS0_4arch9wavefront6targetE1EEEvT1_.has_dyn_sized_stack, 0
	.set _ZN7rocprim17ROCPRIM_400000_NS6detail17trampoline_kernelINS0_14default_configENS1_25partition_config_selectorILNS1_17partition_subalgoE8ExNS0_10empty_typeEbEEZZNS1_14partition_implILS5_8ELb0ES3_jN6thrust23THRUST_200600_302600_NS6detail15normal_iteratorINSA_10device_ptrIxEEEEPS6_PKS6_NS0_5tupleIJSF_S6_EEENSJ_IJSG_SG_EEENS0_18inequality_wrapperI22is_equal_div_10_uniqueIxEEEPmJS6_EEE10hipError_tPvRmT3_T4_T5_T6_T7_T9_mT8_P12ihipStream_tbDpT10_ENKUlT_T0_E_clISt17integral_constantIbLb1EES19_IbLb0EEEEDaS15_S16_EUlS15_E_NS1_11comp_targetILNS1_3genE9ELNS1_11target_archE1100ELNS1_3gpuE3ELNS1_3repE0EEENS1_30default_config_static_selectorELNS0_4arch9wavefront6targetE1EEEvT1_.has_recursion, 0
	.set _ZN7rocprim17ROCPRIM_400000_NS6detail17trampoline_kernelINS0_14default_configENS1_25partition_config_selectorILNS1_17partition_subalgoE8ExNS0_10empty_typeEbEEZZNS1_14partition_implILS5_8ELb0ES3_jN6thrust23THRUST_200600_302600_NS6detail15normal_iteratorINSA_10device_ptrIxEEEEPS6_PKS6_NS0_5tupleIJSF_S6_EEENSJ_IJSG_SG_EEENS0_18inequality_wrapperI22is_equal_div_10_uniqueIxEEEPmJS6_EEE10hipError_tPvRmT3_T4_T5_T6_T7_T9_mT8_P12ihipStream_tbDpT10_ENKUlT_T0_E_clISt17integral_constantIbLb1EES19_IbLb0EEEEDaS15_S16_EUlS15_E_NS1_11comp_targetILNS1_3genE9ELNS1_11target_archE1100ELNS1_3gpuE3ELNS1_3repE0EEENS1_30default_config_static_selectorELNS0_4arch9wavefront6targetE1EEEvT1_.has_indirect_call, 0
	.section	.AMDGPU.csdata,"",@progbits
; Kernel info:
; codeLenInByte = 0
; TotalNumSgprs: 4
; NumVgprs: 0
; ScratchSize: 0
; MemoryBound: 0
; FloatMode: 240
; IeeeMode: 1
; LDSByteSize: 0 bytes/workgroup (compile time only)
; SGPRBlocks: 0
; VGPRBlocks: 0
; NumSGPRsForWavesPerEU: 4
; NumVGPRsForWavesPerEU: 1
; Occupancy: 10
; WaveLimiterHint : 0
; COMPUTE_PGM_RSRC2:SCRATCH_EN: 0
; COMPUTE_PGM_RSRC2:USER_SGPR: 6
; COMPUTE_PGM_RSRC2:TRAP_HANDLER: 0
; COMPUTE_PGM_RSRC2:TGID_X_EN: 1
; COMPUTE_PGM_RSRC2:TGID_Y_EN: 0
; COMPUTE_PGM_RSRC2:TGID_Z_EN: 0
; COMPUTE_PGM_RSRC2:TIDIG_COMP_CNT: 0
	.section	.text._ZN7rocprim17ROCPRIM_400000_NS6detail17trampoline_kernelINS0_14default_configENS1_25partition_config_selectorILNS1_17partition_subalgoE8ExNS0_10empty_typeEbEEZZNS1_14partition_implILS5_8ELb0ES3_jN6thrust23THRUST_200600_302600_NS6detail15normal_iteratorINSA_10device_ptrIxEEEEPS6_PKS6_NS0_5tupleIJSF_S6_EEENSJ_IJSG_SG_EEENS0_18inequality_wrapperI22is_equal_div_10_uniqueIxEEEPmJS6_EEE10hipError_tPvRmT3_T4_T5_T6_T7_T9_mT8_P12ihipStream_tbDpT10_ENKUlT_T0_E_clISt17integral_constantIbLb1EES19_IbLb0EEEEDaS15_S16_EUlS15_E_NS1_11comp_targetILNS1_3genE8ELNS1_11target_archE1030ELNS1_3gpuE2ELNS1_3repE0EEENS1_30default_config_static_selectorELNS0_4arch9wavefront6targetE1EEEvT1_,"axG",@progbits,_ZN7rocprim17ROCPRIM_400000_NS6detail17trampoline_kernelINS0_14default_configENS1_25partition_config_selectorILNS1_17partition_subalgoE8ExNS0_10empty_typeEbEEZZNS1_14partition_implILS5_8ELb0ES3_jN6thrust23THRUST_200600_302600_NS6detail15normal_iteratorINSA_10device_ptrIxEEEEPS6_PKS6_NS0_5tupleIJSF_S6_EEENSJ_IJSG_SG_EEENS0_18inequality_wrapperI22is_equal_div_10_uniqueIxEEEPmJS6_EEE10hipError_tPvRmT3_T4_T5_T6_T7_T9_mT8_P12ihipStream_tbDpT10_ENKUlT_T0_E_clISt17integral_constantIbLb1EES19_IbLb0EEEEDaS15_S16_EUlS15_E_NS1_11comp_targetILNS1_3genE8ELNS1_11target_archE1030ELNS1_3gpuE2ELNS1_3repE0EEENS1_30default_config_static_selectorELNS0_4arch9wavefront6targetE1EEEvT1_,comdat
	.protected	_ZN7rocprim17ROCPRIM_400000_NS6detail17trampoline_kernelINS0_14default_configENS1_25partition_config_selectorILNS1_17partition_subalgoE8ExNS0_10empty_typeEbEEZZNS1_14partition_implILS5_8ELb0ES3_jN6thrust23THRUST_200600_302600_NS6detail15normal_iteratorINSA_10device_ptrIxEEEEPS6_PKS6_NS0_5tupleIJSF_S6_EEENSJ_IJSG_SG_EEENS0_18inequality_wrapperI22is_equal_div_10_uniqueIxEEEPmJS6_EEE10hipError_tPvRmT3_T4_T5_T6_T7_T9_mT8_P12ihipStream_tbDpT10_ENKUlT_T0_E_clISt17integral_constantIbLb1EES19_IbLb0EEEEDaS15_S16_EUlS15_E_NS1_11comp_targetILNS1_3genE8ELNS1_11target_archE1030ELNS1_3gpuE2ELNS1_3repE0EEENS1_30default_config_static_selectorELNS0_4arch9wavefront6targetE1EEEvT1_ ; -- Begin function _ZN7rocprim17ROCPRIM_400000_NS6detail17trampoline_kernelINS0_14default_configENS1_25partition_config_selectorILNS1_17partition_subalgoE8ExNS0_10empty_typeEbEEZZNS1_14partition_implILS5_8ELb0ES3_jN6thrust23THRUST_200600_302600_NS6detail15normal_iteratorINSA_10device_ptrIxEEEEPS6_PKS6_NS0_5tupleIJSF_S6_EEENSJ_IJSG_SG_EEENS0_18inequality_wrapperI22is_equal_div_10_uniqueIxEEEPmJS6_EEE10hipError_tPvRmT3_T4_T5_T6_T7_T9_mT8_P12ihipStream_tbDpT10_ENKUlT_T0_E_clISt17integral_constantIbLb1EES19_IbLb0EEEEDaS15_S16_EUlS15_E_NS1_11comp_targetILNS1_3genE8ELNS1_11target_archE1030ELNS1_3gpuE2ELNS1_3repE0EEENS1_30default_config_static_selectorELNS0_4arch9wavefront6targetE1EEEvT1_
	.globl	_ZN7rocprim17ROCPRIM_400000_NS6detail17trampoline_kernelINS0_14default_configENS1_25partition_config_selectorILNS1_17partition_subalgoE8ExNS0_10empty_typeEbEEZZNS1_14partition_implILS5_8ELb0ES3_jN6thrust23THRUST_200600_302600_NS6detail15normal_iteratorINSA_10device_ptrIxEEEEPS6_PKS6_NS0_5tupleIJSF_S6_EEENSJ_IJSG_SG_EEENS0_18inequality_wrapperI22is_equal_div_10_uniqueIxEEEPmJS6_EEE10hipError_tPvRmT3_T4_T5_T6_T7_T9_mT8_P12ihipStream_tbDpT10_ENKUlT_T0_E_clISt17integral_constantIbLb1EES19_IbLb0EEEEDaS15_S16_EUlS15_E_NS1_11comp_targetILNS1_3genE8ELNS1_11target_archE1030ELNS1_3gpuE2ELNS1_3repE0EEENS1_30default_config_static_selectorELNS0_4arch9wavefront6targetE1EEEvT1_
	.p2align	8
	.type	_ZN7rocprim17ROCPRIM_400000_NS6detail17trampoline_kernelINS0_14default_configENS1_25partition_config_selectorILNS1_17partition_subalgoE8ExNS0_10empty_typeEbEEZZNS1_14partition_implILS5_8ELb0ES3_jN6thrust23THRUST_200600_302600_NS6detail15normal_iteratorINSA_10device_ptrIxEEEEPS6_PKS6_NS0_5tupleIJSF_S6_EEENSJ_IJSG_SG_EEENS0_18inequality_wrapperI22is_equal_div_10_uniqueIxEEEPmJS6_EEE10hipError_tPvRmT3_T4_T5_T6_T7_T9_mT8_P12ihipStream_tbDpT10_ENKUlT_T0_E_clISt17integral_constantIbLb1EES19_IbLb0EEEEDaS15_S16_EUlS15_E_NS1_11comp_targetILNS1_3genE8ELNS1_11target_archE1030ELNS1_3gpuE2ELNS1_3repE0EEENS1_30default_config_static_selectorELNS0_4arch9wavefront6targetE1EEEvT1_,@function
_ZN7rocprim17ROCPRIM_400000_NS6detail17trampoline_kernelINS0_14default_configENS1_25partition_config_selectorILNS1_17partition_subalgoE8ExNS0_10empty_typeEbEEZZNS1_14partition_implILS5_8ELb0ES3_jN6thrust23THRUST_200600_302600_NS6detail15normal_iteratorINSA_10device_ptrIxEEEEPS6_PKS6_NS0_5tupleIJSF_S6_EEENSJ_IJSG_SG_EEENS0_18inequality_wrapperI22is_equal_div_10_uniqueIxEEEPmJS6_EEE10hipError_tPvRmT3_T4_T5_T6_T7_T9_mT8_P12ihipStream_tbDpT10_ENKUlT_T0_E_clISt17integral_constantIbLb1EES19_IbLb0EEEEDaS15_S16_EUlS15_E_NS1_11comp_targetILNS1_3genE8ELNS1_11target_archE1030ELNS1_3gpuE2ELNS1_3repE0EEENS1_30default_config_static_selectorELNS0_4arch9wavefront6targetE1EEEvT1_: ; @_ZN7rocprim17ROCPRIM_400000_NS6detail17trampoline_kernelINS0_14default_configENS1_25partition_config_selectorILNS1_17partition_subalgoE8ExNS0_10empty_typeEbEEZZNS1_14partition_implILS5_8ELb0ES3_jN6thrust23THRUST_200600_302600_NS6detail15normal_iteratorINSA_10device_ptrIxEEEEPS6_PKS6_NS0_5tupleIJSF_S6_EEENSJ_IJSG_SG_EEENS0_18inequality_wrapperI22is_equal_div_10_uniqueIxEEEPmJS6_EEE10hipError_tPvRmT3_T4_T5_T6_T7_T9_mT8_P12ihipStream_tbDpT10_ENKUlT_T0_E_clISt17integral_constantIbLb1EES19_IbLb0EEEEDaS15_S16_EUlS15_E_NS1_11comp_targetILNS1_3genE8ELNS1_11target_archE1030ELNS1_3gpuE2ELNS1_3repE0EEENS1_30default_config_static_selectorELNS0_4arch9wavefront6targetE1EEEvT1_
; %bb.0:
	.section	.rodata,"a",@progbits
	.p2align	6, 0x0
	.amdhsa_kernel _ZN7rocprim17ROCPRIM_400000_NS6detail17trampoline_kernelINS0_14default_configENS1_25partition_config_selectorILNS1_17partition_subalgoE8ExNS0_10empty_typeEbEEZZNS1_14partition_implILS5_8ELb0ES3_jN6thrust23THRUST_200600_302600_NS6detail15normal_iteratorINSA_10device_ptrIxEEEEPS6_PKS6_NS0_5tupleIJSF_S6_EEENSJ_IJSG_SG_EEENS0_18inequality_wrapperI22is_equal_div_10_uniqueIxEEEPmJS6_EEE10hipError_tPvRmT3_T4_T5_T6_T7_T9_mT8_P12ihipStream_tbDpT10_ENKUlT_T0_E_clISt17integral_constantIbLb1EES19_IbLb0EEEEDaS15_S16_EUlS15_E_NS1_11comp_targetILNS1_3genE8ELNS1_11target_archE1030ELNS1_3gpuE2ELNS1_3repE0EEENS1_30default_config_static_selectorELNS0_4arch9wavefront6targetE1EEEvT1_
		.amdhsa_group_segment_fixed_size 0
		.amdhsa_private_segment_fixed_size 0
		.amdhsa_kernarg_size 112
		.amdhsa_user_sgpr_count 6
		.amdhsa_user_sgpr_private_segment_buffer 1
		.amdhsa_user_sgpr_dispatch_ptr 0
		.amdhsa_user_sgpr_queue_ptr 0
		.amdhsa_user_sgpr_kernarg_segment_ptr 1
		.amdhsa_user_sgpr_dispatch_id 0
		.amdhsa_user_sgpr_flat_scratch_init 0
		.amdhsa_user_sgpr_private_segment_size 0
		.amdhsa_uses_dynamic_stack 0
		.amdhsa_system_sgpr_private_segment_wavefront_offset 0
		.amdhsa_system_sgpr_workgroup_id_x 1
		.amdhsa_system_sgpr_workgroup_id_y 0
		.amdhsa_system_sgpr_workgroup_id_z 0
		.amdhsa_system_sgpr_workgroup_info 0
		.amdhsa_system_vgpr_workitem_id 0
		.amdhsa_next_free_vgpr 1
		.amdhsa_next_free_sgpr 0
		.amdhsa_reserve_vcc 0
		.amdhsa_reserve_flat_scratch 0
		.amdhsa_float_round_mode_32 0
		.amdhsa_float_round_mode_16_64 0
		.amdhsa_float_denorm_mode_32 3
		.amdhsa_float_denorm_mode_16_64 3
		.amdhsa_dx10_clamp 1
		.amdhsa_ieee_mode 1
		.amdhsa_fp16_overflow 0
		.amdhsa_exception_fp_ieee_invalid_op 0
		.amdhsa_exception_fp_denorm_src 0
		.amdhsa_exception_fp_ieee_div_zero 0
		.amdhsa_exception_fp_ieee_overflow 0
		.amdhsa_exception_fp_ieee_underflow 0
		.amdhsa_exception_fp_ieee_inexact 0
		.amdhsa_exception_int_div_zero 0
	.end_amdhsa_kernel
	.section	.text._ZN7rocprim17ROCPRIM_400000_NS6detail17trampoline_kernelINS0_14default_configENS1_25partition_config_selectorILNS1_17partition_subalgoE8ExNS0_10empty_typeEbEEZZNS1_14partition_implILS5_8ELb0ES3_jN6thrust23THRUST_200600_302600_NS6detail15normal_iteratorINSA_10device_ptrIxEEEEPS6_PKS6_NS0_5tupleIJSF_S6_EEENSJ_IJSG_SG_EEENS0_18inequality_wrapperI22is_equal_div_10_uniqueIxEEEPmJS6_EEE10hipError_tPvRmT3_T4_T5_T6_T7_T9_mT8_P12ihipStream_tbDpT10_ENKUlT_T0_E_clISt17integral_constantIbLb1EES19_IbLb0EEEEDaS15_S16_EUlS15_E_NS1_11comp_targetILNS1_3genE8ELNS1_11target_archE1030ELNS1_3gpuE2ELNS1_3repE0EEENS1_30default_config_static_selectorELNS0_4arch9wavefront6targetE1EEEvT1_,"axG",@progbits,_ZN7rocprim17ROCPRIM_400000_NS6detail17trampoline_kernelINS0_14default_configENS1_25partition_config_selectorILNS1_17partition_subalgoE8ExNS0_10empty_typeEbEEZZNS1_14partition_implILS5_8ELb0ES3_jN6thrust23THRUST_200600_302600_NS6detail15normal_iteratorINSA_10device_ptrIxEEEEPS6_PKS6_NS0_5tupleIJSF_S6_EEENSJ_IJSG_SG_EEENS0_18inequality_wrapperI22is_equal_div_10_uniqueIxEEEPmJS6_EEE10hipError_tPvRmT3_T4_T5_T6_T7_T9_mT8_P12ihipStream_tbDpT10_ENKUlT_T0_E_clISt17integral_constantIbLb1EES19_IbLb0EEEEDaS15_S16_EUlS15_E_NS1_11comp_targetILNS1_3genE8ELNS1_11target_archE1030ELNS1_3gpuE2ELNS1_3repE0EEENS1_30default_config_static_selectorELNS0_4arch9wavefront6targetE1EEEvT1_,comdat
.Lfunc_end395:
	.size	_ZN7rocprim17ROCPRIM_400000_NS6detail17trampoline_kernelINS0_14default_configENS1_25partition_config_selectorILNS1_17partition_subalgoE8ExNS0_10empty_typeEbEEZZNS1_14partition_implILS5_8ELb0ES3_jN6thrust23THRUST_200600_302600_NS6detail15normal_iteratorINSA_10device_ptrIxEEEEPS6_PKS6_NS0_5tupleIJSF_S6_EEENSJ_IJSG_SG_EEENS0_18inequality_wrapperI22is_equal_div_10_uniqueIxEEEPmJS6_EEE10hipError_tPvRmT3_T4_T5_T6_T7_T9_mT8_P12ihipStream_tbDpT10_ENKUlT_T0_E_clISt17integral_constantIbLb1EES19_IbLb0EEEEDaS15_S16_EUlS15_E_NS1_11comp_targetILNS1_3genE8ELNS1_11target_archE1030ELNS1_3gpuE2ELNS1_3repE0EEENS1_30default_config_static_selectorELNS0_4arch9wavefront6targetE1EEEvT1_, .Lfunc_end395-_ZN7rocprim17ROCPRIM_400000_NS6detail17trampoline_kernelINS0_14default_configENS1_25partition_config_selectorILNS1_17partition_subalgoE8ExNS0_10empty_typeEbEEZZNS1_14partition_implILS5_8ELb0ES3_jN6thrust23THRUST_200600_302600_NS6detail15normal_iteratorINSA_10device_ptrIxEEEEPS6_PKS6_NS0_5tupleIJSF_S6_EEENSJ_IJSG_SG_EEENS0_18inequality_wrapperI22is_equal_div_10_uniqueIxEEEPmJS6_EEE10hipError_tPvRmT3_T4_T5_T6_T7_T9_mT8_P12ihipStream_tbDpT10_ENKUlT_T0_E_clISt17integral_constantIbLb1EES19_IbLb0EEEEDaS15_S16_EUlS15_E_NS1_11comp_targetILNS1_3genE8ELNS1_11target_archE1030ELNS1_3gpuE2ELNS1_3repE0EEENS1_30default_config_static_selectorELNS0_4arch9wavefront6targetE1EEEvT1_
                                        ; -- End function
	.set _ZN7rocprim17ROCPRIM_400000_NS6detail17trampoline_kernelINS0_14default_configENS1_25partition_config_selectorILNS1_17partition_subalgoE8ExNS0_10empty_typeEbEEZZNS1_14partition_implILS5_8ELb0ES3_jN6thrust23THRUST_200600_302600_NS6detail15normal_iteratorINSA_10device_ptrIxEEEEPS6_PKS6_NS0_5tupleIJSF_S6_EEENSJ_IJSG_SG_EEENS0_18inequality_wrapperI22is_equal_div_10_uniqueIxEEEPmJS6_EEE10hipError_tPvRmT3_T4_T5_T6_T7_T9_mT8_P12ihipStream_tbDpT10_ENKUlT_T0_E_clISt17integral_constantIbLb1EES19_IbLb0EEEEDaS15_S16_EUlS15_E_NS1_11comp_targetILNS1_3genE8ELNS1_11target_archE1030ELNS1_3gpuE2ELNS1_3repE0EEENS1_30default_config_static_selectorELNS0_4arch9wavefront6targetE1EEEvT1_.num_vgpr, 0
	.set _ZN7rocprim17ROCPRIM_400000_NS6detail17trampoline_kernelINS0_14default_configENS1_25partition_config_selectorILNS1_17partition_subalgoE8ExNS0_10empty_typeEbEEZZNS1_14partition_implILS5_8ELb0ES3_jN6thrust23THRUST_200600_302600_NS6detail15normal_iteratorINSA_10device_ptrIxEEEEPS6_PKS6_NS0_5tupleIJSF_S6_EEENSJ_IJSG_SG_EEENS0_18inequality_wrapperI22is_equal_div_10_uniqueIxEEEPmJS6_EEE10hipError_tPvRmT3_T4_T5_T6_T7_T9_mT8_P12ihipStream_tbDpT10_ENKUlT_T0_E_clISt17integral_constantIbLb1EES19_IbLb0EEEEDaS15_S16_EUlS15_E_NS1_11comp_targetILNS1_3genE8ELNS1_11target_archE1030ELNS1_3gpuE2ELNS1_3repE0EEENS1_30default_config_static_selectorELNS0_4arch9wavefront6targetE1EEEvT1_.num_agpr, 0
	.set _ZN7rocprim17ROCPRIM_400000_NS6detail17trampoline_kernelINS0_14default_configENS1_25partition_config_selectorILNS1_17partition_subalgoE8ExNS0_10empty_typeEbEEZZNS1_14partition_implILS5_8ELb0ES3_jN6thrust23THRUST_200600_302600_NS6detail15normal_iteratorINSA_10device_ptrIxEEEEPS6_PKS6_NS0_5tupleIJSF_S6_EEENSJ_IJSG_SG_EEENS0_18inequality_wrapperI22is_equal_div_10_uniqueIxEEEPmJS6_EEE10hipError_tPvRmT3_T4_T5_T6_T7_T9_mT8_P12ihipStream_tbDpT10_ENKUlT_T0_E_clISt17integral_constantIbLb1EES19_IbLb0EEEEDaS15_S16_EUlS15_E_NS1_11comp_targetILNS1_3genE8ELNS1_11target_archE1030ELNS1_3gpuE2ELNS1_3repE0EEENS1_30default_config_static_selectorELNS0_4arch9wavefront6targetE1EEEvT1_.numbered_sgpr, 0
	.set _ZN7rocprim17ROCPRIM_400000_NS6detail17trampoline_kernelINS0_14default_configENS1_25partition_config_selectorILNS1_17partition_subalgoE8ExNS0_10empty_typeEbEEZZNS1_14partition_implILS5_8ELb0ES3_jN6thrust23THRUST_200600_302600_NS6detail15normal_iteratorINSA_10device_ptrIxEEEEPS6_PKS6_NS0_5tupleIJSF_S6_EEENSJ_IJSG_SG_EEENS0_18inequality_wrapperI22is_equal_div_10_uniqueIxEEEPmJS6_EEE10hipError_tPvRmT3_T4_T5_T6_T7_T9_mT8_P12ihipStream_tbDpT10_ENKUlT_T0_E_clISt17integral_constantIbLb1EES19_IbLb0EEEEDaS15_S16_EUlS15_E_NS1_11comp_targetILNS1_3genE8ELNS1_11target_archE1030ELNS1_3gpuE2ELNS1_3repE0EEENS1_30default_config_static_selectorELNS0_4arch9wavefront6targetE1EEEvT1_.num_named_barrier, 0
	.set _ZN7rocprim17ROCPRIM_400000_NS6detail17trampoline_kernelINS0_14default_configENS1_25partition_config_selectorILNS1_17partition_subalgoE8ExNS0_10empty_typeEbEEZZNS1_14partition_implILS5_8ELb0ES3_jN6thrust23THRUST_200600_302600_NS6detail15normal_iteratorINSA_10device_ptrIxEEEEPS6_PKS6_NS0_5tupleIJSF_S6_EEENSJ_IJSG_SG_EEENS0_18inequality_wrapperI22is_equal_div_10_uniqueIxEEEPmJS6_EEE10hipError_tPvRmT3_T4_T5_T6_T7_T9_mT8_P12ihipStream_tbDpT10_ENKUlT_T0_E_clISt17integral_constantIbLb1EES19_IbLb0EEEEDaS15_S16_EUlS15_E_NS1_11comp_targetILNS1_3genE8ELNS1_11target_archE1030ELNS1_3gpuE2ELNS1_3repE0EEENS1_30default_config_static_selectorELNS0_4arch9wavefront6targetE1EEEvT1_.private_seg_size, 0
	.set _ZN7rocprim17ROCPRIM_400000_NS6detail17trampoline_kernelINS0_14default_configENS1_25partition_config_selectorILNS1_17partition_subalgoE8ExNS0_10empty_typeEbEEZZNS1_14partition_implILS5_8ELb0ES3_jN6thrust23THRUST_200600_302600_NS6detail15normal_iteratorINSA_10device_ptrIxEEEEPS6_PKS6_NS0_5tupleIJSF_S6_EEENSJ_IJSG_SG_EEENS0_18inequality_wrapperI22is_equal_div_10_uniqueIxEEEPmJS6_EEE10hipError_tPvRmT3_T4_T5_T6_T7_T9_mT8_P12ihipStream_tbDpT10_ENKUlT_T0_E_clISt17integral_constantIbLb1EES19_IbLb0EEEEDaS15_S16_EUlS15_E_NS1_11comp_targetILNS1_3genE8ELNS1_11target_archE1030ELNS1_3gpuE2ELNS1_3repE0EEENS1_30default_config_static_selectorELNS0_4arch9wavefront6targetE1EEEvT1_.uses_vcc, 0
	.set _ZN7rocprim17ROCPRIM_400000_NS6detail17trampoline_kernelINS0_14default_configENS1_25partition_config_selectorILNS1_17partition_subalgoE8ExNS0_10empty_typeEbEEZZNS1_14partition_implILS5_8ELb0ES3_jN6thrust23THRUST_200600_302600_NS6detail15normal_iteratorINSA_10device_ptrIxEEEEPS6_PKS6_NS0_5tupleIJSF_S6_EEENSJ_IJSG_SG_EEENS0_18inequality_wrapperI22is_equal_div_10_uniqueIxEEEPmJS6_EEE10hipError_tPvRmT3_T4_T5_T6_T7_T9_mT8_P12ihipStream_tbDpT10_ENKUlT_T0_E_clISt17integral_constantIbLb1EES19_IbLb0EEEEDaS15_S16_EUlS15_E_NS1_11comp_targetILNS1_3genE8ELNS1_11target_archE1030ELNS1_3gpuE2ELNS1_3repE0EEENS1_30default_config_static_selectorELNS0_4arch9wavefront6targetE1EEEvT1_.uses_flat_scratch, 0
	.set _ZN7rocprim17ROCPRIM_400000_NS6detail17trampoline_kernelINS0_14default_configENS1_25partition_config_selectorILNS1_17partition_subalgoE8ExNS0_10empty_typeEbEEZZNS1_14partition_implILS5_8ELb0ES3_jN6thrust23THRUST_200600_302600_NS6detail15normal_iteratorINSA_10device_ptrIxEEEEPS6_PKS6_NS0_5tupleIJSF_S6_EEENSJ_IJSG_SG_EEENS0_18inequality_wrapperI22is_equal_div_10_uniqueIxEEEPmJS6_EEE10hipError_tPvRmT3_T4_T5_T6_T7_T9_mT8_P12ihipStream_tbDpT10_ENKUlT_T0_E_clISt17integral_constantIbLb1EES19_IbLb0EEEEDaS15_S16_EUlS15_E_NS1_11comp_targetILNS1_3genE8ELNS1_11target_archE1030ELNS1_3gpuE2ELNS1_3repE0EEENS1_30default_config_static_selectorELNS0_4arch9wavefront6targetE1EEEvT1_.has_dyn_sized_stack, 0
	.set _ZN7rocprim17ROCPRIM_400000_NS6detail17trampoline_kernelINS0_14default_configENS1_25partition_config_selectorILNS1_17partition_subalgoE8ExNS0_10empty_typeEbEEZZNS1_14partition_implILS5_8ELb0ES3_jN6thrust23THRUST_200600_302600_NS6detail15normal_iteratorINSA_10device_ptrIxEEEEPS6_PKS6_NS0_5tupleIJSF_S6_EEENSJ_IJSG_SG_EEENS0_18inequality_wrapperI22is_equal_div_10_uniqueIxEEEPmJS6_EEE10hipError_tPvRmT3_T4_T5_T6_T7_T9_mT8_P12ihipStream_tbDpT10_ENKUlT_T0_E_clISt17integral_constantIbLb1EES19_IbLb0EEEEDaS15_S16_EUlS15_E_NS1_11comp_targetILNS1_3genE8ELNS1_11target_archE1030ELNS1_3gpuE2ELNS1_3repE0EEENS1_30default_config_static_selectorELNS0_4arch9wavefront6targetE1EEEvT1_.has_recursion, 0
	.set _ZN7rocprim17ROCPRIM_400000_NS6detail17trampoline_kernelINS0_14default_configENS1_25partition_config_selectorILNS1_17partition_subalgoE8ExNS0_10empty_typeEbEEZZNS1_14partition_implILS5_8ELb0ES3_jN6thrust23THRUST_200600_302600_NS6detail15normal_iteratorINSA_10device_ptrIxEEEEPS6_PKS6_NS0_5tupleIJSF_S6_EEENSJ_IJSG_SG_EEENS0_18inequality_wrapperI22is_equal_div_10_uniqueIxEEEPmJS6_EEE10hipError_tPvRmT3_T4_T5_T6_T7_T9_mT8_P12ihipStream_tbDpT10_ENKUlT_T0_E_clISt17integral_constantIbLb1EES19_IbLb0EEEEDaS15_S16_EUlS15_E_NS1_11comp_targetILNS1_3genE8ELNS1_11target_archE1030ELNS1_3gpuE2ELNS1_3repE0EEENS1_30default_config_static_selectorELNS0_4arch9wavefront6targetE1EEEvT1_.has_indirect_call, 0
	.section	.AMDGPU.csdata,"",@progbits
; Kernel info:
; codeLenInByte = 0
; TotalNumSgprs: 4
; NumVgprs: 0
; ScratchSize: 0
; MemoryBound: 0
; FloatMode: 240
; IeeeMode: 1
; LDSByteSize: 0 bytes/workgroup (compile time only)
; SGPRBlocks: 0
; VGPRBlocks: 0
; NumSGPRsForWavesPerEU: 4
; NumVGPRsForWavesPerEU: 1
; Occupancy: 10
; WaveLimiterHint : 0
; COMPUTE_PGM_RSRC2:SCRATCH_EN: 0
; COMPUTE_PGM_RSRC2:USER_SGPR: 6
; COMPUTE_PGM_RSRC2:TRAP_HANDLER: 0
; COMPUTE_PGM_RSRC2:TGID_X_EN: 1
; COMPUTE_PGM_RSRC2:TGID_Y_EN: 0
; COMPUTE_PGM_RSRC2:TGID_Z_EN: 0
; COMPUTE_PGM_RSRC2:TIDIG_COMP_CNT: 0
	.section	.text._ZN7rocprim17ROCPRIM_400000_NS6detail17trampoline_kernelINS0_14default_configENS1_25partition_config_selectorILNS1_17partition_subalgoE8ExNS0_10empty_typeEbEEZZNS1_14partition_implILS5_8ELb0ES3_jN6thrust23THRUST_200600_302600_NS6detail15normal_iteratorINSA_10device_ptrIxEEEEPS6_PKS6_NS0_5tupleIJSF_S6_EEENSJ_IJSG_SG_EEENS0_18inequality_wrapperI22is_equal_div_10_uniqueIxEEEPmJS6_EEE10hipError_tPvRmT3_T4_T5_T6_T7_T9_mT8_P12ihipStream_tbDpT10_ENKUlT_T0_E_clISt17integral_constantIbLb0EES19_IbLb1EEEEDaS15_S16_EUlS15_E_NS1_11comp_targetILNS1_3genE0ELNS1_11target_archE4294967295ELNS1_3gpuE0ELNS1_3repE0EEENS1_30default_config_static_selectorELNS0_4arch9wavefront6targetE1EEEvT1_,"axG",@progbits,_ZN7rocprim17ROCPRIM_400000_NS6detail17trampoline_kernelINS0_14default_configENS1_25partition_config_selectorILNS1_17partition_subalgoE8ExNS0_10empty_typeEbEEZZNS1_14partition_implILS5_8ELb0ES3_jN6thrust23THRUST_200600_302600_NS6detail15normal_iteratorINSA_10device_ptrIxEEEEPS6_PKS6_NS0_5tupleIJSF_S6_EEENSJ_IJSG_SG_EEENS0_18inequality_wrapperI22is_equal_div_10_uniqueIxEEEPmJS6_EEE10hipError_tPvRmT3_T4_T5_T6_T7_T9_mT8_P12ihipStream_tbDpT10_ENKUlT_T0_E_clISt17integral_constantIbLb0EES19_IbLb1EEEEDaS15_S16_EUlS15_E_NS1_11comp_targetILNS1_3genE0ELNS1_11target_archE4294967295ELNS1_3gpuE0ELNS1_3repE0EEENS1_30default_config_static_selectorELNS0_4arch9wavefront6targetE1EEEvT1_,comdat
	.protected	_ZN7rocprim17ROCPRIM_400000_NS6detail17trampoline_kernelINS0_14default_configENS1_25partition_config_selectorILNS1_17partition_subalgoE8ExNS0_10empty_typeEbEEZZNS1_14partition_implILS5_8ELb0ES3_jN6thrust23THRUST_200600_302600_NS6detail15normal_iteratorINSA_10device_ptrIxEEEEPS6_PKS6_NS0_5tupleIJSF_S6_EEENSJ_IJSG_SG_EEENS0_18inequality_wrapperI22is_equal_div_10_uniqueIxEEEPmJS6_EEE10hipError_tPvRmT3_T4_T5_T6_T7_T9_mT8_P12ihipStream_tbDpT10_ENKUlT_T0_E_clISt17integral_constantIbLb0EES19_IbLb1EEEEDaS15_S16_EUlS15_E_NS1_11comp_targetILNS1_3genE0ELNS1_11target_archE4294967295ELNS1_3gpuE0ELNS1_3repE0EEENS1_30default_config_static_selectorELNS0_4arch9wavefront6targetE1EEEvT1_ ; -- Begin function _ZN7rocprim17ROCPRIM_400000_NS6detail17trampoline_kernelINS0_14default_configENS1_25partition_config_selectorILNS1_17partition_subalgoE8ExNS0_10empty_typeEbEEZZNS1_14partition_implILS5_8ELb0ES3_jN6thrust23THRUST_200600_302600_NS6detail15normal_iteratorINSA_10device_ptrIxEEEEPS6_PKS6_NS0_5tupleIJSF_S6_EEENSJ_IJSG_SG_EEENS0_18inequality_wrapperI22is_equal_div_10_uniqueIxEEEPmJS6_EEE10hipError_tPvRmT3_T4_T5_T6_T7_T9_mT8_P12ihipStream_tbDpT10_ENKUlT_T0_E_clISt17integral_constantIbLb0EES19_IbLb1EEEEDaS15_S16_EUlS15_E_NS1_11comp_targetILNS1_3genE0ELNS1_11target_archE4294967295ELNS1_3gpuE0ELNS1_3repE0EEENS1_30default_config_static_selectorELNS0_4arch9wavefront6targetE1EEEvT1_
	.globl	_ZN7rocprim17ROCPRIM_400000_NS6detail17trampoline_kernelINS0_14default_configENS1_25partition_config_selectorILNS1_17partition_subalgoE8ExNS0_10empty_typeEbEEZZNS1_14partition_implILS5_8ELb0ES3_jN6thrust23THRUST_200600_302600_NS6detail15normal_iteratorINSA_10device_ptrIxEEEEPS6_PKS6_NS0_5tupleIJSF_S6_EEENSJ_IJSG_SG_EEENS0_18inequality_wrapperI22is_equal_div_10_uniqueIxEEEPmJS6_EEE10hipError_tPvRmT3_T4_T5_T6_T7_T9_mT8_P12ihipStream_tbDpT10_ENKUlT_T0_E_clISt17integral_constantIbLb0EES19_IbLb1EEEEDaS15_S16_EUlS15_E_NS1_11comp_targetILNS1_3genE0ELNS1_11target_archE4294967295ELNS1_3gpuE0ELNS1_3repE0EEENS1_30default_config_static_selectorELNS0_4arch9wavefront6targetE1EEEvT1_
	.p2align	8
	.type	_ZN7rocprim17ROCPRIM_400000_NS6detail17trampoline_kernelINS0_14default_configENS1_25partition_config_selectorILNS1_17partition_subalgoE8ExNS0_10empty_typeEbEEZZNS1_14partition_implILS5_8ELb0ES3_jN6thrust23THRUST_200600_302600_NS6detail15normal_iteratorINSA_10device_ptrIxEEEEPS6_PKS6_NS0_5tupleIJSF_S6_EEENSJ_IJSG_SG_EEENS0_18inequality_wrapperI22is_equal_div_10_uniqueIxEEEPmJS6_EEE10hipError_tPvRmT3_T4_T5_T6_T7_T9_mT8_P12ihipStream_tbDpT10_ENKUlT_T0_E_clISt17integral_constantIbLb0EES19_IbLb1EEEEDaS15_S16_EUlS15_E_NS1_11comp_targetILNS1_3genE0ELNS1_11target_archE4294967295ELNS1_3gpuE0ELNS1_3repE0EEENS1_30default_config_static_selectorELNS0_4arch9wavefront6targetE1EEEvT1_,@function
_ZN7rocprim17ROCPRIM_400000_NS6detail17trampoline_kernelINS0_14default_configENS1_25partition_config_selectorILNS1_17partition_subalgoE8ExNS0_10empty_typeEbEEZZNS1_14partition_implILS5_8ELb0ES3_jN6thrust23THRUST_200600_302600_NS6detail15normal_iteratorINSA_10device_ptrIxEEEEPS6_PKS6_NS0_5tupleIJSF_S6_EEENSJ_IJSG_SG_EEENS0_18inequality_wrapperI22is_equal_div_10_uniqueIxEEEPmJS6_EEE10hipError_tPvRmT3_T4_T5_T6_T7_T9_mT8_P12ihipStream_tbDpT10_ENKUlT_T0_E_clISt17integral_constantIbLb0EES19_IbLb1EEEEDaS15_S16_EUlS15_E_NS1_11comp_targetILNS1_3genE0ELNS1_11target_archE4294967295ELNS1_3gpuE0ELNS1_3repE0EEENS1_30default_config_static_selectorELNS0_4arch9wavefront6targetE1EEEvT1_: ; @_ZN7rocprim17ROCPRIM_400000_NS6detail17trampoline_kernelINS0_14default_configENS1_25partition_config_selectorILNS1_17partition_subalgoE8ExNS0_10empty_typeEbEEZZNS1_14partition_implILS5_8ELb0ES3_jN6thrust23THRUST_200600_302600_NS6detail15normal_iteratorINSA_10device_ptrIxEEEEPS6_PKS6_NS0_5tupleIJSF_S6_EEENSJ_IJSG_SG_EEENS0_18inequality_wrapperI22is_equal_div_10_uniqueIxEEEPmJS6_EEE10hipError_tPvRmT3_T4_T5_T6_T7_T9_mT8_P12ihipStream_tbDpT10_ENKUlT_T0_E_clISt17integral_constantIbLb0EES19_IbLb1EEEEDaS15_S16_EUlS15_E_NS1_11comp_targetILNS1_3genE0ELNS1_11target_archE4294967295ELNS1_3gpuE0ELNS1_3repE0EEENS1_30default_config_static_selectorELNS0_4arch9wavefront6targetE1EEEvT1_
; %bb.0:
	.section	.rodata,"a",@progbits
	.p2align	6, 0x0
	.amdhsa_kernel _ZN7rocprim17ROCPRIM_400000_NS6detail17trampoline_kernelINS0_14default_configENS1_25partition_config_selectorILNS1_17partition_subalgoE8ExNS0_10empty_typeEbEEZZNS1_14partition_implILS5_8ELb0ES3_jN6thrust23THRUST_200600_302600_NS6detail15normal_iteratorINSA_10device_ptrIxEEEEPS6_PKS6_NS0_5tupleIJSF_S6_EEENSJ_IJSG_SG_EEENS0_18inequality_wrapperI22is_equal_div_10_uniqueIxEEEPmJS6_EEE10hipError_tPvRmT3_T4_T5_T6_T7_T9_mT8_P12ihipStream_tbDpT10_ENKUlT_T0_E_clISt17integral_constantIbLb0EES19_IbLb1EEEEDaS15_S16_EUlS15_E_NS1_11comp_targetILNS1_3genE0ELNS1_11target_archE4294967295ELNS1_3gpuE0ELNS1_3repE0EEENS1_30default_config_static_selectorELNS0_4arch9wavefront6targetE1EEEvT1_
		.amdhsa_group_segment_fixed_size 0
		.amdhsa_private_segment_fixed_size 0
		.amdhsa_kernarg_size 128
		.amdhsa_user_sgpr_count 6
		.amdhsa_user_sgpr_private_segment_buffer 1
		.amdhsa_user_sgpr_dispatch_ptr 0
		.amdhsa_user_sgpr_queue_ptr 0
		.amdhsa_user_sgpr_kernarg_segment_ptr 1
		.amdhsa_user_sgpr_dispatch_id 0
		.amdhsa_user_sgpr_flat_scratch_init 0
		.amdhsa_user_sgpr_private_segment_size 0
		.amdhsa_uses_dynamic_stack 0
		.amdhsa_system_sgpr_private_segment_wavefront_offset 0
		.amdhsa_system_sgpr_workgroup_id_x 1
		.amdhsa_system_sgpr_workgroup_id_y 0
		.amdhsa_system_sgpr_workgroup_id_z 0
		.amdhsa_system_sgpr_workgroup_info 0
		.amdhsa_system_vgpr_workitem_id 0
		.amdhsa_next_free_vgpr 1
		.amdhsa_next_free_sgpr 0
		.amdhsa_reserve_vcc 0
		.amdhsa_reserve_flat_scratch 0
		.amdhsa_float_round_mode_32 0
		.amdhsa_float_round_mode_16_64 0
		.amdhsa_float_denorm_mode_32 3
		.amdhsa_float_denorm_mode_16_64 3
		.amdhsa_dx10_clamp 1
		.amdhsa_ieee_mode 1
		.amdhsa_fp16_overflow 0
		.amdhsa_exception_fp_ieee_invalid_op 0
		.amdhsa_exception_fp_denorm_src 0
		.amdhsa_exception_fp_ieee_div_zero 0
		.amdhsa_exception_fp_ieee_overflow 0
		.amdhsa_exception_fp_ieee_underflow 0
		.amdhsa_exception_fp_ieee_inexact 0
		.amdhsa_exception_int_div_zero 0
	.end_amdhsa_kernel
	.section	.text._ZN7rocprim17ROCPRIM_400000_NS6detail17trampoline_kernelINS0_14default_configENS1_25partition_config_selectorILNS1_17partition_subalgoE8ExNS0_10empty_typeEbEEZZNS1_14partition_implILS5_8ELb0ES3_jN6thrust23THRUST_200600_302600_NS6detail15normal_iteratorINSA_10device_ptrIxEEEEPS6_PKS6_NS0_5tupleIJSF_S6_EEENSJ_IJSG_SG_EEENS0_18inequality_wrapperI22is_equal_div_10_uniqueIxEEEPmJS6_EEE10hipError_tPvRmT3_T4_T5_T6_T7_T9_mT8_P12ihipStream_tbDpT10_ENKUlT_T0_E_clISt17integral_constantIbLb0EES19_IbLb1EEEEDaS15_S16_EUlS15_E_NS1_11comp_targetILNS1_3genE0ELNS1_11target_archE4294967295ELNS1_3gpuE0ELNS1_3repE0EEENS1_30default_config_static_selectorELNS0_4arch9wavefront6targetE1EEEvT1_,"axG",@progbits,_ZN7rocprim17ROCPRIM_400000_NS6detail17trampoline_kernelINS0_14default_configENS1_25partition_config_selectorILNS1_17partition_subalgoE8ExNS0_10empty_typeEbEEZZNS1_14partition_implILS5_8ELb0ES3_jN6thrust23THRUST_200600_302600_NS6detail15normal_iteratorINSA_10device_ptrIxEEEEPS6_PKS6_NS0_5tupleIJSF_S6_EEENSJ_IJSG_SG_EEENS0_18inequality_wrapperI22is_equal_div_10_uniqueIxEEEPmJS6_EEE10hipError_tPvRmT3_T4_T5_T6_T7_T9_mT8_P12ihipStream_tbDpT10_ENKUlT_T0_E_clISt17integral_constantIbLb0EES19_IbLb1EEEEDaS15_S16_EUlS15_E_NS1_11comp_targetILNS1_3genE0ELNS1_11target_archE4294967295ELNS1_3gpuE0ELNS1_3repE0EEENS1_30default_config_static_selectorELNS0_4arch9wavefront6targetE1EEEvT1_,comdat
.Lfunc_end396:
	.size	_ZN7rocprim17ROCPRIM_400000_NS6detail17trampoline_kernelINS0_14default_configENS1_25partition_config_selectorILNS1_17partition_subalgoE8ExNS0_10empty_typeEbEEZZNS1_14partition_implILS5_8ELb0ES3_jN6thrust23THRUST_200600_302600_NS6detail15normal_iteratorINSA_10device_ptrIxEEEEPS6_PKS6_NS0_5tupleIJSF_S6_EEENSJ_IJSG_SG_EEENS0_18inequality_wrapperI22is_equal_div_10_uniqueIxEEEPmJS6_EEE10hipError_tPvRmT3_T4_T5_T6_T7_T9_mT8_P12ihipStream_tbDpT10_ENKUlT_T0_E_clISt17integral_constantIbLb0EES19_IbLb1EEEEDaS15_S16_EUlS15_E_NS1_11comp_targetILNS1_3genE0ELNS1_11target_archE4294967295ELNS1_3gpuE0ELNS1_3repE0EEENS1_30default_config_static_selectorELNS0_4arch9wavefront6targetE1EEEvT1_, .Lfunc_end396-_ZN7rocprim17ROCPRIM_400000_NS6detail17trampoline_kernelINS0_14default_configENS1_25partition_config_selectorILNS1_17partition_subalgoE8ExNS0_10empty_typeEbEEZZNS1_14partition_implILS5_8ELb0ES3_jN6thrust23THRUST_200600_302600_NS6detail15normal_iteratorINSA_10device_ptrIxEEEEPS6_PKS6_NS0_5tupleIJSF_S6_EEENSJ_IJSG_SG_EEENS0_18inequality_wrapperI22is_equal_div_10_uniqueIxEEEPmJS6_EEE10hipError_tPvRmT3_T4_T5_T6_T7_T9_mT8_P12ihipStream_tbDpT10_ENKUlT_T0_E_clISt17integral_constantIbLb0EES19_IbLb1EEEEDaS15_S16_EUlS15_E_NS1_11comp_targetILNS1_3genE0ELNS1_11target_archE4294967295ELNS1_3gpuE0ELNS1_3repE0EEENS1_30default_config_static_selectorELNS0_4arch9wavefront6targetE1EEEvT1_
                                        ; -- End function
	.set _ZN7rocprim17ROCPRIM_400000_NS6detail17trampoline_kernelINS0_14default_configENS1_25partition_config_selectorILNS1_17partition_subalgoE8ExNS0_10empty_typeEbEEZZNS1_14partition_implILS5_8ELb0ES3_jN6thrust23THRUST_200600_302600_NS6detail15normal_iteratorINSA_10device_ptrIxEEEEPS6_PKS6_NS0_5tupleIJSF_S6_EEENSJ_IJSG_SG_EEENS0_18inequality_wrapperI22is_equal_div_10_uniqueIxEEEPmJS6_EEE10hipError_tPvRmT3_T4_T5_T6_T7_T9_mT8_P12ihipStream_tbDpT10_ENKUlT_T0_E_clISt17integral_constantIbLb0EES19_IbLb1EEEEDaS15_S16_EUlS15_E_NS1_11comp_targetILNS1_3genE0ELNS1_11target_archE4294967295ELNS1_3gpuE0ELNS1_3repE0EEENS1_30default_config_static_selectorELNS0_4arch9wavefront6targetE1EEEvT1_.num_vgpr, 0
	.set _ZN7rocprim17ROCPRIM_400000_NS6detail17trampoline_kernelINS0_14default_configENS1_25partition_config_selectorILNS1_17partition_subalgoE8ExNS0_10empty_typeEbEEZZNS1_14partition_implILS5_8ELb0ES3_jN6thrust23THRUST_200600_302600_NS6detail15normal_iteratorINSA_10device_ptrIxEEEEPS6_PKS6_NS0_5tupleIJSF_S6_EEENSJ_IJSG_SG_EEENS0_18inequality_wrapperI22is_equal_div_10_uniqueIxEEEPmJS6_EEE10hipError_tPvRmT3_T4_T5_T6_T7_T9_mT8_P12ihipStream_tbDpT10_ENKUlT_T0_E_clISt17integral_constantIbLb0EES19_IbLb1EEEEDaS15_S16_EUlS15_E_NS1_11comp_targetILNS1_3genE0ELNS1_11target_archE4294967295ELNS1_3gpuE0ELNS1_3repE0EEENS1_30default_config_static_selectorELNS0_4arch9wavefront6targetE1EEEvT1_.num_agpr, 0
	.set _ZN7rocprim17ROCPRIM_400000_NS6detail17trampoline_kernelINS0_14default_configENS1_25partition_config_selectorILNS1_17partition_subalgoE8ExNS0_10empty_typeEbEEZZNS1_14partition_implILS5_8ELb0ES3_jN6thrust23THRUST_200600_302600_NS6detail15normal_iteratorINSA_10device_ptrIxEEEEPS6_PKS6_NS0_5tupleIJSF_S6_EEENSJ_IJSG_SG_EEENS0_18inequality_wrapperI22is_equal_div_10_uniqueIxEEEPmJS6_EEE10hipError_tPvRmT3_T4_T5_T6_T7_T9_mT8_P12ihipStream_tbDpT10_ENKUlT_T0_E_clISt17integral_constantIbLb0EES19_IbLb1EEEEDaS15_S16_EUlS15_E_NS1_11comp_targetILNS1_3genE0ELNS1_11target_archE4294967295ELNS1_3gpuE0ELNS1_3repE0EEENS1_30default_config_static_selectorELNS0_4arch9wavefront6targetE1EEEvT1_.numbered_sgpr, 0
	.set _ZN7rocprim17ROCPRIM_400000_NS6detail17trampoline_kernelINS0_14default_configENS1_25partition_config_selectorILNS1_17partition_subalgoE8ExNS0_10empty_typeEbEEZZNS1_14partition_implILS5_8ELb0ES3_jN6thrust23THRUST_200600_302600_NS6detail15normal_iteratorINSA_10device_ptrIxEEEEPS6_PKS6_NS0_5tupleIJSF_S6_EEENSJ_IJSG_SG_EEENS0_18inequality_wrapperI22is_equal_div_10_uniqueIxEEEPmJS6_EEE10hipError_tPvRmT3_T4_T5_T6_T7_T9_mT8_P12ihipStream_tbDpT10_ENKUlT_T0_E_clISt17integral_constantIbLb0EES19_IbLb1EEEEDaS15_S16_EUlS15_E_NS1_11comp_targetILNS1_3genE0ELNS1_11target_archE4294967295ELNS1_3gpuE0ELNS1_3repE0EEENS1_30default_config_static_selectorELNS0_4arch9wavefront6targetE1EEEvT1_.num_named_barrier, 0
	.set _ZN7rocprim17ROCPRIM_400000_NS6detail17trampoline_kernelINS0_14default_configENS1_25partition_config_selectorILNS1_17partition_subalgoE8ExNS0_10empty_typeEbEEZZNS1_14partition_implILS5_8ELb0ES3_jN6thrust23THRUST_200600_302600_NS6detail15normal_iteratorINSA_10device_ptrIxEEEEPS6_PKS6_NS0_5tupleIJSF_S6_EEENSJ_IJSG_SG_EEENS0_18inequality_wrapperI22is_equal_div_10_uniqueIxEEEPmJS6_EEE10hipError_tPvRmT3_T4_T5_T6_T7_T9_mT8_P12ihipStream_tbDpT10_ENKUlT_T0_E_clISt17integral_constantIbLb0EES19_IbLb1EEEEDaS15_S16_EUlS15_E_NS1_11comp_targetILNS1_3genE0ELNS1_11target_archE4294967295ELNS1_3gpuE0ELNS1_3repE0EEENS1_30default_config_static_selectorELNS0_4arch9wavefront6targetE1EEEvT1_.private_seg_size, 0
	.set _ZN7rocprim17ROCPRIM_400000_NS6detail17trampoline_kernelINS0_14default_configENS1_25partition_config_selectorILNS1_17partition_subalgoE8ExNS0_10empty_typeEbEEZZNS1_14partition_implILS5_8ELb0ES3_jN6thrust23THRUST_200600_302600_NS6detail15normal_iteratorINSA_10device_ptrIxEEEEPS6_PKS6_NS0_5tupleIJSF_S6_EEENSJ_IJSG_SG_EEENS0_18inequality_wrapperI22is_equal_div_10_uniqueIxEEEPmJS6_EEE10hipError_tPvRmT3_T4_T5_T6_T7_T9_mT8_P12ihipStream_tbDpT10_ENKUlT_T0_E_clISt17integral_constantIbLb0EES19_IbLb1EEEEDaS15_S16_EUlS15_E_NS1_11comp_targetILNS1_3genE0ELNS1_11target_archE4294967295ELNS1_3gpuE0ELNS1_3repE0EEENS1_30default_config_static_selectorELNS0_4arch9wavefront6targetE1EEEvT1_.uses_vcc, 0
	.set _ZN7rocprim17ROCPRIM_400000_NS6detail17trampoline_kernelINS0_14default_configENS1_25partition_config_selectorILNS1_17partition_subalgoE8ExNS0_10empty_typeEbEEZZNS1_14partition_implILS5_8ELb0ES3_jN6thrust23THRUST_200600_302600_NS6detail15normal_iteratorINSA_10device_ptrIxEEEEPS6_PKS6_NS0_5tupleIJSF_S6_EEENSJ_IJSG_SG_EEENS0_18inequality_wrapperI22is_equal_div_10_uniqueIxEEEPmJS6_EEE10hipError_tPvRmT3_T4_T5_T6_T7_T9_mT8_P12ihipStream_tbDpT10_ENKUlT_T0_E_clISt17integral_constantIbLb0EES19_IbLb1EEEEDaS15_S16_EUlS15_E_NS1_11comp_targetILNS1_3genE0ELNS1_11target_archE4294967295ELNS1_3gpuE0ELNS1_3repE0EEENS1_30default_config_static_selectorELNS0_4arch9wavefront6targetE1EEEvT1_.uses_flat_scratch, 0
	.set _ZN7rocprim17ROCPRIM_400000_NS6detail17trampoline_kernelINS0_14default_configENS1_25partition_config_selectorILNS1_17partition_subalgoE8ExNS0_10empty_typeEbEEZZNS1_14partition_implILS5_8ELb0ES3_jN6thrust23THRUST_200600_302600_NS6detail15normal_iteratorINSA_10device_ptrIxEEEEPS6_PKS6_NS0_5tupleIJSF_S6_EEENSJ_IJSG_SG_EEENS0_18inequality_wrapperI22is_equal_div_10_uniqueIxEEEPmJS6_EEE10hipError_tPvRmT3_T4_T5_T6_T7_T9_mT8_P12ihipStream_tbDpT10_ENKUlT_T0_E_clISt17integral_constantIbLb0EES19_IbLb1EEEEDaS15_S16_EUlS15_E_NS1_11comp_targetILNS1_3genE0ELNS1_11target_archE4294967295ELNS1_3gpuE0ELNS1_3repE0EEENS1_30default_config_static_selectorELNS0_4arch9wavefront6targetE1EEEvT1_.has_dyn_sized_stack, 0
	.set _ZN7rocprim17ROCPRIM_400000_NS6detail17trampoline_kernelINS0_14default_configENS1_25partition_config_selectorILNS1_17partition_subalgoE8ExNS0_10empty_typeEbEEZZNS1_14partition_implILS5_8ELb0ES3_jN6thrust23THRUST_200600_302600_NS6detail15normal_iteratorINSA_10device_ptrIxEEEEPS6_PKS6_NS0_5tupleIJSF_S6_EEENSJ_IJSG_SG_EEENS0_18inequality_wrapperI22is_equal_div_10_uniqueIxEEEPmJS6_EEE10hipError_tPvRmT3_T4_T5_T6_T7_T9_mT8_P12ihipStream_tbDpT10_ENKUlT_T0_E_clISt17integral_constantIbLb0EES19_IbLb1EEEEDaS15_S16_EUlS15_E_NS1_11comp_targetILNS1_3genE0ELNS1_11target_archE4294967295ELNS1_3gpuE0ELNS1_3repE0EEENS1_30default_config_static_selectorELNS0_4arch9wavefront6targetE1EEEvT1_.has_recursion, 0
	.set _ZN7rocprim17ROCPRIM_400000_NS6detail17trampoline_kernelINS0_14default_configENS1_25partition_config_selectorILNS1_17partition_subalgoE8ExNS0_10empty_typeEbEEZZNS1_14partition_implILS5_8ELb0ES3_jN6thrust23THRUST_200600_302600_NS6detail15normal_iteratorINSA_10device_ptrIxEEEEPS6_PKS6_NS0_5tupleIJSF_S6_EEENSJ_IJSG_SG_EEENS0_18inequality_wrapperI22is_equal_div_10_uniqueIxEEEPmJS6_EEE10hipError_tPvRmT3_T4_T5_T6_T7_T9_mT8_P12ihipStream_tbDpT10_ENKUlT_T0_E_clISt17integral_constantIbLb0EES19_IbLb1EEEEDaS15_S16_EUlS15_E_NS1_11comp_targetILNS1_3genE0ELNS1_11target_archE4294967295ELNS1_3gpuE0ELNS1_3repE0EEENS1_30default_config_static_selectorELNS0_4arch9wavefront6targetE1EEEvT1_.has_indirect_call, 0
	.section	.AMDGPU.csdata,"",@progbits
; Kernel info:
; codeLenInByte = 0
; TotalNumSgprs: 4
; NumVgprs: 0
; ScratchSize: 0
; MemoryBound: 0
; FloatMode: 240
; IeeeMode: 1
; LDSByteSize: 0 bytes/workgroup (compile time only)
; SGPRBlocks: 0
; VGPRBlocks: 0
; NumSGPRsForWavesPerEU: 4
; NumVGPRsForWavesPerEU: 1
; Occupancy: 10
; WaveLimiterHint : 0
; COMPUTE_PGM_RSRC2:SCRATCH_EN: 0
; COMPUTE_PGM_RSRC2:USER_SGPR: 6
; COMPUTE_PGM_RSRC2:TRAP_HANDLER: 0
; COMPUTE_PGM_RSRC2:TGID_X_EN: 1
; COMPUTE_PGM_RSRC2:TGID_Y_EN: 0
; COMPUTE_PGM_RSRC2:TGID_Z_EN: 0
; COMPUTE_PGM_RSRC2:TIDIG_COMP_CNT: 0
	.section	.text._ZN7rocprim17ROCPRIM_400000_NS6detail17trampoline_kernelINS0_14default_configENS1_25partition_config_selectorILNS1_17partition_subalgoE8ExNS0_10empty_typeEbEEZZNS1_14partition_implILS5_8ELb0ES3_jN6thrust23THRUST_200600_302600_NS6detail15normal_iteratorINSA_10device_ptrIxEEEEPS6_PKS6_NS0_5tupleIJSF_S6_EEENSJ_IJSG_SG_EEENS0_18inequality_wrapperI22is_equal_div_10_uniqueIxEEEPmJS6_EEE10hipError_tPvRmT3_T4_T5_T6_T7_T9_mT8_P12ihipStream_tbDpT10_ENKUlT_T0_E_clISt17integral_constantIbLb0EES19_IbLb1EEEEDaS15_S16_EUlS15_E_NS1_11comp_targetILNS1_3genE5ELNS1_11target_archE942ELNS1_3gpuE9ELNS1_3repE0EEENS1_30default_config_static_selectorELNS0_4arch9wavefront6targetE1EEEvT1_,"axG",@progbits,_ZN7rocprim17ROCPRIM_400000_NS6detail17trampoline_kernelINS0_14default_configENS1_25partition_config_selectorILNS1_17partition_subalgoE8ExNS0_10empty_typeEbEEZZNS1_14partition_implILS5_8ELb0ES3_jN6thrust23THRUST_200600_302600_NS6detail15normal_iteratorINSA_10device_ptrIxEEEEPS6_PKS6_NS0_5tupleIJSF_S6_EEENSJ_IJSG_SG_EEENS0_18inequality_wrapperI22is_equal_div_10_uniqueIxEEEPmJS6_EEE10hipError_tPvRmT3_T4_T5_T6_T7_T9_mT8_P12ihipStream_tbDpT10_ENKUlT_T0_E_clISt17integral_constantIbLb0EES19_IbLb1EEEEDaS15_S16_EUlS15_E_NS1_11comp_targetILNS1_3genE5ELNS1_11target_archE942ELNS1_3gpuE9ELNS1_3repE0EEENS1_30default_config_static_selectorELNS0_4arch9wavefront6targetE1EEEvT1_,comdat
	.protected	_ZN7rocprim17ROCPRIM_400000_NS6detail17trampoline_kernelINS0_14default_configENS1_25partition_config_selectorILNS1_17partition_subalgoE8ExNS0_10empty_typeEbEEZZNS1_14partition_implILS5_8ELb0ES3_jN6thrust23THRUST_200600_302600_NS6detail15normal_iteratorINSA_10device_ptrIxEEEEPS6_PKS6_NS0_5tupleIJSF_S6_EEENSJ_IJSG_SG_EEENS0_18inequality_wrapperI22is_equal_div_10_uniqueIxEEEPmJS6_EEE10hipError_tPvRmT3_T4_T5_T6_T7_T9_mT8_P12ihipStream_tbDpT10_ENKUlT_T0_E_clISt17integral_constantIbLb0EES19_IbLb1EEEEDaS15_S16_EUlS15_E_NS1_11comp_targetILNS1_3genE5ELNS1_11target_archE942ELNS1_3gpuE9ELNS1_3repE0EEENS1_30default_config_static_selectorELNS0_4arch9wavefront6targetE1EEEvT1_ ; -- Begin function _ZN7rocprim17ROCPRIM_400000_NS6detail17trampoline_kernelINS0_14default_configENS1_25partition_config_selectorILNS1_17partition_subalgoE8ExNS0_10empty_typeEbEEZZNS1_14partition_implILS5_8ELb0ES3_jN6thrust23THRUST_200600_302600_NS6detail15normal_iteratorINSA_10device_ptrIxEEEEPS6_PKS6_NS0_5tupleIJSF_S6_EEENSJ_IJSG_SG_EEENS0_18inequality_wrapperI22is_equal_div_10_uniqueIxEEEPmJS6_EEE10hipError_tPvRmT3_T4_T5_T6_T7_T9_mT8_P12ihipStream_tbDpT10_ENKUlT_T0_E_clISt17integral_constantIbLb0EES19_IbLb1EEEEDaS15_S16_EUlS15_E_NS1_11comp_targetILNS1_3genE5ELNS1_11target_archE942ELNS1_3gpuE9ELNS1_3repE0EEENS1_30default_config_static_selectorELNS0_4arch9wavefront6targetE1EEEvT1_
	.globl	_ZN7rocprim17ROCPRIM_400000_NS6detail17trampoline_kernelINS0_14default_configENS1_25partition_config_selectorILNS1_17partition_subalgoE8ExNS0_10empty_typeEbEEZZNS1_14partition_implILS5_8ELb0ES3_jN6thrust23THRUST_200600_302600_NS6detail15normal_iteratorINSA_10device_ptrIxEEEEPS6_PKS6_NS0_5tupleIJSF_S6_EEENSJ_IJSG_SG_EEENS0_18inequality_wrapperI22is_equal_div_10_uniqueIxEEEPmJS6_EEE10hipError_tPvRmT3_T4_T5_T6_T7_T9_mT8_P12ihipStream_tbDpT10_ENKUlT_T0_E_clISt17integral_constantIbLb0EES19_IbLb1EEEEDaS15_S16_EUlS15_E_NS1_11comp_targetILNS1_3genE5ELNS1_11target_archE942ELNS1_3gpuE9ELNS1_3repE0EEENS1_30default_config_static_selectorELNS0_4arch9wavefront6targetE1EEEvT1_
	.p2align	8
	.type	_ZN7rocprim17ROCPRIM_400000_NS6detail17trampoline_kernelINS0_14default_configENS1_25partition_config_selectorILNS1_17partition_subalgoE8ExNS0_10empty_typeEbEEZZNS1_14partition_implILS5_8ELb0ES3_jN6thrust23THRUST_200600_302600_NS6detail15normal_iteratorINSA_10device_ptrIxEEEEPS6_PKS6_NS0_5tupleIJSF_S6_EEENSJ_IJSG_SG_EEENS0_18inequality_wrapperI22is_equal_div_10_uniqueIxEEEPmJS6_EEE10hipError_tPvRmT3_T4_T5_T6_T7_T9_mT8_P12ihipStream_tbDpT10_ENKUlT_T0_E_clISt17integral_constantIbLb0EES19_IbLb1EEEEDaS15_S16_EUlS15_E_NS1_11comp_targetILNS1_3genE5ELNS1_11target_archE942ELNS1_3gpuE9ELNS1_3repE0EEENS1_30default_config_static_selectorELNS0_4arch9wavefront6targetE1EEEvT1_,@function
_ZN7rocprim17ROCPRIM_400000_NS6detail17trampoline_kernelINS0_14default_configENS1_25partition_config_selectorILNS1_17partition_subalgoE8ExNS0_10empty_typeEbEEZZNS1_14partition_implILS5_8ELb0ES3_jN6thrust23THRUST_200600_302600_NS6detail15normal_iteratorINSA_10device_ptrIxEEEEPS6_PKS6_NS0_5tupleIJSF_S6_EEENSJ_IJSG_SG_EEENS0_18inequality_wrapperI22is_equal_div_10_uniqueIxEEEPmJS6_EEE10hipError_tPvRmT3_T4_T5_T6_T7_T9_mT8_P12ihipStream_tbDpT10_ENKUlT_T0_E_clISt17integral_constantIbLb0EES19_IbLb1EEEEDaS15_S16_EUlS15_E_NS1_11comp_targetILNS1_3genE5ELNS1_11target_archE942ELNS1_3gpuE9ELNS1_3repE0EEENS1_30default_config_static_selectorELNS0_4arch9wavefront6targetE1EEEvT1_: ; @_ZN7rocprim17ROCPRIM_400000_NS6detail17trampoline_kernelINS0_14default_configENS1_25partition_config_selectorILNS1_17partition_subalgoE8ExNS0_10empty_typeEbEEZZNS1_14partition_implILS5_8ELb0ES3_jN6thrust23THRUST_200600_302600_NS6detail15normal_iteratorINSA_10device_ptrIxEEEEPS6_PKS6_NS0_5tupleIJSF_S6_EEENSJ_IJSG_SG_EEENS0_18inequality_wrapperI22is_equal_div_10_uniqueIxEEEPmJS6_EEE10hipError_tPvRmT3_T4_T5_T6_T7_T9_mT8_P12ihipStream_tbDpT10_ENKUlT_T0_E_clISt17integral_constantIbLb0EES19_IbLb1EEEEDaS15_S16_EUlS15_E_NS1_11comp_targetILNS1_3genE5ELNS1_11target_archE942ELNS1_3gpuE9ELNS1_3repE0EEENS1_30default_config_static_selectorELNS0_4arch9wavefront6targetE1EEEvT1_
; %bb.0:
	.section	.rodata,"a",@progbits
	.p2align	6, 0x0
	.amdhsa_kernel _ZN7rocprim17ROCPRIM_400000_NS6detail17trampoline_kernelINS0_14default_configENS1_25partition_config_selectorILNS1_17partition_subalgoE8ExNS0_10empty_typeEbEEZZNS1_14partition_implILS5_8ELb0ES3_jN6thrust23THRUST_200600_302600_NS6detail15normal_iteratorINSA_10device_ptrIxEEEEPS6_PKS6_NS0_5tupleIJSF_S6_EEENSJ_IJSG_SG_EEENS0_18inequality_wrapperI22is_equal_div_10_uniqueIxEEEPmJS6_EEE10hipError_tPvRmT3_T4_T5_T6_T7_T9_mT8_P12ihipStream_tbDpT10_ENKUlT_T0_E_clISt17integral_constantIbLb0EES19_IbLb1EEEEDaS15_S16_EUlS15_E_NS1_11comp_targetILNS1_3genE5ELNS1_11target_archE942ELNS1_3gpuE9ELNS1_3repE0EEENS1_30default_config_static_selectorELNS0_4arch9wavefront6targetE1EEEvT1_
		.amdhsa_group_segment_fixed_size 0
		.amdhsa_private_segment_fixed_size 0
		.amdhsa_kernarg_size 128
		.amdhsa_user_sgpr_count 6
		.amdhsa_user_sgpr_private_segment_buffer 1
		.amdhsa_user_sgpr_dispatch_ptr 0
		.amdhsa_user_sgpr_queue_ptr 0
		.amdhsa_user_sgpr_kernarg_segment_ptr 1
		.amdhsa_user_sgpr_dispatch_id 0
		.amdhsa_user_sgpr_flat_scratch_init 0
		.amdhsa_user_sgpr_private_segment_size 0
		.amdhsa_uses_dynamic_stack 0
		.amdhsa_system_sgpr_private_segment_wavefront_offset 0
		.amdhsa_system_sgpr_workgroup_id_x 1
		.amdhsa_system_sgpr_workgroup_id_y 0
		.amdhsa_system_sgpr_workgroup_id_z 0
		.amdhsa_system_sgpr_workgroup_info 0
		.amdhsa_system_vgpr_workitem_id 0
		.amdhsa_next_free_vgpr 1
		.amdhsa_next_free_sgpr 0
		.amdhsa_reserve_vcc 0
		.amdhsa_reserve_flat_scratch 0
		.amdhsa_float_round_mode_32 0
		.amdhsa_float_round_mode_16_64 0
		.amdhsa_float_denorm_mode_32 3
		.amdhsa_float_denorm_mode_16_64 3
		.amdhsa_dx10_clamp 1
		.amdhsa_ieee_mode 1
		.amdhsa_fp16_overflow 0
		.amdhsa_exception_fp_ieee_invalid_op 0
		.amdhsa_exception_fp_denorm_src 0
		.amdhsa_exception_fp_ieee_div_zero 0
		.amdhsa_exception_fp_ieee_overflow 0
		.amdhsa_exception_fp_ieee_underflow 0
		.amdhsa_exception_fp_ieee_inexact 0
		.amdhsa_exception_int_div_zero 0
	.end_amdhsa_kernel
	.section	.text._ZN7rocprim17ROCPRIM_400000_NS6detail17trampoline_kernelINS0_14default_configENS1_25partition_config_selectorILNS1_17partition_subalgoE8ExNS0_10empty_typeEbEEZZNS1_14partition_implILS5_8ELb0ES3_jN6thrust23THRUST_200600_302600_NS6detail15normal_iteratorINSA_10device_ptrIxEEEEPS6_PKS6_NS0_5tupleIJSF_S6_EEENSJ_IJSG_SG_EEENS0_18inequality_wrapperI22is_equal_div_10_uniqueIxEEEPmJS6_EEE10hipError_tPvRmT3_T4_T5_T6_T7_T9_mT8_P12ihipStream_tbDpT10_ENKUlT_T0_E_clISt17integral_constantIbLb0EES19_IbLb1EEEEDaS15_S16_EUlS15_E_NS1_11comp_targetILNS1_3genE5ELNS1_11target_archE942ELNS1_3gpuE9ELNS1_3repE0EEENS1_30default_config_static_selectorELNS0_4arch9wavefront6targetE1EEEvT1_,"axG",@progbits,_ZN7rocprim17ROCPRIM_400000_NS6detail17trampoline_kernelINS0_14default_configENS1_25partition_config_selectorILNS1_17partition_subalgoE8ExNS0_10empty_typeEbEEZZNS1_14partition_implILS5_8ELb0ES3_jN6thrust23THRUST_200600_302600_NS6detail15normal_iteratorINSA_10device_ptrIxEEEEPS6_PKS6_NS0_5tupleIJSF_S6_EEENSJ_IJSG_SG_EEENS0_18inequality_wrapperI22is_equal_div_10_uniqueIxEEEPmJS6_EEE10hipError_tPvRmT3_T4_T5_T6_T7_T9_mT8_P12ihipStream_tbDpT10_ENKUlT_T0_E_clISt17integral_constantIbLb0EES19_IbLb1EEEEDaS15_S16_EUlS15_E_NS1_11comp_targetILNS1_3genE5ELNS1_11target_archE942ELNS1_3gpuE9ELNS1_3repE0EEENS1_30default_config_static_selectorELNS0_4arch9wavefront6targetE1EEEvT1_,comdat
.Lfunc_end397:
	.size	_ZN7rocprim17ROCPRIM_400000_NS6detail17trampoline_kernelINS0_14default_configENS1_25partition_config_selectorILNS1_17partition_subalgoE8ExNS0_10empty_typeEbEEZZNS1_14partition_implILS5_8ELb0ES3_jN6thrust23THRUST_200600_302600_NS6detail15normal_iteratorINSA_10device_ptrIxEEEEPS6_PKS6_NS0_5tupleIJSF_S6_EEENSJ_IJSG_SG_EEENS0_18inequality_wrapperI22is_equal_div_10_uniqueIxEEEPmJS6_EEE10hipError_tPvRmT3_T4_T5_T6_T7_T9_mT8_P12ihipStream_tbDpT10_ENKUlT_T0_E_clISt17integral_constantIbLb0EES19_IbLb1EEEEDaS15_S16_EUlS15_E_NS1_11comp_targetILNS1_3genE5ELNS1_11target_archE942ELNS1_3gpuE9ELNS1_3repE0EEENS1_30default_config_static_selectorELNS0_4arch9wavefront6targetE1EEEvT1_, .Lfunc_end397-_ZN7rocprim17ROCPRIM_400000_NS6detail17trampoline_kernelINS0_14default_configENS1_25partition_config_selectorILNS1_17partition_subalgoE8ExNS0_10empty_typeEbEEZZNS1_14partition_implILS5_8ELb0ES3_jN6thrust23THRUST_200600_302600_NS6detail15normal_iteratorINSA_10device_ptrIxEEEEPS6_PKS6_NS0_5tupleIJSF_S6_EEENSJ_IJSG_SG_EEENS0_18inequality_wrapperI22is_equal_div_10_uniqueIxEEEPmJS6_EEE10hipError_tPvRmT3_T4_T5_T6_T7_T9_mT8_P12ihipStream_tbDpT10_ENKUlT_T0_E_clISt17integral_constantIbLb0EES19_IbLb1EEEEDaS15_S16_EUlS15_E_NS1_11comp_targetILNS1_3genE5ELNS1_11target_archE942ELNS1_3gpuE9ELNS1_3repE0EEENS1_30default_config_static_selectorELNS0_4arch9wavefront6targetE1EEEvT1_
                                        ; -- End function
	.set _ZN7rocprim17ROCPRIM_400000_NS6detail17trampoline_kernelINS0_14default_configENS1_25partition_config_selectorILNS1_17partition_subalgoE8ExNS0_10empty_typeEbEEZZNS1_14partition_implILS5_8ELb0ES3_jN6thrust23THRUST_200600_302600_NS6detail15normal_iteratorINSA_10device_ptrIxEEEEPS6_PKS6_NS0_5tupleIJSF_S6_EEENSJ_IJSG_SG_EEENS0_18inequality_wrapperI22is_equal_div_10_uniqueIxEEEPmJS6_EEE10hipError_tPvRmT3_T4_T5_T6_T7_T9_mT8_P12ihipStream_tbDpT10_ENKUlT_T0_E_clISt17integral_constantIbLb0EES19_IbLb1EEEEDaS15_S16_EUlS15_E_NS1_11comp_targetILNS1_3genE5ELNS1_11target_archE942ELNS1_3gpuE9ELNS1_3repE0EEENS1_30default_config_static_selectorELNS0_4arch9wavefront6targetE1EEEvT1_.num_vgpr, 0
	.set _ZN7rocprim17ROCPRIM_400000_NS6detail17trampoline_kernelINS0_14default_configENS1_25partition_config_selectorILNS1_17partition_subalgoE8ExNS0_10empty_typeEbEEZZNS1_14partition_implILS5_8ELb0ES3_jN6thrust23THRUST_200600_302600_NS6detail15normal_iteratorINSA_10device_ptrIxEEEEPS6_PKS6_NS0_5tupleIJSF_S6_EEENSJ_IJSG_SG_EEENS0_18inequality_wrapperI22is_equal_div_10_uniqueIxEEEPmJS6_EEE10hipError_tPvRmT3_T4_T5_T6_T7_T9_mT8_P12ihipStream_tbDpT10_ENKUlT_T0_E_clISt17integral_constantIbLb0EES19_IbLb1EEEEDaS15_S16_EUlS15_E_NS1_11comp_targetILNS1_3genE5ELNS1_11target_archE942ELNS1_3gpuE9ELNS1_3repE0EEENS1_30default_config_static_selectorELNS0_4arch9wavefront6targetE1EEEvT1_.num_agpr, 0
	.set _ZN7rocprim17ROCPRIM_400000_NS6detail17trampoline_kernelINS0_14default_configENS1_25partition_config_selectorILNS1_17partition_subalgoE8ExNS0_10empty_typeEbEEZZNS1_14partition_implILS5_8ELb0ES3_jN6thrust23THRUST_200600_302600_NS6detail15normal_iteratorINSA_10device_ptrIxEEEEPS6_PKS6_NS0_5tupleIJSF_S6_EEENSJ_IJSG_SG_EEENS0_18inequality_wrapperI22is_equal_div_10_uniqueIxEEEPmJS6_EEE10hipError_tPvRmT3_T4_T5_T6_T7_T9_mT8_P12ihipStream_tbDpT10_ENKUlT_T0_E_clISt17integral_constantIbLb0EES19_IbLb1EEEEDaS15_S16_EUlS15_E_NS1_11comp_targetILNS1_3genE5ELNS1_11target_archE942ELNS1_3gpuE9ELNS1_3repE0EEENS1_30default_config_static_selectorELNS0_4arch9wavefront6targetE1EEEvT1_.numbered_sgpr, 0
	.set _ZN7rocprim17ROCPRIM_400000_NS6detail17trampoline_kernelINS0_14default_configENS1_25partition_config_selectorILNS1_17partition_subalgoE8ExNS0_10empty_typeEbEEZZNS1_14partition_implILS5_8ELb0ES3_jN6thrust23THRUST_200600_302600_NS6detail15normal_iteratorINSA_10device_ptrIxEEEEPS6_PKS6_NS0_5tupleIJSF_S6_EEENSJ_IJSG_SG_EEENS0_18inequality_wrapperI22is_equal_div_10_uniqueIxEEEPmJS6_EEE10hipError_tPvRmT3_T4_T5_T6_T7_T9_mT8_P12ihipStream_tbDpT10_ENKUlT_T0_E_clISt17integral_constantIbLb0EES19_IbLb1EEEEDaS15_S16_EUlS15_E_NS1_11comp_targetILNS1_3genE5ELNS1_11target_archE942ELNS1_3gpuE9ELNS1_3repE0EEENS1_30default_config_static_selectorELNS0_4arch9wavefront6targetE1EEEvT1_.num_named_barrier, 0
	.set _ZN7rocprim17ROCPRIM_400000_NS6detail17trampoline_kernelINS0_14default_configENS1_25partition_config_selectorILNS1_17partition_subalgoE8ExNS0_10empty_typeEbEEZZNS1_14partition_implILS5_8ELb0ES3_jN6thrust23THRUST_200600_302600_NS6detail15normal_iteratorINSA_10device_ptrIxEEEEPS6_PKS6_NS0_5tupleIJSF_S6_EEENSJ_IJSG_SG_EEENS0_18inequality_wrapperI22is_equal_div_10_uniqueIxEEEPmJS6_EEE10hipError_tPvRmT3_T4_T5_T6_T7_T9_mT8_P12ihipStream_tbDpT10_ENKUlT_T0_E_clISt17integral_constantIbLb0EES19_IbLb1EEEEDaS15_S16_EUlS15_E_NS1_11comp_targetILNS1_3genE5ELNS1_11target_archE942ELNS1_3gpuE9ELNS1_3repE0EEENS1_30default_config_static_selectorELNS0_4arch9wavefront6targetE1EEEvT1_.private_seg_size, 0
	.set _ZN7rocprim17ROCPRIM_400000_NS6detail17trampoline_kernelINS0_14default_configENS1_25partition_config_selectorILNS1_17partition_subalgoE8ExNS0_10empty_typeEbEEZZNS1_14partition_implILS5_8ELb0ES3_jN6thrust23THRUST_200600_302600_NS6detail15normal_iteratorINSA_10device_ptrIxEEEEPS6_PKS6_NS0_5tupleIJSF_S6_EEENSJ_IJSG_SG_EEENS0_18inequality_wrapperI22is_equal_div_10_uniqueIxEEEPmJS6_EEE10hipError_tPvRmT3_T4_T5_T6_T7_T9_mT8_P12ihipStream_tbDpT10_ENKUlT_T0_E_clISt17integral_constantIbLb0EES19_IbLb1EEEEDaS15_S16_EUlS15_E_NS1_11comp_targetILNS1_3genE5ELNS1_11target_archE942ELNS1_3gpuE9ELNS1_3repE0EEENS1_30default_config_static_selectorELNS0_4arch9wavefront6targetE1EEEvT1_.uses_vcc, 0
	.set _ZN7rocprim17ROCPRIM_400000_NS6detail17trampoline_kernelINS0_14default_configENS1_25partition_config_selectorILNS1_17partition_subalgoE8ExNS0_10empty_typeEbEEZZNS1_14partition_implILS5_8ELb0ES3_jN6thrust23THRUST_200600_302600_NS6detail15normal_iteratorINSA_10device_ptrIxEEEEPS6_PKS6_NS0_5tupleIJSF_S6_EEENSJ_IJSG_SG_EEENS0_18inequality_wrapperI22is_equal_div_10_uniqueIxEEEPmJS6_EEE10hipError_tPvRmT3_T4_T5_T6_T7_T9_mT8_P12ihipStream_tbDpT10_ENKUlT_T0_E_clISt17integral_constantIbLb0EES19_IbLb1EEEEDaS15_S16_EUlS15_E_NS1_11comp_targetILNS1_3genE5ELNS1_11target_archE942ELNS1_3gpuE9ELNS1_3repE0EEENS1_30default_config_static_selectorELNS0_4arch9wavefront6targetE1EEEvT1_.uses_flat_scratch, 0
	.set _ZN7rocprim17ROCPRIM_400000_NS6detail17trampoline_kernelINS0_14default_configENS1_25partition_config_selectorILNS1_17partition_subalgoE8ExNS0_10empty_typeEbEEZZNS1_14partition_implILS5_8ELb0ES3_jN6thrust23THRUST_200600_302600_NS6detail15normal_iteratorINSA_10device_ptrIxEEEEPS6_PKS6_NS0_5tupleIJSF_S6_EEENSJ_IJSG_SG_EEENS0_18inequality_wrapperI22is_equal_div_10_uniqueIxEEEPmJS6_EEE10hipError_tPvRmT3_T4_T5_T6_T7_T9_mT8_P12ihipStream_tbDpT10_ENKUlT_T0_E_clISt17integral_constantIbLb0EES19_IbLb1EEEEDaS15_S16_EUlS15_E_NS1_11comp_targetILNS1_3genE5ELNS1_11target_archE942ELNS1_3gpuE9ELNS1_3repE0EEENS1_30default_config_static_selectorELNS0_4arch9wavefront6targetE1EEEvT1_.has_dyn_sized_stack, 0
	.set _ZN7rocprim17ROCPRIM_400000_NS6detail17trampoline_kernelINS0_14default_configENS1_25partition_config_selectorILNS1_17partition_subalgoE8ExNS0_10empty_typeEbEEZZNS1_14partition_implILS5_8ELb0ES3_jN6thrust23THRUST_200600_302600_NS6detail15normal_iteratorINSA_10device_ptrIxEEEEPS6_PKS6_NS0_5tupleIJSF_S6_EEENSJ_IJSG_SG_EEENS0_18inequality_wrapperI22is_equal_div_10_uniqueIxEEEPmJS6_EEE10hipError_tPvRmT3_T4_T5_T6_T7_T9_mT8_P12ihipStream_tbDpT10_ENKUlT_T0_E_clISt17integral_constantIbLb0EES19_IbLb1EEEEDaS15_S16_EUlS15_E_NS1_11comp_targetILNS1_3genE5ELNS1_11target_archE942ELNS1_3gpuE9ELNS1_3repE0EEENS1_30default_config_static_selectorELNS0_4arch9wavefront6targetE1EEEvT1_.has_recursion, 0
	.set _ZN7rocprim17ROCPRIM_400000_NS6detail17trampoline_kernelINS0_14default_configENS1_25partition_config_selectorILNS1_17partition_subalgoE8ExNS0_10empty_typeEbEEZZNS1_14partition_implILS5_8ELb0ES3_jN6thrust23THRUST_200600_302600_NS6detail15normal_iteratorINSA_10device_ptrIxEEEEPS6_PKS6_NS0_5tupleIJSF_S6_EEENSJ_IJSG_SG_EEENS0_18inequality_wrapperI22is_equal_div_10_uniqueIxEEEPmJS6_EEE10hipError_tPvRmT3_T4_T5_T6_T7_T9_mT8_P12ihipStream_tbDpT10_ENKUlT_T0_E_clISt17integral_constantIbLb0EES19_IbLb1EEEEDaS15_S16_EUlS15_E_NS1_11comp_targetILNS1_3genE5ELNS1_11target_archE942ELNS1_3gpuE9ELNS1_3repE0EEENS1_30default_config_static_selectorELNS0_4arch9wavefront6targetE1EEEvT1_.has_indirect_call, 0
	.section	.AMDGPU.csdata,"",@progbits
; Kernel info:
; codeLenInByte = 0
; TotalNumSgprs: 4
; NumVgprs: 0
; ScratchSize: 0
; MemoryBound: 0
; FloatMode: 240
; IeeeMode: 1
; LDSByteSize: 0 bytes/workgroup (compile time only)
; SGPRBlocks: 0
; VGPRBlocks: 0
; NumSGPRsForWavesPerEU: 4
; NumVGPRsForWavesPerEU: 1
; Occupancy: 10
; WaveLimiterHint : 0
; COMPUTE_PGM_RSRC2:SCRATCH_EN: 0
; COMPUTE_PGM_RSRC2:USER_SGPR: 6
; COMPUTE_PGM_RSRC2:TRAP_HANDLER: 0
; COMPUTE_PGM_RSRC2:TGID_X_EN: 1
; COMPUTE_PGM_RSRC2:TGID_Y_EN: 0
; COMPUTE_PGM_RSRC2:TGID_Z_EN: 0
; COMPUTE_PGM_RSRC2:TIDIG_COMP_CNT: 0
	.section	.text._ZN7rocprim17ROCPRIM_400000_NS6detail17trampoline_kernelINS0_14default_configENS1_25partition_config_selectorILNS1_17partition_subalgoE8ExNS0_10empty_typeEbEEZZNS1_14partition_implILS5_8ELb0ES3_jN6thrust23THRUST_200600_302600_NS6detail15normal_iteratorINSA_10device_ptrIxEEEEPS6_PKS6_NS0_5tupleIJSF_S6_EEENSJ_IJSG_SG_EEENS0_18inequality_wrapperI22is_equal_div_10_uniqueIxEEEPmJS6_EEE10hipError_tPvRmT3_T4_T5_T6_T7_T9_mT8_P12ihipStream_tbDpT10_ENKUlT_T0_E_clISt17integral_constantIbLb0EES19_IbLb1EEEEDaS15_S16_EUlS15_E_NS1_11comp_targetILNS1_3genE4ELNS1_11target_archE910ELNS1_3gpuE8ELNS1_3repE0EEENS1_30default_config_static_selectorELNS0_4arch9wavefront6targetE1EEEvT1_,"axG",@progbits,_ZN7rocprim17ROCPRIM_400000_NS6detail17trampoline_kernelINS0_14default_configENS1_25partition_config_selectorILNS1_17partition_subalgoE8ExNS0_10empty_typeEbEEZZNS1_14partition_implILS5_8ELb0ES3_jN6thrust23THRUST_200600_302600_NS6detail15normal_iteratorINSA_10device_ptrIxEEEEPS6_PKS6_NS0_5tupleIJSF_S6_EEENSJ_IJSG_SG_EEENS0_18inequality_wrapperI22is_equal_div_10_uniqueIxEEEPmJS6_EEE10hipError_tPvRmT3_T4_T5_T6_T7_T9_mT8_P12ihipStream_tbDpT10_ENKUlT_T0_E_clISt17integral_constantIbLb0EES19_IbLb1EEEEDaS15_S16_EUlS15_E_NS1_11comp_targetILNS1_3genE4ELNS1_11target_archE910ELNS1_3gpuE8ELNS1_3repE0EEENS1_30default_config_static_selectorELNS0_4arch9wavefront6targetE1EEEvT1_,comdat
	.protected	_ZN7rocprim17ROCPRIM_400000_NS6detail17trampoline_kernelINS0_14default_configENS1_25partition_config_selectorILNS1_17partition_subalgoE8ExNS0_10empty_typeEbEEZZNS1_14partition_implILS5_8ELb0ES3_jN6thrust23THRUST_200600_302600_NS6detail15normal_iteratorINSA_10device_ptrIxEEEEPS6_PKS6_NS0_5tupleIJSF_S6_EEENSJ_IJSG_SG_EEENS0_18inequality_wrapperI22is_equal_div_10_uniqueIxEEEPmJS6_EEE10hipError_tPvRmT3_T4_T5_T6_T7_T9_mT8_P12ihipStream_tbDpT10_ENKUlT_T0_E_clISt17integral_constantIbLb0EES19_IbLb1EEEEDaS15_S16_EUlS15_E_NS1_11comp_targetILNS1_3genE4ELNS1_11target_archE910ELNS1_3gpuE8ELNS1_3repE0EEENS1_30default_config_static_selectorELNS0_4arch9wavefront6targetE1EEEvT1_ ; -- Begin function _ZN7rocprim17ROCPRIM_400000_NS6detail17trampoline_kernelINS0_14default_configENS1_25partition_config_selectorILNS1_17partition_subalgoE8ExNS0_10empty_typeEbEEZZNS1_14partition_implILS5_8ELb0ES3_jN6thrust23THRUST_200600_302600_NS6detail15normal_iteratorINSA_10device_ptrIxEEEEPS6_PKS6_NS0_5tupleIJSF_S6_EEENSJ_IJSG_SG_EEENS0_18inequality_wrapperI22is_equal_div_10_uniqueIxEEEPmJS6_EEE10hipError_tPvRmT3_T4_T5_T6_T7_T9_mT8_P12ihipStream_tbDpT10_ENKUlT_T0_E_clISt17integral_constantIbLb0EES19_IbLb1EEEEDaS15_S16_EUlS15_E_NS1_11comp_targetILNS1_3genE4ELNS1_11target_archE910ELNS1_3gpuE8ELNS1_3repE0EEENS1_30default_config_static_selectorELNS0_4arch9wavefront6targetE1EEEvT1_
	.globl	_ZN7rocprim17ROCPRIM_400000_NS6detail17trampoline_kernelINS0_14default_configENS1_25partition_config_selectorILNS1_17partition_subalgoE8ExNS0_10empty_typeEbEEZZNS1_14partition_implILS5_8ELb0ES3_jN6thrust23THRUST_200600_302600_NS6detail15normal_iteratorINSA_10device_ptrIxEEEEPS6_PKS6_NS0_5tupleIJSF_S6_EEENSJ_IJSG_SG_EEENS0_18inequality_wrapperI22is_equal_div_10_uniqueIxEEEPmJS6_EEE10hipError_tPvRmT3_T4_T5_T6_T7_T9_mT8_P12ihipStream_tbDpT10_ENKUlT_T0_E_clISt17integral_constantIbLb0EES19_IbLb1EEEEDaS15_S16_EUlS15_E_NS1_11comp_targetILNS1_3genE4ELNS1_11target_archE910ELNS1_3gpuE8ELNS1_3repE0EEENS1_30default_config_static_selectorELNS0_4arch9wavefront6targetE1EEEvT1_
	.p2align	8
	.type	_ZN7rocprim17ROCPRIM_400000_NS6detail17trampoline_kernelINS0_14default_configENS1_25partition_config_selectorILNS1_17partition_subalgoE8ExNS0_10empty_typeEbEEZZNS1_14partition_implILS5_8ELb0ES3_jN6thrust23THRUST_200600_302600_NS6detail15normal_iteratorINSA_10device_ptrIxEEEEPS6_PKS6_NS0_5tupleIJSF_S6_EEENSJ_IJSG_SG_EEENS0_18inequality_wrapperI22is_equal_div_10_uniqueIxEEEPmJS6_EEE10hipError_tPvRmT3_T4_T5_T6_T7_T9_mT8_P12ihipStream_tbDpT10_ENKUlT_T0_E_clISt17integral_constantIbLb0EES19_IbLb1EEEEDaS15_S16_EUlS15_E_NS1_11comp_targetILNS1_3genE4ELNS1_11target_archE910ELNS1_3gpuE8ELNS1_3repE0EEENS1_30default_config_static_selectorELNS0_4arch9wavefront6targetE1EEEvT1_,@function
_ZN7rocprim17ROCPRIM_400000_NS6detail17trampoline_kernelINS0_14default_configENS1_25partition_config_selectorILNS1_17partition_subalgoE8ExNS0_10empty_typeEbEEZZNS1_14partition_implILS5_8ELb0ES3_jN6thrust23THRUST_200600_302600_NS6detail15normal_iteratorINSA_10device_ptrIxEEEEPS6_PKS6_NS0_5tupleIJSF_S6_EEENSJ_IJSG_SG_EEENS0_18inequality_wrapperI22is_equal_div_10_uniqueIxEEEPmJS6_EEE10hipError_tPvRmT3_T4_T5_T6_T7_T9_mT8_P12ihipStream_tbDpT10_ENKUlT_T0_E_clISt17integral_constantIbLb0EES19_IbLb1EEEEDaS15_S16_EUlS15_E_NS1_11comp_targetILNS1_3genE4ELNS1_11target_archE910ELNS1_3gpuE8ELNS1_3repE0EEENS1_30default_config_static_selectorELNS0_4arch9wavefront6targetE1EEEvT1_: ; @_ZN7rocprim17ROCPRIM_400000_NS6detail17trampoline_kernelINS0_14default_configENS1_25partition_config_selectorILNS1_17partition_subalgoE8ExNS0_10empty_typeEbEEZZNS1_14partition_implILS5_8ELb0ES3_jN6thrust23THRUST_200600_302600_NS6detail15normal_iteratorINSA_10device_ptrIxEEEEPS6_PKS6_NS0_5tupleIJSF_S6_EEENSJ_IJSG_SG_EEENS0_18inequality_wrapperI22is_equal_div_10_uniqueIxEEEPmJS6_EEE10hipError_tPvRmT3_T4_T5_T6_T7_T9_mT8_P12ihipStream_tbDpT10_ENKUlT_T0_E_clISt17integral_constantIbLb0EES19_IbLb1EEEEDaS15_S16_EUlS15_E_NS1_11comp_targetILNS1_3genE4ELNS1_11target_archE910ELNS1_3gpuE8ELNS1_3repE0EEENS1_30default_config_static_selectorELNS0_4arch9wavefront6targetE1EEEvT1_
; %bb.0:
	.section	.rodata,"a",@progbits
	.p2align	6, 0x0
	.amdhsa_kernel _ZN7rocprim17ROCPRIM_400000_NS6detail17trampoline_kernelINS0_14default_configENS1_25partition_config_selectorILNS1_17partition_subalgoE8ExNS0_10empty_typeEbEEZZNS1_14partition_implILS5_8ELb0ES3_jN6thrust23THRUST_200600_302600_NS6detail15normal_iteratorINSA_10device_ptrIxEEEEPS6_PKS6_NS0_5tupleIJSF_S6_EEENSJ_IJSG_SG_EEENS0_18inequality_wrapperI22is_equal_div_10_uniqueIxEEEPmJS6_EEE10hipError_tPvRmT3_T4_T5_T6_T7_T9_mT8_P12ihipStream_tbDpT10_ENKUlT_T0_E_clISt17integral_constantIbLb0EES19_IbLb1EEEEDaS15_S16_EUlS15_E_NS1_11comp_targetILNS1_3genE4ELNS1_11target_archE910ELNS1_3gpuE8ELNS1_3repE0EEENS1_30default_config_static_selectorELNS0_4arch9wavefront6targetE1EEEvT1_
		.amdhsa_group_segment_fixed_size 0
		.amdhsa_private_segment_fixed_size 0
		.amdhsa_kernarg_size 128
		.amdhsa_user_sgpr_count 6
		.amdhsa_user_sgpr_private_segment_buffer 1
		.amdhsa_user_sgpr_dispatch_ptr 0
		.amdhsa_user_sgpr_queue_ptr 0
		.amdhsa_user_sgpr_kernarg_segment_ptr 1
		.amdhsa_user_sgpr_dispatch_id 0
		.amdhsa_user_sgpr_flat_scratch_init 0
		.amdhsa_user_sgpr_private_segment_size 0
		.amdhsa_uses_dynamic_stack 0
		.amdhsa_system_sgpr_private_segment_wavefront_offset 0
		.amdhsa_system_sgpr_workgroup_id_x 1
		.amdhsa_system_sgpr_workgroup_id_y 0
		.amdhsa_system_sgpr_workgroup_id_z 0
		.amdhsa_system_sgpr_workgroup_info 0
		.amdhsa_system_vgpr_workitem_id 0
		.amdhsa_next_free_vgpr 1
		.amdhsa_next_free_sgpr 0
		.amdhsa_reserve_vcc 0
		.amdhsa_reserve_flat_scratch 0
		.amdhsa_float_round_mode_32 0
		.amdhsa_float_round_mode_16_64 0
		.amdhsa_float_denorm_mode_32 3
		.amdhsa_float_denorm_mode_16_64 3
		.amdhsa_dx10_clamp 1
		.amdhsa_ieee_mode 1
		.amdhsa_fp16_overflow 0
		.amdhsa_exception_fp_ieee_invalid_op 0
		.amdhsa_exception_fp_denorm_src 0
		.amdhsa_exception_fp_ieee_div_zero 0
		.amdhsa_exception_fp_ieee_overflow 0
		.amdhsa_exception_fp_ieee_underflow 0
		.amdhsa_exception_fp_ieee_inexact 0
		.amdhsa_exception_int_div_zero 0
	.end_amdhsa_kernel
	.section	.text._ZN7rocprim17ROCPRIM_400000_NS6detail17trampoline_kernelINS0_14default_configENS1_25partition_config_selectorILNS1_17partition_subalgoE8ExNS0_10empty_typeEbEEZZNS1_14partition_implILS5_8ELb0ES3_jN6thrust23THRUST_200600_302600_NS6detail15normal_iteratorINSA_10device_ptrIxEEEEPS6_PKS6_NS0_5tupleIJSF_S6_EEENSJ_IJSG_SG_EEENS0_18inequality_wrapperI22is_equal_div_10_uniqueIxEEEPmJS6_EEE10hipError_tPvRmT3_T4_T5_T6_T7_T9_mT8_P12ihipStream_tbDpT10_ENKUlT_T0_E_clISt17integral_constantIbLb0EES19_IbLb1EEEEDaS15_S16_EUlS15_E_NS1_11comp_targetILNS1_3genE4ELNS1_11target_archE910ELNS1_3gpuE8ELNS1_3repE0EEENS1_30default_config_static_selectorELNS0_4arch9wavefront6targetE1EEEvT1_,"axG",@progbits,_ZN7rocprim17ROCPRIM_400000_NS6detail17trampoline_kernelINS0_14default_configENS1_25partition_config_selectorILNS1_17partition_subalgoE8ExNS0_10empty_typeEbEEZZNS1_14partition_implILS5_8ELb0ES3_jN6thrust23THRUST_200600_302600_NS6detail15normal_iteratorINSA_10device_ptrIxEEEEPS6_PKS6_NS0_5tupleIJSF_S6_EEENSJ_IJSG_SG_EEENS0_18inequality_wrapperI22is_equal_div_10_uniqueIxEEEPmJS6_EEE10hipError_tPvRmT3_T4_T5_T6_T7_T9_mT8_P12ihipStream_tbDpT10_ENKUlT_T0_E_clISt17integral_constantIbLb0EES19_IbLb1EEEEDaS15_S16_EUlS15_E_NS1_11comp_targetILNS1_3genE4ELNS1_11target_archE910ELNS1_3gpuE8ELNS1_3repE0EEENS1_30default_config_static_selectorELNS0_4arch9wavefront6targetE1EEEvT1_,comdat
.Lfunc_end398:
	.size	_ZN7rocprim17ROCPRIM_400000_NS6detail17trampoline_kernelINS0_14default_configENS1_25partition_config_selectorILNS1_17partition_subalgoE8ExNS0_10empty_typeEbEEZZNS1_14partition_implILS5_8ELb0ES3_jN6thrust23THRUST_200600_302600_NS6detail15normal_iteratorINSA_10device_ptrIxEEEEPS6_PKS6_NS0_5tupleIJSF_S6_EEENSJ_IJSG_SG_EEENS0_18inequality_wrapperI22is_equal_div_10_uniqueIxEEEPmJS6_EEE10hipError_tPvRmT3_T4_T5_T6_T7_T9_mT8_P12ihipStream_tbDpT10_ENKUlT_T0_E_clISt17integral_constantIbLb0EES19_IbLb1EEEEDaS15_S16_EUlS15_E_NS1_11comp_targetILNS1_3genE4ELNS1_11target_archE910ELNS1_3gpuE8ELNS1_3repE0EEENS1_30default_config_static_selectorELNS0_4arch9wavefront6targetE1EEEvT1_, .Lfunc_end398-_ZN7rocprim17ROCPRIM_400000_NS6detail17trampoline_kernelINS0_14default_configENS1_25partition_config_selectorILNS1_17partition_subalgoE8ExNS0_10empty_typeEbEEZZNS1_14partition_implILS5_8ELb0ES3_jN6thrust23THRUST_200600_302600_NS6detail15normal_iteratorINSA_10device_ptrIxEEEEPS6_PKS6_NS0_5tupleIJSF_S6_EEENSJ_IJSG_SG_EEENS0_18inequality_wrapperI22is_equal_div_10_uniqueIxEEEPmJS6_EEE10hipError_tPvRmT3_T4_T5_T6_T7_T9_mT8_P12ihipStream_tbDpT10_ENKUlT_T0_E_clISt17integral_constantIbLb0EES19_IbLb1EEEEDaS15_S16_EUlS15_E_NS1_11comp_targetILNS1_3genE4ELNS1_11target_archE910ELNS1_3gpuE8ELNS1_3repE0EEENS1_30default_config_static_selectorELNS0_4arch9wavefront6targetE1EEEvT1_
                                        ; -- End function
	.set _ZN7rocprim17ROCPRIM_400000_NS6detail17trampoline_kernelINS0_14default_configENS1_25partition_config_selectorILNS1_17partition_subalgoE8ExNS0_10empty_typeEbEEZZNS1_14partition_implILS5_8ELb0ES3_jN6thrust23THRUST_200600_302600_NS6detail15normal_iteratorINSA_10device_ptrIxEEEEPS6_PKS6_NS0_5tupleIJSF_S6_EEENSJ_IJSG_SG_EEENS0_18inequality_wrapperI22is_equal_div_10_uniqueIxEEEPmJS6_EEE10hipError_tPvRmT3_T4_T5_T6_T7_T9_mT8_P12ihipStream_tbDpT10_ENKUlT_T0_E_clISt17integral_constantIbLb0EES19_IbLb1EEEEDaS15_S16_EUlS15_E_NS1_11comp_targetILNS1_3genE4ELNS1_11target_archE910ELNS1_3gpuE8ELNS1_3repE0EEENS1_30default_config_static_selectorELNS0_4arch9wavefront6targetE1EEEvT1_.num_vgpr, 0
	.set _ZN7rocprim17ROCPRIM_400000_NS6detail17trampoline_kernelINS0_14default_configENS1_25partition_config_selectorILNS1_17partition_subalgoE8ExNS0_10empty_typeEbEEZZNS1_14partition_implILS5_8ELb0ES3_jN6thrust23THRUST_200600_302600_NS6detail15normal_iteratorINSA_10device_ptrIxEEEEPS6_PKS6_NS0_5tupleIJSF_S6_EEENSJ_IJSG_SG_EEENS0_18inequality_wrapperI22is_equal_div_10_uniqueIxEEEPmJS6_EEE10hipError_tPvRmT3_T4_T5_T6_T7_T9_mT8_P12ihipStream_tbDpT10_ENKUlT_T0_E_clISt17integral_constantIbLb0EES19_IbLb1EEEEDaS15_S16_EUlS15_E_NS1_11comp_targetILNS1_3genE4ELNS1_11target_archE910ELNS1_3gpuE8ELNS1_3repE0EEENS1_30default_config_static_selectorELNS0_4arch9wavefront6targetE1EEEvT1_.num_agpr, 0
	.set _ZN7rocprim17ROCPRIM_400000_NS6detail17trampoline_kernelINS0_14default_configENS1_25partition_config_selectorILNS1_17partition_subalgoE8ExNS0_10empty_typeEbEEZZNS1_14partition_implILS5_8ELb0ES3_jN6thrust23THRUST_200600_302600_NS6detail15normal_iteratorINSA_10device_ptrIxEEEEPS6_PKS6_NS0_5tupleIJSF_S6_EEENSJ_IJSG_SG_EEENS0_18inequality_wrapperI22is_equal_div_10_uniqueIxEEEPmJS6_EEE10hipError_tPvRmT3_T4_T5_T6_T7_T9_mT8_P12ihipStream_tbDpT10_ENKUlT_T0_E_clISt17integral_constantIbLb0EES19_IbLb1EEEEDaS15_S16_EUlS15_E_NS1_11comp_targetILNS1_3genE4ELNS1_11target_archE910ELNS1_3gpuE8ELNS1_3repE0EEENS1_30default_config_static_selectorELNS0_4arch9wavefront6targetE1EEEvT1_.numbered_sgpr, 0
	.set _ZN7rocprim17ROCPRIM_400000_NS6detail17trampoline_kernelINS0_14default_configENS1_25partition_config_selectorILNS1_17partition_subalgoE8ExNS0_10empty_typeEbEEZZNS1_14partition_implILS5_8ELb0ES3_jN6thrust23THRUST_200600_302600_NS6detail15normal_iteratorINSA_10device_ptrIxEEEEPS6_PKS6_NS0_5tupleIJSF_S6_EEENSJ_IJSG_SG_EEENS0_18inequality_wrapperI22is_equal_div_10_uniqueIxEEEPmJS6_EEE10hipError_tPvRmT3_T4_T5_T6_T7_T9_mT8_P12ihipStream_tbDpT10_ENKUlT_T0_E_clISt17integral_constantIbLb0EES19_IbLb1EEEEDaS15_S16_EUlS15_E_NS1_11comp_targetILNS1_3genE4ELNS1_11target_archE910ELNS1_3gpuE8ELNS1_3repE0EEENS1_30default_config_static_selectorELNS0_4arch9wavefront6targetE1EEEvT1_.num_named_barrier, 0
	.set _ZN7rocprim17ROCPRIM_400000_NS6detail17trampoline_kernelINS0_14default_configENS1_25partition_config_selectorILNS1_17partition_subalgoE8ExNS0_10empty_typeEbEEZZNS1_14partition_implILS5_8ELb0ES3_jN6thrust23THRUST_200600_302600_NS6detail15normal_iteratorINSA_10device_ptrIxEEEEPS6_PKS6_NS0_5tupleIJSF_S6_EEENSJ_IJSG_SG_EEENS0_18inequality_wrapperI22is_equal_div_10_uniqueIxEEEPmJS6_EEE10hipError_tPvRmT3_T4_T5_T6_T7_T9_mT8_P12ihipStream_tbDpT10_ENKUlT_T0_E_clISt17integral_constantIbLb0EES19_IbLb1EEEEDaS15_S16_EUlS15_E_NS1_11comp_targetILNS1_3genE4ELNS1_11target_archE910ELNS1_3gpuE8ELNS1_3repE0EEENS1_30default_config_static_selectorELNS0_4arch9wavefront6targetE1EEEvT1_.private_seg_size, 0
	.set _ZN7rocprim17ROCPRIM_400000_NS6detail17trampoline_kernelINS0_14default_configENS1_25partition_config_selectorILNS1_17partition_subalgoE8ExNS0_10empty_typeEbEEZZNS1_14partition_implILS5_8ELb0ES3_jN6thrust23THRUST_200600_302600_NS6detail15normal_iteratorINSA_10device_ptrIxEEEEPS6_PKS6_NS0_5tupleIJSF_S6_EEENSJ_IJSG_SG_EEENS0_18inequality_wrapperI22is_equal_div_10_uniqueIxEEEPmJS6_EEE10hipError_tPvRmT3_T4_T5_T6_T7_T9_mT8_P12ihipStream_tbDpT10_ENKUlT_T0_E_clISt17integral_constantIbLb0EES19_IbLb1EEEEDaS15_S16_EUlS15_E_NS1_11comp_targetILNS1_3genE4ELNS1_11target_archE910ELNS1_3gpuE8ELNS1_3repE0EEENS1_30default_config_static_selectorELNS0_4arch9wavefront6targetE1EEEvT1_.uses_vcc, 0
	.set _ZN7rocprim17ROCPRIM_400000_NS6detail17trampoline_kernelINS0_14default_configENS1_25partition_config_selectorILNS1_17partition_subalgoE8ExNS0_10empty_typeEbEEZZNS1_14partition_implILS5_8ELb0ES3_jN6thrust23THRUST_200600_302600_NS6detail15normal_iteratorINSA_10device_ptrIxEEEEPS6_PKS6_NS0_5tupleIJSF_S6_EEENSJ_IJSG_SG_EEENS0_18inequality_wrapperI22is_equal_div_10_uniqueIxEEEPmJS6_EEE10hipError_tPvRmT3_T4_T5_T6_T7_T9_mT8_P12ihipStream_tbDpT10_ENKUlT_T0_E_clISt17integral_constantIbLb0EES19_IbLb1EEEEDaS15_S16_EUlS15_E_NS1_11comp_targetILNS1_3genE4ELNS1_11target_archE910ELNS1_3gpuE8ELNS1_3repE0EEENS1_30default_config_static_selectorELNS0_4arch9wavefront6targetE1EEEvT1_.uses_flat_scratch, 0
	.set _ZN7rocprim17ROCPRIM_400000_NS6detail17trampoline_kernelINS0_14default_configENS1_25partition_config_selectorILNS1_17partition_subalgoE8ExNS0_10empty_typeEbEEZZNS1_14partition_implILS5_8ELb0ES3_jN6thrust23THRUST_200600_302600_NS6detail15normal_iteratorINSA_10device_ptrIxEEEEPS6_PKS6_NS0_5tupleIJSF_S6_EEENSJ_IJSG_SG_EEENS0_18inequality_wrapperI22is_equal_div_10_uniqueIxEEEPmJS6_EEE10hipError_tPvRmT3_T4_T5_T6_T7_T9_mT8_P12ihipStream_tbDpT10_ENKUlT_T0_E_clISt17integral_constantIbLb0EES19_IbLb1EEEEDaS15_S16_EUlS15_E_NS1_11comp_targetILNS1_3genE4ELNS1_11target_archE910ELNS1_3gpuE8ELNS1_3repE0EEENS1_30default_config_static_selectorELNS0_4arch9wavefront6targetE1EEEvT1_.has_dyn_sized_stack, 0
	.set _ZN7rocprim17ROCPRIM_400000_NS6detail17trampoline_kernelINS0_14default_configENS1_25partition_config_selectorILNS1_17partition_subalgoE8ExNS0_10empty_typeEbEEZZNS1_14partition_implILS5_8ELb0ES3_jN6thrust23THRUST_200600_302600_NS6detail15normal_iteratorINSA_10device_ptrIxEEEEPS6_PKS6_NS0_5tupleIJSF_S6_EEENSJ_IJSG_SG_EEENS0_18inequality_wrapperI22is_equal_div_10_uniqueIxEEEPmJS6_EEE10hipError_tPvRmT3_T4_T5_T6_T7_T9_mT8_P12ihipStream_tbDpT10_ENKUlT_T0_E_clISt17integral_constantIbLb0EES19_IbLb1EEEEDaS15_S16_EUlS15_E_NS1_11comp_targetILNS1_3genE4ELNS1_11target_archE910ELNS1_3gpuE8ELNS1_3repE0EEENS1_30default_config_static_selectorELNS0_4arch9wavefront6targetE1EEEvT1_.has_recursion, 0
	.set _ZN7rocprim17ROCPRIM_400000_NS6detail17trampoline_kernelINS0_14default_configENS1_25partition_config_selectorILNS1_17partition_subalgoE8ExNS0_10empty_typeEbEEZZNS1_14partition_implILS5_8ELb0ES3_jN6thrust23THRUST_200600_302600_NS6detail15normal_iteratorINSA_10device_ptrIxEEEEPS6_PKS6_NS0_5tupleIJSF_S6_EEENSJ_IJSG_SG_EEENS0_18inequality_wrapperI22is_equal_div_10_uniqueIxEEEPmJS6_EEE10hipError_tPvRmT3_T4_T5_T6_T7_T9_mT8_P12ihipStream_tbDpT10_ENKUlT_T0_E_clISt17integral_constantIbLb0EES19_IbLb1EEEEDaS15_S16_EUlS15_E_NS1_11comp_targetILNS1_3genE4ELNS1_11target_archE910ELNS1_3gpuE8ELNS1_3repE0EEENS1_30default_config_static_selectorELNS0_4arch9wavefront6targetE1EEEvT1_.has_indirect_call, 0
	.section	.AMDGPU.csdata,"",@progbits
; Kernel info:
; codeLenInByte = 0
; TotalNumSgprs: 4
; NumVgprs: 0
; ScratchSize: 0
; MemoryBound: 0
; FloatMode: 240
; IeeeMode: 1
; LDSByteSize: 0 bytes/workgroup (compile time only)
; SGPRBlocks: 0
; VGPRBlocks: 0
; NumSGPRsForWavesPerEU: 4
; NumVGPRsForWavesPerEU: 1
; Occupancy: 10
; WaveLimiterHint : 0
; COMPUTE_PGM_RSRC2:SCRATCH_EN: 0
; COMPUTE_PGM_RSRC2:USER_SGPR: 6
; COMPUTE_PGM_RSRC2:TRAP_HANDLER: 0
; COMPUTE_PGM_RSRC2:TGID_X_EN: 1
; COMPUTE_PGM_RSRC2:TGID_Y_EN: 0
; COMPUTE_PGM_RSRC2:TGID_Z_EN: 0
; COMPUTE_PGM_RSRC2:TIDIG_COMP_CNT: 0
	.section	.text._ZN7rocprim17ROCPRIM_400000_NS6detail17trampoline_kernelINS0_14default_configENS1_25partition_config_selectorILNS1_17partition_subalgoE8ExNS0_10empty_typeEbEEZZNS1_14partition_implILS5_8ELb0ES3_jN6thrust23THRUST_200600_302600_NS6detail15normal_iteratorINSA_10device_ptrIxEEEEPS6_PKS6_NS0_5tupleIJSF_S6_EEENSJ_IJSG_SG_EEENS0_18inequality_wrapperI22is_equal_div_10_uniqueIxEEEPmJS6_EEE10hipError_tPvRmT3_T4_T5_T6_T7_T9_mT8_P12ihipStream_tbDpT10_ENKUlT_T0_E_clISt17integral_constantIbLb0EES19_IbLb1EEEEDaS15_S16_EUlS15_E_NS1_11comp_targetILNS1_3genE3ELNS1_11target_archE908ELNS1_3gpuE7ELNS1_3repE0EEENS1_30default_config_static_selectorELNS0_4arch9wavefront6targetE1EEEvT1_,"axG",@progbits,_ZN7rocprim17ROCPRIM_400000_NS6detail17trampoline_kernelINS0_14default_configENS1_25partition_config_selectorILNS1_17partition_subalgoE8ExNS0_10empty_typeEbEEZZNS1_14partition_implILS5_8ELb0ES3_jN6thrust23THRUST_200600_302600_NS6detail15normal_iteratorINSA_10device_ptrIxEEEEPS6_PKS6_NS0_5tupleIJSF_S6_EEENSJ_IJSG_SG_EEENS0_18inequality_wrapperI22is_equal_div_10_uniqueIxEEEPmJS6_EEE10hipError_tPvRmT3_T4_T5_T6_T7_T9_mT8_P12ihipStream_tbDpT10_ENKUlT_T0_E_clISt17integral_constantIbLb0EES19_IbLb1EEEEDaS15_S16_EUlS15_E_NS1_11comp_targetILNS1_3genE3ELNS1_11target_archE908ELNS1_3gpuE7ELNS1_3repE0EEENS1_30default_config_static_selectorELNS0_4arch9wavefront6targetE1EEEvT1_,comdat
	.protected	_ZN7rocprim17ROCPRIM_400000_NS6detail17trampoline_kernelINS0_14default_configENS1_25partition_config_selectorILNS1_17partition_subalgoE8ExNS0_10empty_typeEbEEZZNS1_14partition_implILS5_8ELb0ES3_jN6thrust23THRUST_200600_302600_NS6detail15normal_iteratorINSA_10device_ptrIxEEEEPS6_PKS6_NS0_5tupleIJSF_S6_EEENSJ_IJSG_SG_EEENS0_18inequality_wrapperI22is_equal_div_10_uniqueIxEEEPmJS6_EEE10hipError_tPvRmT3_T4_T5_T6_T7_T9_mT8_P12ihipStream_tbDpT10_ENKUlT_T0_E_clISt17integral_constantIbLb0EES19_IbLb1EEEEDaS15_S16_EUlS15_E_NS1_11comp_targetILNS1_3genE3ELNS1_11target_archE908ELNS1_3gpuE7ELNS1_3repE0EEENS1_30default_config_static_selectorELNS0_4arch9wavefront6targetE1EEEvT1_ ; -- Begin function _ZN7rocprim17ROCPRIM_400000_NS6detail17trampoline_kernelINS0_14default_configENS1_25partition_config_selectorILNS1_17partition_subalgoE8ExNS0_10empty_typeEbEEZZNS1_14partition_implILS5_8ELb0ES3_jN6thrust23THRUST_200600_302600_NS6detail15normal_iteratorINSA_10device_ptrIxEEEEPS6_PKS6_NS0_5tupleIJSF_S6_EEENSJ_IJSG_SG_EEENS0_18inequality_wrapperI22is_equal_div_10_uniqueIxEEEPmJS6_EEE10hipError_tPvRmT3_T4_T5_T6_T7_T9_mT8_P12ihipStream_tbDpT10_ENKUlT_T0_E_clISt17integral_constantIbLb0EES19_IbLb1EEEEDaS15_S16_EUlS15_E_NS1_11comp_targetILNS1_3genE3ELNS1_11target_archE908ELNS1_3gpuE7ELNS1_3repE0EEENS1_30default_config_static_selectorELNS0_4arch9wavefront6targetE1EEEvT1_
	.globl	_ZN7rocprim17ROCPRIM_400000_NS6detail17trampoline_kernelINS0_14default_configENS1_25partition_config_selectorILNS1_17partition_subalgoE8ExNS0_10empty_typeEbEEZZNS1_14partition_implILS5_8ELb0ES3_jN6thrust23THRUST_200600_302600_NS6detail15normal_iteratorINSA_10device_ptrIxEEEEPS6_PKS6_NS0_5tupleIJSF_S6_EEENSJ_IJSG_SG_EEENS0_18inequality_wrapperI22is_equal_div_10_uniqueIxEEEPmJS6_EEE10hipError_tPvRmT3_T4_T5_T6_T7_T9_mT8_P12ihipStream_tbDpT10_ENKUlT_T0_E_clISt17integral_constantIbLb0EES19_IbLb1EEEEDaS15_S16_EUlS15_E_NS1_11comp_targetILNS1_3genE3ELNS1_11target_archE908ELNS1_3gpuE7ELNS1_3repE0EEENS1_30default_config_static_selectorELNS0_4arch9wavefront6targetE1EEEvT1_
	.p2align	8
	.type	_ZN7rocprim17ROCPRIM_400000_NS6detail17trampoline_kernelINS0_14default_configENS1_25partition_config_selectorILNS1_17partition_subalgoE8ExNS0_10empty_typeEbEEZZNS1_14partition_implILS5_8ELb0ES3_jN6thrust23THRUST_200600_302600_NS6detail15normal_iteratorINSA_10device_ptrIxEEEEPS6_PKS6_NS0_5tupleIJSF_S6_EEENSJ_IJSG_SG_EEENS0_18inequality_wrapperI22is_equal_div_10_uniqueIxEEEPmJS6_EEE10hipError_tPvRmT3_T4_T5_T6_T7_T9_mT8_P12ihipStream_tbDpT10_ENKUlT_T0_E_clISt17integral_constantIbLb0EES19_IbLb1EEEEDaS15_S16_EUlS15_E_NS1_11comp_targetILNS1_3genE3ELNS1_11target_archE908ELNS1_3gpuE7ELNS1_3repE0EEENS1_30default_config_static_selectorELNS0_4arch9wavefront6targetE1EEEvT1_,@function
_ZN7rocprim17ROCPRIM_400000_NS6detail17trampoline_kernelINS0_14default_configENS1_25partition_config_selectorILNS1_17partition_subalgoE8ExNS0_10empty_typeEbEEZZNS1_14partition_implILS5_8ELb0ES3_jN6thrust23THRUST_200600_302600_NS6detail15normal_iteratorINSA_10device_ptrIxEEEEPS6_PKS6_NS0_5tupleIJSF_S6_EEENSJ_IJSG_SG_EEENS0_18inequality_wrapperI22is_equal_div_10_uniqueIxEEEPmJS6_EEE10hipError_tPvRmT3_T4_T5_T6_T7_T9_mT8_P12ihipStream_tbDpT10_ENKUlT_T0_E_clISt17integral_constantIbLb0EES19_IbLb1EEEEDaS15_S16_EUlS15_E_NS1_11comp_targetILNS1_3genE3ELNS1_11target_archE908ELNS1_3gpuE7ELNS1_3repE0EEENS1_30default_config_static_selectorELNS0_4arch9wavefront6targetE1EEEvT1_: ; @_ZN7rocprim17ROCPRIM_400000_NS6detail17trampoline_kernelINS0_14default_configENS1_25partition_config_selectorILNS1_17partition_subalgoE8ExNS0_10empty_typeEbEEZZNS1_14partition_implILS5_8ELb0ES3_jN6thrust23THRUST_200600_302600_NS6detail15normal_iteratorINSA_10device_ptrIxEEEEPS6_PKS6_NS0_5tupleIJSF_S6_EEENSJ_IJSG_SG_EEENS0_18inequality_wrapperI22is_equal_div_10_uniqueIxEEEPmJS6_EEE10hipError_tPvRmT3_T4_T5_T6_T7_T9_mT8_P12ihipStream_tbDpT10_ENKUlT_T0_E_clISt17integral_constantIbLb0EES19_IbLb1EEEEDaS15_S16_EUlS15_E_NS1_11comp_targetILNS1_3genE3ELNS1_11target_archE908ELNS1_3gpuE7ELNS1_3repE0EEENS1_30default_config_static_selectorELNS0_4arch9wavefront6targetE1EEEvT1_
; %bb.0:
	.section	.rodata,"a",@progbits
	.p2align	6, 0x0
	.amdhsa_kernel _ZN7rocprim17ROCPRIM_400000_NS6detail17trampoline_kernelINS0_14default_configENS1_25partition_config_selectorILNS1_17partition_subalgoE8ExNS0_10empty_typeEbEEZZNS1_14partition_implILS5_8ELb0ES3_jN6thrust23THRUST_200600_302600_NS6detail15normal_iteratorINSA_10device_ptrIxEEEEPS6_PKS6_NS0_5tupleIJSF_S6_EEENSJ_IJSG_SG_EEENS0_18inequality_wrapperI22is_equal_div_10_uniqueIxEEEPmJS6_EEE10hipError_tPvRmT3_T4_T5_T6_T7_T9_mT8_P12ihipStream_tbDpT10_ENKUlT_T0_E_clISt17integral_constantIbLb0EES19_IbLb1EEEEDaS15_S16_EUlS15_E_NS1_11comp_targetILNS1_3genE3ELNS1_11target_archE908ELNS1_3gpuE7ELNS1_3repE0EEENS1_30default_config_static_selectorELNS0_4arch9wavefront6targetE1EEEvT1_
		.amdhsa_group_segment_fixed_size 0
		.amdhsa_private_segment_fixed_size 0
		.amdhsa_kernarg_size 128
		.amdhsa_user_sgpr_count 6
		.amdhsa_user_sgpr_private_segment_buffer 1
		.amdhsa_user_sgpr_dispatch_ptr 0
		.amdhsa_user_sgpr_queue_ptr 0
		.amdhsa_user_sgpr_kernarg_segment_ptr 1
		.amdhsa_user_sgpr_dispatch_id 0
		.amdhsa_user_sgpr_flat_scratch_init 0
		.amdhsa_user_sgpr_private_segment_size 0
		.amdhsa_uses_dynamic_stack 0
		.amdhsa_system_sgpr_private_segment_wavefront_offset 0
		.amdhsa_system_sgpr_workgroup_id_x 1
		.amdhsa_system_sgpr_workgroup_id_y 0
		.amdhsa_system_sgpr_workgroup_id_z 0
		.amdhsa_system_sgpr_workgroup_info 0
		.amdhsa_system_vgpr_workitem_id 0
		.amdhsa_next_free_vgpr 1
		.amdhsa_next_free_sgpr 0
		.amdhsa_reserve_vcc 0
		.amdhsa_reserve_flat_scratch 0
		.amdhsa_float_round_mode_32 0
		.amdhsa_float_round_mode_16_64 0
		.amdhsa_float_denorm_mode_32 3
		.amdhsa_float_denorm_mode_16_64 3
		.amdhsa_dx10_clamp 1
		.amdhsa_ieee_mode 1
		.amdhsa_fp16_overflow 0
		.amdhsa_exception_fp_ieee_invalid_op 0
		.amdhsa_exception_fp_denorm_src 0
		.amdhsa_exception_fp_ieee_div_zero 0
		.amdhsa_exception_fp_ieee_overflow 0
		.amdhsa_exception_fp_ieee_underflow 0
		.amdhsa_exception_fp_ieee_inexact 0
		.amdhsa_exception_int_div_zero 0
	.end_amdhsa_kernel
	.section	.text._ZN7rocprim17ROCPRIM_400000_NS6detail17trampoline_kernelINS0_14default_configENS1_25partition_config_selectorILNS1_17partition_subalgoE8ExNS0_10empty_typeEbEEZZNS1_14partition_implILS5_8ELb0ES3_jN6thrust23THRUST_200600_302600_NS6detail15normal_iteratorINSA_10device_ptrIxEEEEPS6_PKS6_NS0_5tupleIJSF_S6_EEENSJ_IJSG_SG_EEENS0_18inequality_wrapperI22is_equal_div_10_uniqueIxEEEPmJS6_EEE10hipError_tPvRmT3_T4_T5_T6_T7_T9_mT8_P12ihipStream_tbDpT10_ENKUlT_T0_E_clISt17integral_constantIbLb0EES19_IbLb1EEEEDaS15_S16_EUlS15_E_NS1_11comp_targetILNS1_3genE3ELNS1_11target_archE908ELNS1_3gpuE7ELNS1_3repE0EEENS1_30default_config_static_selectorELNS0_4arch9wavefront6targetE1EEEvT1_,"axG",@progbits,_ZN7rocprim17ROCPRIM_400000_NS6detail17trampoline_kernelINS0_14default_configENS1_25partition_config_selectorILNS1_17partition_subalgoE8ExNS0_10empty_typeEbEEZZNS1_14partition_implILS5_8ELb0ES3_jN6thrust23THRUST_200600_302600_NS6detail15normal_iteratorINSA_10device_ptrIxEEEEPS6_PKS6_NS0_5tupleIJSF_S6_EEENSJ_IJSG_SG_EEENS0_18inequality_wrapperI22is_equal_div_10_uniqueIxEEEPmJS6_EEE10hipError_tPvRmT3_T4_T5_T6_T7_T9_mT8_P12ihipStream_tbDpT10_ENKUlT_T0_E_clISt17integral_constantIbLb0EES19_IbLb1EEEEDaS15_S16_EUlS15_E_NS1_11comp_targetILNS1_3genE3ELNS1_11target_archE908ELNS1_3gpuE7ELNS1_3repE0EEENS1_30default_config_static_selectorELNS0_4arch9wavefront6targetE1EEEvT1_,comdat
.Lfunc_end399:
	.size	_ZN7rocprim17ROCPRIM_400000_NS6detail17trampoline_kernelINS0_14default_configENS1_25partition_config_selectorILNS1_17partition_subalgoE8ExNS0_10empty_typeEbEEZZNS1_14partition_implILS5_8ELb0ES3_jN6thrust23THRUST_200600_302600_NS6detail15normal_iteratorINSA_10device_ptrIxEEEEPS6_PKS6_NS0_5tupleIJSF_S6_EEENSJ_IJSG_SG_EEENS0_18inequality_wrapperI22is_equal_div_10_uniqueIxEEEPmJS6_EEE10hipError_tPvRmT3_T4_T5_T6_T7_T9_mT8_P12ihipStream_tbDpT10_ENKUlT_T0_E_clISt17integral_constantIbLb0EES19_IbLb1EEEEDaS15_S16_EUlS15_E_NS1_11comp_targetILNS1_3genE3ELNS1_11target_archE908ELNS1_3gpuE7ELNS1_3repE0EEENS1_30default_config_static_selectorELNS0_4arch9wavefront6targetE1EEEvT1_, .Lfunc_end399-_ZN7rocprim17ROCPRIM_400000_NS6detail17trampoline_kernelINS0_14default_configENS1_25partition_config_selectorILNS1_17partition_subalgoE8ExNS0_10empty_typeEbEEZZNS1_14partition_implILS5_8ELb0ES3_jN6thrust23THRUST_200600_302600_NS6detail15normal_iteratorINSA_10device_ptrIxEEEEPS6_PKS6_NS0_5tupleIJSF_S6_EEENSJ_IJSG_SG_EEENS0_18inequality_wrapperI22is_equal_div_10_uniqueIxEEEPmJS6_EEE10hipError_tPvRmT3_T4_T5_T6_T7_T9_mT8_P12ihipStream_tbDpT10_ENKUlT_T0_E_clISt17integral_constantIbLb0EES19_IbLb1EEEEDaS15_S16_EUlS15_E_NS1_11comp_targetILNS1_3genE3ELNS1_11target_archE908ELNS1_3gpuE7ELNS1_3repE0EEENS1_30default_config_static_selectorELNS0_4arch9wavefront6targetE1EEEvT1_
                                        ; -- End function
	.set _ZN7rocprim17ROCPRIM_400000_NS6detail17trampoline_kernelINS0_14default_configENS1_25partition_config_selectorILNS1_17partition_subalgoE8ExNS0_10empty_typeEbEEZZNS1_14partition_implILS5_8ELb0ES3_jN6thrust23THRUST_200600_302600_NS6detail15normal_iteratorINSA_10device_ptrIxEEEEPS6_PKS6_NS0_5tupleIJSF_S6_EEENSJ_IJSG_SG_EEENS0_18inequality_wrapperI22is_equal_div_10_uniqueIxEEEPmJS6_EEE10hipError_tPvRmT3_T4_T5_T6_T7_T9_mT8_P12ihipStream_tbDpT10_ENKUlT_T0_E_clISt17integral_constantIbLb0EES19_IbLb1EEEEDaS15_S16_EUlS15_E_NS1_11comp_targetILNS1_3genE3ELNS1_11target_archE908ELNS1_3gpuE7ELNS1_3repE0EEENS1_30default_config_static_selectorELNS0_4arch9wavefront6targetE1EEEvT1_.num_vgpr, 0
	.set _ZN7rocprim17ROCPRIM_400000_NS6detail17trampoline_kernelINS0_14default_configENS1_25partition_config_selectorILNS1_17partition_subalgoE8ExNS0_10empty_typeEbEEZZNS1_14partition_implILS5_8ELb0ES3_jN6thrust23THRUST_200600_302600_NS6detail15normal_iteratorINSA_10device_ptrIxEEEEPS6_PKS6_NS0_5tupleIJSF_S6_EEENSJ_IJSG_SG_EEENS0_18inequality_wrapperI22is_equal_div_10_uniqueIxEEEPmJS6_EEE10hipError_tPvRmT3_T4_T5_T6_T7_T9_mT8_P12ihipStream_tbDpT10_ENKUlT_T0_E_clISt17integral_constantIbLb0EES19_IbLb1EEEEDaS15_S16_EUlS15_E_NS1_11comp_targetILNS1_3genE3ELNS1_11target_archE908ELNS1_3gpuE7ELNS1_3repE0EEENS1_30default_config_static_selectorELNS0_4arch9wavefront6targetE1EEEvT1_.num_agpr, 0
	.set _ZN7rocprim17ROCPRIM_400000_NS6detail17trampoline_kernelINS0_14default_configENS1_25partition_config_selectorILNS1_17partition_subalgoE8ExNS0_10empty_typeEbEEZZNS1_14partition_implILS5_8ELb0ES3_jN6thrust23THRUST_200600_302600_NS6detail15normal_iteratorINSA_10device_ptrIxEEEEPS6_PKS6_NS0_5tupleIJSF_S6_EEENSJ_IJSG_SG_EEENS0_18inequality_wrapperI22is_equal_div_10_uniqueIxEEEPmJS6_EEE10hipError_tPvRmT3_T4_T5_T6_T7_T9_mT8_P12ihipStream_tbDpT10_ENKUlT_T0_E_clISt17integral_constantIbLb0EES19_IbLb1EEEEDaS15_S16_EUlS15_E_NS1_11comp_targetILNS1_3genE3ELNS1_11target_archE908ELNS1_3gpuE7ELNS1_3repE0EEENS1_30default_config_static_selectorELNS0_4arch9wavefront6targetE1EEEvT1_.numbered_sgpr, 0
	.set _ZN7rocprim17ROCPRIM_400000_NS6detail17trampoline_kernelINS0_14default_configENS1_25partition_config_selectorILNS1_17partition_subalgoE8ExNS0_10empty_typeEbEEZZNS1_14partition_implILS5_8ELb0ES3_jN6thrust23THRUST_200600_302600_NS6detail15normal_iteratorINSA_10device_ptrIxEEEEPS6_PKS6_NS0_5tupleIJSF_S6_EEENSJ_IJSG_SG_EEENS0_18inequality_wrapperI22is_equal_div_10_uniqueIxEEEPmJS6_EEE10hipError_tPvRmT3_T4_T5_T6_T7_T9_mT8_P12ihipStream_tbDpT10_ENKUlT_T0_E_clISt17integral_constantIbLb0EES19_IbLb1EEEEDaS15_S16_EUlS15_E_NS1_11comp_targetILNS1_3genE3ELNS1_11target_archE908ELNS1_3gpuE7ELNS1_3repE0EEENS1_30default_config_static_selectorELNS0_4arch9wavefront6targetE1EEEvT1_.num_named_barrier, 0
	.set _ZN7rocprim17ROCPRIM_400000_NS6detail17trampoline_kernelINS0_14default_configENS1_25partition_config_selectorILNS1_17partition_subalgoE8ExNS0_10empty_typeEbEEZZNS1_14partition_implILS5_8ELb0ES3_jN6thrust23THRUST_200600_302600_NS6detail15normal_iteratorINSA_10device_ptrIxEEEEPS6_PKS6_NS0_5tupleIJSF_S6_EEENSJ_IJSG_SG_EEENS0_18inequality_wrapperI22is_equal_div_10_uniqueIxEEEPmJS6_EEE10hipError_tPvRmT3_T4_T5_T6_T7_T9_mT8_P12ihipStream_tbDpT10_ENKUlT_T0_E_clISt17integral_constantIbLb0EES19_IbLb1EEEEDaS15_S16_EUlS15_E_NS1_11comp_targetILNS1_3genE3ELNS1_11target_archE908ELNS1_3gpuE7ELNS1_3repE0EEENS1_30default_config_static_selectorELNS0_4arch9wavefront6targetE1EEEvT1_.private_seg_size, 0
	.set _ZN7rocprim17ROCPRIM_400000_NS6detail17trampoline_kernelINS0_14default_configENS1_25partition_config_selectorILNS1_17partition_subalgoE8ExNS0_10empty_typeEbEEZZNS1_14partition_implILS5_8ELb0ES3_jN6thrust23THRUST_200600_302600_NS6detail15normal_iteratorINSA_10device_ptrIxEEEEPS6_PKS6_NS0_5tupleIJSF_S6_EEENSJ_IJSG_SG_EEENS0_18inequality_wrapperI22is_equal_div_10_uniqueIxEEEPmJS6_EEE10hipError_tPvRmT3_T4_T5_T6_T7_T9_mT8_P12ihipStream_tbDpT10_ENKUlT_T0_E_clISt17integral_constantIbLb0EES19_IbLb1EEEEDaS15_S16_EUlS15_E_NS1_11comp_targetILNS1_3genE3ELNS1_11target_archE908ELNS1_3gpuE7ELNS1_3repE0EEENS1_30default_config_static_selectorELNS0_4arch9wavefront6targetE1EEEvT1_.uses_vcc, 0
	.set _ZN7rocprim17ROCPRIM_400000_NS6detail17trampoline_kernelINS0_14default_configENS1_25partition_config_selectorILNS1_17partition_subalgoE8ExNS0_10empty_typeEbEEZZNS1_14partition_implILS5_8ELb0ES3_jN6thrust23THRUST_200600_302600_NS6detail15normal_iteratorINSA_10device_ptrIxEEEEPS6_PKS6_NS0_5tupleIJSF_S6_EEENSJ_IJSG_SG_EEENS0_18inequality_wrapperI22is_equal_div_10_uniqueIxEEEPmJS6_EEE10hipError_tPvRmT3_T4_T5_T6_T7_T9_mT8_P12ihipStream_tbDpT10_ENKUlT_T0_E_clISt17integral_constantIbLb0EES19_IbLb1EEEEDaS15_S16_EUlS15_E_NS1_11comp_targetILNS1_3genE3ELNS1_11target_archE908ELNS1_3gpuE7ELNS1_3repE0EEENS1_30default_config_static_selectorELNS0_4arch9wavefront6targetE1EEEvT1_.uses_flat_scratch, 0
	.set _ZN7rocprim17ROCPRIM_400000_NS6detail17trampoline_kernelINS0_14default_configENS1_25partition_config_selectorILNS1_17partition_subalgoE8ExNS0_10empty_typeEbEEZZNS1_14partition_implILS5_8ELb0ES3_jN6thrust23THRUST_200600_302600_NS6detail15normal_iteratorINSA_10device_ptrIxEEEEPS6_PKS6_NS0_5tupleIJSF_S6_EEENSJ_IJSG_SG_EEENS0_18inequality_wrapperI22is_equal_div_10_uniqueIxEEEPmJS6_EEE10hipError_tPvRmT3_T4_T5_T6_T7_T9_mT8_P12ihipStream_tbDpT10_ENKUlT_T0_E_clISt17integral_constantIbLb0EES19_IbLb1EEEEDaS15_S16_EUlS15_E_NS1_11comp_targetILNS1_3genE3ELNS1_11target_archE908ELNS1_3gpuE7ELNS1_3repE0EEENS1_30default_config_static_selectorELNS0_4arch9wavefront6targetE1EEEvT1_.has_dyn_sized_stack, 0
	.set _ZN7rocprim17ROCPRIM_400000_NS6detail17trampoline_kernelINS0_14default_configENS1_25partition_config_selectorILNS1_17partition_subalgoE8ExNS0_10empty_typeEbEEZZNS1_14partition_implILS5_8ELb0ES3_jN6thrust23THRUST_200600_302600_NS6detail15normal_iteratorINSA_10device_ptrIxEEEEPS6_PKS6_NS0_5tupleIJSF_S6_EEENSJ_IJSG_SG_EEENS0_18inequality_wrapperI22is_equal_div_10_uniqueIxEEEPmJS6_EEE10hipError_tPvRmT3_T4_T5_T6_T7_T9_mT8_P12ihipStream_tbDpT10_ENKUlT_T0_E_clISt17integral_constantIbLb0EES19_IbLb1EEEEDaS15_S16_EUlS15_E_NS1_11comp_targetILNS1_3genE3ELNS1_11target_archE908ELNS1_3gpuE7ELNS1_3repE0EEENS1_30default_config_static_selectorELNS0_4arch9wavefront6targetE1EEEvT1_.has_recursion, 0
	.set _ZN7rocprim17ROCPRIM_400000_NS6detail17trampoline_kernelINS0_14default_configENS1_25partition_config_selectorILNS1_17partition_subalgoE8ExNS0_10empty_typeEbEEZZNS1_14partition_implILS5_8ELb0ES3_jN6thrust23THRUST_200600_302600_NS6detail15normal_iteratorINSA_10device_ptrIxEEEEPS6_PKS6_NS0_5tupleIJSF_S6_EEENSJ_IJSG_SG_EEENS0_18inequality_wrapperI22is_equal_div_10_uniqueIxEEEPmJS6_EEE10hipError_tPvRmT3_T4_T5_T6_T7_T9_mT8_P12ihipStream_tbDpT10_ENKUlT_T0_E_clISt17integral_constantIbLb0EES19_IbLb1EEEEDaS15_S16_EUlS15_E_NS1_11comp_targetILNS1_3genE3ELNS1_11target_archE908ELNS1_3gpuE7ELNS1_3repE0EEENS1_30default_config_static_selectorELNS0_4arch9wavefront6targetE1EEEvT1_.has_indirect_call, 0
	.section	.AMDGPU.csdata,"",@progbits
; Kernel info:
; codeLenInByte = 0
; TotalNumSgprs: 4
; NumVgprs: 0
; ScratchSize: 0
; MemoryBound: 0
; FloatMode: 240
; IeeeMode: 1
; LDSByteSize: 0 bytes/workgroup (compile time only)
; SGPRBlocks: 0
; VGPRBlocks: 0
; NumSGPRsForWavesPerEU: 4
; NumVGPRsForWavesPerEU: 1
; Occupancy: 10
; WaveLimiterHint : 0
; COMPUTE_PGM_RSRC2:SCRATCH_EN: 0
; COMPUTE_PGM_RSRC2:USER_SGPR: 6
; COMPUTE_PGM_RSRC2:TRAP_HANDLER: 0
; COMPUTE_PGM_RSRC2:TGID_X_EN: 1
; COMPUTE_PGM_RSRC2:TGID_Y_EN: 0
; COMPUTE_PGM_RSRC2:TGID_Z_EN: 0
; COMPUTE_PGM_RSRC2:TIDIG_COMP_CNT: 0
	.section	.text._ZN7rocprim17ROCPRIM_400000_NS6detail17trampoline_kernelINS0_14default_configENS1_25partition_config_selectorILNS1_17partition_subalgoE8ExNS0_10empty_typeEbEEZZNS1_14partition_implILS5_8ELb0ES3_jN6thrust23THRUST_200600_302600_NS6detail15normal_iteratorINSA_10device_ptrIxEEEEPS6_PKS6_NS0_5tupleIJSF_S6_EEENSJ_IJSG_SG_EEENS0_18inequality_wrapperI22is_equal_div_10_uniqueIxEEEPmJS6_EEE10hipError_tPvRmT3_T4_T5_T6_T7_T9_mT8_P12ihipStream_tbDpT10_ENKUlT_T0_E_clISt17integral_constantIbLb0EES19_IbLb1EEEEDaS15_S16_EUlS15_E_NS1_11comp_targetILNS1_3genE2ELNS1_11target_archE906ELNS1_3gpuE6ELNS1_3repE0EEENS1_30default_config_static_selectorELNS0_4arch9wavefront6targetE1EEEvT1_,"axG",@progbits,_ZN7rocprim17ROCPRIM_400000_NS6detail17trampoline_kernelINS0_14default_configENS1_25partition_config_selectorILNS1_17partition_subalgoE8ExNS0_10empty_typeEbEEZZNS1_14partition_implILS5_8ELb0ES3_jN6thrust23THRUST_200600_302600_NS6detail15normal_iteratorINSA_10device_ptrIxEEEEPS6_PKS6_NS0_5tupleIJSF_S6_EEENSJ_IJSG_SG_EEENS0_18inequality_wrapperI22is_equal_div_10_uniqueIxEEEPmJS6_EEE10hipError_tPvRmT3_T4_T5_T6_T7_T9_mT8_P12ihipStream_tbDpT10_ENKUlT_T0_E_clISt17integral_constantIbLb0EES19_IbLb1EEEEDaS15_S16_EUlS15_E_NS1_11comp_targetILNS1_3genE2ELNS1_11target_archE906ELNS1_3gpuE6ELNS1_3repE0EEENS1_30default_config_static_selectorELNS0_4arch9wavefront6targetE1EEEvT1_,comdat
	.protected	_ZN7rocprim17ROCPRIM_400000_NS6detail17trampoline_kernelINS0_14default_configENS1_25partition_config_selectorILNS1_17partition_subalgoE8ExNS0_10empty_typeEbEEZZNS1_14partition_implILS5_8ELb0ES3_jN6thrust23THRUST_200600_302600_NS6detail15normal_iteratorINSA_10device_ptrIxEEEEPS6_PKS6_NS0_5tupleIJSF_S6_EEENSJ_IJSG_SG_EEENS0_18inequality_wrapperI22is_equal_div_10_uniqueIxEEEPmJS6_EEE10hipError_tPvRmT3_T4_T5_T6_T7_T9_mT8_P12ihipStream_tbDpT10_ENKUlT_T0_E_clISt17integral_constantIbLb0EES19_IbLb1EEEEDaS15_S16_EUlS15_E_NS1_11comp_targetILNS1_3genE2ELNS1_11target_archE906ELNS1_3gpuE6ELNS1_3repE0EEENS1_30default_config_static_selectorELNS0_4arch9wavefront6targetE1EEEvT1_ ; -- Begin function _ZN7rocprim17ROCPRIM_400000_NS6detail17trampoline_kernelINS0_14default_configENS1_25partition_config_selectorILNS1_17partition_subalgoE8ExNS0_10empty_typeEbEEZZNS1_14partition_implILS5_8ELb0ES3_jN6thrust23THRUST_200600_302600_NS6detail15normal_iteratorINSA_10device_ptrIxEEEEPS6_PKS6_NS0_5tupleIJSF_S6_EEENSJ_IJSG_SG_EEENS0_18inequality_wrapperI22is_equal_div_10_uniqueIxEEEPmJS6_EEE10hipError_tPvRmT3_T4_T5_T6_T7_T9_mT8_P12ihipStream_tbDpT10_ENKUlT_T0_E_clISt17integral_constantIbLb0EES19_IbLb1EEEEDaS15_S16_EUlS15_E_NS1_11comp_targetILNS1_3genE2ELNS1_11target_archE906ELNS1_3gpuE6ELNS1_3repE0EEENS1_30default_config_static_selectorELNS0_4arch9wavefront6targetE1EEEvT1_
	.globl	_ZN7rocprim17ROCPRIM_400000_NS6detail17trampoline_kernelINS0_14default_configENS1_25partition_config_selectorILNS1_17partition_subalgoE8ExNS0_10empty_typeEbEEZZNS1_14partition_implILS5_8ELb0ES3_jN6thrust23THRUST_200600_302600_NS6detail15normal_iteratorINSA_10device_ptrIxEEEEPS6_PKS6_NS0_5tupleIJSF_S6_EEENSJ_IJSG_SG_EEENS0_18inequality_wrapperI22is_equal_div_10_uniqueIxEEEPmJS6_EEE10hipError_tPvRmT3_T4_T5_T6_T7_T9_mT8_P12ihipStream_tbDpT10_ENKUlT_T0_E_clISt17integral_constantIbLb0EES19_IbLb1EEEEDaS15_S16_EUlS15_E_NS1_11comp_targetILNS1_3genE2ELNS1_11target_archE906ELNS1_3gpuE6ELNS1_3repE0EEENS1_30default_config_static_selectorELNS0_4arch9wavefront6targetE1EEEvT1_
	.p2align	8
	.type	_ZN7rocprim17ROCPRIM_400000_NS6detail17trampoline_kernelINS0_14default_configENS1_25partition_config_selectorILNS1_17partition_subalgoE8ExNS0_10empty_typeEbEEZZNS1_14partition_implILS5_8ELb0ES3_jN6thrust23THRUST_200600_302600_NS6detail15normal_iteratorINSA_10device_ptrIxEEEEPS6_PKS6_NS0_5tupleIJSF_S6_EEENSJ_IJSG_SG_EEENS0_18inequality_wrapperI22is_equal_div_10_uniqueIxEEEPmJS6_EEE10hipError_tPvRmT3_T4_T5_T6_T7_T9_mT8_P12ihipStream_tbDpT10_ENKUlT_T0_E_clISt17integral_constantIbLb0EES19_IbLb1EEEEDaS15_S16_EUlS15_E_NS1_11comp_targetILNS1_3genE2ELNS1_11target_archE906ELNS1_3gpuE6ELNS1_3repE0EEENS1_30default_config_static_selectorELNS0_4arch9wavefront6targetE1EEEvT1_,@function
_ZN7rocprim17ROCPRIM_400000_NS6detail17trampoline_kernelINS0_14default_configENS1_25partition_config_selectorILNS1_17partition_subalgoE8ExNS0_10empty_typeEbEEZZNS1_14partition_implILS5_8ELb0ES3_jN6thrust23THRUST_200600_302600_NS6detail15normal_iteratorINSA_10device_ptrIxEEEEPS6_PKS6_NS0_5tupleIJSF_S6_EEENSJ_IJSG_SG_EEENS0_18inequality_wrapperI22is_equal_div_10_uniqueIxEEEPmJS6_EEE10hipError_tPvRmT3_T4_T5_T6_T7_T9_mT8_P12ihipStream_tbDpT10_ENKUlT_T0_E_clISt17integral_constantIbLb0EES19_IbLb1EEEEDaS15_S16_EUlS15_E_NS1_11comp_targetILNS1_3genE2ELNS1_11target_archE906ELNS1_3gpuE6ELNS1_3repE0EEENS1_30default_config_static_selectorELNS0_4arch9wavefront6targetE1EEEvT1_: ; @_ZN7rocprim17ROCPRIM_400000_NS6detail17trampoline_kernelINS0_14default_configENS1_25partition_config_selectorILNS1_17partition_subalgoE8ExNS0_10empty_typeEbEEZZNS1_14partition_implILS5_8ELb0ES3_jN6thrust23THRUST_200600_302600_NS6detail15normal_iteratorINSA_10device_ptrIxEEEEPS6_PKS6_NS0_5tupleIJSF_S6_EEENSJ_IJSG_SG_EEENS0_18inequality_wrapperI22is_equal_div_10_uniqueIxEEEPmJS6_EEE10hipError_tPvRmT3_T4_T5_T6_T7_T9_mT8_P12ihipStream_tbDpT10_ENKUlT_T0_E_clISt17integral_constantIbLb0EES19_IbLb1EEEEDaS15_S16_EUlS15_E_NS1_11comp_targetILNS1_3genE2ELNS1_11target_archE906ELNS1_3gpuE6ELNS1_3repE0EEENS1_30default_config_static_selectorELNS0_4arch9wavefront6targetE1EEEvT1_
; %bb.0:
	s_load_dwordx2 s[24:25], s[4:5], 0x28
	s_load_dwordx4 s[20:23], s[4:5], 0x40
	s_load_dwordx2 s[6:7], s[4:5], 0x50
	s_load_dwordx2 s[28:29], s[4:5], 0x60
	v_cmp_ne_u32_e64 s[2:3], 0, v0
	v_cmp_eq_u32_e64 s[0:1], 0, v0
	s_and_saveexec_b64 s[8:9], s[0:1]
	s_cbranch_execz .LBB400_4
; %bb.1:
	s_mov_b64 s[12:13], exec
	v_mbcnt_lo_u32_b32 v1, s12, 0
	v_mbcnt_hi_u32_b32 v1, s13, v1
	v_cmp_eq_u32_e32 vcc, 0, v1
                                        ; implicit-def: $vgpr2
	s_and_saveexec_b64 s[10:11], vcc
	s_cbranch_execz .LBB400_3
; %bb.2:
	s_load_dwordx2 s[14:15], s[4:5], 0x70
	s_bcnt1_i32_b64 s12, s[12:13]
	v_mov_b32_e32 v2, 0
	v_mov_b32_e32 v3, s12
	s_waitcnt lgkmcnt(0)
	global_atomic_add v2, v2, v3, s[14:15] glc
.LBB400_3:
	s_or_b64 exec, exec, s[10:11]
	s_waitcnt vmcnt(0)
	v_readfirstlane_b32 s10, v2
	v_add_u32_e32 v1, s10, v1
	v_mov_b32_e32 v2, 0
	ds_write_b32 v2, v1
.LBB400_4:
	s_or_b64 exec, exec, s[8:9]
	v_mov_b32_e32 v2, 0
	s_load_dwordx4 s[8:11], s[4:5], 0x8
	s_load_dword s12, s[4:5], 0x68
	s_waitcnt lgkmcnt(0)
	s_barrier
	ds_read_b32 v1, v2
	s_waitcnt lgkmcnt(0)
	s_barrier
	global_load_dwordx2 v[17:18], v2, s[22:23]
	s_lshl_b64 s[4:5], s[10:11], 3
	s_add_u32 s8, s8, s4
	s_movk_i32 s4, 0x700
	v_readfirstlane_b32 s33, v1
	v_mul_lo_u32 v1, v1, s4
	s_mul_i32 s4, s12, 0x700
	s_addc_u32 s9, s9, s5
	s_add_i32 s5, s4, s10
	s_add_i32 s13, s12, -1
	s_sub_i32 s38, s6, s5
	s_add_u32 s4, s10, s4
	s_addc_u32 s5, s11, 0
	v_mov_b32_e32 v3, s4
	v_mov_b32_e32 v4, s5
	v_cmp_le_u64_e32 vcc, s[6:7], v[3:4]
	s_cmp_eq_u32 s33, s13
	v_lshlrev_b64 v[1:2], 3, v[1:2]
	s_cselect_b64 s[22:23], -1, 0
	s_and_b64 s[14:15], vcc, s[22:23]
	v_mov_b32_e32 v3, s9
	v_add_co_u32_e32 v19, vcc, s8, v1
	s_xor_b64 s[26:27], s[14:15], -1
	v_addc_co_u32_e32 v20, vcc, v3, v2, vcc
	s_mov_b64 s[4:5], -1
	s_and_b64 vcc, exec, s[26:27]
	v_lshlrev_b32_e32 v37, 3, v0
	s_cbranch_vccz .LBB400_6
; %bb.5:
	v_lshlrev_b32_e32 v23, 3, v0
	v_add_co_u32_e32 v1, vcc, v19, v23
	v_addc_co_u32_e32 v2, vcc, 0, v20, vcc
	v_add_co_u32_e32 v3, vcc, 0x1000, v1
	v_addc_co_u32_e32 v4, vcc, 0, v2, vcc
	flat_load_dwordx2 v[5:6], v[1:2]
	flat_load_dwordx2 v[7:8], v[1:2] offset:2048
	flat_load_dwordx2 v[9:10], v[3:4]
	flat_load_dwordx2 v[11:12], v[3:4] offset:2048
	v_add_co_u32_e32 v3, vcc, 0x2000, v1
	v_addc_co_u32_e32 v4, vcc, 0, v2, vcc
	v_add_co_u32_e32 v1, vcc, 0x3000, v1
	v_addc_co_u32_e32 v2, vcc, 0, v2, vcc
	flat_load_dwordx2 v[13:14], v[3:4]
	flat_load_dwordx2 v[15:16], v[3:4] offset:2048
	flat_load_dwordx2 v[21:22], v[1:2]
	s_mov_b64 s[4:5], 0
	s_waitcnt vmcnt(0) lgkmcnt(0)
	ds_write2st64_b64 v23, v[5:6], v[7:8] offset1:4
	ds_write2st64_b64 v23, v[9:10], v[11:12] offset0:8 offset1:12
	ds_write2st64_b64 v23, v[13:14], v[15:16] offset0:16 offset1:20
	ds_write_b64 v23, v[21:22] offset:12288
	s_waitcnt lgkmcnt(0)
	s_barrier
.LBB400_6:
	s_andn2_b64 vcc, exec, s[4:5]
	s_addk_i32 s38, 0x700
	s_cbranch_vccnz .LBB400_22
; %bb.7:
	v_mov_b32_e32 v1, 0
	v_cmp_gt_u32_e32 vcc, s38, v0
	v_mov_b32_e32 v2, v1
	v_mov_b32_e32 v3, v1
	v_mov_b32_e32 v4, v1
	v_mov_b32_e32 v5, v1
	v_mov_b32_e32 v6, v1
	v_mov_b32_e32 v7, v1
	v_mov_b32_e32 v8, v1
	v_mov_b32_e32 v9, v1
	v_mov_b32_e32 v10, v1
	v_mov_b32_e32 v11, v1
	v_mov_b32_e32 v12, v1
	v_mov_b32_e32 v13, v1
	v_mov_b32_e32 v14, v1
	s_and_saveexec_b64 s[4:5], vcc
	s_cbranch_execz .LBB400_9
; %bb.8:
	v_lshlrev_b32_e32 v2, 3, v0
	v_add_co_u32_e32 v2, vcc, v19, v2
	v_addc_co_u32_e32 v3, vcc, 0, v20, vcc
	flat_load_dwordx2 v[2:3], v[2:3]
	v_mov_b32_e32 v4, v1
	v_mov_b32_e32 v5, v1
	;; [unrolled: 1-line block ×12, first 2 shown]
	s_waitcnt vmcnt(0) lgkmcnt(0)
	v_mov_b32_e32 v1, v2
	v_mov_b32_e32 v2, v3
	;; [unrolled: 1-line block ×16, first 2 shown]
.LBB400_9:
	s_or_b64 exec, exec, s[4:5]
	v_or_b32_e32 v15, 0x100, v0
	v_cmp_gt_u32_e32 vcc, s38, v15
	s_and_saveexec_b64 s[4:5], vcc
	s_cbranch_execz .LBB400_11
; %bb.10:
	v_lshlrev_b32_e32 v3, 3, v0
	v_add_co_u32_e32 v3, vcc, v19, v3
	v_addc_co_u32_e32 v4, vcc, 0, v20, vcc
	flat_load_dwordx2 v[3:4], v[3:4] offset:2048
.LBB400_11:
	s_or_b64 exec, exec, s[4:5]
	v_or_b32_e32 v15, 0x200, v0
	v_cmp_gt_u32_e32 vcc, s38, v15
	s_and_saveexec_b64 s[4:5], vcc
	s_cbranch_execz .LBB400_13
; %bb.12:
	v_lshlrev_b32_e32 v5, 3, v15
	v_add_co_u32_e32 v5, vcc, v19, v5
	v_addc_co_u32_e32 v6, vcc, 0, v20, vcc
	flat_load_dwordx2 v[5:6], v[5:6]
.LBB400_13:
	s_or_b64 exec, exec, s[4:5]
	v_or_b32_e32 v15, 0x300, v0
	v_cmp_gt_u32_e32 vcc, s38, v15
	s_and_saveexec_b64 s[4:5], vcc
	s_cbranch_execz .LBB400_15
; %bb.14:
	v_lshlrev_b32_e32 v7, 3, v15
	v_add_co_u32_e32 v7, vcc, v19, v7
	v_addc_co_u32_e32 v8, vcc, 0, v20, vcc
	flat_load_dwordx2 v[7:8], v[7:8]
.LBB400_15:
	s_or_b64 exec, exec, s[4:5]
	v_or_b32_e32 v15, 0x400, v0
	v_cmp_gt_u32_e32 vcc, s38, v15
	s_and_saveexec_b64 s[4:5], vcc
	s_cbranch_execz .LBB400_17
; %bb.16:
	v_lshlrev_b32_e32 v9, 3, v15
	v_add_co_u32_e32 v9, vcc, v19, v9
	v_addc_co_u32_e32 v10, vcc, 0, v20, vcc
	flat_load_dwordx2 v[9:10], v[9:10]
.LBB400_17:
	s_or_b64 exec, exec, s[4:5]
	v_or_b32_e32 v15, 0x500, v0
	v_cmp_gt_u32_e32 vcc, s38, v15
	s_and_saveexec_b64 s[4:5], vcc
	s_cbranch_execz .LBB400_19
; %bb.18:
	v_lshlrev_b32_e32 v11, 3, v15
	v_add_co_u32_e32 v11, vcc, v19, v11
	v_addc_co_u32_e32 v12, vcc, 0, v20, vcc
	flat_load_dwordx2 v[11:12], v[11:12]
.LBB400_19:
	s_or_b64 exec, exec, s[4:5]
	v_or_b32_e32 v15, 0x600, v0
	v_cmp_gt_u32_e32 vcc, s38, v15
	s_and_saveexec_b64 s[4:5], vcc
	s_cbranch_execz .LBB400_21
; %bb.20:
	v_lshlrev_b32_e32 v13, 3, v15
	v_add_co_u32_e32 v13, vcc, v19, v13
	v_addc_co_u32_e32 v14, vcc, 0, v20, vcc
	flat_load_dwordx2 v[13:14], v[13:14]
.LBB400_21:
	s_or_b64 exec, exec, s[4:5]
	v_lshlrev_b32_e32 v15, 3, v0
	s_waitcnt vmcnt(0) lgkmcnt(0)
	ds_write2st64_b64 v15, v[1:2], v[3:4] offset1:4
	ds_write2st64_b64 v15, v[5:6], v[7:8] offset0:8 offset1:12
	ds_write2st64_b64 v15, v[9:10], v[11:12] offset0:16 offset1:20
	ds_write_b64 v15, v[13:14] offset:12288
	s_waitcnt lgkmcnt(0)
	s_barrier
.LBB400_22:
	v_mul_u32_u24_e32 v21, 7, v0
	v_lshlrev_b32_e32 v22, 3, v21
	ds_read2_b64 v[9:12], v22 offset1:1
	ds_read2_b64 v[5:8], v22 offset0:2 offset1:3
	ds_read2_b64 v[1:4], v22 offset0:4 offset1:5
	ds_read_b64 v[13:14], v22 offset:48
	s_cmp_lg_u32 s33, 0
	s_cselect_b64 s[16:17], -1, 0
	s_cmp_lg_u64 s[10:11], 0
	s_cselect_b64 s[4:5], -1, 0
	s_or_b64 s[4:5], s[4:5], s[16:17]
	s_mov_b64 s[18:19], 0
	s_and_b64 vcc, exec, s[4:5]
	s_waitcnt vmcnt(0) lgkmcnt(0)
	s_barrier
	s_cbranch_vccz .LBB400_27
; %bb.23:
	v_add_co_u32_e32 v15, vcc, -8, v19
	v_addc_co_u32_e32 v16, vcc, -1, v20, vcc
	flat_load_dwordx2 v[15:16], v[15:16]
	v_lshlrev_b32_e32 v23, 3, v0
	s_and_b64 vcc, exec, s[26:27]
	ds_write_b64 v23, v[13:14]
	s_cbranch_vccz .LBB400_28
; %bb.24:
	s_waitcnt vmcnt(0) lgkmcnt(0)
	v_mov_b32_e32 v20, v16
	v_mov_b32_e32 v19, v15
	s_barrier
	s_and_saveexec_b64 s[4:5], s[2:3]
; %bb.25:
	v_add_u32_e32 v16, -8, v23
	ds_read_b64 v[19:20], v16
; %bb.26:
	s_or_b64 exec, exec, s[4:5]
	s_mov_b32 s4, 0x66666667
	v_mul_hi_i32 v16, v3, s4
	s_waitcnt lgkmcnt(0)
	v_mul_hi_i32 v20, v13, s4
	v_mul_hi_i32 v19, v19, s4
	v_lshrrev_b32_e32 v24, 31, v16
	v_ashrrev_i32_e32 v16, 2, v16
	v_add_u32_e32 v16, v16, v24
	v_mul_hi_i32 v24, v1, s4
	v_lshrrev_b32_e32 v25, 31, v20
	v_ashrrev_i32_e32 v20, 2, v20
	v_add_u32_e32 v20, v20, v25
	v_mul_hi_i32 v25, v7, s4
	v_cmp_ne_u32_e32 vcc, v16, v20
	v_lshrrev_b32_e32 v20, 31, v24
	v_ashrrev_i32_e32 v24, 2, v24
	v_add_u32_e32 v20, v24, v20
	v_cndmask_b32_e64 v38, 0, 1, vcc
	v_cmp_ne_u32_e32 vcc, v20, v16
	v_lshrrev_b32_e32 v16, 31, v25
	v_ashrrev_i32_e32 v24, 2, v25
	v_mul_hi_i32 v25, v5, s4
	v_add_u32_e32 v16, v24, v16
	v_cndmask_b32_e64 v39, 0, 1, vcc
	v_cmp_ne_u32_e32 vcc, v16, v20
	v_lshrrev_b32_e32 v20, 31, v25
	v_ashrrev_i32_e32 v24, 2, v25
	v_mul_hi_i32 v25, v11, s4
	;; [unrolled: 6-line block ×3, first 2 shown]
	v_add_u32_e32 v16, v24, v16
	v_cndmask_b32_e64 v41, 0, 1, vcc
	v_cmp_ne_u32_e32 vcc, v16, v20
	v_lshrrev_b32_e32 v20, 31, v25
	v_ashrrev_i32_e32 v24, 2, v25
	v_add_u32_e32 v20, v24, v20
	v_cndmask_b32_e64 v42, 0, 1, vcc
	v_cmp_ne_u32_e32 vcc, v20, v16
	v_lshrrev_b32_e32 v16, 31, v19
	v_ashrrev_i32_e32 v19, 2, v19
	v_add_u32_e32 v16, v19, v16
	v_cndmask_b32_e64 v43, 0, 1, vcc
	v_cmp_ne_u32_e64 s[30:31], v16, v20
	s_branch .LBB400_46
.LBB400_27:
                                        ; implicit-def: $sgpr30_sgpr31
                                        ; implicit-def: $vgpr38
                                        ; implicit-def: $vgpr39
                                        ; implicit-def: $vgpr40
                                        ; implicit-def: $vgpr41
                                        ; implicit-def: $vgpr42
                                        ; implicit-def: $vgpr43
	s_branch .LBB400_47
.LBB400_28:
                                        ; implicit-def: $sgpr30_sgpr31
                                        ; implicit-def: $vgpr38
                                        ; implicit-def: $vgpr39
                                        ; implicit-def: $vgpr40
                                        ; implicit-def: $vgpr41
                                        ; implicit-def: $vgpr42
                                        ; implicit-def: $vgpr43
	s_cbranch_execz .LBB400_46
; %bb.29:
	s_waitcnt vmcnt(0) lgkmcnt(0)
	v_add_u32_e32 v16, 6, v21
	v_cmp_gt_u32_e32 vcc, s38, v16
	s_mov_b64 s[6:7], 0
	s_mov_b64 s[4:5], 0
	s_and_saveexec_b64 s[8:9], vcc
	s_cbranch_execz .LBB400_31
; %bb.30:
	s_mov_b32 s4, 0x66666667
	v_mul_hi_i32 v16, v3, s4
	v_mul_hi_i32 v19, v13, s4
	v_lshrrev_b32_e32 v20, 31, v16
	v_ashrrev_i32_e32 v16, 2, v16
	v_lshrrev_b32_e32 v24, 31, v19
	v_ashrrev_i32_e32 v19, 2, v19
	v_add_u32_e32 v16, v16, v20
	v_add_u32_e32 v19, v19, v24
	v_cmp_ne_u32_e32 vcc, v16, v19
	s_and_b64 s[4:5], vcc, exec
.LBB400_31:
	s_or_b64 exec, exec, s[8:9]
	v_add_u32_e32 v16, 5, v21
	v_cmp_gt_u32_e32 vcc, s38, v16
	s_and_saveexec_b64 s[8:9], vcc
	s_cbranch_execz .LBB400_33
; %bb.32:
	s_mov_b32 s6, 0x66666667
	v_mul_hi_i32 v16, v1, s6
	v_mul_hi_i32 v19, v3, s6
	v_lshrrev_b32_e32 v20, 31, v16
	v_ashrrev_i32_e32 v16, 2, v16
	v_lshrrev_b32_e32 v24, 31, v19
	v_ashrrev_i32_e32 v19, 2, v19
	v_add_u32_e32 v16, v16, v20
	v_add_u32_e32 v19, v19, v24
	v_cmp_ne_u32_e32 vcc, v16, v19
	s_and_b64 s[6:7], vcc, exec
.LBB400_33:
	s_or_b64 exec, exec, s[8:9]
	v_add_u32_e32 v16, 4, v21
	v_cmp_gt_u32_e32 vcc, s38, v16
	s_mov_b64 s[10:11], 0
	s_mov_b64 s[8:9], 0
	s_and_saveexec_b64 s[12:13], vcc
	s_cbranch_execz .LBB400_35
; %bb.34:
	s_mov_b32 s8, 0x66666667
	v_mul_hi_i32 v16, v7, s8
	v_mul_hi_i32 v19, v1, s8
	v_lshrrev_b32_e32 v20, 31, v16
	v_ashrrev_i32_e32 v16, 2, v16
	v_lshrrev_b32_e32 v24, 31, v19
	v_ashrrev_i32_e32 v19, 2, v19
	v_add_u32_e32 v16, v16, v20
	v_add_u32_e32 v19, v19, v24
	v_cmp_ne_u32_e32 vcc, v16, v19
	s_and_b64 s[8:9], vcc, exec
.LBB400_35:
	s_or_b64 exec, exec, s[12:13]
	v_add_u32_e32 v16, 3, v21
	v_cmp_gt_u32_e32 vcc, s38, v16
	s_and_saveexec_b64 s[12:13], vcc
	s_cbranch_execz .LBB400_37
; %bb.36:
	s_mov_b32 s10, 0x66666667
	v_mul_hi_i32 v16, v5, s10
	v_mul_hi_i32 v19, v7, s10
	v_lshrrev_b32_e32 v20, 31, v16
	v_ashrrev_i32_e32 v16, 2, v16
	v_lshrrev_b32_e32 v24, 31, v19
	v_ashrrev_i32_e32 v19, 2, v19
	v_add_u32_e32 v16, v16, v20
	v_add_u32_e32 v19, v19, v24
	v_cmp_ne_u32_e32 vcc, v16, v19
	s_and_b64 s[10:11], vcc, exec
.LBB400_37:
	s_or_b64 exec, exec, s[12:13]
	v_add_u32_e32 v16, 2, v21
	v_cmp_gt_u32_e32 vcc, s38, v16
	s_mov_b64 s[12:13], 0
	s_and_saveexec_b64 s[30:31], vcc
	s_cbranch_execz .LBB400_39
; %bb.38:
	s_mov_b32 s12, 0x66666667
	v_mul_hi_i32 v16, v11, s12
	v_mul_hi_i32 v19, v5, s12
	v_lshrrev_b32_e32 v20, 31, v16
	v_ashrrev_i32_e32 v16, 2, v16
	v_lshrrev_b32_e32 v24, 31, v19
	v_ashrrev_i32_e32 v19, 2, v19
	v_add_u32_e32 v16, v16, v20
	v_add_u32_e32 v19, v19, v24
	v_cmp_ne_u32_e32 vcc, v16, v19
	s_and_b64 s[12:13], vcc, exec
.LBB400_39:
	s_or_b64 exec, exec, s[30:31]
	v_add_u32_e32 v16, 1, v21
	v_cmp_gt_u32_e32 vcc, s38, v16
	s_and_saveexec_b64 s[30:31], vcc
	s_cbranch_execz .LBB400_41
; %bb.40:
	s_mov_b32 s18, 0x66666667
	v_mul_hi_i32 v16, v9, s18
	v_mul_hi_i32 v19, v11, s18
	v_lshrrev_b32_e32 v20, 31, v16
	v_ashrrev_i32_e32 v16, 2, v16
	v_lshrrev_b32_e32 v24, 31, v19
	v_ashrrev_i32_e32 v19, 2, v19
	v_add_u32_e32 v16, v16, v20
	v_add_u32_e32 v19, v19, v24
	v_cmp_ne_u32_e32 vcc, v16, v19
	s_and_b64 s[18:19], vcc, exec
.LBB400_41:
	s_or_b64 exec, exec, s[30:31]
	s_barrier
	s_and_saveexec_b64 s[30:31], s[2:3]
; %bb.42:
	v_add_u32_e32 v15, -8, v23
	ds_read_b64 v[15:16], v15
; %bb.43:
	s_or_b64 exec, exec, s[30:31]
	v_cmp_gt_u32_e32 vcc, s38, v21
	s_mov_b64 s[30:31], 0
	s_and_saveexec_b64 s[34:35], vcc
	s_cbranch_execz .LBB400_45
; %bb.44:
	s_mov_b32 s30, 0x66666667
	s_waitcnt lgkmcnt(0)
	v_mul_hi_i32 v15, v15, s30
	v_mul_hi_i32 v16, v9, s30
	v_lshrrev_b32_e32 v19, 31, v15
	v_ashrrev_i32_e32 v15, 2, v15
	v_lshrrev_b32_e32 v20, 31, v16
	v_ashrrev_i32_e32 v16, 2, v16
	v_add_u32_e32 v15, v15, v19
	v_add_u32_e32 v16, v16, v20
	v_cmp_ne_u32_e32 vcc, v15, v16
	s_and_b64 s[30:31], vcc, exec
.LBB400_45:
	s_or_b64 exec, exec, s[34:35]
	v_cndmask_b32_e64 v43, 0, 1, s[18:19]
	v_cndmask_b32_e64 v42, 0, 1, s[12:13]
	;; [unrolled: 1-line block ×6, first 2 shown]
.LBB400_46:
	s_mov_b64 s[18:19], -1
	s_cbranch_execnz .LBB400_69
.LBB400_47:
	s_movk_i32 s4, 0xffd0
	s_waitcnt vmcnt(0) lgkmcnt(0)
	v_mad_i32_i24 v15, v0, s4, v22
	s_and_b64 vcc, exec, s[26:27]
	ds_write_b64 v15, v[13:14]
	s_cbranch_vccz .LBB400_51
; %bb.48:
	s_mov_b32 s36, 0x66666667
	v_mul_hi_i32 v16, v3, s36
	v_mul_hi_i32 v19, v13, s36
	s_waitcnt lgkmcnt(0)
	s_barrier
	v_lshrrev_b32_e32 v20, 31, v16
	v_ashrrev_i32_e32 v16, 2, v16
	v_add_u32_e32 v16, v16, v20
	v_mul_hi_i32 v20, v1, s36
	v_lshrrev_b32_e32 v22, 31, v19
	v_ashrrev_i32_e32 v19, 2, v19
	v_add_u32_e32 v19, v19, v22
	v_mul_hi_i32 v22, v7, s36
	v_cmp_ne_u32_e32 vcc, v16, v19
	v_lshrrev_b32_e32 v19, 31, v20
	v_ashrrev_i32_e32 v20, 2, v20
	v_add_u32_e32 v19, v20, v19
	v_mul_hi_i32 v20, v5, s36
	v_cmp_ne_u32_e64 s[4:5], v19, v16
	v_lshrrev_b32_e32 v16, 31, v22
	v_ashrrev_i32_e32 v22, 2, v22
	v_add_u32_e32 v16, v22, v16
	v_mul_hi_i32 v22, v11, s36
	v_cmp_ne_u32_e64 s[6:7], v16, v19
	;; [unrolled: 5-line block ×3, first 2 shown]
	v_lshrrev_b32_e32 v16, 31, v22
	v_ashrrev_i32_e32 v22, 2, v22
	v_add_u32_e32 v22, v22, v16
	v_cmp_ne_u32_e64 s[10:11], v22, v19
	v_lshrrev_b32_e32 v16, 31, v20
	v_ashrrev_i32_e32 v19, 2, v20
	v_add_u32_e32 v16, v19, v16
	v_cmp_ne_u32_e64 s[12:13], v16, v22
                                        ; implicit-def: $sgpr30_sgpr31
	s_and_saveexec_b64 s[34:35], s[2:3]
	s_xor_b64 s[34:35], exec, s[34:35]
	s_cbranch_execz .LBB400_50
; %bb.49:
	v_add_u32_e32 v19, -8, v15
	ds_read_b32 v19, v19
	s_or_b64 s[18:19], s[18:19], exec
	s_waitcnt lgkmcnt(0)
	v_mul_hi_i32 v19, v19, s36
	v_lshrrev_b32_e32 v20, 31, v19
	v_ashrrev_i32_e32 v19, 2, v19
	v_add_u32_e32 v19, v19, v20
	v_cmp_ne_u32_e64 s[30:31], v19, v16
.LBB400_50:
	s_or_b64 exec, exec, s[34:35]
	v_cndmask_b32_e64 v38, 0, 1, vcc
	v_cndmask_b32_e64 v39, 0, 1, s[4:5]
	v_cndmask_b32_e64 v40, 0, 1, s[6:7]
	;; [unrolled: 1-line block ×5, first 2 shown]
	s_branch .LBB400_69
.LBB400_51:
                                        ; implicit-def: $sgpr30_sgpr31
                                        ; implicit-def: $vgpr38
                                        ; implicit-def: $vgpr39
                                        ; implicit-def: $vgpr40
                                        ; implicit-def: $vgpr41
                                        ; implicit-def: $vgpr42
                                        ; implicit-def: $vgpr43
	s_cbranch_execz .LBB400_69
; %bb.52:
	v_add_u32_e32 v16, 6, v21
	v_cmp_gt_u32_e32 vcc, s38, v16
	s_mov_b64 s[6:7], 0
	s_mov_b64 s[4:5], 0
	s_and_saveexec_b64 s[8:9], vcc
	s_cbranch_execz .LBB400_54
; %bb.53:
	s_mov_b32 s4, 0x66666667
	v_mul_hi_i32 v16, v3, s4
	v_mul_hi_i32 v19, v13, s4
	v_lshrrev_b32_e32 v20, 31, v16
	v_ashrrev_i32_e32 v16, 2, v16
	v_lshrrev_b32_e32 v22, 31, v19
	v_ashrrev_i32_e32 v19, 2, v19
	v_add_u32_e32 v16, v16, v20
	v_add_u32_e32 v19, v19, v22
	v_cmp_ne_u32_e32 vcc, v16, v19
	s_and_b64 s[4:5], vcc, exec
.LBB400_54:
	s_or_b64 exec, exec, s[8:9]
	v_add_u32_e32 v16, 5, v21
	v_cmp_gt_u32_e32 vcc, s38, v16
	s_and_saveexec_b64 s[8:9], vcc
	s_cbranch_execz .LBB400_56
; %bb.55:
	s_mov_b32 s6, 0x66666667
	v_mul_hi_i32 v16, v1, s6
	v_mul_hi_i32 v19, v3, s6
	v_lshrrev_b32_e32 v20, 31, v16
	v_ashrrev_i32_e32 v16, 2, v16
	v_lshrrev_b32_e32 v22, 31, v19
	v_ashrrev_i32_e32 v19, 2, v19
	v_add_u32_e32 v16, v16, v20
	v_add_u32_e32 v19, v19, v22
	v_cmp_ne_u32_e32 vcc, v16, v19
	s_and_b64 s[6:7], vcc, exec
.LBB400_56:
	s_or_b64 exec, exec, s[8:9]
	v_add_u32_e32 v16, 4, v21
	v_cmp_gt_u32_e32 vcc, s38, v16
	s_mov_b64 s[10:11], 0
	s_mov_b64 s[8:9], 0
	s_and_saveexec_b64 s[12:13], vcc
	s_cbranch_execz .LBB400_58
; %bb.57:
	s_mov_b32 s8, 0x66666667
	v_mul_hi_i32 v16, v7, s8
	v_mul_hi_i32 v19, v1, s8
	v_lshrrev_b32_e32 v20, 31, v16
	v_ashrrev_i32_e32 v16, 2, v16
	v_lshrrev_b32_e32 v22, 31, v19
	v_ashrrev_i32_e32 v19, 2, v19
	v_add_u32_e32 v16, v16, v20
	v_add_u32_e32 v19, v19, v22
	v_cmp_ne_u32_e32 vcc, v16, v19
	s_and_b64 s[8:9], vcc, exec
.LBB400_58:
	s_or_b64 exec, exec, s[12:13]
	v_add_u32_e32 v16, 3, v21
	v_cmp_gt_u32_e32 vcc, s38, v16
	s_and_saveexec_b64 s[12:13], vcc
	s_cbranch_execz .LBB400_60
; %bb.59:
	s_mov_b32 s10, 0x66666667
	v_mul_hi_i32 v16, v5, s10
	v_mul_hi_i32 v19, v7, s10
	v_lshrrev_b32_e32 v20, 31, v16
	v_ashrrev_i32_e32 v16, 2, v16
	v_lshrrev_b32_e32 v22, 31, v19
	v_ashrrev_i32_e32 v19, 2, v19
	v_add_u32_e32 v16, v16, v20
	v_add_u32_e32 v19, v19, v22
	v_cmp_ne_u32_e32 vcc, v16, v19
	s_and_b64 s[10:11], vcc, exec
.LBB400_60:
	s_or_b64 exec, exec, s[12:13]
	;; [unrolled: 38-line block ×3, first 2 shown]
	s_waitcnt lgkmcnt(0)
	s_barrier
                                        ; implicit-def: $sgpr30_sgpr31
	s_and_saveexec_b64 s[36:37], s[2:3]
	s_cbranch_execz .LBB400_68
; %bb.65:
	v_cmp_gt_u32_e32 vcc, s38, v21
	s_mov_b64 s[30:31], 0
	s_and_saveexec_b64 s[2:3], vcc
	s_cbranch_execz .LBB400_67
; %bb.66:
	v_add_u32_e32 v15, -8, v15
	ds_read_b32 v15, v15
	s_mov_b32 s30, 0x66666667
	v_mul_hi_i32 v16, v9, s30
	s_waitcnt lgkmcnt(0)
	v_mul_hi_i32 v15, v15, s30
	v_lshrrev_b32_e32 v19, 31, v16
	v_ashrrev_i32_e32 v16, 2, v16
	v_add_u32_e32 v16, v16, v19
	v_lshrrev_b32_e32 v20, 31, v15
	v_ashrrev_i32_e32 v15, 2, v15
	v_add_u32_e32 v15, v15, v20
	v_cmp_ne_u32_e32 vcc, v15, v16
	s_and_b64 s[30:31], vcc, exec
.LBB400_67:
	s_or_b64 exec, exec, s[2:3]
	s_or_b64 s[18:19], s[18:19], exec
.LBB400_68:
	s_or_b64 exec, exec, s[36:37]
	v_cndmask_b32_e64 v42, 0, 1, s[34:35]
	v_cndmask_b32_e64 v41, 0, 1, s[10:11]
	;; [unrolled: 1-line block ×6, first 2 shown]
.LBB400_69:
	v_mov_b32_e32 v28, 1
	s_and_saveexec_b64 s[2:3], s[18:19]
; %bb.70:
	v_cndmask_b32_e64 v28, 0, 1, s[30:31]
; %bb.71:
	s_or_b64 exec, exec, s[2:3]
	s_andn2_b64 vcc, exec, s[14:15]
	s_cbranch_vccnz .LBB400_73
; %bb.72:
	v_cmp_gt_u32_e32 vcc, s38, v21
	s_waitcnt vmcnt(0) lgkmcnt(0)
	v_add_u32_e32 v15, 1, v21
	v_cndmask_b32_e32 v28, 0, v28, vcc
	v_cmp_gt_u32_e32 vcc, s38, v15
	v_add_u32_e32 v15, 2, v21
	v_cndmask_b32_e32 v43, 0, v43, vcc
	v_cmp_gt_u32_e32 vcc, s38, v15
	;; [unrolled: 3-line block ×6, first 2 shown]
	v_cndmask_b32_e32 v38, 0, v38, vcc
.LBB400_73:
	v_and_b32_e32 v29, 0xffff, v28
	v_and_b32_e32 v30, 0xff, v43
	;; [unrolled: 1-line block ×5, first 2 shown]
	s_waitcnt vmcnt(0) lgkmcnt(0)
	v_add3_u32 v16, v30, v29, v31
	v_and_b32_e32 v36, 0xff, v39
	v_and_b32_e32 v15, 0xff, v38
	v_add3_u32 v16, v16, v32, v34
	v_add3_u32 v44, v16, v36, v15
	v_mbcnt_lo_u32_b32 v15, -1, 0
	v_mbcnt_hi_u32_b32 v33, -1, v15
	v_and_b32_e32 v15, 15, v33
	v_cmp_eq_u32_e64 s[14:15], 0, v15
	v_cmp_lt_u32_e64 s[12:13], 1, v15
	v_cmp_lt_u32_e64 s[10:11], 3, v15
	;; [unrolled: 1-line block ×3, first 2 shown]
	v_and_b32_e32 v15, 16, v33
	v_cmp_eq_u32_e64 s[6:7], 0, v15
	v_or_b32_e32 v15, 63, v0
	v_cmp_lt_u32_e64 s[2:3], 31, v33
	v_lshrrev_b32_e32 v35, 6, v0
	v_cmp_eq_u32_e64 s[4:5], v0, v15
	s_and_b64 vcc, exec, s[16:17]
	s_barrier
	s_cbranch_vccz .LBB400_95
; %bb.74:
	v_mov_b32_dpp v15, v44 row_shr:1 row_mask:0xf bank_mask:0xf
	v_cndmask_b32_e64 v15, v15, 0, s[14:15]
	v_add_u32_e32 v15, v15, v44
	s_nop 1
	v_mov_b32_dpp v16, v15 row_shr:2 row_mask:0xf bank_mask:0xf
	v_cndmask_b32_e64 v16, 0, v16, s[12:13]
	v_add_u32_e32 v15, v15, v16
	s_nop 1
	;; [unrolled: 4-line block ×4, first 2 shown]
	v_mov_b32_dpp v16, v15 row_bcast:15 row_mask:0xf bank_mask:0xf
	v_cndmask_b32_e64 v16, v16, 0, s[6:7]
	v_add_u32_e32 v15, v15, v16
	s_nop 1
	v_mov_b32_dpp v16, v15 row_bcast:31 row_mask:0xf bank_mask:0xf
	v_cndmask_b32_e64 v16, 0, v16, s[2:3]
	v_add_u32_e32 v15, v15, v16
	s_and_saveexec_b64 s[16:17], s[4:5]
; %bb.75:
	v_lshlrev_b32_e32 v16, 2, v35
	ds_write_b32 v16, v15
; %bb.76:
	s_or_b64 exec, exec, s[16:17]
	v_cmp_gt_u32_e32 vcc, 4, v0
	s_waitcnt lgkmcnt(0)
	s_barrier
	s_and_saveexec_b64 s[16:17], vcc
	s_cbranch_execz .LBB400_78
; %bb.77:
	v_lshlrev_b32_e32 v16, 2, v0
	ds_read_b32 v19, v16
	v_and_b32_e32 v20, 3, v33
	v_cmp_ne_u32_e32 vcc, 0, v20
	s_waitcnt lgkmcnt(0)
	v_mov_b32_dpp v21, v19 row_shr:1 row_mask:0xf bank_mask:0xf
	v_cndmask_b32_e32 v21, 0, v21, vcc
	v_add_u32_e32 v19, v21, v19
	v_cmp_lt_u32_e32 vcc, 1, v20
	s_nop 0
	v_mov_b32_dpp v21, v19 row_shr:2 row_mask:0xf bank_mask:0xf
	v_cndmask_b32_e32 v20, 0, v21, vcc
	v_add_u32_e32 v19, v19, v20
	ds_write_b32 v16, v19
.LBB400_78:
	s_or_b64 exec, exec, s[16:17]
	v_cmp_gt_u32_e32 vcc, 64, v0
	v_cmp_lt_u32_e64 s[16:17], 63, v0
	s_waitcnt lgkmcnt(0)
	s_barrier
                                        ; implicit-def: $vgpr27
	s_and_saveexec_b64 s[18:19], s[16:17]
	s_cbranch_execz .LBB400_80
; %bb.79:
	v_lshl_add_u32 v16, v35, 2, -4
	ds_read_b32 v27, v16
	s_waitcnt lgkmcnt(0)
	v_add_u32_e32 v15, v27, v15
.LBB400_80:
	s_or_b64 exec, exec, s[18:19]
	v_subrev_co_u32_e64 v16, s[16:17], 1, v33
	v_and_b32_e32 v19, 64, v33
	v_cmp_lt_i32_e64 s[18:19], v16, v19
	v_cndmask_b32_e64 v16, v16, v33, s[18:19]
	v_lshlrev_b32_e32 v16, 2, v16
	ds_bpermute_b32 v45, v16, v15
	s_and_saveexec_b64 s[18:19], vcc
	s_cbranch_execz .LBB400_100
; %bb.81:
	v_mov_b32_e32 v23, 0
	ds_read_b32 v15, v23 offset:12
	s_and_saveexec_b64 s[30:31], s[16:17]
	s_cbranch_execz .LBB400_83
; %bb.82:
	s_add_i32 s34, s33, 64
	s_mov_b32 s35, 0
	s_lshl_b64 s[34:35], s[34:35], 3
	s_add_u32 s34, s28, s34
	v_mov_b32_e32 v16, 1
	s_addc_u32 s35, s29, s35
	s_waitcnt lgkmcnt(0)
	global_store_dwordx2 v23, v[15:16], s[34:35]
.LBB400_83:
	s_or_b64 exec, exec, s[30:31]
	v_xad_u32 v19, v33, -1, s33
	v_add_u32_e32 v22, 64, v19
	v_lshlrev_b64 v[20:21], 3, v[22:23]
	v_mov_b32_e32 v16, s29
	v_add_co_u32_e32 v24, vcc, s28, v20
	v_addc_co_u32_e32 v25, vcc, v16, v21, vcc
	global_load_dwordx2 v[21:22], v[24:25], off glc
	s_waitcnt vmcnt(0)
	v_cmp_eq_u16_sdwa s[34:35], v22, v23 src0_sel:BYTE_0 src1_sel:DWORD
	s_and_saveexec_b64 s[30:31], s[34:35]
	s_cbranch_execz .LBB400_87
; %bb.84:
	s_mov_b64 s[34:35], 0
	v_mov_b32_e32 v16, 0
.LBB400_85:                             ; =>This Inner Loop Header: Depth=1
	global_load_dwordx2 v[21:22], v[24:25], off glc
	s_waitcnt vmcnt(0)
	v_cmp_ne_u16_sdwa s[36:37], v22, v16 src0_sel:BYTE_0 src1_sel:DWORD
	s_or_b64 s[34:35], s[36:37], s[34:35]
	s_andn2_b64 exec, exec, s[34:35]
	s_cbranch_execnz .LBB400_85
; %bb.86:
	s_or_b64 exec, exec, s[34:35]
.LBB400_87:
	s_or_b64 exec, exec, s[30:31]
	v_and_b32_e32 v47, 63, v33
	v_mov_b32_e32 v46, 2
	v_lshlrev_b64 v[23:24], v33, -1
	v_cmp_ne_u32_e32 vcc, 63, v47
	v_cmp_eq_u16_sdwa s[30:31], v22, v46 src0_sel:BYTE_0 src1_sel:DWORD
	v_addc_co_u32_e32 v25, vcc, 0, v33, vcc
	v_and_b32_e32 v16, s31, v24
	v_lshlrev_b32_e32 v48, 2, v25
	v_or_b32_e32 v16, 0x80000000, v16
	ds_bpermute_b32 v25, v48, v21
	v_and_b32_e32 v20, s30, v23
	v_ffbl_b32_e32 v16, v16
	v_add_u32_e32 v16, 32, v16
	v_ffbl_b32_e32 v20, v20
	v_min_u32_e32 v16, v20, v16
	v_cmp_lt_u32_e32 vcc, v47, v16
	s_waitcnt lgkmcnt(0)
	v_cndmask_b32_e32 v20, 0, v25, vcc
	v_cmp_gt_u32_e32 vcc, 62, v47
	v_add_u32_e32 v20, v20, v21
	v_cndmask_b32_e64 v21, 0, 2, vcc
	v_add_lshl_u32 v49, v21, v33, 2
	ds_bpermute_b32 v21, v49, v20
	v_add_u32_e32 v50, 2, v47
	v_cmp_le_u32_e32 vcc, v50, v16
	v_add_u32_e32 v52, 4, v47
	v_add_u32_e32 v54, 8, v47
	s_waitcnt lgkmcnt(0)
	v_cndmask_b32_e32 v21, 0, v21, vcc
	v_cmp_gt_u32_e32 vcc, 60, v47
	v_add_u32_e32 v20, v20, v21
	v_cndmask_b32_e64 v21, 0, 4, vcc
	v_add_lshl_u32 v51, v21, v33, 2
	ds_bpermute_b32 v21, v51, v20
	v_cmp_le_u32_e32 vcc, v52, v16
	v_add_u32_e32 v56, 16, v47
	v_add_u32_e32 v58, 32, v47
	s_waitcnt lgkmcnt(0)
	v_cndmask_b32_e32 v21, 0, v21, vcc
	v_cmp_gt_u32_e32 vcc, 56, v47
	v_add_u32_e32 v20, v20, v21
	v_cndmask_b32_e64 v21, 0, 8, vcc
	v_add_lshl_u32 v53, v21, v33, 2
	ds_bpermute_b32 v21, v53, v20
	v_cmp_le_u32_e32 vcc, v54, v16
	s_waitcnt lgkmcnt(0)
	v_cndmask_b32_e32 v21, 0, v21, vcc
	v_cmp_gt_u32_e32 vcc, 48, v47
	v_add_u32_e32 v20, v20, v21
	v_cndmask_b32_e64 v21, 0, 16, vcc
	v_add_lshl_u32 v55, v21, v33, 2
	ds_bpermute_b32 v21, v55, v20
	v_cmp_le_u32_e32 vcc, v56, v16
	s_waitcnt lgkmcnt(0)
	v_cndmask_b32_e32 v21, 0, v21, vcc
	v_add_u32_e32 v20, v20, v21
	v_mov_b32_e32 v21, 0x80
	v_lshl_or_b32 v57, v33, 2, v21
	ds_bpermute_b32 v21, v57, v20
	v_cmp_le_u32_e32 vcc, v58, v16
	s_waitcnt lgkmcnt(0)
	v_cndmask_b32_e32 v16, 0, v21, vcc
	v_add_u32_e32 v21, v20, v16
	v_mov_b32_e32 v20, 0
	s_branch .LBB400_90
.LBB400_88:                             ;   in Loop: Header=BB400_90 Depth=1
	s_or_b64 exec, exec, s[30:31]
	v_cmp_eq_u16_sdwa s[30:31], v22, v46 src0_sel:BYTE_0 src1_sel:DWORD
	v_and_b32_e32 v25, s31, v24
	v_or_b32_e32 v25, 0x80000000, v25
	ds_bpermute_b32 v59, v48, v21
	v_and_b32_e32 v26, s30, v23
	v_ffbl_b32_e32 v25, v25
	v_add_u32_e32 v25, 32, v25
	v_ffbl_b32_e32 v26, v26
	v_min_u32_e32 v25, v26, v25
	v_cmp_lt_u32_e32 vcc, v47, v25
	s_waitcnt lgkmcnt(0)
	v_cndmask_b32_e32 v26, 0, v59, vcc
	v_add_u32_e32 v21, v26, v21
	ds_bpermute_b32 v26, v49, v21
	v_cmp_le_u32_e32 vcc, v50, v25
	v_subrev_u32_e32 v19, 64, v19
	s_mov_b64 s[30:31], 0
	s_waitcnt lgkmcnt(0)
	v_cndmask_b32_e32 v26, 0, v26, vcc
	v_add_u32_e32 v21, v21, v26
	ds_bpermute_b32 v26, v51, v21
	v_cmp_le_u32_e32 vcc, v52, v25
	s_waitcnt lgkmcnt(0)
	v_cndmask_b32_e32 v26, 0, v26, vcc
	v_add_u32_e32 v21, v21, v26
	ds_bpermute_b32 v26, v53, v21
	v_cmp_le_u32_e32 vcc, v54, v25
	;; [unrolled: 5-line block ×4, first 2 shown]
	s_waitcnt lgkmcnt(0)
	v_cndmask_b32_e32 v25, 0, v26, vcc
	v_add3_u32 v21, v25, v16, v21
.LBB400_89:                             ;   in Loop: Header=BB400_90 Depth=1
	s_and_b64 vcc, exec, s[30:31]
	s_cbranch_vccnz .LBB400_96
.LBB400_90:                             ; =>This Loop Header: Depth=1
                                        ;     Child Loop BB400_93 Depth 2
	v_cmp_ne_u16_sdwa s[30:31], v22, v46 src0_sel:BYTE_0 src1_sel:DWORD
	v_mov_b32_e32 v16, v21
	s_cmp_lg_u64 s[30:31], exec
	s_mov_b64 s[30:31], -1
                                        ; implicit-def: $vgpr21
                                        ; implicit-def: $vgpr22
	s_cbranch_scc1 .LBB400_89
; %bb.91:                               ;   in Loop: Header=BB400_90 Depth=1
	v_lshlrev_b64 v[21:22], 3, v[19:20]
	v_mov_b32_e32 v26, s29
	v_add_co_u32_e32 v25, vcc, s28, v21
	v_addc_co_u32_e32 v26, vcc, v26, v22, vcc
	global_load_dwordx2 v[21:22], v[25:26], off glc
	s_waitcnt vmcnt(0)
	v_cmp_eq_u16_sdwa s[34:35], v22, v20 src0_sel:BYTE_0 src1_sel:DWORD
	s_and_saveexec_b64 s[30:31], s[34:35]
	s_cbranch_execz .LBB400_88
; %bb.92:                               ;   in Loop: Header=BB400_90 Depth=1
	s_mov_b64 s[34:35], 0
.LBB400_93:                             ;   Parent Loop BB400_90 Depth=1
                                        ; =>  This Inner Loop Header: Depth=2
	global_load_dwordx2 v[21:22], v[25:26], off glc
	s_waitcnt vmcnt(0)
	v_cmp_ne_u16_sdwa s[36:37], v22, v20 src0_sel:BYTE_0 src1_sel:DWORD
	s_or_b64 s[34:35], s[36:37], s[34:35]
	s_andn2_b64 exec, exec, s[34:35]
	s_cbranch_execnz .LBB400_93
; %bb.94:                               ;   in Loop: Header=BB400_90 Depth=1
	s_or_b64 exec, exec, s[34:35]
	s_branch .LBB400_88
.LBB400_95:
                                        ; implicit-def: $vgpr19
                                        ; implicit-def: $vgpr15
                                        ; implicit-def: $vgpr27
	s_cbranch_execnz .LBB400_101
	s_branch .LBB400_110
.LBB400_96:
	s_and_saveexec_b64 s[30:31], s[16:17]
	s_cbranch_execz .LBB400_98
; %bb.97:
	s_add_i32 s34, s33, 64
	s_mov_b32 s35, 0
	s_lshl_b64 s[34:35], s[34:35], 3
	s_add_u32 s34, s28, s34
	v_add_u32_e32 v19, v16, v15
	v_mov_b32_e32 v20, 2
	s_addc_u32 s35, s29, s35
	v_mov_b32_e32 v21, 0
	global_store_dwordx2 v21, v[19:20], s[34:35]
	ds_write_b64 v21, v[15:16] offset:14336
.LBB400_98:
	s_or_b64 exec, exec, s[30:31]
	s_and_b64 exec, exec, s[0:1]
; %bb.99:
	v_mov_b32_e32 v15, 0
	ds_write_b32 v15, v16 offset:12
.LBB400_100:
	s_or_b64 exec, exec, s[18:19]
	v_mov_b32_e32 v15, 0
	s_waitcnt vmcnt(0) lgkmcnt(0)
	s_barrier
	ds_read_b32 v19, v15 offset:12
	s_waitcnt lgkmcnt(0)
	s_barrier
	ds_read_b64 v[15:16], v15 offset:14336
	v_cndmask_b32_e64 v20, v45, v27, s[16:17]
	v_cndmask_b32_e64 v20, v20, 0, s[0:1]
	v_add_u32_e32 v27, v19, v20
	s_waitcnt lgkmcnt(0)
	v_mov_b32_e32 v19, v16
	s_branch .LBB400_110
.LBB400_101:
	v_mov_b32_dpp v15, v44 row_shr:1 row_mask:0xf bank_mask:0xf
	v_cndmask_b32_e64 v15, v15, 0, s[14:15]
	v_add_u32_e32 v15, v15, v44
	s_nop 1
	v_mov_b32_dpp v16, v15 row_shr:2 row_mask:0xf bank_mask:0xf
	v_cndmask_b32_e64 v16, 0, v16, s[12:13]
	v_add_u32_e32 v15, v15, v16
	s_nop 1
	;; [unrolled: 4-line block ×4, first 2 shown]
	v_mov_b32_dpp v16, v15 row_bcast:15 row_mask:0xf bank_mask:0xf
	v_cndmask_b32_e64 v16, v16, 0, s[6:7]
	v_add_u32_e32 v15, v15, v16
	s_nop 1
	v_mov_b32_dpp v16, v15 row_bcast:31 row_mask:0xf bank_mask:0xf
	v_cndmask_b32_e64 v16, 0, v16, s[2:3]
	v_add_u32_e32 v15, v15, v16
	s_and_saveexec_b64 s[2:3], s[4:5]
; %bb.102:
	v_lshlrev_b32_e32 v16, 2, v35
	ds_write_b32 v16, v15
; %bb.103:
	s_or_b64 exec, exec, s[2:3]
	v_cmp_gt_u32_e32 vcc, 4, v0
	s_waitcnt lgkmcnt(0)
	s_barrier
	s_and_saveexec_b64 s[2:3], vcc
	s_cbranch_execz .LBB400_105
; %bb.104:
	v_lshlrev_b32_e32 v16, 2, v0
	ds_read_b32 v19, v16
	v_and_b32_e32 v20, 3, v33
	v_cmp_ne_u32_e32 vcc, 0, v20
	s_waitcnt lgkmcnt(0)
	v_mov_b32_dpp v21, v19 row_shr:1 row_mask:0xf bank_mask:0xf
	v_cndmask_b32_e32 v21, 0, v21, vcc
	v_add_u32_e32 v19, v21, v19
	v_cmp_lt_u32_e32 vcc, 1, v20
	s_nop 0
	v_mov_b32_dpp v21, v19 row_shr:2 row_mask:0xf bank_mask:0xf
	v_cndmask_b32_e32 v20, 0, v21, vcc
	v_add_u32_e32 v19, v19, v20
	ds_write_b32 v16, v19
.LBB400_105:
	s_or_b64 exec, exec, s[2:3]
	v_cmp_lt_u32_e32 vcc, 63, v0
	v_mov_b32_e32 v16, 0
	v_mov_b32_e32 v19, 0
	s_waitcnt lgkmcnt(0)
	s_barrier
	s_and_saveexec_b64 s[2:3], vcc
; %bb.106:
	v_lshl_add_u32 v19, v35, 2, -4
	ds_read_b32 v19, v19
; %bb.107:
	s_or_b64 exec, exec, s[2:3]
	v_subrev_co_u32_e32 v20, vcc, 1, v33
	v_and_b32_e32 v21, 64, v33
	v_cmp_lt_i32_e64 s[2:3], v20, v21
	v_cndmask_b32_e64 v20, v20, v33, s[2:3]
	s_waitcnt lgkmcnt(0)
	v_add_u32_e32 v15, v19, v15
	v_lshlrev_b32_e32 v20, 2, v20
	ds_bpermute_b32 v20, v20, v15
	ds_read_b32 v15, v16 offset:12
	s_and_saveexec_b64 s[2:3], s[0:1]
	s_cbranch_execz .LBB400_109
; %bb.108:
	v_mov_b32_e32 v21, 0
	v_mov_b32_e32 v16, 2
	s_waitcnt lgkmcnt(0)
	global_store_dwordx2 v21, v[15:16], s[28:29] offset:512
.LBB400_109:
	s_or_b64 exec, exec, s[2:3]
	s_waitcnt lgkmcnt(1)
	v_cndmask_b32_e32 v16, v20, v19, vcc
	v_cndmask_b32_e64 v27, v16, 0, s[0:1]
	s_waitcnt vmcnt(0) lgkmcnt(0)
	s_barrier
	v_mov_b32_e32 v19, 0
.LBB400_110:
	v_add_u32_e32 v35, v27, v29
	v_add_u32_e32 v33, v35, v30
	;; [unrolled: 1-line block ×4, first 2 shown]
	s_movk_i32 s4, 0x101
	v_add_u32_e32 v25, v29, v34
	v_cmp_gt_u32_e32 vcc, s4, v15
	v_lshlrev_b64 v[21:22], 3, v[17:18]
	v_add_u32_e32 v23, v25, v36
	s_mov_b64 s[2:3], -1
	v_and_b32_e32 v16, 1, v28
	s_cbranch_vccnz .LBB400_114
; %bb.111:
	s_and_b64 vcc, exec, s[2:3]
	s_cbranch_vccnz .LBB400_129
.LBB400_112:
	s_and_b64 s[0:1], s[0:1], s[22:23]
	s_and_saveexec_b64 s[2:3], s[0:1]
	s_cbranch_execnz .LBB400_146
.LBB400_113:
	s_endpgm
.LBB400_114:
	v_mov_b32_e32 v26, s25
	v_add_co_u32_e32 v20, vcc, s24, v21
	v_add_u32_e32 v24, v19, v15
	v_addc_co_u32_e32 v44, vcc, v26, v22, vcc
	v_cmp_lt_u32_e32 vcc, v27, v24
	s_or_b64 s[2:3], s[26:27], vcc
	v_cmp_eq_u32_e32 vcc, 1, v16
	s_and_b64 s[4:5], s[2:3], vcc
	s_and_saveexec_b64 s[2:3], s[4:5]
	s_cbranch_execz .LBB400_116
; %bb.115:
	v_mov_b32_e32 v28, 0
	v_lshlrev_b64 v[45:46], 3, v[27:28]
	v_add_co_u32_e32 v45, vcc, v20, v45
	v_addc_co_u32_e32 v46, vcc, v44, v46, vcc
	global_store_dwordx2 v[45:46], v[9:10], off
.LBB400_116:
	s_or_b64 exec, exec, s[2:3]
	v_cmp_lt_u32_e32 vcc, v35, v24
	v_and_b32_e32 v26, 1, v43
	s_or_b64 s[2:3], s[26:27], vcc
	v_cmp_eq_u32_e32 vcc, 1, v26
	s_and_b64 s[4:5], s[2:3], vcc
	s_and_saveexec_b64 s[2:3], s[4:5]
	s_cbranch_execz .LBB400_118
; %bb.117:
	v_mov_b32_e32 v36, 0
	v_lshlrev_b64 v[45:46], 3, v[35:36]
	v_add_co_u32_e32 v45, vcc, v20, v45
	v_addc_co_u32_e32 v46, vcc, v44, v46, vcc
	global_store_dwordx2 v[45:46], v[11:12], off
.LBB400_118:
	s_or_b64 exec, exec, s[2:3]
	v_cmp_lt_u32_e32 vcc, v33, v24
	v_and_b32_e32 v26, 1, v42
	;; [unrolled: 15-line block ×6, first 2 shown]
	s_or_b64 s[2:3], s[26:27], vcc
	v_cmp_eq_u32_e32 vcc, 1, v24
	s_and_b64 s[4:5], s[2:3], vcc
	s_and_saveexec_b64 s[2:3], s[4:5]
	s_cbranch_execz .LBB400_128
; %bb.127:
	v_mov_b32_e32 v24, 0
	v_lshlrev_b64 v[45:46], 3, v[23:24]
	v_add_co_u32_e32 v45, vcc, v20, v45
	v_addc_co_u32_e32 v46, vcc, v44, v46, vcc
	global_store_dwordx2 v[45:46], v[13:14], off
.LBB400_128:
	s_or_b64 exec, exec, s[2:3]
	s_branch .LBB400_112
.LBB400_129:
	v_cmp_eq_u32_e32 vcc, 1, v16
	s_and_saveexec_b64 s[2:3], vcc
; %bb.130:
	v_sub_u32_e32 v16, v27, v19
	v_lshlrev_b32_e32 v16, 3, v16
	ds_write_b64 v16, v[9:10]
; %bb.131:
	s_or_b64 exec, exec, s[2:3]
	v_and_b32_e32 v9, 1, v43
	v_cmp_eq_u32_e32 vcc, 1, v9
	s_and_saveexec_b64 s[2:3], vcc
; %bb.132:
	v_sub_u32_e32 v9, v35, v19
	v_lshlrev_b32_e32 v9, 3, v9
	ds_write_b64 v9, v[11:12]
; %bb.133:
	s_or_b64 exec, exec, s[2:3]
	v_and_b32_e32 v9, 1, v42
	;; [unrolled: 9-line block ×6, first 2 shown]
	v_cmp_eq_u32_e32 vcc, 1, v1
	s_and_saveexec_b64 s[2:3], vcc
; %bb.142:
	v_sub_u32_e32 v1, v23, v19
	v_lshlrev_b32_e32 v1, 3, v1
	ds_write_b64 v1, v[13:14]
; %bb.143:
	s_or_b64 exec, exec, s[2:3]
	v_mov_b32_e32 v1, 0
	v_mov_b32_e32 v20, v1
	v_mov_b32_e32 v2, s25
	v_add_co_u32_e32 v4, vcc, s24, v21
	v_addc_co_u32_e32 v5, vcc, v2, v22, vcc
	v_lshlrev_b64 v[2:3], 3, v[19:20]
	s_mov_b64 s[4:5], 0
	v_add_co_u32_e32 v2, vcc, v4, v2
	v_addc_co_u32_e32 v3, vcc, v5, v3, vcc
	s_waitcnt vmcnt(0) lgkmcnt(0)
	s_barrier
.LBB400_144:                            ; =>This Inner Loop Header: Depth=1
	ds_read_b64 v[6:7], v37
	v_lshlrev_b64 v[4:5], 3, v[0:1]
	v_add_u32_e32 v0, 0x100, v0
	v_cmp_ge_u32_e32 vcc, v0, v15
	v_add_co_u32_e64 v4, s[2:3], v2, v4
	v_add_u32_e32 v37, 0x800, v37
	v_addc_co_u32_e64 v5, s[2:3], v3, v5, s[2:3]
	s_or_b64 s[4:5], vcc, s[4:5]
	s_waitcnt lgkmcnt(0)
	global_store_dwordx2 v[4:5], v[6:7], off
	s_andn2_b64 exec, exec, s[4:5]
	s_cbranch_execnz .LBB400_144
; %bb.145:
	s_or_b64 exec, exec, s[4:5]
	s_and_b64 s[0:1], s[0:1], s[22:23]
	s_and_saveexec_b64 s[2:3], s[0:1]
	s_cbranch_execz .LBB400_113
.LBB400_146:
	v_add_co_u32_e32 v0, vcc, v17, v15
	v_addc_co_u32_e32 v1, vcc, 0, v18, vcc
	v_add_co_u32_e32 v0, vcc, v0, v19
	v_mov_b32_e32 v2, 0
	v_addc_co_u32_e32 v1, vcc, 0, v1, vcc
	global_store_dwordx2 v2, v[0:1], s[20:21]
	s_endpgm
	.section	.rodata,"a",@progbits
	.p2align	6, 0x0
	.amdhsa_kernel _ZN7rocprim17ROCPRIM_400000_NS6detail17trampoline_kernelINS0_14default_configENS1_25partition_config_selectorILNS1_17partition_subalgoE8ExNS0_10empty_typeEbEEZZNS1_14partition_implILS5_8ELb0ES3_jN6thrust23THRUST_200600_302600_NS6detail15normal_iteratorINSA_10device_ptrIxEEEEPS6_PKS6_NS0_5tupleIJSF_S6_EEENSJ_IJSG_SG_EEENS0_18inequality_wrapperI22is_equal_div_10_uniqueIxEEEPmJS6_EEE10hipError_tPvRmT3_T4_T5_T6_T7_T9_mT8_P12ihipStream_tbDpT10_ENKUlT_T0_E_clISt17integral_constantIbLb0EES19_IbLb1EEEEDaS15_S16_EUlS15_E_NS1_11comp_targetILNS1_3genE2ELNS1_11target_archE906ELNS1_3gpuE6ELNS1_3repE0EEENS1_30default_config_static_selectorELNS0_4arch9wavefront6targetE1EEEvT1_
		.amdhsa_group_segment_fixed_size 14344
		.amdhsa_private_segment_fixed_size 0
		.amdhsa_kernarg_size 128
		.amdhsa_user_sgpr_count 6
		.amdhsa_user_sgpr_private_segment_buffer 1
		.amdhsa_user_sgpr_dispatch_ptr 0
		.amdhsa_user_sgpr_queue_ptr 0
		.amdhsa_user_sgpr_kernarg_segment_ptr 1
		.amdhsa_user_sgpr_dispatch_id 0
		.amdhsa_user_sgpr_flat_scratch_init 0
		.amdhsa_user_sgpr_private_segment_size 0
		.amdhsa_uses_dynamic_stack 0
		.amdhsa_system_sgpr_private_segment_wavefront_offset 0
		.amdhsa_system_sgpr_workgroup_id_x 1
		.amdhsa_system_sgpr_workgroup_id_y 0
		.amdhsa_system_sgpr_workgroup_id_z 0
		.amdhsa_system_sgpr_workgroup_info 0
		.amdhsa_system_vgpr_workitem_id 0
		.amdhsa_next_free_vgpr 60
		.amdhsa_next_free_sgpr 98
		.amdhsa_reserve_vcc 1
		.amdhsa_reserve_flat_scratch 0
		.amdhsa_float_round_mode_32 0
		.amdhsa_float_round_mode_16_64 0
		.amdhsa_float_denorm_mode_32 3
		.amdhsa_float_denorm_mode_16_64 3
		.amdhsa_dx10_clamp 1
		.amdhsa_ieee_mode 1
		.amdhsa_fp16_overflow 0
		.amdhsa_exception_fp_ieee_invalid_op 0
		.amdhsa_exception_fp_denorm_src 0
		.amdhsa_exception_fp_ieee_div_zero 0
		.amdhsa_exception_fp_ieee_overflow 0
		.amdhsa_exception_fp_ieee_underflow 0
		.amdhsa_exception_fp_ieee_inexact 0
		.amdhsa_exception_int_div_zero 0
	.end_amdhsa_kernel
	.section	.text._ZN7rocprim17ROCPRIM_400000_NS6detail17trampoline_kernelINS0_14default_configENS1_25partition_config_selectorILNS1_17partition_subalgoE8ExNS0_10empty_typeEbEEZZNS1_14partition_implILS5_8ELb0ES3_jN6thrust23THRUST_200600_302600_NS6detail15normal_iteratorINSA_10device_ptrIxEEEEPS6_PKS6_NS0_5tupleIJSF_S6_EEENSJ_IJSG_SG_EEENS0_18inequality_wrapperI22is_equal_div_10_uniqueIxEEEPmJS6_EEE10hipError_tPvRmT3_T4_T5_T6_T7_T9_mT8_P12ihipStream_tbDpT10_ENKUlT_T0_E_clISt17integral_constantIbLb0EES19_IbLb1EEEEDaS15_S16_EUlS15_E_NS1_11comp_targetILNS1_3genE2ELNS1_11target_archE906ELNS1_3gpuE6ELNS1_3repE0EEENS1_30default_config_static_selectorELNS0_4arch9wavefront6targetE1EEEvT1_,"axG",@progbits,_ZN7rocprim17ROCPRIM_400000_NS6detail17trampoline_kernelINS0_14default_configENS1_25partition_config_selectorILNS1_17partition_subalgoE8ExNS0_10empty_typeEbEEZZNS1_14partition_implILS5_8ELb0ES3_jN6thrust23THRUST_200600_302600_NS6detail15normal_iteratorINSA_10device_ptrIxEEEEPS6_PKS6_NS0_5tupleIJSF_S6_EEENSJ_IJSG_SG_EEENS0_18inequality_wrapperI22is_equal_div_10_uniqueIxEEEPmJS6_EEE10hipError_tPvRmT3_T4_T5_T6_T7_T9_mT8_P12ihipStream_tbDpT10_ENKUlT_T0_E_clISt17integral_constantIbLb0EES19_IbLb1EEEEDaS15_S16_EUlS15_E_NS1_11comp_targetILNS1_3genE2ELNS1_11target_archE906ELNS1_3gpuE6ELNS1_3repE0EEENS1_30default_config_static_selectorELNS0_4arch9wavefront6targetE1EEEvT1_,comdat
.Lfunc_end400:
	.size	_ZN7rocprim17ROCPRIM_400000_NS6detail17trampoline_kernelINS0_14default_configENS1_25partition_config_selectorILNS1_17partition_subalgoE8ExNS0_10empty_typeEbEEZZNS1_14partition_implILS5_8ELb0ES3_jN6thrust23THRUST_200600_302600_NS6detail15normal_iteratorINSA_10device_ptrIxEEEEPS6_PKS6_NS0_5tupleIJSF_S6_EEENSJ_IJSG_SG_EEENS0_18inequality_wrapperI22is_equal_div_10_uniqueIxEEEPmJS6_EEE10hipError_tPvRmT3_T4_T5_T6_T7_T9_mT8_P12ihipStream_tbDpT10_ENKUlT_T0_E_clISt17integral_constantIbLb0EES19_IbLb1EEEEDaS15_S16_EUlS15_E_NS1_11comp_targetILNS1_3genE2ELNS1_11target_archE906ELNS1_3gpuE6ELNS1_3repE0EEENS1_30default_config_static_selectorELNS0_4arch9wavefront6targetE1EEEvT1_, .Lfunc_end400-_ZN7rocprim17ROCPRIM_400000_NS6detail17trampoline_kernelINS0_14default_configENS1_25partition_config_selectorILNS1_17partition_subalgoE8ExNS0_10empty_typeEbEEZZNS1_14partition_implILS5_8ELb0ES3_jN6thrust23THRUST_200600_302600_NS6detail15normal_iteratorINSA_10device_ptrIxEEEEPS6_PKS6_NS0_5tupleIJSF_S6_EEENSJ_IJSG_SG_EEENS0_18inequality_wrapperI22is_equal_div_10_uniqueIxEEEPmJS6_EEE10hipError_tPvRmT3_T4_T5_T6_T7_T9_mT8_P12ihipStream_tbDpT10_ENKUlT_T0_E_clISt17integral_constantIbLb0EES19_IbLb1EEEEDaS15_S16_EUlS15_E_NS1_11comp_targetILNS1_3genE2ELNS1_11target_archE906ELNS1_3gpuE6ELNS1_3repE0EEENS1_30default_config_static_selectorELNS0_4arch9wavefront6targetE1EEEvT1_
                                        ; -- End function
	.set _ZN7rocprim17ROCPRIM_400000_NS6detail17trampoline_kernelINS0_14default_configENS1_25partition_config_selectorILNS1_17partition_subalgoE8ExNS0_10empty_typeEbEEZZNS1_14partition_implILS5_8ELb0ES3_jN6thrust23THRUST_200600_302600_NS6detail15normal_iteratorINSA_10device_ptrIxEEEEPS6_PKS6_NS0_5tupleIJSF_S6_EEENSJ_IJSG_SG_EEENS0_18inequality_wrapperI22is_equal_div_10_uniqueIxEEEPmJS6_EEE10hipError_tPvRmT3_T4_T5_T6_T7_T9_mT8_P12ihipStream_tbDpT10_ENKUlT_T0_E_clISt17integral_constantIbLb0EES19_IbLb1EEEEDaS15_S16_EUlS15_E_NS1_11comp_targetILNS1_3genE2ELNS1_11target_archE906ELNS1_3gpuE6ELNS1_3repE0EEENS1_30default_config_static_selectorELNS0_4arch9wavefront6targetE1EEEvT1_.num_vgpr, 60
	.set _ZN7rocprim17ROCPRIM_400000_NS6detail17trampoline_kernelINS0_14default_configENS1_25partition_config_selectorILNS1_17partition_subalgoE8ExNS0_10empty_typeEbEEZZNS1_14partition_implILS5_8ELb0ES3_jN6thrust23THRUST_200600_302600_NS6detail15normal_iteratorINSA_10device_ptrIxEEEEPS6_PKS6_NS0_5tupleIJSF_S6_EEENSJ_IJSG_SG_EEENS0_18inequality_wrapperI22is_equal_div_10_uniqueIxEEEPmJS6_EEE10hipError_tPvRmT3_T4_T5_T6_T7_T9_mT8_P12ihipStream_tbDpT10_ENKUlT_T0_E_clISt17integral_constantIbLb0EES19_IbLb1EEEEDaS15_S16_EUlS15_E_NS1_11comp_targetILNS1_3genE2ELNS1_11target_archE906ELNS1_3gpuE6ELNS1_3repE0EEENS1_30default_config_static_selectorELNS0_4arch9wavefront6targetE1EEEvT1_.num_agpr, 0
	.set _ZN7rocprim17ROCPRIM_400000_NS6detail17trampoline_kernelINS0_14default_configENS1_25partition_config_selectorILNS1_17partition_subalgoE8ExNS0_10empty_typeEbEEZZNS1_14partition_implILS5_8ELb0ES3_jN6thrust23THRUST_200600_302600_NS6detail15normal_iteratorINSA_10device_ptrIxEEEEPS6_PKS6_NS0_5tupleIJSF_S6_EEENSJ_IJSG_SG_EEENS0_18inequality_wrapperI22is_equal_div_10_uniqueIxEEEPmJS6_EEE10hipError_tPvRmT3_T4_T5_T6_T7_T9_mT8_P12ihipStream_tbDpT10_ENKUlT_T0_E_clISt17integral_constantIbLb0EES19_IbLb1EEEEDaS15_S16_EUlS15_E_NS1_11comp_targetILNS1_3genE2ELNS1_11target_archE906ELNS1_3gpuE6ELNS1_3repE0EEENS1_30default_config_static_selectorELNS0_4arch9wavefront6targetE1EEEvT1_.numbered_sgpr, 39
	.set _ZN7rocprim17ROCPRIM_400000_NS6detail17trampoline_kernelINS0_14default_configENS1_25partition_config_selectorILNS1_17partition_subalgoE8ExNS0_10empty_typeEbEEZZNS1_14partition_implILS5_8ELb0ES3_jN6thrust23THRUST_200600_302600_NS6detail15normal_iteratorINSA_10device_ptrIxEEEEPS6_PKS6_NS0_5tupleIJSF_S6_EEENSJ_IJSG_SG_EEENS0_18inequality_wrapperI22is_equal_div_10_uniqueIxEEEPmJS6_EEE10hipError_tPvRmT3_T4_T5_T6_T7_T9_mT8_P12ihipStream_tbDpT10_ENKUlT_T0_E_clISt17integral_constantIbLb0EES19_IbLb1EEEEDaS15_S16_EUlS15_E_NS1_11comp_targetILNS1_3genE2ELNS1_11target_archE906ELNS1_3gpuE6ELNS1_3repE0EEENS1_30default_config_static_selectorELNS0_4arch9wavefront6targetE1EEEvT1_.num_named_barrier, 0
	.set _ZN7rocprim17ROCPRIM_400000_NS6detail17trampoline_kernelINS0_14default_configENS1_25partition_config_selectorILNS1_17partition_subalgoE8ExNS0_10empty_typeEbEEZZNS1_14partition_implILS5_8ELb0ES3_jN6thrust23THRUST_200600_302600_NS6detail15normal_iteratorINSA_10device_ptrIxEEEEPS6_PKS6_NS0_5tupleIJSF_S6_EEENSJ_IJSG_SG_EEENS0_18inequality_wrapperI22is_equal_div_10_uniqueIxEEEPmJS6_EEE10hipError_tPvRmT3_T4_T5_T6_T7_T9_mT8_P12ihipStream_tbDpT10_ENKUlT_T0_E_clISt17integral_constantIbLb0EES19_IbLb1EEEEDaS15_S16_EUlS15_E_NS1_11comp_targetILNS1_3genE2ELNS1_11target_archE906ELNS1_3gpuE6ELNS1_3repE0EEENS1_30default_config_static_selectorELNS0_4arch9wavefront6targetE1EEEvT1_.private_seg_size, 0
	.set _ZN7rocprim17ROCPRIM_400000_NS6detail17trampoline_kernelINS0_14default_configENS1_25partition_config_selectorILNS1_17partition_subalgoE8ExNS0_10empty_typeEbEEZZNS1_14partition_implILS5_8ELb0ES3_jN6thrust23THRUST_200600_302600_NS6detail15normal_iteratorINSA_10device_ptrIxEEEEPS6_PKS6_NS0_5tupleIJSF_S6_EEENSJ_IJSG_SG_EEENS0_18inequality_wrapperI22is_equal_div_10_uniqueIxEEEPmJS6_EEE10hipError_tPvRmT3_T4_T5_T6_T7_T9_mT8_P12ihipStream_tbDpT10_ENKUlT_T0_E_clISt17integral_constantIbLb0EES19_IbLb1EEEEDaS15_S16_EUlS15_E_NS1_11comp_targetILNS1_3genE2ELNS1_11target_archE906ELNS1_3gpuE6ELNS1_3repE0EEENS1_30default_config_static_selectorELNS0_4arch9wavefront6targetE1EEEvT1_.uses_vcc, 1
	.set _ZN7rocprim17ROCPRIM_400000_NS6detail17trampoline_kernelINS0_14default_configENS1_25partition_config_selectorILNS1_17partition_subalgoE8ExNS0_10empty_typeEbEEZZNS1_14partition_implILS5_8ELb0ES3_jN6thrust23THRUST_200600_302600_NS6detail15normal_iteratorINSA_10device_ptrIxEEEEPS6_PKS6_NS0_5tupleIJSF_S6_EEENSJ_IJSG_SG_EEENS0_18inequality_wrapperI22is_equal_div_10_uniqueIxEEEPmJS6_EEE10hipError_tPvRmT3_T4_T5_T6_T7_T9_mT8_P12ihipStream_tbDpT10_ENKUlT_T0_E_clISt17integral_constantIbLb0EES19_IbLb1EEEEDaS15_S16_EUlS15_E_NS1_11comp_targetILNS1_3genE2ELNS1_11target_archE906ELNS1_3gpuE6ELNS1_3repE0EEENS1_30default_config_static_selectorELNS0_4arch9wavefront6targetE1EEEvT1_.uses_flat_scratch, 0
	.set _ZN7rocprim17ROCPRIM_400000_NS6detail17trampoline_kernelINS0_14default_configENS1_25partition_config_selectorILNS1_17partition_subalgoE8ExNS0_10empty_typeEbEEZZNS1_14partition_implILS5_8ELb0ES3_jN6thrust23THRUST_200600_302600_NS6detail15normal_iteratorINSA_10device_ptrIxEEEEPS6_PKS6_NS0_5tupleIJSF_S6_EEENSJ_IJSG_SG_EEENS0_18inequality_wrapperI22is_equal_div_10_uniqueIxEEEPmJS6_EEE10hipError_tPvRmT3_T4_T5_T6_T7_T9_mT8_P12ihipStream_tbDpT10_ENKUlT_T0_E_clISt17integral_constantIbLb0EES19_IbLb1EEEEDaS15_S16_EUlS15_E_NS1_11comp_targetILNS1_3genE2ELNS1_11target_archE906ELNS1_3gpuE6ELNS1_3repE0EEENS1_30default_config_static_selectorELNS0_4arch9wavefront6targetE1EEEvT1_.has_dyn_sized_stack, 0
	.set _ZN7rocprim17ROCPRIM_400000_NS6detail17trampoline_kernelINS0_14default_configENS1_25partition_config_selectorILNS1_17partition_subalgoE8ExNS0_10empty_typeEbEEZZNS1_14partition_implILS5_8ELb0ES3_jN6thrust23THRUST_200600_302600_NS6detail15normal_iteratorINSA_10device_ptrIxEEEEPS6_PKS6_NS0_5tupleIJSF_S6_EEENSJ_IJSG_SG_EEENS0_18inequality_wrapperI22is_equal_div_10_uniqueIxEEEPmJS6_EEE10hipError_tPvRmT3_T4_T5_T6_T7_T9_mT8_P12ihipStream_tbDpT10_ENKUlT_T0_E_clISt17integral_constantIbLb0EES19_IbLb1EEEEDaS15_S16_EUlS15_E_NS1_11comp_targetILNS1_3genE2ELNS1_11target_archE906ELNS1_3gpuE6ELNS1_3repE0EEENS1_30default_config_static_selectorELNS0_4arch9wavefront6targetE1EEEvT1_.has_recursion, 0
	.set _ZN7rocprim17ROCPRIM_400000_NS6detail17trampoline_kernelINS0_14default_configENS1_25partition_config_selectorILNS1_17partition_subalgoE8ExNS0_10empty_typeEbEEZZNS1_14partition_implILS5_8ELb0ES3_jN6thrust23THRUST_200600_302600_NS6detail15normal_iteratorINSA_10device_ptrIxEEEEPS6_PKS6_NS0_5tupleIJSF_S6_EEENSJ_IJSG_SG_EEENS0_18inequality_wrapperI22is_equal_div_10_uniqueIxEEEPmJS6_EEE10hipError_tPvRmT3_T4_T5_T6_T7_T9_mT8_P12ihipStream_tbDpT10_ENKUlT_T0_E_clISt17integral_constantIbLb0EES19_IbLb1EEEEDaS15_S16_EUlS15_E_NS1_11comp_targetILNS1_3genE2ELNS1_11target_archE906ELNS1_3gpuE6ELNS1_3repE0EEENS1_30default_config_static_selectorELNS0_4arch9wavefront6targetE1EEEvT1_.has_indirect_call, 0
	.section	.AMDGPU.csdata,"",@progbits
; Kernel info:
; codeLenInByte = 6016
; TotalNumSgprs: 43
; NumVgprs: 60
; ScratchSize: 0
; MemoryBound: 0
; FloatMode: 240
; IeeeMode: 1
; LDSByteSize: 14344 bytes/workgroup (compile time only)
; SGPRBlocks: 12
; VGPRBlocks: 14
; NumSGPRsForWavesPerEU: 102
; NumVGPRsForWavesPerEU: 60
; Occupancy: 4
; WaveLimiterHint : 1
; COMPUTE_PGM_RSRC2:SCRATCH_EN: 0
; COMPUTE_PGM_RSRC2:USER_SGPR: 6
; COMPUTE_PGM_RSRC2:TRAP_HANDLER: 0
; COMPUTE_PGM_RSRC2:TGID_X_EN: 1
; COMPUTE_PGM_RSRC2:TGID_Y_EN: 0
; COMPUTE_PGM_RSRC2:TGID_Z_EN: 0
; COMPUTE_PGM_RSRC2:TIDIG_COMP_CNT: 0
	.section	.text._ZN7rocprim17ROCPRIM_400000_NS6detail17trampoline_kernelINS0_14default_configENS1_25partition_config_selectorILNS1_17partition_subalgoE8ExNS0_10empty_typeEbEEZZNS1_14partition_implILS5_8ELb0ES3_jN6thrust23THRUST_200600_302600_NS6detail15normal_iteratorINSA_10device_ptrIxEEEEPS6_PKS6_NS0_5tupleIJSF_S6_EEENSJ_IJSG_SG_EEENS0_18inequality_wrapperI22is_equal_div_10_uniqueIxEEEPmJS6_EEE10hipError_tPvRmT3_T4_T5_T6_T7_T9_mT8_P12ihipStream_tbDpT10_ENKUlT_T0_E_clISt17integral_constantIbLb0EES19_IbLb1EEEEDaS15_S16_EUlS15_E_NS1_11comp_targetILNS1_3genE10ELNS1_11target_archE1200ELNS1_3gpuE4ELNS1_3repE0EEENS1_30default_config_static_selectorELNS0_4arch9wavefront6targetE1EEEvT1_,"axG",@progbits,_ZN7rocprim17ROCPRIM_400000_NS6detail17trampoline_kernelINS0_14default_configENS1_25partition_config_selectorILNS1_17partition_subalgoE8ExNS0_10empty_typeEbEEZZNS1_14partition_implILS5_8ELb0ES3_jN6thrust23THRUST_200600_302600_NS6detail15normal_iteratorINSA_10device_ptrIxEEEEPS6_PKS6_NS0_5tupleIJSF_S6_EEENSJ_IJSG_SG_EEENS0_18inequality_wrapperI22is_equal_div_10_uniqueIxEEEPmJS6_EEE10hipError_tPvRmT3_T4_T5_T6_T7_T9_mT8_P12ihipStream_tbDpT10_ENKUlT_T0_E_clISt17integral_constantIbLb0EES19_IbLb1EEEEDaS15_S16_EUlS15_E_NS1_11comp_targetILNS1_3genE10ELNS1_11target_archE1200ELNS1_3gpuE4ELNS1_3repE0EEENS1_30default_config_static_selectorELNS0_4arch9wavefront6targetE1EEEvT1_,comdat
	.protected	_ZN7rocprim17ROCPRIM_400000_NS6detail17trampoline_kernelINS0_14default_configENS1_25partition_config_selectorILNS1_17partition_subalgoE8ExNS0_10empty_typeEbEEZZNS1_14partition_implILS5_8ELb0ES3_jN6thrust23THRUST_200600_302600_NS6detail15normal_iteratorINSA_10device_ptrIxEEEEPS6_PKS6_NS0_5tupleIJSF_S6_EEENSJ_IJSG_SG_EEENS0_18inequality_wrapperI22is_equal_div_10_uniqueIxEEEPmJS6_EEE10hipError_tPvRmT3_T4_T5_T6_T7_T9_mT8_P12ihipStream_tbDpT10_ENKUlT_T0_E_clISt17integral_constantIbLb0EES19_IbLb1EEEEDaS15_S16_EUlS15_E_NS1_11comp_targetILNS1_3genE10ELNS1_11target_archE1200ELNS1_3gpuE4ELNS1_3repE0EEENS1_30default_config_static_selectorELNS0_4arch9wavefront6targetE1EEEvT1_ ; -- Begin function _ZN7rocprim17ROCPRIM_400000_NS6detail17trampoline_kernelINS0_14default_configENS1_25partition_config_selectorILNS1_17partition_subalgoE8ExNS0_10empty_typeEbEEZZNS1_14partition_implILS5_8ELb0ES3_jN6thrust23THRUST_200600_302600_NS6detail15normal_iteratorINSA_10device_ptrIxEEEEPS6_PKS6_NS0_5tupleIJSF_S6_EEENSJ_IJSG_SG_EEENS0_18inequality_wrapperI22is_equal_div_10_uniqueIxEEEPmJS6_EEE10hipError_tPvRmT3_T4_T5_T6_T7_T9_mT8_P12ihipStream_tbDpT10_ENKUlT_T0_E_clISt17integral_constantIbLb0EES19_IbLb1EEEEDaS15_S16_EUlS15_E_NS1_11comp_targetILNS1_3genE10ELNS1_11target_archE1200ELNS1_3gpuE4ELNS1_3repE0EEENS1_30default_config_static_selectorELNS0_4arch9wavefront6targetE1EEEvT1_
	.globl	_ZN7rocprim17ROCPRIM_400000_NS6detail17trampoline_kernelINS0_14default_configENS1_25partition_config_selectorILNS1_17partition_subalgoE8ExNS0_10empty_typeEbEEZZNS1_14partition_implILS5_8ELb0ES3_jN6thrust23THRUST_200600_302600_NS6detail15normal_iteratorINSA_10device_ptrIxEEEEPS6_PKS6_NS0_5tupleIJSF_S6_EEENSJ_IJSG_SG_EEENS0_18inequality_wrapperI22is_equal_div_10_uniqueIxEEEPmJS6_EEE10hipError_tPvRmT3_T4_T5_T6_T7_T9_mT8_P12ihipStream_tbDpT10_ENKUlT_T0_E_clISt17integral_constantIbLb0EES19_IbLb1EEEEDaS15_S16_EUlS15_E_NS1_11comp_targetILNS1_3genE10ELNS1_11target_archE1200ELNS1_3gpuE4ELNS1_3repE0EEENS1_30default_config_static_selectorELNS0_4arch9wavefront6targetE1EEEvT1_
	.p2align	8
	.type	_ZN7rocprim17ROCPRIM_400000_NS6detail17trampoline_kernelINS0_14default_configENS1_25partition_config_selectorILNS1_17partition_subalgoE8ExNS0_10empty_typeEbEEZZNS1_14partition_implILS5_8ELb0ES3_jN6thrust23THRUST_200600_302600_NS6detail15normal_iteratorINSA_10device_ptrIxEEEEPS6_PKS6_NS0_5tupleIJSF_S6_EEENSJ_IJSG_SG_EEENS0_18inequality_wrapperI22is_equal_div_10_uniqueIxEEEPmJS6_EEE10hipError_tPvRmT3_T4_T5_T6_T7_T9_mT8_P12ihipStream_tbDpT10_ENKUlT_T0_E_clISt17integral_constantIbLb0EES19_IbLb1EEEEDaS15_S16_EUlS15_E_NS1_11comp_targetILNS1_3genE10ELNS1_11target_archE1200ELNS1_3gpuE4ELNS1_3repE0EEENS1_30default_config_static_selectorELNS0_4arch9wavefront6targetE1EEEvT1_,@function
_ZN7rocprim17ROCPRIM_400000_NS6detail17trampoline_kernelINS0_14default_configENS1_25partition_config_selectorILNS1_17partition_subalgoE8ExNS0_10empty_typeEbEEZZNS1_14partition_implILS5_8ELb0ES3_jN6thrust23THRUST_200600_302600_NS6detail15normal_iteratorINSA_10device_ptrIxEEEEPS6_PKS6_NS0_5tupleIJSF_S6_EEENSJ_IJSG_SG_EEENS0_18inequality_wrapperI22is_equal_div_10_uniqueIxEEEPmJS6_EEE10hipError_tPvRmT3_T4_T5_T6_T7_T9_mT8_P12ihipStream_tbDpT10_ENKUlT_T0_E_clISt17integral_constantIbLb0EES19_IbLb1EEEEDaS15_S16_EUlS15_E_NS1_11comp_targetILNS1_3genE10ELNS1_11target_archE1200ELNS1_3gpuE4ELNS1_3repE0EEENS1_30default_config_static_selectorELNS0_4arch9wavefront6targetE1EEEvT1_: ; @_ZN7rocprim17ROCPRIM_400000_NS6detail17trampoline_kernelINS0_14default_configENS1_25partition_config_selectorILNS1_17partition_subalgoE8ExNS0_10empty_typeEbEEZZNS1_14partition_implILS5_8ELb0ES3_jN6thrust23THRUST_200600_302600_NS6detail15normal_iteratorINSA_10device_ptrIxEEEEPS6_PKS6_NS0_5tupleIJSF_S6_EEENSJ_IJSG_SG_EEENS0_18inequality_wrapperI22is_equal_div_10_uniqueIxEEEPmJS6_EEE10hipError_tPvRmT3_T4_T5_T6_T7_T9_mT8_P12ihipStream_tbDpT10_ENKUlT_T0_E_clISt17integral_constantIbLb0EES19_IbLb1EEEEDaS15_S16_EUlS15_E_NS1_11comp_targetILNS1_3genE10ELNS1_11target_archE1200ELNS1_3gpuE4ELNS1_3repE0EEENS1_30default_config_static_selectorELNS0_4arch9wavefront6targetE1EEEvT1_
; %bb.0:
	.section	.rodata,"a",@progbits
	.p2align	6, 0x0
	.amdhsa_kernel _ZN7rocprim17ROCPRIM_400000_NS6detail17trampoline_kernelINS0_14default_configENS1_25partition_config_selectorILNS1_17partition_subalgoE8ExNS0_10empty_typeEbEEZZNS1_14partition_implILS5_8ELb0ES3_jN6thrust23THRUST_200600_302600_NS6detail15normal_iteratorINSA_10device_ptrIxEEEEPS6_PKS6_NS0_5tupleIJSF_S6_EEENSJ_IJSG_SG_EEENS0_18inequality_wrapperI22is_equal_div_10_uniqueIxEEEPmJS6_EEE10hipError_tPvRmT3_T4_T5_T6_T7_T9_mT8_P12ihipStream_tbDpT10_ENKUlT_T0_E_clISt17integral_constantIbLb0EES19_IbLb1EEEEDaS15_S16_EUlS15_E_NS1_11comp_targetILNS1_3genE10ELNS1_11target_archE1200ELNS1_3gpuE4ELNS1_3repE0EEENS1_30default_config_static_selectorELNS0_4arch9wavefront6targetE1EEEvT1_
		.amdhsa_group_segment_fixed_size 0
		.amdhsa_private_segment_fixed_size 0
		.amdhsa_kernarg_size 128
		.amdhsa_user_sgpr_count 6
		.amdhsa_user_sgpr_private_segment_buffer 1
		.amdhsa_user_sgpr_dispatch_ptr 0
		.amdhsa_user_sgpr_queue_ptr 0
		.amdhsa_user_sgpr_kernarg_segment_ptr 1
		.amdhsa_user_sgpr_dispatch_id 0
		.amdhsa_user_sgpr_flat_scratch_init 0
		.amdhsa_user_sgpr_private_segment_size 0
		.amdhsa_uses_dynamic_stack 0
		.amdhsa_system_sgpr_private_segment_wavefront_offset 0
		.amdhsa_system_sgpr_workgroup_id_x 1
		.amdhsa_system_sgpr_workgroup_id_y 0
		.amdhsa_system_sgpr_workgroup_id_z 0
		.amdhsa_system_sgpr_workgroup_info 0
		.amdhsa_system_vgpr_workitem_id 0
		.amdhsa_next_free_vgpr 1
		.amdhsa_next_free_sgpr 0
		.amdhsa_reserve_vcc 0
		.amdhsa_reserve_flat_scratch 0
		.amdhsa_float_round_mode_32 0
		.amdhsa_float_round_mode_16_64 0
		.amdhsa_float_denorm_mode_32 3
		.amdhsa_float_denorm_mode_16_64 3
		.amdhsa_dx10_clamp 1
		.amdhsa_ieee_mode 1
		.amdhsa_fp16_overflow 0
		.amdhsa_exception_fp_ieee_invalid_op 0
		.amdhsa_exception_fp_denorm_src 0
		.amdhsa_exception_fp_ieee_div_zero 0
		.amdhsa_exception_fp_ieee_overflow 0
		.amdhsa_exception_fp_ieee_underflow 0
		.amdhsa_exception_fp_ieee_inexact 0
		.amdhsa_exception_int_div_zero 0
	.end_amdhsa_kernel
	.section	.text._ZN7rocprim17ROCPRIM_400000_NS6detail17trampoline_kernelINS0_14default_configENS1_25partition_config_selectorILNS1_17partition_subalgoE8ExNS0_10empty_typeEbEEZZNS1_14partition_implILS5_8ELb0ES3_jN6thrust23THRUST_200600_302600_NS6detail15normal_iteratorINSA_10device_ptrIxEEEEPS6_PKS6_NS0_5tupleIJSF_S6_EEENSJ_IJSG_SG_EEENS0_18inequality_wrapperI22is_equal_div_10_uniqueIxEEEPmJS6_EEE10hipError_tPvRmT3_T4_T5_T6_T7_T9_mT8_P12ihipStream_tbDpT10_ENKUlT_T0_E_clISt17integral_constantIbLb0EES19_IbLb1EEEEDaS15_S16_EUlS15_E_NS1_11comp_targetILNS1_3genE10ELNS1_11target_archE1200ELNS1_3gpuE4ELNS1_3repE0EEENS1_30default_config_static_selectorELNS0_4arch9wavefront6targetE1EEEvT1_,"axG",@progbits,_ZN7rocprim17ROCPRIM_400000_NS6detail17trampoline_kernelINS0_14default_configENS1_25partition_config_selectorILNS1_17partition_subalgoE8ExNS0_10empty_typeEbEEZZNS1_14partition_implILS5_8ELb0ES3_jN6thrust23THRUST_200600_302600_NS6detail15normal_iteratorINSA_10device_ptrIxEEEEPS6_PKS6_NS0_5tupleIJSF_S6_EEENSJ_IJSG_SG_EEENS0_18inequality_wrapperI22is_equal_div_10_uniqueIxEEEPmJS6_EEE10hipError_tPvRmT3_T4_T5_T6_T7_T9_mT8_P12ihipStream_tbDpT10_ENKUlT_T0_E_clISt17integral_constantIbLb0EES19_IbLb1EEEEDaS15_S16_EUlS15_E_NS1_11comp_targetILNS1_3genE10ELNS1_11target_archE1200ELNS1_3gpuE4ELNS1_3repE0EEENS1_30default_config_static_selectorELNS0_4arch9wavefront6targetE1EEEvT1_,comdat
.Lfunc_end401:
	.size	_ZN7rocprim17ROCPRIM_400000_NS6detail17trampoline_kernelINS0_14default_configENS1_25partition_config_selectorILNS1_17partition_subalgoE8ExNS0_10empty_typeEbEEZZNS1_14partition_implILS5_8ELb0ES3_jN6thrust23THRUST_200600_302600_NS6detail15normal_iteratorINSA_10device_ptrIxEEEEPS6_PKS6_NS0_5tupleIJSF_S6_EEENSJ_IJSG_SG_EEENS0_18inequality_wrapperI22is_equal_div_10_uniqueIxEEEPmJS6_EEE10hipError_tPvRmT3_T4_T5_T6_T7_T9_mT8_P12ihipStream_tbDpT10_ENKUlT_T0_E_clISt17integral_constantIbLb0EES19_IbLb1EEEEDaS15_S16_EUlS15_E_NS1_11comp_targetILNS1_3genE10ELNS1_11target_archE1200ELNS1_3gpuE4ELNS1_3repE0EEENS1_30default_config_static_selectorELNS0_4arch9wavefront6targetE1EEEvT1_, .Lfunc_end401-_ZN7rocprim17ROCPRIM_400000_NS6detail17trampoline_kernelINS0_14default_configENS1_25partition_config_selectorILNS1_17partition_subalgoE8ExNS0_10empty_typeEbEEZZNS1_14partition_implILS5_8ELb0ES3_jN6thrust23THRUST_200600_302600_NS6detail15normal_iteratorINSA_10device_ptrIxEEEEPS6_PKS6_NS0_5tupleIJSF_S6_EEENSJ_IJSG_SG_EEENS0_18inequality_wrapperI22is_equal_div_10_uniqueIxEEEPmJS6_EEE10hipError_tPvRmT3_T4_T5_T6_T7_T9_mT8_P12ihipStream_tbDpT10_ENKUlT_T0_E_clISt17integral_constantIbLb0EES19_IbLb1EEEEDaS15_S16_EUlS15_E_NS1_11comp_targetILNS1_3genE10ELNS1_11target_archE1200ELNS1_3gpuE4ELNS1_3repE0EEENS1_30default_config_static_selectorELNS0_4arch9wavefront6targetE1EEEvT1_
                                        ; -- End function
	.set _ZN7rocprim17ROCPRIM_400000_NS6detail17trampoline_kernelINS0_14default_configENS1_25partition_config_selectorILNS1_17partition_subalgoE8ExNS0_10empty_typeEbEEZZNS1_14partition_implILS5_8ELb0ES3_jN6thrust23THRUST_200600_302600_NS6detail15normal_iteratorINSA_10device_ptrIxEEEEPS6_PKS6_NS0_5tupleIJSF_S6_EEENSJ_IJSG_SG_EEENS0_18inequality_wrapperI22is_equal_div_10_uniqueIxEEEPmJS6_EEE10hipError_tPvRmT3_T4_T5_T6_T7_T9_mT8_P12ihipStream_tbDpT10_ENKUlT_T0_E_clISt17integral_constantIbLb0EES19_IbLb1EEEEDaS15_S16_EUlS15_E_NS1_11comp_targetILNS1_3genE10ELNS1_11target_archE1200ELNS1_3gpuE4ELNS1_3repE0EEENS1_30default_config_static_selectorELNS0_4arch9wavefront6targetE1EEEvT1_.num_vgpr, 0
	.set _ZN7rocprim17ROCPRIM_400000_NS6detail17trampoline_kernelINS0_14default_configENS1_25partition_config_selectorILNS1_17partition_subalgoE8ExNS0_10empty_typeEbEEZZNS1_14partition_implILS5_8ELb0ES3_jN6thrust23THRUST_200600_302600_NS6detail15normal_iteratorINSA_10device_ptrIxEEEEPS6_PKS6_NS0_5tupleIJSF_S6_EEENSJ_IJSG_SG_EEENS0_18inequality_wrapperI22is_equal_div_10_uniqueIxEEEPmJS6_EEE10hipError_tPvRmT3_T4_T5_T6_T7_T9_mT8_P12ihipStream_tbDpT10_ENKUlT_T0_E_clISt17integral_constantIbLb0EES19_IbLb1EEEEDaS15_S16_EUlS15_E_NS1_11comp_targetILNS1_3genE10ELNS1_11target_archE1200ELNS1_3gpuE4ELNS1_3repE0EEENS1_30default_config_static_selectorELNS0_4arch9wavefront6targetE1EEEvT1_.num_agpr, 0
	.set _ZN7rocprim17ROCPRIM_400000_NS6detail17trampoline_kernelINS0_14default_configENS1_25partition_config_selectorILNS1_17partition_subalgoE8ExNS0_10empty_typeEbEEZZNS1_14partition_implILS5_8ELb0ES3_jN6thrust23THRUST_200600_302600_NS6detail15normal_iteratorINSA_10device_ptrIxEEEEPS6_PKS6_NS0_5tupleIJSF_S6_EEENSJ_IJSG_SG_EEENS0_18inequality_wrapperI22is_equal_div_10_uniqueIxEEEPmJS6_EEE10hipError_tPvRmT3_T4_T5_T6_T7_T9_mT8_P12ihipStream_tbDpT10_ENKUlT_T0_E_clISt17integral_constantIbLb0EES19_IbLb1EEEEDaS15_S16_EUlS15_E_NS1_11comp_targetILNS1_3genE10ELNS1_11target_archE1200ELNS1_3gpuE4ELNS1_3repE0EEENS1_30default_config_static_selectorELNS0_4arch9wavefront6targetE1EEEvT1_.numbered_sgpr, 0
	.set _ZN7rocprim17ROCPRIM_400000_NS6detail17trampoline_kernelINS0_14default_configENS1_25partition_config_selectorILNS1_17partition_subalgoE8ExNS0_10empty_typeEbEEZZNS1_14partition_implILS5_8ELb0ES3_jN6thrust23THRUST_200600_302600_NS6detail15normal_iteratorINSA_10device_ptrIxEEEEPS6_PKS6_NS0_5tupleIJSF_S6_EEENSJ_IJSG_SG_EEENS0_18inequality_wrapperI22is_equal_div_10_uniqueIxEEEPmJS6_EEE10hipError_tPvRmT3_T4_T5_T6_T7_T9_mT8_P12ihipStream_tbDpT10_ENKUlT_T0_E_clISt17integral_constantIbLb0EES19_IbLb1EEEEDaS15_S16_EUlS15_E_NS1_11comp_targetILNS1_3genE10ELNS1_11target_archE1200ELNS1_3gpuE4ELNS1_3repE0EEENS1_30default_config_static_selectorELNS0_4arch9wavefront6targetE1EEEvT1_.num_named_barrier, 0
	.set _ZN7rocprim17ROCPRIM_400000_NS6detail17trampoline_kernelINS0_14default_configENS1_25partition_config_selectorILNS1_17partition_subalgoE8ExNS0_10empty_typeEbEEZZNS1_14partition_implILS5_8ELb0ES3_jN6thrust23THRUST_200600_302600_NS6detail15normal_iteratorINSA_10device_ptrIxEEEEPS6_PKS6_NS0_5tupleIJSF_S6_EEENSJ_IJSG_SG_EEENS0_18inequality_wrapperI22is_equal_div_10_uniqueIxEEEPmJS6_EEE10hipError_tPvRmT3_T4_T5_T6_T7_T9_mT8_P12ihipStream_tbDpT10_ENKUlT_T0_E_clISt17integral_constantIbLb0EES19_IbLb1EEEEDaS15_S16_EUlS15_E_NS1_11comp_targetILNS1_3genE10ELNS1_11target_archE1200ELNS1_3gpuE4ELNS1_3repE0EEENS1_30default_config_static_selectorELNS0_4arch9wavefront6targetE1EEEvT1_.private_seg_size, 0
	.set _ZN7rocprim17ROCPRIM_400000_NS6detail17trampoline_kernelINS0_14default_configENS1_25partition_config_selectorILNS1_17partition_subalgoE8ExNS0_10empty_typeEbEEZZNS1_14partition_implILS5_8ELb0ES3_jN6thrust23THRUST_200600_302600_NS6detail15normal_iteratorINSA_10device_ptrIxEEEEPS6_PKS6_NS0_5tupleIJSF_S6_EEENSJ_IJSG_SG_EEENS0_18inequality_wrapperI22is_equal_div_10_uniqueIxEEEPmJS6_EEE10hipError_tPvRmT3_T4_T5_T6_T7_T9_mT8_P12ihipStream_tbDpT10_ENKUlT_T0_E_clISt17integral_constantIbLb0EES19_IbLb1EEEEDaS15_S16_EUlS15_E_NS1_11comp_targetILNS1_3genE10ELNS1_11target_archE1200ELNS1_3gpuE4ELNS1_3repE0EEENS1_30default_config_static_selectorELNS0_4arch9wavefront6targetE1EEEvT1_.uses_vcc, 0
	.set _ZN7rocprim17ROCPRIM_400000_NS6detail17trampoline_kernelINS0_14default_configENS1_25partition_config_selectorILNS1_17partition_subalgoE8ExNS0_10empty_typeEbEEZZNS1_14partition_implILS5_8ELb0ES3_jN6thrust23THRUST_200600_302600_NS6detail15normal_iteratorINSA_10device_ptrIxEEEEPS6_PKS6_NS0_5tupleIJSF_S6_EEENSJ_IJSG_SG_EEENS0_18inequality_wrapperI22is_equal_div_10_uniqueIxEEEPmJS6_EEE10hipError_tPvRmT3_T4_T5_T6_T7_T9_mT8_P12ihipStream_tbDpT10_ENKUlT_T0_E_clISt17integral_constantIbLb0EES19_IbLb1EEEEDaS15_S16_EUlS15_E_NS1_11comp_targetILNS1_3genE10ELNS1_11target_archE1200ELNS1_3gpuE4ELNS1_3repE0EEENS1_30default_config_static_selectorELNS0_4arch9wavefront6targetE1EEEvT1_.uses_flat_scratch, 0
	.set _ZN7rocprim17ROCPRIM_400000_NS6detail17trampoline_kernelINS0_14default_configENS1_25partition_config_selectorILNS1_17partition_subalgoE8ExNS0_10empty_typeEbEEZZNS1_14partition_implILS5_8ELb0ES3_jN6thrust23THRUST_200600_302600_NS6detail15normal_iteratorINSA_10device_ptrIxEEEEPS6_PKS6_NS0_5tupleIJSF_S6_EEENSJ_IJSG_SG_EEENS0_18inequality_wrapperI22is_equal_div_10_uniqueIxEEEPmJS6_EEE10hipError_tPvRmT3_T4_T5_T6_T7_T9_mT8_P12ihipStream_tbDpT10_ENKUlT_T0_E_clISt17integral_constantIbLb0EES19_IbLb1EEEEDaS15_S16_EUlS15_E_NS1_11comp_targetILNS1_3genE10ELNS1_11target_archE1200ELNS1_3gpuE4ELNS1_3repE0EEENS1_30default_config_static_selectorELNS0_4arch9wavefront6targetE1EEEvT1_.has_dyn_sized_stack, 0
	.set _ZN7rocprim17ROCPRIM_400000_NS6detail17trampoline_kernelINS0_14default_configENS1_25partition_config_selectorILNS1_17partition_subalgoE8ExNS0_10empty_typeEbEEZZNS1_14partition_implILS5_8ELb0ES3_jN6thrust23THRUST_200600_302600_NS6detail15normal_iteratorINSA_10device_ptrIxEEEEPS6_PKS6_NS0_5tupleIJSF_S6_EEENSJ_IJSG_SG_EEENS0_18inequality_wrapperI22is_equal_div_10_uniqueIxEEEPmJS6_EEE10hipError_tPvRmT3_T4_T5_T6_T7_T9_mT8_P12ihipStream_tbDpT10_ENKUlT_T0_E_clISt17integral_constantIbLb0EES19_IbLb1EEEEDaS15_S16_EUlS15_E_NS1_11comp_targetILNS1_3genE10ELNS1_11target_archE1200ELNS1_3gpuE4ELNS1_3repE0EEENS1_30default_config_static_selectorELNS0_4arch9wavefront6targetE1EEEvT1_.has_recursion, 0
	.set _ZN7rocprim17ROCPRIM_400000_NS6detail17trampoline_kernelINS0_14default_configENS1_25partition_config_selectorILNS1_17partition_subalgoE8ExNS0_10empty_typeEbEEZZNS1_14partition_implILS5_8ELb0ES3_jN6thrust23THRUST_200600_302600_NS6detail15normal_iteratorINSA_10device_ptrIxEEEEPS6_PKS6_NS0_5tupleIJSF_S6_EEENSJ_IJSG_SG_EEENS0_18inequality_wrapperI22is_equal_div_10_uniqueIxEEEPmJS6_EEE10hipError_tPvRmT3_T4_T5_T6_T7_T9_mT8_P12ihipStream_tbDpT10_ENKUlT_T0_E_clISt17integral_constantIbLb0EES19_IbLb1EEEEDaS15_S16_EUlS15_E_NS1_11comp_targetILNS1_3genE10ELNS1_11target_archE1200ELNS1_3gpuE4ELNS1_3repE0EEENS1_30default_config_static_selectorELNS0_4arch9wavefront6targetE1EEEvT1_.has_indirect_call, 0
	.section	.AMDGPU.csdata,"",@progbits
; Kernel info:
; codeLenInByte = 0
; TotalNumSgprs: 4
; NumVgprs: 0
; ScratchSize: 0
; MemoryBound: 0
; FloatMode: 240
; IeeeMode: 1
; LDSByteSize: 0 bytes/workgroup (compile time only)
; SGPRBlocks: 0
; VGPRBlocks: 0
; NumSGPRsForWavesPerEU: 4
; NumVGPRsForWavesPerEU: 1
; Occupancy: 10
; WaveLimiterHint : 0
; COMPUTE_PGM_RSRC2:SCRATCH_EN: 0
; COMPUTE_PGM_RSRC2:USER_SGPR: 6
; COMPUTE_PGM_RSRC2:TRAP_HANDLER: 0
; COMPUTE_PGM_RSRC2:TGID_X_EN: 1
; COMPUTE_PGM_RSRC2:TGID_Y_EN: 0
; COMPUTE_PGM_RSRC2:TGID_Z_EN: 0
; COMPUTE_PGM_RSRC2:TIDIG_COMP_CNT: 0
	.section	.text._ZN7rocprim17ROCPRIM_400000_NS6detail17trampoline_kernelINS0_14default_configENS1_25partition_config_selectorILNS1_17partition_subalgoE8ExNS0_10empty_typeEbEEZZNS1_14partition_implILS5_8ELb0ES3_jN6thrust23THRUST_200600_302600_NS6detail15normal_iteratorINSA_10device_ptrIxEEEEPS6_PKS6_NS0_5tupleIJSF_S6_EEENSJ_IJSG_SG_EEENS0_18inequality_wrapperI22is_equal_div_10_uniqueIxEEEPmJS6_EEE10hipError_tPvRmT3_T4_T5_T6_T7_T9_mT8_P12ihipStream_tbDpT10_ENKUlT_T0_E_clISt17integral_constantIbLb0EES19_IbLb1EEEEDaS15_S16_EUlS15_E_NS1_11comp_targetILNS1_3genE9ELNS1_11target_archE1100ELNS1_3gpuE3ELNS1_3repE0EEENS1_30default_config_static_selectorELNS0_4arch9wavefront6targetE1EEEvT1_,"axG",@progbits,_ZN7rocprim17ROCPRIM_400000_NS6detail17trampoline_kernelINS0_14default_configENS1_25partition_config_selectorILNS1_17partition_subalgoE8ExNS0_10empty_typeEbEEZZNS1_14partition_implILS5_8ELb0ES3_jN6thrust23THRUST_200600_302600_NS6detail15normal_iteratorINSA_10device_ptrIxEEEEPS6_PKS6_NS0_5tupleIJSF_S6_EEENSJ_IJSG_SG_EEENS0_18inequality_wrapperI22is_equal_div_10_uniqueIxEEEPmJS6_EEE10hipError_tPvRmT3_T4_T5_T6_T7_T9_mT8_P12ihipStream_tbDpT10_ENKUlT_T0_E_clISt17integral_constantIbLb0EES19_IbLb1EEEEDaS15_S16_EUlS15_E_NS1_11comp_targetILNS1_3genE9ELNS1_11target_archE1100ELNS1_3gpuE3ELNS1_3repE0EEENS1_30default_config_static_selectorELNS0_4arch9wavefront6targetE1EEEvT1_,comdat
	.protected	_ZN7rocprim17ROCPRIM_400000_NS6detail17trampoline_kernelINS0_14default_configENS1_25partition_config_selectorILNS1_17partition_subalgoE8ExNS0_10empty_typeEbEEZZNS1_14partition_implILS5_8ELb0ES3_jN6thrust23THRUST_200600_302600_NS6detail15normal_iteratorINSA_10device_ptrIxEEEEPS6_PKS6_NS0_5tupleIJSF_S6_EEENSJ_IJSG_SG_EEENS0_18inequality_wrapperI22is_equal_div_10_uniqueIxEEEPmJS6_EEE10hipError_tPvRmT3_T4_T5_T6_T7_T9_mT8_P12ihipStream_tbDpT10_ENKUlT_T0_E_clISt17integral_constantIbLb0EES19_IbLb1EEEEDaS15_S16_EUlS15_E_NS1_11comp_targetILNS1_3genE9ELNS1_11target_archE1100ELNS1_3gpuE3ELNS1_3repE0EEENS1_30default_config_static_selectorELNS0_4arch9wavefront6targetE1EEEvT1_ ; -- Begin function _ZN7rocprim17ROCPRIM_400000_NS6detail17trampoline_kernelINS0_14default_configENS1_25partition_config_selectorILNS1_17partition_subalgoE8ExNS0_10empty_typeEbEEZZNS1_14partition_implILS5_8ELb0ES3_jN6thrust23THRUST_200600_302600_NS6detail15normal_iteratorINSA_10device_ptrIxEEEEPS6_PKS6_NS0_5tupleIJSF_S6_EEENSJ_IJSG_SG_EEENS0_18inequality_wrapperI22is_equal_div_10_uniqueIxEEEPmJS6_EEE10hipError_tPvRmT3_T4_T5_T6_T7_T9_mT8_P12ihipStream_tbDpT10_ENKUlT_T0_E_clISt17integral_constantIbLb0EES19_IbLb1EEEEDaS15_S16_EUlS15_E_NS1_11comp_targetILNS1_3genE9ELNS1_11target_archE1100ELNS1_3gpuE3ELNS1_3repE0EEENS1_30default_config_static_selectorELNS0_4arch9wavefront6targetE1EEEvT1_
	.globl	_ZN7rocprim17ROCPRIM_400000_NS6detail17trampoline_kernelINS0_14default_configENS1_25partition_config_selectorILNS1_17partition_subalgoE8ExNS0_10empty_typeEbEEZZNS1_14partition_implILS5_8ELb0ES3_jN6thrust23THRUST_200600_302600_NS6detail15normal_iteratorINSA_10device_ptrIxEEEEPS6_PKS6_NS0_5tupleIJSF_S6_EEENSJ_IJSG_SG_EEENS0_18inequality_wrapperI22is_equal_div_10_uniqueIxEEEPmJS6_EEE10hipError_tPvRmT3_T4_T5_T6_T7_T9_mT8_P12ihipStream_tbDpT10_ENKUlT_T0_E_clISt17integral_constantIbLb0EES19_IbLb1EEEEDaS15_S16_EUlS15_E_NS1_11comp_targetILNS1_3genE9ELNS1_11target_archE1100ELNS1_3gpuE3ELNS1_3repE0EEENS1_30default_config_static_selectorELNS0_4arch9wavefront6targetE1EEEvT1_
	.p2align	8
	.type	_ZN7rocprim17ROCPRIM_400000_NS6detail17trampoline_kernelINS0_14default_configENS1_25partition_config_selectorILNS1_17partition_subalgoE8ExNS0_10empty_typeEbEEZZNS1_14partition_implILS5_8ELb0ES3_jN6thrust23THRUST_200600_302600_NS6detail15normal_iteratorINSA_10device_ptrIxEEEEPS6_PKS6_NS0_5tupleIJSF_S6_EEENSJ_IJSG_SG_EEENS0_18inequality_wrapperI22is_equal_div_10_uniqueIxEEEPmJS6_EEE10hipError_tPvRmT3_T4_T5_T6_T7_T9_mT8_P12ihipStream_tbDpT10_ENKUlT_T0_E_clISt17integral_constantIbLb0EES19_IbLb1EEEEDaS15_S16_EUlS15_E_NS1_11comp_targetILNS1_3genE9ELNS1_11target_archE1100ELNS1_3gpuE3ELNS1_3repE0EEENS1_30default_config_static_selectorELNS0_4arch9wavefront6targetE1EEEvT1_,@function
_ZN7rocprim17ROCPRIM_400000_NS6detail17trampoline_kernelINS0_14default_configENS1_25partition_config_selectorILNS1_17partition_subalgoE8ExNS0_10empty_typeEbEEZZNS1_14partition_implILS5_8ELb0ES3_jN6thrust23THRUST_200600_302600_NS6detail15normal_iteratorINSA_10device_ptrIxEEEEPS6_PKS6_NS0_5tupleIJSF_S6_EEENSJ_IJSG_SG_EEENS0_18inequality_wrapperI22is_equal_div_10_uniqueIxEEEPmJS6_EEE10hipError_tPvRmT3_T4_T5_T6_T7_T9_mT8_P12ihipStream_tbDpT10_ENKUlT_T0_E_clISt17integral_constantIbLb0EES19_IbLb1EEEEDaS15_S16_EUlS15_E_NS1_11comp_targetILNS1_3genE9ELNS1_11target_archE1100ELNS1_3gpuE3ELNS1_3repE0EEENS1_30default_config_static_selectorELNS0_4arch9wavefront6targetE1EEEvT1_: ; @_ZN7rocprim17ROCPRIM_400000_NS6detail17trampoline_kernelINS0_14default_configENS1_25partition_config_selectorILNS1_17partition_subalgoE8ExNS0_10empty_typeEbEEZZNS1_14partition_implILS5_8ELb0ES3_jN6thrust23THRUST_200600_302600_NS6detail15normal_iteratorINSA_10device_ptrIxEEEEPS6_PKS6_NS0_5tupleIJSF_S6_EEENSJ_IJSG_SG_EEENS0_18inequality_wrapperI22is_equal_div_10_uniqueIxEEEPmJS6_EEE10hipError_tPvRmT3_T4_T5_T6_T7_T9_mT8_P12ihipStream_tbDpT10_ENKUlT_T0_E_clISt17integral_constantIbLb0EES19_IbLb1EEEEDaS15_S16_EUlS15_E_NS1_11comp_targetILNS1_3genE9ELNS1_11target_archE1100ELNS1_3gpuE3ELNS1_3repE0EEENS1_30default_config_static_selectorELNS0_4arch9wavefront6targetE1EEEvT1_
; %bb.0:
	.section	.rodata,"a",@progbits
	.p2align	6, 0x0
	.amdhsa_kernel _ZN7rocprim17ROCPRIM_400000_NS6detail17trampoline_kernelINS0_14default_configENS1_25partition_config_selectorILNS1_17partition_subalgoE8ExNS0_10empty_typeEbEEZZNS1_14partition_implILS5_8ELb0ES3_jN6thrust23THRUST_200600_302600_NS6detail15normal_iteratorINSA_10device_ptrIxEEEEPS6_PKS6_NS0_5tupleIJSF_S6_EEENSJ_IJSG_SG_EEENS0_18inequality_wrapperI22is_equal_div_10_uniqueIxEEEPmJS6_EEE10hipError_tPvRmT3_T4_T5_T6_T7_T9_mT8_P12ihipStream_tbDpT10_ENKUlT_T0_E_clISt17integral_constantIbLb0EES19_IbLb1EEEEDaS15_S16_EUlS15_E_NS1_11comp_targetILNS1_3genE9ELNS1_11target_archE1100ELNS1_3gpuE3ELNS1_3repE0EEENS1_30default_config_static_selectorELNS0_4arch9wavefront6targetE1EEEvT1_
		.amdhsa_group_segment_fixed_size 0
		.amdhsa_private_segment_fixed_size 0
		.amdhsa_kernarg_size 128
		.amdhsa_user_sgpr_count 6
		.amdhsa_user_sgpr_private_segment_buffer 1
		.amdhsa_user_sgpr_dispatch_ptr 0
		.amdhsa_user_sgpr_queue_ptr 0
		.amdhsa_user_sgpr_kernarg_segment_ptr 1
		.amdhsa_user_sgpr_dispatch_id 0
		.amdhsa_user_sgpr_flat_scratch_init 0
		.amdhsa_user_sgpr_private_segment_size 0
		.amdhsa_uses_dynamic_stack 0
		.amdhsa_system_sgpr_private_segment_wavefront_offset 0
		.amdhsa_system_sgpr_workgroup_id_x 1
		.amdhsa_system_sgpr_workgroup_id_y 0
		.amdhsa_system_sgpr_workgroup_id_z 0
		.amdhsa_system_sgpr_workgroup_info 0
		.amdhsa_system_vgpr_workitem_id 0
		.amdhsa_next_free_vgpr 1
		.amdhsa_next_free_sgpr 0
		.amdhsa_reserve_vcc 0
		.amdhsa_reserve_flat_scratch 0
		.amdhsa_float_round_mode_32 0
		.amdhsa_float_round_mode_16_64 0
		.amdhsa_float_denorm_mode_32 3
		.amdhsa_float_denorm_mode_16_64 3
		.amdhsa_dx10_clamp 1
		.amdhsa_ieee_mode 1
		.amdhsa_fp16_overflow 0
		.amdhsa_exception_fp_ieee_invalid_op 0
		.amdhsa_exception_fp_denorm_src 0
		.amdhsa_exception_fp_ieee_div_zero 0
		.amdhsa_exception_fp_ieee_overflow 0
		.amdhsa_exception_fp_ieee_underflow 0
		.amdhsa_exception_fp_ieee_inexact 0
		.amdhsa_exception_int_div_zero 0
	.end_amdhsa_kernel
	.section	.text._ZN7rocprim17ROCPRIM_400000_NS6detail17trampoline_kernelINS0_14default_configENS1_25partition_config_selectorILNS1_17partition_subalgoE8ExNS0_10empty_typeEbEEZZNS1_14partition_implILS5_8ELb0ES3_jN6thrust23THRUST_200600_302600_NS6detail15normal_iteratorINSA_10device_ptrIxEEEEPS6_PKS6_NS0_5tupleIJSF_S6_EEENSJ_IJSG_SG_EEENS0_18inequality_wrapperI22is_equal_div_10_uniqueIxEEEPmJS6_EEE10hipError_tPvRmT3_T4_T5_T6_T7_T9_mT8_P12ihipStream_tbDpT10_ENKUlT_T0_E_clISt17integral_constantIbLb0EES19_IbLb1EEEEDaS15_S16_EUlS15_E_NS1_11comp_targetILNS1_3genE9ELNS1_11target_archE1100ELNS1_3gpuE3ELNS1_3repE0EEENS1_30default_config_static_selectorELNS0_4arch9wavefront6targetE1EEEvT1_,"axG",@progbits,_ZN7rocprim17ROCPRIM_400000_NS6detail17trampoline_kernelINS0_14default_configENS1_25partition_config_selectorILNS1_17partition_subalgoE8ExNS0_10empty_typeEbEEZZNS1_14partition_implILS5_8ELb0ES3_jN6thrust23THRUST_200600_302600_NS6detail15normal_iteratorINSA_10device_ptrIxEEEEPS6_PKS6_NS0_5tupleIJSF_S6_EEENSJ_IJSG_SG_EEENS0_18inequality_wrapperI22is_equal_div_10_uniqueIxEEEPmJS6_EEE10hipError_tPvRmT3_T4_T5_T6_T7_T9_mT8_P12ihipStream_tbDpT10_ENKUlT_T0_E_clISt17integral_constantIbLb0EES19_IbLb1EEEEDaS15_S16_EUlS15_E_NS1_11comp_targetILNS1_3genE9ELNS1_11target_archE1100ELNS1_3gpuE3ELNS1_3repE0EEENS1_30default_config_static_selectorELNS0_4arch9wavefront6targetE1EEEvT1_,comdat
.Lfunc_end402:
	.size	_ZN7rocprim17ROCPRIM_400000_NS6detail17trampoline_kernelINS0_14default_configENS1_25partition_config_selectorILNS1_17partition_subalgoE8ExNS0_10empty_typeEbEEZZNS1_14partition_implILS5_8ELb0ES3_jN6thrust23THRUST_200600_302600_NS6detail15normal_iteratorINSA_10device_ptrIxEEEEPS6_PKS6_NS0_5tupleIJSF_S6_EEENSJ_IJSG_SG_EEENS0_18inequality_wrapperI22is_equal_div_10_uniqueIxEEEPmJS6_EEE10hipError_tPvRmT3_T4_T5_T6_T7_T9_mT8_P12ihipStream_tbDpT10_ENKUlT_T0_E_clISt17integral_constantIbLb0EES19_IbLb1EEEEDaS15_S16_EUlS15_E_NS1_11comp_targetILNS1_3genE9ELNS1_11target_archE1100ELNS1_3gpuE3ELNS1_3repE0EEENS1_30default_config_static_selectorELNS0_4arch9wavefront6targetE1EEEvT1_, .Lfunc_end402-_ZN7rocprim17ROCPRIM_400000_NS6detail17trampoline_kernelINS0_14default_configENS1_25partition_config_selectorILNS1_17partition_subalgoE8ExNS0_10empty_typeEbEEZZNS1_14partition_implILS5_8ELb0ES3_jN6thrust23THRUST_200600_302600_NS6detail15normal_iteratorINSA_10device_ptrIxEEEEPS6_PKS6_NS0_5tupleIJSF_S6_EEENSJ_IJSG_SG_EEENS0_18inequality_wrapperI22is_equal_div_10_uniqueIxEEEPmJS6_EEE10hipError_tPvRmT3_T4_T5_T6_T7_T9_mT8_P12ihipStream_tbDpT10_ENKUlT_T0_E_clISt17integral_constantIbLb0EES19_IbLb1EEEEDaS15_S16_EUlS15_E_NS1_11comp_targetILNS1_3genE9ELNS1_11target_archE1100ELNS1_3gpuE3ELNS1_3repE0EEENS1_30default_config_static_selectorELNS0_4arch9wavefront6targetE1EEEvT1_
                                        ; -- End function
	.set _ZN7rocprim17ROCPRIM_400000_NS6detail17trampoline_kernelINS0_14default_configENS1_25partition_config_selectorILNS1_17partition_subalgoE8ExNS0_10empty_typeEbEEZZNS1_14partition_implILS5_8ELb0ES3_jN6thrust23THRUST_200600_302600_NS6detail15normal_iteratorINSA_10device_ptrIxEEEEPS6_PKS6_NS0_5tupleIJSF_S6_EEENSJ_IJSG_SG_EEENS0_18inequality_wrapperI22is_equal_div_10_uniqueIxEEEPmJS6_EEE10hipError_tPvRmT3_T4_T5_T6_T7_T9_mT8_P12ihipStream_tbDpT10_ENKUlT_T0_E_clISt17integral_constantIbLb0EES19_IbLb1EEEEDaS15_S16_EUlS15_E_NS1_11comp_targetILNS1_3genE9ELNS1_11target_archE1100ELNS1_3gpuE3ELNS1_3repE0EEENS1_30default_config_static_selectorELNS0_4arch9wavefront6targetE1EEEvT1_.num_vgpr, 0
	.set _ZN7rocprim17ROCPRIM_400000_NS6detail17trampoline_kernelINS0_14default_configENS1_25partition_config_selectorILNS1_17partition_subalgoE8ExNS0_10empty_typeEbEEZZNS1_14partition_implILS5_8ELb0ES3_jN6thrust23THRUST_200600_302600_NS6detail15normal_iteratorINSA_10device_ptrIxEEEEPS6_PKS6_NS0_5tupleIJSF_S6_EEENSJ_IJSG_SG_EEENS0_18inequality_wrapperI22is_equal_div_10_uniqueIxEEEPmJS6_EEE10hipError_tPvRmT3_T4_T5_T6_T7_T9_mT8_P12ihipStream_tbDpT10_ENKUlT_T0_E_clISt17integral_constantIbLb0EES19_IbLb1EEEEDaS15_S16_EUlS15_E_NS1_11comp_targetILNS1_3genE9ELNS1_11target_archE1100ELNS1_3gpuE3ELNS1_3repE0EEENS1_30default_config_static_selectorELNS0_4arch9wavefront6targetE1EEEvT1_.num_agpr, 0
	.set _ZN7rocprim17ROCPRIM_400000_NS6detail17trampoline_kernelINS0_14default_configENS1_25partition_config_selectorILNS1_17partition_subalgoE8ExNS0_10empty_typeEbEEZZNS1_14partition_implILS5_8ELb0ES3_jN6thrust23THRUST_200600_302600_NS6detail15normal_iteratorINSA_10device_ptrIxEEEEPS6_PKS6_NS0_5tupleIJSF_S6_EEENSJ_IJSG_SG_EEENS0_18inequality_wrapperI22is_equal_div_10_uniqueIxEEEPmJS6_EEE10hipError_tPvRmT3_T4_T5_T6_T7_T9_mT8_P12ihipStream_tbDpT10_ENKUlT_T0_E_clISt17integral_constantIbLb0EES19_IbLb1EEEEDaS15_S16_EUlS15_E_NS1_11comp_targetILNS1_3genE9ELNS1_11target_archE1100ELNS1_3gpuE3ELNS1_3repE0EEENS1_30default_config_static_selectorELNS0_4arch9wavefront6targetE1EEEvT1_.numbered_sgpr, 0
	.set _ZN7rocprim17ROCPRIM_400000_NS6detail17trampoline_kernelINS0_14default_configENS1_25partition_config_selectorILNS1_17partition_subalgoE8ExNS0_10empty_typeEbEEZZNS1_14partition_implILS5_8ELb0ES3_jN6thrust23THRUST_200600_302600_NS6detail15normal_iteratorINSA_10device_ptrIxEEEEPS6_PKS6_NS0_5tupleIJSF_S6_EEENSJ_IJSG_SG_EEENS0_18inequality_wrapperI22is_equal_div_10_uniqueIxEEEPmJS6_EEE10hipError_tPvRmT3_T4_T5_T6_T7_T9_mT8_P12ihipStream_tbDpT10_ENKUlT_T0_E_clISt17integral_constantIbLb0EES19_IbLb1EEEEDaS15_S16_EUlS15_E_NS1_11comp_targetILNS1_3genE9ELNS1_11target_archE1100ELNS1_3gpuE3ELNS1_3repE0EEENS1_30default_config_static_selectorELNS0_4arch9wavefront6targetE1EEEvT1_.num_named_barrier, 0
	.set _ZN7rocprim17ROCPRIM_400000_NS6detail17trampoline_kernelINS0_14default_configENS1_25partition_config_selectorILNS1_17partition_subalgoE8ExNS0_10empty_typeEbEEZZNS1_14partition_implILS5_8ELb0ES3_jN6thrust23THRUST_200600_302600_NS6detail15normal_iteratorINSA_10device_ptrIxEEEEPS6_PKS6_NS0_5tupleIJSF_S6_EEENSJ_IJSG_SG_EEENS0_18inequality_wrapperI22is_equal_div_10_uniqueIxEEEPmJS6_EEE10hipError_tPvRmT3_T4_T5_T6_T7_T9_mT8_P12ihipStream_tbDpT10_ENKUlT_T0_E_clISt17integral_constantIbLb0EES19_IbLb1EEEEDaS15_S16_EUlS15_E_NS1_11comp_targetILNS1_3genE9ELNS1_11target_archE1100ELNS1_3gpuE3ELNS1_3repE0EEENS1_30default_config_static_selectorELNS0_4arch9wavefront6targetE1EEEvT1_.private_seg_size, 0
	.set _ZN7rocprim17ROCPRIM_400000_NS6detail17trampoline_kernelINS0_14default_configENS1_25partition_config_selectorILNS1_17partition_subalgoE8ExNS0_10empty_typeEbEEZZNS1_14partition_implILS5_8ELb0ES3_jN6thrust23THRUST_200600_302600_NS6detail15normal_iteratorINSA_10device_ptrIxEEEEPS6_PKS6_NS0_5tupleIJSF_S6_EEENSJ_IJSG_SG_EEENS0_18inequality_wrapperI22is_equal_div_10_uniqueIxEEEPmJS6_EEE10hipError_tPvRmT3_T4_T5_T6_T7_T9_mT8_P12ihipStream_tbDpT10_ENKUlT_T0_E_clISt17integral_constantIbLb0EES19_IbLb1EEEEDaS15_S16_EUlS15_E_NS1_11comp_targetILNS1_3genE9ELNS1_11target_archE1100ELNS1_3gpuE3ELNS1_3repE0EEENS1_30default_config_static_selectorELNS0_4arch9wavefront6targetE1EEEvT1_.uses_vcc, 0
	.set _ZN7rocprim17ROCPRIM_400000_NS6detail17trampoline_kernelINS0_14default_configENS1_25partition_config_selectorILNS1_17partition_subalgoE8ExNS0_10empty_typeEbEEZZNS1_14partition_implILS5_8ELb0ES3_jN6thrust23THRUST_200600_302600_NS6detail15normal_iteratorINSA_10device_ptrIxEEEEPS6_PKS6_NS0_5tupleIJSF_S6_EEENSJ_IJSG_SG_EEENS0_18inequality_wrapperI22is_equal_div_10_uniqueIxEEEPmJS6_EEE10hipError_tPvRmT3_T4_T5_T6_T7_T9_mT8_P12ihipStream_tbDpT10_ENKUlT_T0_E_clISt17integral_constantIbLb0EES19_IbLb1EEEEDaS15_S16_EUlS15_E_NS1_11comp_targetILNS1_3genE9ELNS1_11target_archE1100ELNS1_3gpuE3ELNS1_3repE0EEENS1_30default_config_static_selectorELNS0_4arch9wavefront6targetE1EEEvT1_.uses_flat_scratch, 0
	.set _ZN7rocprim17ROCPRIM_400000_NS6detail17trampoline_kernelINS0_14default_configENS1_25partition_config_selectorILNS1_17partition_subalgoE8ExNS0_10empty_typeEbEEZZNS1_14partition_implILS5_8ELb0ES3_jN6thrust23THRUST_200600_302600_NS6detail15normal_iteratorINSA_10device_ptrIxEEEEPS6_PKS6_NS0_5tupleIJSF_S6_EEENSJ_IJSG_SG_EEENS0_18inequality_wrapperI22is_equal_div_10_uniqueIxEEEPmJS6_EEE10hipError_tPvRmT3_T4_T5_T6_T7_T9_mT8_P12ihipStream_tbDpT10_ENKUlT_T0_E_clISt17integral_constantIbLb0EES19_IbLb1EEEEDaS15_S16_EUlS15_E_NS1_11comp_targetILNS1_3genE9ELNS1_11target_archE1100ELNS1_3gpuE3ELNS1_3repE0EEENS1_30default_config_static_selectorELNS0_4arch9wavefront6targetE1EEEvT1_.has_dyn_sized_stack, 0
	.set _ZN7rocprim17ROCPRIM_400000_NS6detail17trampoline_kernelINS0_14default_configENS1_25partition_config_selectorILNS1_17partition_subalgoE8ExNS0_10empty_typeEbEEZZNS1_14partition_implILS5_8ELb0ES3_jN6thrust23THRUST_200600_302600_NS6detail15normal_iteratorINSA_10device_ptrIxEEEEPS6_PKS6_NS0_5tupleIJSF_S6_EEENSJ_IJSG_SG_EEENS0_18inequality_wrapperI22is_equal_div_10_uniqueIxEEEPmJS6_EEE10hipError_tPvRmT3_T4_T5_T6_T7_T9_mT8_P12ihipStream_tbDpT10_ENKUlT_T0_E_clISt17integral_constantIbLb0EES19_IbLb1EEEEDaS15_S16_EUlS15_E_NS1_11comp_targetILNS1_3genE9ELNS1_11target_archE1100ELNS1_3gpuE3ELNS1_3repE0EEENS1_30default_config_static_selectorELNS0_4arch9wavefront6targetE1EEEvT1_.has_recursion, 0
	.set _ZN7rocprim17ROCPRIM_400000_NS6detail17trampoline_kernelINS0_14default_configENS1_25partition_config_selectorILNS1_17partition_subalgoE8ExNS0_10empty_typeEbEEZZNS1_14partition_implILS5_8ELb0ES3_jN6thrust23THRUST_200600_302600_NS6detail15normal_iteratorINSA_10device_ptrIxEEEEPS6_PKS6_NS0_5tupleIJSF_S6_EEENSJ_IJSG_SG_EEENS0_18inequality_wrapperI22is_equal_div_10_uniqueIxEEEPmJS6_EEE10hipError_tPvRmT3_T4_T5_T6_T7_T9_mT8_P12ihipStream_tbDpT10_ENKUlT_T0_E_clISt17integral_constantIbLb0EES19_IbLb1EEEEDaS15_S16_EUlS15_E_NS1_11comp_targetILNS1_3genE9ELNS1_11target_archE1100ELNS1_3gpuE3ELNS1_3repE0EEENS1_30default_config_static_selectorELNS0_4arch9wavefront6targetE1EEEvT1_.has_indirect_call, 0
	.section	.AMDGPU.csdata,"",@progbits
; Kernel info:
; codeLenInByte = 0
; TotalNumSgprs: 4
; NumVgprs: 0
; ScratchSize: 0
; MemoryBound: 0
; FloatMode: 240
; IeeeMode: 1
; LDSByteSize: 0 bytes/workgroup (compile time only)
; SGPRBlocks: 0
; VGPRBlocks: 0
; NumSGPRsForWavesPerEU: 4
; NumVGPRsForWavesPerEU: 1
; Occupancy: 10
; WaveLimiterHint : 0
; COMPUTE_PGM_RSRC2:SCRATCH_EN: 0
; COMPUTE_PGM_RSRC2:USER_SGPR: 6
; COMPUTE_PGM_RSRC2:TRAP_HANDLER: 0
; COMPUTE_PGM_RSRC2:TGID_X_EN: 1
; COMPUTE_PGM_RSRC2:TGID_Y_EN: 0
; COMPUTE_PGM_RSRC2:TGID_Z_EN: 0
; COMPUTE_PGM_RSRC2:TIDIG_COMP_CNT: 0
	.section	.text._ZN7rocprim17ROCPRIM_400000_NS6detail17trampoline_kernelINS0_14default_configENS1_25partition_config_selectorILNS1_17partition_subalgoE8ExNS0_10empty_typeEbEEZZNS1_14partition_implILS5_8ELb0ES3_jN6thrust23THRUST_200600_302600_NS6detail15normal_iteratorINSA_10device_ptrIxEEEEPS6_PKS6_NS0_5tupleIJSF_S6_EEENSJ_IJSG_SG_EEENS0_18inequality_wrapperI22is_equal_div_10_uniqueIxEEEPmJS6_EEE10hipError_tPvRmT3_T4_T5_T6_T7_T9_mT8_P12ihipStream_tbDpT10_ENKUlT_T0_E_clISt17integral_constantIbLb0EES19_IbLb1EEEEDaS15_S16_EUlS15_E_NS1_11comp_targetILNS1_3genE8ELNS1_11target_archE1030ELNS1_3gpuE2ELNS1_3repE0EEENS1_30default_config_static_selectorELNS0_4arch9wavefront6targetE1EEEvT1_,"axG",@progbits,_ZN7rocprim17ROCPRIM_400000_NS6detail17trampoline_kernelINS0_14default_configENS1_25partition_config_selectorILNS1_17partition_subalgoE8ExNS0_10empty_typeEbEEZZNS1_14partition_implILS5_8ELb0ES3_jN6thrust23THRUST_200600_302600_NS6detail15normal_iteratorINSA_10device_ptrIxEEEEPS6_PKS6_NS0_5tupleIJSF_S6_EEENSJ_IJSG_SG_EEENS0_18inequality_wrapperI22is_equal_div_10_uniqueIxEEEPmJS6_EEE10hipError_tPvRmT3_T4_T5_T6_T7_T9_mT8_P12ihipStream_tbDpT10_ENKUlT_T0_E_clISt17integral_constantIbLb0EES19_IbLb1EEEEDaS15_S16_EUlS15_E_NS1_11comp_targetILNS1_3genE8ELNS1_11target_archE1030ELNS1_3gpuE2ELNS1_3repE0EEENS1_30default_config_static_selectorELNS0_4arch9wavefront6targetE1EEEvT1_,comdat
	.protected	_ZN7rocprim17ROCPRIM_400000_NS6detail17trampoline_kernelINS0_14default_configENS1_25partition_config_selectorILNS1_17partition_subalgoE8ExNS0_10empty_typeEbEEZZNS1_14partition_implILS5_8ELb0ES3_jN6thrust23THRUST_200600_302600_NS6detail15normal_iteratorINSA_10device_ptrIxEEEEPS6_PKS6_NS0_5tupleIJSF_S6_EEENSJ_IJSG_SG_EEENS0_18inequality_wrapperI22is_equal_div_10_uniqueIxEEEPmJS6_EEE10hipError_tPvRmT3_T4_T5_T6_T7_T9_mT8_P12ihipStream_tbDpT10_ENKUlT_T0_E_clISt17integral_constantIbLb0EES19_IbLb1EEEEDaS15_S16_EUlS15_E_NS1_11comp_targetILNS1_3genE8ELNS1_11target_archE1030ELNS1_3gpuE2ELNS1_3repE0EEENS1_30default_config_static_selectorELNS0_4arch9wavefront6targetE1EEEvT1_ ; -- Begin function _ZN7rocprim17ROCPRIM_400000_NS6detail17trampoline_kernelINS0_14default_configENS1_25partition_config_selectorILNS1_17partition_subalgoE8ExNS0_10empty_typeEbEEZZNS1_14partition_implILS5_8ELb0ES3_jN6thrust23THRUST_200600_302600_NS6detail15normal_iteratorINSA_10device_ptrIxEEEEPS6_PKS6_NS0_5tupleIJSF_S6_EEENSJ_IJSG_SG_EEENS0_18inequality_wrapperI22is_equal_div_10_uniqueIxEEEPmJS6_EEE10hipError_tPvRmT3_T4_T5_T6_T7_T9_mT8_P12ihipStream_tbDpT10_ENKUlT_T0_E_clISt17integral_constantIbLb0EES19_IbLb1EEEEDaS15_S16_EUlS15_E_NS1_11comp_targetILNS1_3genE8ELNS1_11target_archE1030ELNS1_3gpuE2ELNS1_3repE0EEENS1_30default_config_static_selectorELNS0_4arch9wavefront6targetE1EEEvT1_
	.globl	_ZN7rocprim17ROCPRIM_400000_NS6detail17trampoline_kernelINS0_14default_configENS1_25partition_config_selectorILNS1_17partition_subalgoE8ExNS0_10empty_typeEbEEZZNS1_14partition_implILS5_8ELb0ES3_jN6thrust23THRUST_200600_302600_NS6detail15normal_iteratorINSA_10device_ptrIxEEEEPS6_PKS6_NS0_5tupleIJSF_S6_EEENSJ_IJSG_SG_EEENS0_18inequality_wrapperI22is_equal_div_10_uniqueIxEEEPmJS6_EEE10hipError_tPvRmT3_T4_T5_T6_T7_T9_mT8_P12ihipStream_tbDpT10_ENKUlT_T0_E_clISt17integral_constantIbLb0EES19_IbLb1EEEEDaS15_S16_EUlS15_E_NS1_11comp_targetILNS1_3genE8ELNS1_11target_archE1030ELNS1_3gpuE2ELNS1_3repE0EEENS1_30default_config_static_selectorELNS0_4arch9wavefront6targetE1EEEvT1_
	.p2align	8
	.type	_ZN7rocprim17ROCPRIM_400000_NS6detail17trampoline_kernelINS0_14default_configENS1_25partition_config_selectorILNS1_17partition_subalgoE8ExNS0_10empty_typeEbEEZZNS1_14partition_implILS5_8ELb0ES3_jN6thrust23THRUST_200600_302600_NS6detail15normal_iteratorINSA_10device_ptrIxEEEEPS6_PKS6_NS0_5tupleIJSF_S6_EEENSJ_IJSG_SG_EEENS0_18inequality_wrapperI22is_equal_div_10_uniqueIxEEEPmJS6_EEE10hipError_tPvRmT3_T4_T5_T6_T7_T9_mT8_P12ihipStream_tbDpT10_ENKUlT_T0_E_clISt17integral_constantIbLb0EES19_IbLb1EEEEDaS15_S16_EUlS15_E_NS1_11comp_targetILNS1_3genE8ELNS1_11target_archE1030ELNS1_3gpuE2ELNS1_3repE0EEENS1_30default_config_static_selectorELNS0_4arch9wavefront6targetE1EEEvT1_,@function
_ZN7rocprim17ROCPRIM_400000_NS6detail17trampoline_kernelINS0_14default_configENS1_25partition_config_selectorILNS1_17partition_subalgoE8ExNS0_10empty_typeEbEEZZNS1_14partition_implILS5_8ELb0ES3_jN6thrust23THRUST_200600_302600_NS6detail15normal_iteratorINSA_10device_ptrIxEEEEPS6_PKS6_NS0_5tupleIJSF_S6_EEENSJ_IJSG_SG_EEENS0_18inequality_wrapperI22is_equal_div_10_uniqueIxEEEPmJS6_EEE10hipError_tPvRmT3_T4_T5_T6_T7_T9_mT8_P12ihipStream_tbDpT10_ENKUlT_T0_E_clISt17integral_constantIbLb0EES19_IbLb1EEEEDaS15_S16_EUlS15_E_NS1_11comp_targetILNS1_3genE8ELNS1_11target_archE1030ELNS1_3gpuE2ELNS1_3repE0EEENS1_30default_config_static_selectorELNS0_4arch9wavefront6targetE1EEEvT1_: ; @_ZN7rocprim17ROCPRIM_400000_NS6detail17trampoline_kernelINS0_14default_configENS1_25partition_config_selectorILNS1_17partition_subalgoE8ExNS0_10empty_typeEbEEZZNS1_14partition_implILS5_8ELb0ES3_jN6thrust23THRUST_200600_302600_NS6detail15normal_iteratorINSA_10device_ptrIxEEEEPS6_PKS6_NS0_5tupleIJSF_S6_EEENSJ_IJSG_SG_EEENS0_18inequality_wrapperI22is_equal_div_10_uniqueIxEEEPmJS6_EEE10hipError_tPvRmT3_T4_T5_T6_T7_T9_mT8_P12ihipStream_tbDpT10_ENKUlT_T0_E_clISt17integral_constantIbLb0EES19_IbLb1EEEEDaS15_S16_EUlS15_E_NS1_11comp_targetILNS1_3genE8ELNS1_11target_archE1030ELNS1_3gpuE2ELNS1_3repE0EEENS1_30default_config_static_selectorELNS0_4arch9wavefront6targetE1EEEvT1_
; %bb.0:
	.section	.rodata,"a",@progbits
	.p2align	6, 0x0
	.amdhsa_kernel _ZN7rocprim17ROCPRIM_400000_NS6detail17trampoline_kernelINS0_14default_configENS1_25partition_config_selectorILNS1_17partition_subalgoE8ExNS0_10empty_typeEbEEZZNS1_14partition_implILS5_8ELb0ES3_jN6thrust23THRUST_200600_302600_NS6detail15normal_iteratorINSA_10device_ptrIxEEEEPS6_PKS6_NS0_5tupleIJSF_S6_EEENSJ_IJSG_SG_EEENS0_18inequality_wrapperI22is_equal_div_10_uniqueIxEEEPmJS6_EEE10hipError_tPvRmT3_T4_T5_T6_T7_T9_mT8_P12ihipStream_tbDpT10_ENKUlT_T0_E_clISt17integral_constantIbLb0EES19_IbLb1EEEEDaS15_S16_EUlS15_E_NS1_11comp_targetILNS1_3genE8ELNS1_11target_archE1030ELNS1_3gpuE2ELNS1_3repE0EEENS1_30default_config_static_selectorELNS0_4arch9wavefront6targetE1EEEvT1_
		.amdhsa_group_segment_fixed_size 0
		.amdhsa_private_segment_fixed_size 0
		.amdhsa_kernarg_size 128
		.amdhsa_user_sgpr_count 6
		.amdhsa_user_sgpr_private_segment_buffer 1
		.amdhsa_user_sgpr_dispatch_ptr 0
		.amdhsa_user_sgpr_queue_ptr 0
		.amdhsa_user_sgpr_kernarg_segment_ptr 1
		.amdhsa_user_sgpr_dispatch_id 0
		.amdhsa_user_sgpr_flat_scratch_init 0
		.amdhsa_user_sgpr_private_segment_size 0
		.amdhsa_uses_dynamic_stack 0
		.amdhsa_system_sgpr_private_segment_wavefront_offset 0
		.amdhsa_system_sgpr_workgroup_id_x 1
		.amdhsa_system_sgpr_workgroup_id_y 0
		.amdhsa_system_sgpr_workgroup_id_z 0
		.amdhsa_system_sgpr_workgroup_info 0
		.amdhsa_system_vgpr_workitem_id 0
		.amdhsa_next_free_vgpr 1
		.amdhsa_next_free_sgpr 0
		.amdhsa_reserve_vcc 0
		.amdhsa_reserve_flat_scratch 0
		.amdhsa_float_round_mode_32 0
		.amdhsa_float_round_mode_16_64 0
		.amdhsa_float_denorm_mode_32 3
		.amdhsa_float_denorm_mode_16_64 3
		.amdhsa_dx10_clamp 1
		.amdhsa_ieee_mode 1
		.amdhsa_fp16_overflow 0
		.amdhsa_exception_fp_ieee_invalid_op 0
		.amdhsa_exception_fp_denorm_src 0
		.amdhsa_exception_fp_ieee_div_zero 0
		.amdhsa_exception_fp_ieee_overflow 0
		.amdhsa_exception_fp_ieee_underflow 0
		.amdhsa_exception_fp_ieee_inexact 0
		.amdhsa_exception_int_div_zero 0
	.end_amdhsa_kernel
	.section	.text._ZN7rocprim17ROCPRIM_400000_NS6detail17trampoline_kernelINS0_14default_configENS1_25partition_config_selectorILNS1_17partition_subalgoE8ExNS0_10empty_typeEbEEZZNS1_14partition_implILS5_8ELb0ES3_jN6thrust23THRUST_200600_302600_NS6detail15normal_iteratorINSA_10device_ptrIxEEEEPS6_PKS6_NS0_5tupleIJSF_S6_EEENSJ_IJSG_SG_EEENS0_18inequality_wrapperI22is_equal_div_10_uniqueIxEEEPmJS6_EEE10hipError_tPvRmT3_T4_T5_T6_T7_T9_mT8_P12ihipStream_tbDpT10_ENKUlT_T0_E_clISt17integral_constantIbLb0EES19_IbLb1EEEEDaS15_S16_EUlS15_E_NS1_11comp_targetILNS1_3genE8ELNS1_11target_archE1030ELNS1_3gpuE2ELNS1_3repE0EEENS1_30default_config_static_selectorELNS0_4arch9wavefront6targetE1EEEvT1_,"axG",@progbits,_ZN7rocprim17ROCPRIM_400000_NS6detail17trampoline_kernelINS0_14default_configENS1_25partition_config_selectorILNS1_17partition_subalgoE8ExNS0_10empty_typeEbEEZZNS1_14partition_implILS5_8ELb0ES3_jN6thrust23THRUST_200600_302600_NS6detail15normal_iteratorINSA_10device_ptrIxEEEEPS6_PKS6_NS0_5tupleIJSF_S6_EEENSJ_IJSG_SG_EEENS0_18inequality_wrapperI22is_equal_div_10_uniqueIxEEEPmJS6_EEE10hipError_tPvRmT3_T4_T5_T6_T7_T9_mT8_P12ihipStream_tbDpT10_ENKUlT_T0_E_clISt17integral_constantIbLb0EES19_IbLb1EEEEDaS15_S16_EUlS15_E_NS1_11comp_targetILNS1_3genE8ELNS1_11target_archE1030ELNS1_3gpuE2ELNS1_3repE0EEENS1_30default_config_static_selectorELNS0_4arch9wavefront6targetE1EEEvT1_,comdat
.Lfunc_end403:
	.size	_ZN7rocprim17ROCPRIM_400000_NS6detail17trampoline_kernelINS0_14default_configENS1_25partition_config_selectorILNS1_17partition_subalgoE8ExNS0_10empty_typeEbEEZZNS1_14partition_implILS5_8ELb0ES3_jN6thrust23THRUST_200600_302600_NS6detail15normal_iteratorINSA_10device_ptrIxEEEEPS6_PKS6_NS0_5tupleIJSF_S6_EEENSJ_IJSG_SG_EEENS0_18inequality_wrapperI22is_equal_div_10_uniqueIxEEEPmJS6_EEE10hipError_tPvRmT3_T4_T5_T6_T7_T9_mT8_P12ihipStream_tbDpT10_ENKUlT_T0_E_clISt17integral_constantIbLb0EES19_IbLb1EEEEDaS15_S16_EUlS15_E_NS1_11comp_targetILNS1_3genE8ELNS1_11target_archE1030ELNS1_3gpuE2ELNS1_3repE0EEENS1_30default_config_static_selectorELNS0_4arch9wavefront6targetE1EEEvT1_, .Lfunc_end403-_ZN7rocprim17ROCPRIM_400000_NS6detail17trampoline_kernelINS0_14default_configENS1_25partition_config_selectorILNS1_17partition_subalgoE8ExNS0_10empty_typeEbEEZZNS1_14partition_implILS5_8ELb0ES3_jN6thrust23THRUST_200600_302600_NS6detail15normal_iteratorINSA_10device_ptrIxEEEEPS6_PKS6_NS0_5tupleIJSF_S6_EEENSJ_IJSG_SG_EEENS0_18inequality_wrapperI22is_equal_div_10_uniqueIxEEEPmJS6_EEE10hipError_tPvRmT3_T4_T5_T6_T7_T9_mT8_P12ihipStream_tbDpT10_ENKUlT_T0_E_clISt17integral_constantIbLb0EES19_IbLb1EEEEDaS15_S16_EUlS15_E_NS1_11comp_targetILNS1_3genE8ELNS1_11target_archE1030ELNS1_3gpuE2ELNS1_3repE0EEENS1_30default_config_static_selectorELNS0_4arch9wavefront6targetE1EEEvT1_
                                        ; -- End function
	.set _ZN7rocprim17ROCPRIM_400000_NS6detail17trampoline_kernelINS0_14default_configENS1_25partition_config_selectorILNS1_17partition_subalgoE8ExNS0_10empty_typeEbEEZZNS1_14partition_implILS5_8ELb0ES3_jN6thrust23THRUST_200600_302600_NS6detail15normal_iteratorINSA_10device_ptrIxEEEEPS6_PKS6_NS0_5tupleIJSF_S6_EEENSJ_IJSG_SG_EEENS0_18inequality_wrapperI22is_equal_div_10_uniqueIxEEEPmJS6_EEE10hipError_tPvRmT3_T4_T5_T6_T7_T9_mT8_P12ihipStream_tbDpT10_ENKUlT_T0_E_clISt17integral_constantIbLb0EES19_IbLb1EEEEDaS15_S16_EUlS15_E_NS1_11comp_targetILNS1_3genE8ELNS1_11target_archE1030ELNS1_3gpuE2ELNS1_3repE0EEENS1_30default_config_static_selectorELNS0_4arch9wavefront6targetE1EEEvT1_.num_vgpr, 0
	.set _ZN7rocprim17ROCPRIM_400000_NS6detail17trampoline_kernelINS0_14default_configENS1_25partition_config_selectorILNS1_17partition_subalgoE8ExNS0_10empty_typeEbEEZZNS1_14partition_implILS5_8ELb0ES3_jN6thrust23THRUST_200600_302600_NS6detail15normal_iteratorINSA_10device_ptrIxEEEEPS6_PKS6_NS0_5tupleIJSF_S6_EEENSJ_IJSG_SG_EEENS0_18inequality_wrapperI22is_equal_div_10_uniqueIxEEEPmJS6_EEE10hipError_tPvRmT3_T4_T5_T6_T7_T9_mT8_P12ihipStream_tbDpT10_ENKUlT_T0_E_clISt17integral_constantIbLb0EES19_IbLb1EEEEDaS15_S16_EUlS15_E_NS1_11comp_targetILNS1_3genE8ELNS1_11target_archE1030ELNS1_3gpuE2ELNS1_3repE0EEENS1_30default_config_static_selectorELNS0_4arch9wavefront6targetE1EEEvT1_.num_agpr, 0
	.set _ZN7rocprim17ROCPRIM_400000_NS6detail17trampoline_kernelINS0_14default_configENS1_25partition_config_selectorILNS1_17partition_subalgoE8ExNS0_10empty_typeEbEEZZNS1_14partition_implILS5_8ELb0ES3_jN6thrust23THRUST_200600_302600_NS6detail15normal_iteratorINSA_10device_ptrIxEEEEPS6_PKS6_NS0_5tupleIJSF_S6_EEENSJ_IJSG_SG_EEENS0_18inequality_wrapperI22is_equal_div_10_uniqueIxEEEPmJS6_EEE10hipError_tPvRmT3_T4_T5_T6_T7_T9_mT8_P12ihipStream_tbDpT10_ENKUlT_T0_E_clISt17integral_constantIbLb0EES19_IbLb1EEEEDaS15_S16_EUlS15_E_NS1_11comp_targetILNS1_3genE8ELNS1_11target_archE1030ELNS1_3gpuE2ELNS1_3repE0EEENS1_30default_config_static_selectorELNS0_4arch9wavefront6targetE1EEEvT1_.numbered_sgpr, 0
	.set _ZN7rocprim17ROCPRIM_400000_NS6detail17trampoline_kernelINS0_14default_configENS1_25partition_config_selectorILNS1_17partition_subalgoE8ExNS0_10empty_typeEbEEZZNS1_14partition_implILS5_8ELb0ES3_jN6thrust23THRUST_200600_302600_NS6detail15normal_iteratorINSA_10device_ptrIxEEEEPS6_PKS6_NS0_5tupleIJSF_S6_EEENSJ_IJSG_SG_EEENS0_18inequality_wrapperI22is_equal_div_10_uniqueIxEEEPmJS6_EEE10hipError_tPvRmT3_T4_T5_T6_T7_T9_mT8_P12ihipStream_tbDpT10_ENKUlT_T0_E_clISt17integral_constantIbLb0EES19_IbLb1EEEEDaS15_S16_EUlS15_E_NS1_11comp_targetILNS1_3genE8ELNS1_11target_archE1030ELNS1_3gpuE2ELNS1_3repE0EEENS1_30default_config_static_selectorELNS0_4arch9wavefront6targetE1EEEvT1_.num_named_barrier, 0
	.set _ZN7rocprim17ROCPRIM_400000_NS6detail17trampoline_kernelINS0_14default_configENS1_25partition_config_selectorILNS1_17partition_subalgoE8ExNS0_10empty_typeEbEEZZNS1_14partition_implILS5_8ELb0ES3_jN6thrust23THRUST_200600_302600_NS6detail15normal_iteratorINSA_10device_ptrIxEEEEPS6_PKS6_NS0_5tupleIJSF_S6_EEENSJ_IJSG_SG_EEENS0_18inequality_wrapperI22is_equal_div_10_uniqueIxEEEPmJS6_EEE10hipError_tPvRmT3_T4_T5_T6_T7_T9_mT8_P12ihipStream_tbDpT10_ENKUlT_T0_E_clISt17integral_constantIbLb0EES19_IbLb1EEEEDaS15_S16_EUlS15_E_NS1_11comp_targetILNS1_3genE8ELNS1_11target_archE1030ELNS1_3gpuE2ELNS1_3repE0EEENS1_30default_config_static_selectorELNS0_4arch9wavefront6targetE1EEEvT1_.private_seg_size, 0
	.set _ZN7rocprim17ROCPRIM_400000_NS6detail17trampoline_kernelINS0_14default_configENS1_25partition_config_selectorILNS1_17partition_subalgoE8ExNS0_10empty_typeEbEEZZNS1_14partition_implILS5_8ELb0ES3_jN6thrust23THRUST_200600_302600_NS6detail15normal_iteratorINSA_10device_ptrIxEEEEPS6_PKS6_NS0_5tupleIJSF_S6_EEENSJ_IJSG_SG_EEENS0_18inequality_wrapperI22is_equal_div_10_uniqueIxEEEPmJS6_EEE10hipError_tPvRmT3_T4_T5_T6_T7_T9_mT8_P12ihipStream_tbDpT10_ENKUlT_T0_E_clISt17integral_constantIbLb0EES19_IbLb1EEEEDaS15_S16_EUlS15_E_NS1_11comp_targetILNS1_3genE8ELNS1_11target_archE1030ELNS1_3gpuE2ELNS1_3repE0EEENS1_30default_config_static_selectorELNS0_4arch9wavefront6targetE1EEEvT1_.uses_vcc, 0
	.set _ZN7rocprim17ROCPRIM_400000_NS6detail17trampoline_kernelINS0_14default_configENS1_25partition_config_selectorILNS1_17partition_subalgoE8ExNS0_10empty_typeEbEEZZNS1_14partition_implILS5_8ELb0ES3_jN6thrust23THRUST_200600_302600_NS6detail15normal_iteratorINSA_10device_ptrIxEEEEPS6_PKS6_NS0_5tupleIJSF_S6_EEENSJ_IJSG_SG_EEENS0_18inequality_wrapperI22is_equal_div_10_uniqueIxEEEPmJS6_EEE10hipError_tPvRmT3_T4_T5_T6_T7_T9_mT8_P12ihipStream_tbDpT10_ENKUlT_T0_E_clISt17integral_constantIbLb0EES19_IbLb1EEEEDaS15_S16_EUlS15_E_NS1_11comp_targetILNS1_3genE8ELNS1_11target_archE1030ELNS1_3gpuE2ELNS1_3repE0EEENS1_30default_config_static_selectorELNS0_4arch9wavefront6targetE1EEEvT1_.uses_flat_scratch, 0
	.set _ZN7rocprim17ROCPRIM_400000_NS6detail17trampoline_kernelINS0_14default_configENS1_25partition_config_selectorILNS1_17partition_subalgoE8ExNS0_10empty_typeEbEEZZNS1_14partition_implILS5_8ELb0ES3_jN6thrust23THRUST_200600_302600_NS6detail15normal_iteratorINSA_10device_ptrIxEEEEPS6_PKS6_NS0_5tupleIJSF_S6_EEENSJ_IJSG_SG_EEENS0_18inequality_wrapperI22is_equal_div_10_uniqueIxEEEPmJS6_EEE10hipError_tPvRmT3_T4_T5_T6_T7_T9_mT8_P12ihipStream_tbDpT10_ENKUlT_T0_E_clISt17integral_constantIbLb0EES19_IbLb1EEEEDaS15_S16_EUlS15_E_NS1_11comp_targetILNS1_3genE8ELNS1_11target_archE1030ELNS1_3gpuE2ELNS1_3repE0EEENS1_30default_config_static_selectorELNS0_4arch9wavefront6targetE1EEEvT1_.has_dyn_sized_stack, 0
	.set _ZN7rocprim17ROCPRIM_400000_NS6detail17trampoline_kernelINS0_14default_configENS1_25partition_config_selectorILNS1_17partition_subalgoE8ExNS0_10empty_typeEbEEZZNS1_14partition_implILS5_8ELb0ES3_jN6thrust23THRUST_200600_302600_NS6detail15normal_iteratorINSA_10device_ptrIxEEEEPS6_PKS6_NS0_5tupleIJSF_S6_EEENSJ_IJSG_SG_EEENS0_18inequality_wrapperI22is_equal_div_10_uniqueIxEEEPmJS6_EEE10hipError_tPvRmT3_T4_T5_T6_T7_T9_mT8_P12ihipStream_tbDpT10_ENKUlT_T0_E_clISt17integral_constantIbLb0EES19_IbLb1EEEEDaS15_S16_EUlS15_E_NS1_11comp_targetILNS1_3genE8ELNS1_11target_archE1030ELNS1_3gpuE2ELNS1_3repE0EEENS1_30default_config_static_selectorELNS0_4arch9wavefront6targetE1EEEvT1_.has_recursion, 0
	.set _ZN7rocprim17ROCPRIM_400000_NS6detail17trampoline_kernelINS0_14default_configENS1_25partition_config_selectorILNS1_17partition_subalgoE8ExNS0_10empty_typeEbEEZZNS1_14partition_implILS5_8ELb0ES3_jN6thrust23THRUST_200600_302600_NS6detail15normal_iteratorINSA_10device_ptrIxEEEEPS6_PKS6_NS0_5tupleIJSF_S6_EEENSJ_IJSG_SG_EEENS0_18inequality_wrapperI22is_equal_div_10_uniqueIxEEEPmJS6_EEE10hipError_tPvRmT3_T4_T5_T6_T7_T9_mT8_P12ihipStream_tbDpT10_ENKUlT_T0_E_clISt17integral_constantIbLb0EES19_IbLb1EEEEDaS15_S16_EUlS15_E_NS1_11comp_targetILNS1_3genE8ELNS1_11target_archE1030ELNS1_3gpuE2ELNS1_3repE0EEENS1_30default_config_static_selectorELNS0_4arch9wavefront6targetE1EEEvT1_.has_indirect_call, 0
	.section	.AMDGPU.csdata,"",@progbits
; Kernel info:
; codeLenInByte = 0
; TotalNumSgprs: 4
; NumVgprs: 0
; ScratchSize: 0
; MemoryBound: 0
; FloatMode: 240
; IeeeMode: 1
; LDSByteSize: 0 bytes/workgroup (compile time only)
; SGPRBlocks: 0
; VGPRBlocks: 0
; NumSGPRsForWavesPerEU: 4
; NumVGPRsForWavesPerEU: 1
; Occupancy: 10
; WaveLimiterHint : 0
; COMPUTE_PGM_RSRC2:SCRATCH_EN: 0
; COMPUTE_PGM_RSRC2:USER_SGPR: 6
; COMPUTE_PGM_RSRC2:TRAP_HANDLER: 0
; COMPUTE_PGM_RSRC2:TGID_X_EN: 1
; COMPUTE_PGM_RSRC2:TGID_Y_EN: 0
; COMPUTE_PGM_RSRC2:TGID_Z_EN: 0
; COMPUTE_PGM_RSRC2:TIDIG_COMP_CNT: 0
	.section	.text._ZN7rocprim17ROCPRIM_400000_NS6detail17trampoline_kernelINS0_14default_configENS1_25partition_config_selectorILNS1_17partition_subalgoE8EiNS0_10empty_typeEbEEZZNS1_14partition_implILS5_8ELb0ES3_jN6thrust23THRUST_200600_302600_NS6detail15normal_iteratorINSA_10device_ptrIiEEEEPS6_PKS6_NS0_5tupleIJSF_S6_EEENSJ_IJSG_SG_EEENS0_18inequality_wrapperINSA_8equal_toIiEEEEPmJS6_EEE10hipError_tPvRmT3_T4_T5_T6_T7_T9_mT8_P12ihipStream_tbDpT10_ENKUlT_T0_E_clISt17integral_constantIbLb0EES1A_EEDaS15_S16_EUlS15_E_NS1_11comp_targetILNS1_3genE0ELNS1_11target_archE4294967295ELNS1_3gpuE0ELNS1_3repE0EEENS1_30default_config_static_selectorELNS0_4arch9wavefront6targetE1EEEvT1_,"axG",@progbits,_ZN7rocprim17ROCPRIM_400000_NS6detail17trampoline_kernelINS0_14default_configENS1_25partition_config_selectorILNS1_17partition_subalgoE8EiNS0_10empty_typeEbEEZZNS1_14partition_implILS5_8ELb0ES3_jN6thrust23THRUST_200600_302600_NS6detail15normal_iteratorINSA_10device_ptrIiEEEEPS6_PKS6_NS0_5tupleIJSF_S6_EEENSJ_IJSG_SG_EEENS0_18inequality_wrapperINSA_8equal_toIiEEEEPmJS6_EEE10hipError_tPvRmT3_T4_T5_T6_T7_T9_mT8_P12ihipStream_tbDpT10_ENKUlT_T0_E_clISt17integral_constantIbLb0EES1A_EEDaS15_S16_EUlS15_E_NS1_11comp_targetILNS1_3genE0ELNS1_11target_archE4294967295ELNS1_3gpuE0ELNS1_3repE0EEENS1_30default_config_static_selectorELNS0_4arch9wavefront6targetE1EEEvT1_,comdat
	.protected	_ZN7rocprim17ROCPRIM_400000_NS6detail17trampoline_kernelINS0_14default_configENS1_25partition_config_selectorILNS1_17partition_subalgoE8EiNS0_10empty_typeEbEEZZNS1_14partition_implILS5_8ELb0ES3_jN6thrust23THRUST_200600_302600_NS6detail15normal_iteratorINSA_10device_ptrIiEEEEPS6_PKS6_NS0_5tupleIJSF_S6_EEENSJ_IJSG_SG_EEENS0_18inequality_wrapperINSA_8equal_toIiEEEEPmJS6_EEE10hipError_tPvRmT3_T4_T5_T6_T7_T9_mT8_P12ihipStream_tbDpT10_ENKUlT_T0_E_clISt17integral_constantIbLb0EES1A_EEDaS15_S16_EUlS15_E_NS1_11comp_targetILNS1_3genE0ELNS1_11target_archE4294967295ELNS1_3gpuE0ELNS1_3repE0EEENS1_30default_config_static_selectorELNS0_4arch9wavefront6targetE1EEEvT1_ ; -- Begin function _ZN7rocprim17ROCPRIM_400000_NS6detail17trampoline_kernelINS0_14default_configENS1_25partition_config_selectorILNS1_17partition_subalgoE8EiNS0_10empty_typeEbEEZZNS1_14partition_implILS5_8ELb0ES3_jN6thrust23THRUST_200600_302600_NS6detail15normal_iteratorINSA_10device_ptrIiEEEEPS6_PKS6_NS0_5tupleIJSF_S6_EEENSJ_IJSG_SG_EEENS0_18inequality_wrapperINSA_8equal_toIiEEEEPmJS6_EEE10hipError_tPvRmT3_T4_T5_T6_T7_T9_mT8_P12ihipStream_tbDpT10_ENKUlT_T0_E_clISt17integral_constantIbLb0EES1A_EEDaS15_S16_EUlS15_E_NS1_11comp_targetILNS1_3genE0ELNS1_11target_archE4294967295ELNS1_3gpuE0ELNS1_3repE0EEENS1_30default_config_static_selectorELNS0_4arch9wavefront6targetE1EEEvT1_
	.globl	_ZN7rocprim17ROCPRIM_400000_NS6detail17trampoline_kernelINS0_14default_configENS1_25partition_config_selectorILNS1_17partition_subalgoE8EiNS0_10empty_typeEbEEZZNS1_14partition_implILS5_8ELb0ES3_jN6thrust23THRUST_200600_302600_NS6detail15normal_iteratorINSA_10device_ptrIiEEEEPS6_PKS6_NS0_5tupleIJSF_S6_EEENSJ_IJSG_SG_EEENS0_18inequality_wrapperINSA_8equal_toIiEEEEPmJS6_EEE10hipError_tPvRmT3_T4_T5_T6_T7_T9_mT8_P12ihipStream_tbDpT10_ENKUlT_T0_E_clISt17integral_constantIbLb0EES1A_EEDaS15_S16_EUlS15_E_NS1_11comp_targetILNS1_3genE0ELNS1_11target_archE4294967295ELNS1_3gpuE0ELNS1_3repE0EEENS1_30default_config_static_selectorELNS0_4arch9wavefront6targetE1EEEvT1_
	.p2align	8
	.type	_ZN7rocprim17ROCPRIM_400000_NS6detail17trampoline_kernelINS0_14default_configENS1_25partition_config_selectorILNS1_17partition_subalgoE8EiNS0_10empty_typeEbEEZZNS1_14partition_implILS5_8ELb0ES3_jN6thrust23THRUST_200600_302600_NS6detail15normal_iteratorINSA_10device_ptrIiEEEEPS6_PKS6_NS0_5tupleIJSF_S6_EEENSJ_IJSG_SG_EEENS0_18inequality_wrapperINSA_8equal_toIiEEEEPmJS6_EEE10hipError_tPvRmT3_T4_T5_T6_T7_T9_mT8_P12ihipStream_tbDpT10_ENKUlT_T0_E_clISt17integral_constantIbLb0EES1A_EEDaS15_S16_EUlS15_E_NS1_11comp_targetILNS1_3genE0ELNS1_11target_archE4294967295ELNS1_3gpuE0ELNS1_3repE0EEENS1_30default_config_static_selectorELNS0_4arch9wavefront6targetE1EEEvT1_,@function
_ZN7rocprim17ROCPRIM_400000_NS6detail17trampoline_kernelINS0_14default_configENS1_25partition_config_selectorILNS1_17partition_subalgoE8EiNS0_10empty_typeEbEEZZNS1_14partition_implILS5_8ELb0ES3_jN6thrust23THRUST_200600_302600_NS6detail15normal_iteratorINSA_10device_ptrIiEEEEPS6_PKS6_NS0_5tupleIJSF_S6_EEENSJ_IJSG_SG_EEENS0_18inequality_wrapperINSA_8equal_toIiEEEEPmJS6_EEE10hipError_tPvRmT3_T4_T5_T6_T7_T9_mT8_P12ihipStream_tbDpT10_ENKUlT_T0_E_clISt17integral_constantIbLb0EES1A_EEDaS15_S16_EUlS15_E_NS1_11comp_targetILNS1_3genE0ELNS1_11target_archE4294967295ELNS1_3gpuE0ELNS1_3repE0EEENS1_30default_config_static_selectorELNS0_4arch9wavefront6targetE1EEEvT1_: ; @_ZN7rocprim17ROCPRIM_400000_NS6detail17trampoline_kernelINS0_14default_configENS1_25partition_config_selectorILNS1_17partition_subalgoE8EiNS0_10empty_typeEbEEZZNS1_14partition_implILS5_8ELb0ES3_jN6thrust23THRUST_200600_302600_NS6detail15normal_iteratorINSA_10device_ptrIiEEEEPS6_PKS6_NS0_5tupleIJSF_S6_EEENSJ_IJSG_SG_EEENS0_18inequality_wrapperINSA_8equal_toIiEEEEPmJS6_EEE10hipError_tPvRmT3_T4_T5_T6_T7_T9_mT8_P12ihipStream_tbDpT10_ENKUlT_T0_E_clISt17integral_constantIbLb0EES1A_EEDaS15_S16_EUlS15_E_NS1_11comp_targetILNS1_3genE0ELNS1_11target_archE4294967295ELNS1_3gpuE0ELNS1_3repE0EEENS1_30default_config_static_selectorELNS0_4arch9wavefront6targetE1EEEvT1_
; %bb.0:
	.section	.rodata,"a",@progbits
	.p2align	6, 0x0
	.amdhsa_kernel _ZN7rocprim17ROCPRIM_400000_NS6detail17trampoline_kernelINS0_14default_configENS1_25partition_config_selectorILNS1_17partition_subalgoE8EiNS0_10empty_typeEbEEZZNS1_14partition_implILS5_8ELb0ES3_jN6thrust23THRUST_200600_302600_NS6detail15normal_iteratorINSA_10device_ptrIiEEEEPS6_PKS6_NS0_5tupleIJSF_S6_EEENSJ_IJSG_SG_EEENS0_18inequality_wrapperINSA_8equal_toIiEEEEPmJS6_EEE10hipError_tPvRmT3_T4_T5_T6_T7_T9_mT8_P12ihipStream_tbDpT10_ENKUlT_T0_E_clISt17integral_constantIbLb0EES1A_EEDaS15_S16_EUlS15_E_NS1_11comp_targetILNS1_3genE0ELNS1_11target_archE4294967295ELNS1_3gpuE0ELNS1_3repE0EEENS1_30default_config_static_selectorELNS0_4arch9wavefront6targetE1EEEvT1_
		.amdhsa_group_segment_fixed_size 0
		.amdhsa_private_segment_fixed_size 0
		.amdhsa_kernarg_size 112
		.amdhsa_user_sgpr_count 6
		.amdhsa_user_sgpr_private_segment_buffer 1
		.amdhsa_user_sgpr_dispatch_ptr 0
		.amdhsa_user_sgpr_queue_ptr 0
		.amdhsa_user_sgpr_kernarg_segment_ptr 1
		.amdhsa_user_sgpr_dispatch_id 0
		.amdhsa_user_sgpr_flat_scratch_init 0
		.amdhsa_user_sgpr_private_segment_size 0
		.amdhsa_uses_dynamic_stack 0
		.amdhsa_system_sgpr_private_segment_wavefront_offset 0
		.amdhsa_system_sgpr_workgroup_id_x 1
		.amdhsa_system_sgpr_workgroup_id_y 0
		.amdhsa_system_sgpr_workgroup_id_z 0
		.amdhsa_system_sgpr_workgroup_info 0
		.amdhsa_system_vgpr_workitem_id 0
		.amdhsa_next_free_vgpr 1
		.amdhsa_next_free_sgpr 0
		.amdhsa_reserve_vcc 0
		.amdhsa_reserve_flat_scratch 0
		.amdhsa_float_round_mode_32 0
		.amdhsa_float_round_mode_16_64 0
		.amdhsa_float_denorm_mode_32 3
		.amdhsa_float_denorm_mode_16_64 3
		.amdhsa_dx10_clamp 1
		.amdhsa_ieee_mode 1
		.amdhsa_fp16_overflow 0
		.amdhsa_exception_fp_ieee_invalid_op 0
		.amdhsa_exception_fp_denorm_src 0
		.amdhsa_exception_fp_ieee_div_zero 0
		.amdhsa_exception_fp_ieee_overflow 0
		.amdhsa_exception_fp_ieee_underflow 0
		.amdhsa_exception_fp_ieee_inexact 0
		.amdhsa_exception_int_div_zero 0
	.end_amdhsa_kernel
	.section	.text._ZN7rocprim17ROCPRIM_400000_NS6detail17trampoline_kernelINS0_14default_configENS1_25partition_config_selectorILNS1_17partition_subalgoE8EiNS0_10empty_typeEbEEZZNS1_14partition_implILS5_8ELb0ES3_jN6thrust23THRUST_200600_302600_NS6detail15normal_iteratorINSA_10device_ptrIiEEEEPS6_PKS6_NS0_5tupleIJSF_S6_EEENSJ_IJSG_SG_EEENS0_18inequality_wrapperINSA_8equal_toIiEEEEPmJS6_EEE10hipError_tPvRmT3_T4_T5_T6_T7_T9_mT8_P12ihipStream_tbDpT10_ENKUlT_T0_E_clISt17integral_constantIbLb0EES1A_EEDaS15_S16_EUlS15_E_NS1_11comp_targetILNS1_3genE0ELNS1_11target_archE4294967295ELNS1_3gpuE0ELNS1_3repE0EEENS1_30default_config_static_selectorELNS0_4arch9wavefront6targetE1EEEvT1_,"axG",@progbits,_ZN7rocprim17ROCPRIM_400000_NS6detail17trampoline_kernelINS0_14default_configENS1_25partition_config_selectorILNS1_17partition_subalgoE8EiNS0_10empty_typeEbEEZZNS1_14partition_implILS5_8ELb0ES3_jN6thrust23THRUST_200600_302600_NS6detail15normal_iteratorINSA_10device_ptrIiEEEEPS6_PKS6_NS0_5tupleIJSF_S6_EEENSJ_IJSG_SG_EEENS0_18inequality_wrapperINSA_8equal_toIiEEEEPmJS6_EEE10hipError_tPvRmT3_T4_T5_T6_T7_T9_mT8_P12ihipStream_tbDpT10_ENKUlT_T0_E_clISt17integral_constantIbLb0EES1A_EEDaS15_S16_EUlS15_E_NS1_11comp_targetILNS1_3genE0ELNS1_11target_archE4294967295ELNS1_3gpuE0ELNS1_3repE0EEENS1_30default_config_static_selectorELNS0_4arch9wavefront6targetE1EEEvT1_,comdat
.Lfunc_end404:
	.size	_ZN7rocprim17ROCPRIM_400000_NS6detail17trampoline_kernelINS0_14default_configENS1_25partition_config_selectorILNS1_17partition_subalgoE8EiNS0_10empty_typeEbEEZZNS1_14partition_implILS5_8ELb0ES3_jN6thrust23THRUST_200600_302600_NS6detail15normal_iteratorINSA_10device_ptrIiEEEEPS6_PKS6_NS0_5tupleIJSF_S6_EEENSJ_IJSG_SG_EEENS0_18inequality_wrapperINSA_8equal_toIiEEEEPmJS6_EEE10hipError_tPvRmT3_T4_T5_T6_T7_T9_mT8_P12ihipStream_tbDpT10_ENKUlT_T0_E_clISt17integral_constantIbLb0EES1A_EEDaS15_S16_EUlS15_E_NS1_11comp_targetILNS1_3genE0ELNS1_11target_archE4294967295ELNS1_3gpuE0ELNS1_3repE0EEENS1_30default_config_static_selectorELNS0_4arch9wavefront6targetE1EEEvT1_, .Lfunc_end404-_ZN7rocprim17ROCPRIM_400000_NS6detail17trampoline_kernelINS0_14default_configENS1_25partition_config_selectorILNS1_17partition_subalgoE8EiNS0_10empty_typeEbEEZZNS1_14partition_implILS5_8ELb0ES3_jN6thrust23THRUST_200600_302600_NS6detail15normal_iteratorINSA_10device_ptrIiEEEEPS6_PKS6_NS0_5tupleIJSF_S6_EEENSJ_IJSG_SG_EEENS0_18inequality_wrapperINSA_8equal_toIiEEEEPmJS6_EEE10hipError_tPvRmT3_T4_T5_T6_T7_T9_mT8_P12ihipStream_tbDpT10_ENKUlT_T0_E_clISt17integral_constantIbLb0EES1A_EEDaS15_S16_EUlS15_E_NS1_11comp_targetILNS1_3genE0ELNS1_11target_archE4294967295ELNS1_3gpuE0ELNS1_3repE0EEENS1_30default_config_static_selectorELNS0_4arch9wavefront6targetE1EEEvT1_
                                        ; -- End function
	.set _ZN7rocprim17ROCPRIM_400000_NS6detail17trampoline_kernelINS0_14default_configENS1_25partition_config_selectorILNS1_17partition_subalgoE8EiNS0_10empty_typeEbEEZZNS1_14partition_implILS5_8ELb0ES3_jN6thrust23THRUST_200600_302600_NS6detail15normal_iteratorINSA_10device_ptrIiEEEEPS6_PKS6_NS0_5tupleIJSF_S6_EEENSJ_IJSG_SG_EEENS0_18inequality_wrapperINSA_8equal_toIiEEEEPmJS6_EEE10hipError_tPvRmT3_T4_T5_T6_T7_T9_mT8_P12ihipStream_tbDpT10_ENKUlT_T0_E_clISt17integral_constantIbLb0EES1A_EEDaS15_S16_EUlS15_E_NS1_11comp_targetILNS1_3genE0ELNS1_11target_archE4294967295ELNS1_3gpuE0ELNS1_3repE0EEENS1_30default_config_static_selectorELNS0_4arch9wavefront6targetE1EEEvT1_.num_vgpr, 0
	.set _ZN7rocprim17ROCPRIM_400000_NS6detail17trampoline_kernelINS0_14default_configENS1_25partition_config_selectorILNS1_17partition_subalgoE8EiNS0_10empty_typeEbEEZZNS1_14partition_implILS5_8ELb0ES3_jN6thrust23THRUST_200600_302600_NS6detail15normal_iteratorINSA_10device_ptrIiEEEEPS6_PKS6_NS0_5tupleIJSF_S6_EEENSJ_IJSG_SG_EEENS0_18inequality_wrapperINSA_8equal_toIiEEEEPmJS6_EEE10hipError_tPvRmT3_T4_T5_T6_T7_T9_mT8_P12ihipStream_tbDpT10_ENKUlT_T0_E_clISt17integral_constantIbLb0EES1A_EEDaS15_S16_EUlS15_E_NS1_11comp_targetILNS1_3genE0ELNS1_11target_archE4294967295ELNS1_3gpuE0ELNS1_3repE0EEENS1_30default_config_static_selectorELNS0_4arch9wavefront6targetE1EEEvT1_.num_agpr, 0
	.set _ZN7rocprim17ROCPRIM_400000_NS6detail17trampoline_kernelINS0_14default_configENS1_25partition_config_selectorILNS1_17partition_subalgoE8EiNS0_10empty_typeEbEEZZNS1_14partition_implILS5_8ELb0ES3_jN6thrust23THRUST_200600_302600_NS6detail15normal_iteratorINSA_10device_ptrIiEEEEPS6_PKS6_NS0_5tupleIJSF_S6_EEENSJ_IJSG_SG_EEENS0_18inequality_wrapperINSA_8equal_toIiEEEEPmJS6_EEE10hipError_tPvRmT3_T4_T5_T6_T7_T9_mT8_P12ihipStream_tbDpT10_ENKUlT_T0_E_clISt17integral_constantIbLb0EES1A_EEDaS15_S16_EUlS15_E_NS1_11comp_targetILNS1_3genE0ELNS1_11target_archE4294967295ELNS1_3gpuE0ELNS1_3repE0EEENS1_30default_config_static_selectorELNS0_4arch9wavefront6targetE1EEEvT1_.numbered_sgpr, 0
	.set _ZN7rocprim17ROCPRIM_400000_NS6detail17trampoline_kernelINS0_14default_configENS1_25partition_config_selectorILNS1_17partition_subalgoE8EiNS0_10empty_typeEbEEZZNS1_14partition_implILS5_8ELb0ES3_jN6thrust23THRUST_200600_302600_NS6detail15normal_iteratorINSA_10device_ptrIiEEEEPS6_PKS6_NS0_5tupleIJSF_S6_EEENSJ_IJSG_SG_EEENS0_18inequality_wrapperINSA_8equal_toIiEEEEPmJS6_EEE10hipError_tPvRmT3_T4_T5_T6_T7_T9_mT8_P12ihipStream_tbDpT10_ENKUlT_T0_E_clISt17integral_constantIbLb0EES1A_EEDaS15_S16_EUlS15_E_NS1_11comp_targetILNS1_3genE0ELNS1_11target_archE4294967295ELNS1_3gpuE0ELNS1_3repE0EEENS1_30default_config_static_selectorELNS0_4arch9wavefront6targetE1EEEvT1_.num_named_barrier, 0
	.set _ZN7rocprim17ROCPRIM_400000_NS6detail17trampoline_kernelINS0_14default_configENS1_25partition_config_selectorILNS1_17partition_subalgoE8EiNS0_10empty_typeEbEEZZNS1_14partition_implILS5_8ELb0ES3_jN6thrust23THRUST_200600_302600_NS6detail15normal_iteratorINSA_10device_ptrIiEEEEPS6_PKS6_NS0_5tupleIJSF_S6_EEENSJ_IJSG_SG_EEENS0_18inequality_wrapperINSA_8equal_toIiEEEEPmJS6_EEE10hipError_tPvRmT3_T4_T5_T6_T7_T9_mT8_P12ihipStream_tbDpT10_ENKUlT_T0_E_clISt17integral_constantIbLb0EES1A_EEDaS15_S16_EUlS15_E_NS1_11comp_targetILNS1_3genE0ELNS1_11target_archE4294967295ELNS1_3gpuE0ELNS1_3repE0EEENS1_30default_config_static_selectorELNS0_4arch9wavefront6targetE1EEEvT1_.private_seg_size, 0
	.set _ZN7rocprim17ROCPRIM_400000_NS6detail17trampoline_kernelINS0_14default_configENS1_25partition_config_selectorILNS1_17partition_subalgoE8EiNS0_10empty_typeEbEEZZNS1_14partition_implILS5_8ELb0ES3_jN6thrust23THRUST_200600_302600_NS6detail15normal_iteratorINSA_10device_ptrIiEEEEPS6_PKS6_NS0_5tupleIJSF_S6_EEENSJ_IJSG_SG_EEENS0_18inequality_wrapperINSA_8equal_toIiEEEEPmJS6_EEE10hipError_tPvRmT3_T4_T5_T6_T7_T9_mT8_P12ihipStream_tbDpT10_ENKUlT_T0_E_clISt17integral_constantIbLb0EES1A_EEDaS15_S16_EUlS15_E_NS1_11comp_targetILNS1_3genE0ELNS1_11target_archE4294967295ELNS1_3gpuE0ELNS1_3repE0EEENS1_30default_config_static_selectorELNS0_4arch9wavefront6targetE1EEEvT1_.uses_vcc, 0
	.set _ZN7rocprim17ROCPRIM_400000_NS6detail17trampoline_kernelINS0_14default_configENS1_25partition_config_selectorILNS1_17partition_subalgoE8EiNS0_10empty_typeEbEEZZNS1_14partition_implILS5_8ELb0ES3_jN6thrust23THRUST_200600_302600_NS6detail15normal_iteratorINSA_10device_ptrIiEEEEPS6_PKS6_NS0_5tupleIJSF_S6_EEENSJ_IJSG_SG_EEENS0_18inequality_wrapperINSA_8equal_toIiEEEEPmJS6_EEE10hipError_tPvRmT3_T4_T5_T6_T7_T9_mT8_P12ihipStream_tbDpT10_ENKUlT_T0_E_clISt17integral_constantIbLb0EES1A_EEDaS15_S16_EUlS15_E_NS1_11comp_targetILNS1_3genE0ELNS1_11target_archE4294967295ELNS1_3gpuE0ELNS1_3repE0EEENS1_30default_config_static_selectorELNS0_4arch9wavefront6targetE1EEEvT1_.uses_flat_scratch, 0
	.set _ZN7rocprim17ROCPRIM_400000_NS6detail17trampoline_kernelINS0_14default_configENS1_25partition_config_selectorILNS1_17partition_subalgoE8EiNS0_10empty_typeEbEEZZNS1_14partition_implILS5_8ELb0ES3_jN6thrust23THRUST_200600_302600_NS6detail15normal_iteratorINSA_10device_ptrIiEEEEPS6_PKS6_NS0_5tupleIJSF_S6_EEENSJ_IJSG_SG_EEENS0_18inequality_wrapperINSA_8equal_toIiEEEEPmJS6_EEE10hipError_tPvRmT3_T4_T5_T6_T7_T9_mT8_P12ihipStream_tbDpT10_ENKUlT_T0_E_clISt17integral_constantIbLb0EES1A_EEDaS15_S16_EUlS15_E_NS1_11comp_targetILNS1_3genE0ELNS1_11target_archE4294967295ELNS1_3gpuE0ELNS1_3repE0EEENS1_30default_config_static_selectorELNS0_4arch9wavefront6targetE1EEEvT1_.has_dyn_sized_stack, 0
	.set _ZN7rocprim17ROCPRIM_400000_NS6detail17trampoline_kernelINS0_14default_configENS1_25partition_config_selectorILNS1_17partition_subalgoE8EiNS0_10empty_typeEbEEZZNS1_14partition_implILS5_8ELb0ES3_jN6thrust23THRUST_200600_302600_NS6detail15normal_iteratorINSA_10device_ptrIiEEEEPS6_PKS6_NS0_5tupleIJSF_S6_EEENSJ_IJSG_SG_EEENS0_18inequality_wrapperINSA_8equal_toIiEEEEPmJS6_EEE10hipError_tPvRmT3_T4_T5_T6_T7_T9_mT8_P12ihipStream_tbDpT10_ENKUlT_T0_E_clISt17integral_constantIbLb0EES1A_EEDaS15_S16_EUlS15_E_NS1_11comp_targetILNS1_3genE0ELNS1_11target_archE4294967295ELNS1_3gpuE0ELNS1_3repE0EEENS1_30default_config_static_selectorELNS0_4arch9wavefront6targetE1EEEvT1_.has_recursion, 0
	.set _ZN7rocprim17ROCPRIM_400000_NS6detail17trampoline_kernelINS0_14default_configENS1_25partition_config_selectorILNS1_17partition_subalgoE8EiNS0_10empty_typeEbEEZZNS1_14partition_implILS5_8ELb0ES3_jN6thrust23THRUST_200600_302600_NS6detail15normal_iteratorINSA_10device_ptrIiEEEEPS6_PKS6_NS0_5tupleIJSF_S6_EEENSJ_IJSG_SG_EEENS0_18inequality_wrapperINSA_8equal_toIiEEEEPmJS6_EEE10hipError_tPvRmT3_T4_T5_T6_T7_T9_mT8_P12ihipStream_tbDpT10_ENKUlT_T0_E_clISt17integral_constantIbLb0EES1A_EEDaS15_S16_EUlS15_E_NS1_11comp_targetILNS1_3genE0ELNS1_11target_archE4294967295ELNS1_3gpuE0ELNS1_3repE0EEENS1_30default_config_static_selectorELNS0_4arch9wavefront6targetE1EEEvT1_.has_indirect_call, 0
	.section	.AMDGPU.csdata,"",@progbits
; Kernel info:
; codeLenInByte = 0
; TotalNumSgprs: 4
; NumVgprs: 0
; ScratchSize: 0
; MemoryBound: 0
; FloatMode: 240
; IeeeMode: 1
; LDSByteSize: 0 bytes/workgroup (compile time only)
; SGPRBlocks: 0
; VGPRBlocks: 0
; NumSGPRsForWavesPerEU: 4
; NumVGPRsForWavesPerEU: 1
; Occupancy: 10
; WaveLimiterHint : 0
; COMPUTE_PGM_RSRC2:SCRATCH_EN: 0
; COMPUTE_PGM_RSRC2:USER_SGPR: 6
; COMPUTE_PGM_RSRC2:TRAP_HANDLER: 0
; COMPUTE_PGM_RSRC2:TGID_X_EN: 1
; COMPUTE_PGM_RSRC2:TGID_Y_EN: 0
; COMPUTE_PGM_RSRC2:TGID_Z_EN: 0
; COMPUTE_PGM_RSRC2:TIDIG_COMP_CNT: 0
	.section	.text._ZN7rocprim17ROCPRIM_400000_NS6detail17trampoline_kernelINS0_14default_configENS1_25partition_config_selectorILNS1_17partition_subalgoE8EiNS0_10empty_typeEbEEZZNS1_14partition_implILS5_8ELb0ES3_jN6thrust23THRUST_200600_302600_NS6detail15normal_iteratorINSA_10device_ptrIiEEEEPS6_PKS6_NS0_5tupleIJSF_S6_EEENSJ_IJSG_SG_EEENS0_18inequality_wrapperINSA_8equal_toIiEEEEPmJS6_EEE10hipError_tPvRmT3_T4_T5_T6_T7_T9_mT8_P12ihipStream_tbDpT10_ENKUlT_T0_E_clISt17integral_constantIbLb0EES1A_EEDaS15_S16_EUlS15_E_NS1_11comp_targetILNS1_3genE5ELNS1_11target_archE942ELNS1_3gpuE9ELNS1_3repE0EEENS1_30default_config_static_selectorELNS0_4arch9wavefront6targetE1EEEvT1_,"axG",@progbits,_ZN7rocprim17ROCPRIM_400000_NS6detail17trampoline_kernelINS0_14default_configENS1_25partition_config_selectorILNS1_17partition_subalgoE8EiNS0_10empty_typeEbEEZZNS1_14partition_implILS5_8ELb0ES3_jN6thrust23THRUST_200600_302600_NS6detail15normal_iteratorINSA_10device_ptrIiEEEEPS6_PKS6_NS0_5tupleIJSF_S6_EEENSJ_IJSG_SG_EEENS0_18inequality_wrapperINSA_8equal_toIiEEEEPmJS6_EEE10hipError_tPvRmT3_T4_T5_T6_T7_T9_mT8_P12ihipStream_tbDpT10_ENKUlT_T0_E_clISt17integral_constantIbLb0EES1A_EEDaS15_S16_EUlS15_E_NS1_11comp_targetILNS1_3genE5ELNS1_11target_archE942ELNS1_3gpuE9ELNS1_3repE0EEENS1_30default_config_static_selectorELNS0_4arch9wavefront6targetE1EEEvT1_,comdat
	.protected	_ZN7rocprim17ROCPRIM_400000_NS6detail17trampoline_kernelINS0_14default_configENS1_25partition_config_selectorILNS1_17partition_subalgoE8EiNS0_10empty_typeEbEEZZNS1_14partition_implILS5_8ELb0ES3_jN6thrust23THRUST_200600_302600_NS6detail15normal_iteratorINSA_10device_ptrIiEEEEPS6_PKS6_NS0_5tupleIJSF_S6_EEENSJ_IJSG_SG_EEENS0_18inequality_wrapperINSA_8equal_toIiEEEEPmJS6_EEE10hipError_tPvRmT3_T4_T5_T6_T7_T9_mT8_P12ihipStream_tbDpT10_ENKUlT_T0_E_clISt17integral_constantIbLb0EES1A_EEDaS15_S16_EUlS15_E_NS1_11comp_targetILNS1_3genE5ELNS1_11target_archE942ELNS1_3gpuE9ELNS1_3repE0EEENS1_30default_config_static_selectorELNS0_4arch9wavefront6targetE1EEEvT1_ ; -- Begin function _ZN7rocprim17ROCPRIM_400000_NS6detail17trampoline_kernelINS0_14default_configENS1_25partition_config_selectorILNS1_17partition_subalgoE8EiNS0_10empty_typeEbEEZZNS1_14partition_implILS5_8ELb0ES3_jN6thrust23THRUST_200600_302600_NS6detail15normal_iteratorINSA_10device_ptrIiEEEEPS6_PKS6_NS0_5tupleIJSF_S6_EEENSJ_IJSG_SG_EEENS0_18inequality_wrapperINSA_8equal_toIiEEEEPmJS6_EEE10hipError_tPvRmT3_T4_T5_T6_T7_T9_mT8_P12ihipStream_tbDpT10_ENKUlT_T0_E_clISt17integral_constantIbLb0EES1A_EEDaS15_S16_EUlS15_E_NS1_11comp_targetILNS1_3genE5ELNS1_11target_archE942ELNS1_3gpuE9ELNS1_3repE0EEENS1_30default_config_static_selectorELNS0_4arch9wavefront6targetE1EEEvT1_
	.globl	_ZN7rocprim17ROCPRIM_400000_NS6detail17trampoline_kernelINS0_14default_configENS1_25partition_config_selectorILNS1_17partition_subalgoE8EiNS0_10empty_typeEbEEZZNS1_14partition_implILS5_8ELb0ES3_jN6thrust23THRUST_200600_302600_NS6detail15normal_iteratorINSA_10device_ptrIiEEEEPS6_PKS6_NS0_5tupleIJSF_S6_EEENSJ_IJSG_SG_EEENS0_18inequality_wrapperINSA_8equal_toIiEEEEPmJS6_EEE10hipError_tPvRmT3_T4_T5_T6_T7_T9_mT8_P12ihipStream_tbDpT10_ENKUlT_T0_E_clISt17integral_constantIbLb0EES1A_EEDaS15_S16_EUlS15_E_NS1_11comp_targetILNS1_3genE5ELNS1_11target_archE942ELNS1_3gpuE9ELNS1_3repE0EEENS1_30default_config_static_selectorELNS0_4arch9wavefront6targetE1EEEvT1_
	.p2align	8
	.type	_ZN7rocprim17ROCPRIM_400000_NS6detail17trampoline_kernelINS0_14default_configENS1_25partition_config_selectorILNS1_17partition_subalgoE8EiNS0_10empty_typeEbEEZZNS1_14partition_implILS5_8ELb0ES3_jN6thrust23THRUST_200600_302600_NS6detail15normal_iteratorINSA_10device_ptrIiEEEEPS6_PKS6_NS0_5tupleIJSF_S6_EEENSJ_IJSG_SG_EEENS0_18inequality_wrapperINSA_8equal_toIiEEEEPmJS6_EEE10hipError_tPvRmT3_T4_T5_T6_T7_T9_mT8_P12ihipStream_tbDpT10_ENKUlT_T0_E_clISt17integral_constantIbLb0EES1A_EEDaS15_S16_EUlS15_E_NS1_11comp_targetILNS1_3genE5ELNS1_11target_archE942ELNS1_3gpuE9ELNS1_3repE0EEENS1_30default_config_static_selectorELNS0_4arch9wavefront6targetE1EEEvT1_,@function
_ZN7rocprim17ROCPRIM_400000_NS6detail17trampoline_kernelINS0_14default_configENS1_25partition_config_selectorILNS1_17partition_subalgoE8EiNS0_10empty_typeEbEEZZNS1_14partition_implILS5_8ELb0ES3_jN6thrust23THRUST_200600_302600_NS6detail15normal_iteratorINSA_10device_ptrIiEEEEPS6_PKS6_NS0_5tupleIJSF_S6_EEENSJ_IJSG_SG_EEENS0_18inequality_wrapperINSA_8equal_toIiEEEEPmJS6_EEE10hipError_tPvRmT3_T4_T5_T6_T7_T9_mT8_P12ihipStream_tbDpT10_ENKUlT_T0_E_clISt17integral_constantIbLb0EES1A_EEDaS15_S16_EUlS15_E_NS1_11comp_targetILNS1_3genE5ELNS1_11target_archE942ELNS1_3gpuE9ELNS1_3repE0EEENS1_30default_config_static_selectorELNS0_4arch9wavefront6targetE1EEEvT1_: ; @_ZN7rocprim17ROCPRIM_400000_NS6detail17trampoline_kernelINS0_14default_configENS1_25partition_config_selectorILNS1_17partition_subalgoE8EiNS0_10empty_typeEbEEZZNS1_14partition_implILS5_8ELb0ES3_jN6thrust23THRUST_200600_302600_NS6detail15normal_iteratorINSA_10device_ptrIiEEEEPS6_PKS6_NS0_5tupleIJSF_S6_EEENSJ_IJSG_SG_EEENS0_18inequality_wrapperINSA_8equal_toIiEEEEPmJS6_EEE10hipError_tPvRmT3_T4_T5_T6_T7_T9_mT8_P12ihipStream_tbDpT10_ENKUlT_T0_E_clISt17integral_constantIbLb0EES1A_EEDaS15_S16_EUlS15_E_NS1_11comp_targetILNS1_3genE5ELNS1_11target_archE942ELNS1_3gpuE9ELNS1_3repE0EEENS1_30default_config_static_selectorELNS0_4arch9wavefront6targetE1EEEvT1_
; %bb.0:
	.section	.rodata,"a",@progbits
	.p2align	6, 0x0
	.amdhsa_kernel _ZN7rocprim17ROCPRIM_400000_NS6detail17trampoline_kernelINS0_14default_configENS1_25partition_config_selectorILNS1_17partition_subalgoE8EiNS0_10empty_typeEbEEZZNS1_14partition_implILS5_8ELb0ES3_jN6thrust23THRUST_200600_302600_NS6detail15normal_iteratorINSA_10device_ptrIiEEEEPS6_PKS6_NS0_5tupleIJSF_S6_EEENSJ_IJSG_SG_EEENS0_18inequality_wrapperINSA_8equal_toIiEEEEPmJS6_EEE10hipError_tPvRmT3_T4_T5_T6_T7_T9_mT8_P12ihipStream_tbDpT10_ENKUlT_T0_E_clISt17integral_constantIbLb0EES1A_EEDaS15_S16_EUlS15_E_NS1_11comp_targetILNS1_3genE5ELNS1_11target_archE942ELNS1_3gpuE9ELNS1_3repE0EEENS1_30default_config_static_selectorELNS0_4arch9wavefront6targetE1EEEvT1_
		.amdhsa_group_segment_fixed_size 0
		.amdhsa_private_segment_fixed_size 0
		.amdhsa_kernarg_size 112
		.amdhsa_user_sgpr_count 6
		.amdhsa_user_sgpr_private_segment_buffer 1
		.amdhsa_user_sgpr_dispatch_ptr 0
		.amdhsa_user_sgpr_queue_ptr 0
		.amdhsa_user_sgpr_kernarg_segment_ptr 1
		.amdhsa_user_sgpr_dispatch_id 0
		.amdhsa_user_sgpr_flat_scratch_init 0
		.amdhsa_user_sgpr_private_segment_size 0
		.amdhsa_uses_dynamic_stack 0
		.amdhsa_system_sgpr_private_segment_wavefront_offset 0
		.amdhsa_system_sgpr_workgroup_id_x 1
		.amdhsa_system_sgpr_workgroup_id_y 0
		.amdhsa_system_sgpr_workgroup_id_z 0
		.amdhsa_system_sgpr_workgroup_info 0
		.amdhsa_system_vgpr_workitem_id 0
		.amdhsa_next_free_vgpr 1
		.amdhsa_next_free_sgpr 0
		.amdhsa_reserve_vcc 0
		.amdhsa_reserve_flat_scratch 0
		.amdhsa_float_round_mode_32 0
		.amdhsa_float_round_mode_16_64 0
		.amdhsa_float_denorm_mode_32 3
		.amdhsa_float_denorm_mode_16_64 3
		.amdhsa_dx10_clamp 1
		.amdhsa_ieee_mode 1
		.amdhsa_fp16_overflow 0
		.amdhsa_exception_fp_ieee_invalid_op 0
		.amdhsa_exception_fp_denorm_src 0
		.amdhsa_exception_fp_ieee_div_zero 0
		.amdhsa_exception_fp_ieee_overflow 0
		.amdhsa_exception_fp_ieee_underflow 0
		.amdhsa_exception_fp_ieee_inexact 0
		.amdhsa_exception_int_div_zero 0
	.end_amdhsa_kernel
	.section	.text._ZN7rocprim17ROCPRIM_400000_NS6detail17trampoline_kernelINS0_14default_configENS1_25partition_config_selectorILNS1_17partition_subalgoE8EiNS0_10empty_typeEbEEZZNS1_14partition_implILS5_8ELb0ES3_jN6thrust23THRUST_200600_302600_NS6detail15normal_iteratorINSA_10device_ptrIiEEEEPS6_PKS6_NS0_5tupleIJSF_S6_EEENSJ_IJSG_SG_EEENS0_18inequality_wrapperINSA_8equal_toIiEEEEPmJS6_EEE10hipError_tPvRmT3_T4_T5_T6_T7_T9_mT8_P12ihipStream_tbDpT10_ENKUlT_T0_E_clISt17integral_constantIbLb0EES1A_EEDaS15_S16_EUlS15_E_NS1_11comp_targetILNS1_3genE5ELNS1_11target_archE942ELNS1_3gpuE9ELNS1_3repE0EEENS1_30default_config_static_selectorELNS0_4arch9wavefront6targetE1EEEvT1_,"axG",@progbits,_ZN7rocprim17ROCPRIM_400000_NS6detail17trampoline_kernelINS0_14default_configENS1_25partition_config_selectorILNS1_17partition_subalgoE8EiNS0_10empty_typeEbEEZZNS1_14partition_implILS5_8ELb0ES3_jN6thrust23THRUST_200600_302600_NS6detail15normal_iteratorINSA_10device_ptrIiEEEEPS6_PKS6_NS0_5tupleIJSF_S6_EEENSJ_IJSG_SG_EEENS0_18inequality_wrapperINSA_8equal_toIiEEEEPmJS6_EEE10hipError_tPvRmT3_T4_T5_T6_T7_T9_mT8_P12ihipStream_tbDpT10_ENKUlT_T0_E_clISt17integral_constantIbLb0EES1A_EEDaS15_S16_EUlS15_E_NS1_11comp_targetILNS1_3genE5ELNS1_11target_archE942ELNS1_3gpuE9ELNS1_3repE0EEENS1_30default_config_static_selectorELNS0_4arch9wavefront6targetE1EEEvT1_,comdat
.Lfunc_end405:
	.size	_ZN7rocprim17ROCPRIM_400000_NS6detail17trampoline_kernelINS0_14default_configENS1_25partition_config_selectorILNS1_17partition_subalgoE8EiNS0_10empty_typeEbEEZZNS1_14partition_implILS5_8ELb0ES3_jN6thrust23THRUST_200600_302600_NS6detail15normal_iteratorINSA_10device_ptrIiEEEEPS6_PKS6_NS0_5tupleIJSF_S6_EEENSJ_IJSG_SG_EEENS0_18inequality_wrapperINSA_8equal_toIiEEEEPmJS6_EEE10hipError_tPvRmT3_T4_T5_T6_T7_T9_mT8_P12ihipStream_tbDpT10_ENKUlT_T0_E_clISt17integral_constantIbLb0EES1A_EEDaS15_S16_EUlS15_E_NS1_11comp_targetILNS1_3genE5ELNS1_11target_archE942ELNS1_3gpuE9ELNS1_3repE0EEENS1_30default_config_static_selectorELNS0_4arch9wavefront6targetE1EEEvT1_, .Lfunc_end405-_ZN7rocprim17ROCPRIM_400000_NS6detail17trampoline_kernelINS0_14default_configENS1_25partition_config_selectorILNS1_17partition_subalgoE8EiNS0_10empty_typeEbEEZZNS1_14partition_implILS5_8ELb0ES3_jN6thrust23THRUST_200600_302600_NS6detail15normal_iteratorINSA_10device_ptrIiEEEEPS6_PKS6_NS0_5tupleIJSF_S6_EEENSJ_IJSG_SG_EEENS0_18inequality_wrapperINSA_8equal_toIiEEEEPmJS6_EEE10hipError_tPvRmT3_T4_T5_T6_T7_T9_mT8_P12ihipStream_tbDpT10_ENKUlT_T0_E_clISt17integral_constantIbLb0EES1A_EEDaS15_S16_EUlS15_E_NS1_11comp_targetILNS1_3genE5ELNS1_11target_archE942ELNS1_3gpuE9ELNS1_3repE0EEENS1_30default_config_static_selectorELNS0_4arch9wavefront6targetE1EEEvT1_
                                        ; -- End function
	.set _ZN7rocprim17ROCPRIM_400000_NS6detail17trampoline_kernelINS0_14default_configENS1_25partition_config_selectorILNS1_17partition_subalgoE8EiNS0_10empty_typeEbEEZZNS1_14partition_implILS5_8ELb0ES3_jN6thrust23THRUST_200600_302600_NS6detail15normal_iteratorINSA_10device_ptrIiEEEEPS6_PKS6_NS0_5tupleIJSF_S6_EEENSJ_IJSG_SG_EEENS0_18inequality_wrapperINSA_8equal_toIiEEEEPmJS6_EEE10hipError_tPvRmT3_T4_T5_T6_T7_T9_mT8_P12ihipStream_tbDpT10_ENKUlT_T0_E_clISt17integral_constantIbLb0EES1A_EEDaS15_S16_EUlS15_E_NS1_11comp_targetILNS1_3genE5ELNS1_11target_archE942ELNS1_3gpuE9ELNS1_3repE0EEENS1_30default_config_static_selectorELNS0_4arch9wavefront6targetE1EEEvT1_.num_vgpr, 0
	.set _ZN7rocprim17ROCPRIM_400000_NS6detail17trampoline_kernelINS0_14default_configENS1_25partition_config_selectorILNS1_17partition_subalgoE8EiNS0_10empty_typeEbEEZZNS1_14partition_implILS5_8ELb0ES3_jN6thrust23THRUST_200600_302600_NS6detail15normal_iteratorINSA_10device_ptrIiEEEEPS6_PKS6_NS0_5tupleIJSF_S6_EEENSJ_IJSG_SG_EEENS0_18inequality_wrapperINSA_8equal_toIiEEEEPmJS6_EEE10hipError_tPvRmT3_T4_T5_T6_T7_T9_mT8_P12ihipStream_tbDpT10_ENKUlT_T0_E_clISt17integral_constantIbLb0EES1A_EEDaS15_S16_EUlS15_E_NS1_11comp_targetILNS1_3genE5ELNS1_11target_archE942ELNS1_3gpuE9ELNS1_3repE0EEENS1_30default_config_static_selectorELNS0_4arch9wavefront6targetE1EEEvT1_.num_agpr, 0
	.set _ZN7rocprim17ROCPRIM_400000_NS6detail17trampoline_kernelINS0_14default_configENS1_25partition_config_selectorILNS1_17partition_subalgoE8EiNS0_10empty_typeEbEEZZNS1_14partition_implILS5_8ELb0ES3_jN6thrust23THRUST_200600_302600_NS6detail15normal_iteratorINSA_10device_ptrIiEEEEPS6_PKS6_NS0_5tupleIJSF_S6_EEENSJ_IJSG_SG_EEENS0_18inequality_wrapperINSA_8equal_toIiEEEEPmJS6_EEE10hipError_tPvRmT3_T4_T5_T6_T7_T9_mT8_P12ihipStream_tbDpT10_ENKUlT_T0_E_clISt17integral_constantIbLb0EES1A_EEDaS15_S16_EUlS15_E_NS1_11comp_targetILNS1_3genE5ELNS1_11target_archE942ELNS1_3gpuE9ELNS1_3repE0EEENS1_30default_config_static_selectorELNS0_4arch9wavefront6targetE1EEEvT1_.numbered_sgpr, 0
	.set _ZN7rocprim17ROCPRIM_400000_NS6detail17trampoline_kernelINS0_14default_configENS1_25partition_config_selectorILNS1_17partition_subalgoE8EiNS0_10empty_typeEbEEZZNS1_14partition_implILS5_8ELb0ES3_jN6thrust23THRUST_200600_302600_NS6detail15normal_iteratorINSA_10device_ptrIiEEEEPS6_PKS6_NS0_5tupleIJSF_S6_EEENSJ_IJSG_SG_EEENS0_18inequality_wrapperINSA_8equal_toIiEEEEPmJS6_EEE10hipError_tPvRmT3_T4_T5_T6_T7_T9_mT8_P12ihipStream_tbDpT10_ENKUlT_T0_E_clISt17integral_constantIbLb0EES1A_EEDaS15_S16_EUlS15_E_NS1_11comp_targetILNS1_3genE5ELNS1_11target_archE942ELNS1_3gpuE9ELNS1_3repE0EEENS1_30default_config_static_selectorELNS0_4arch9wavefront6targetE1EEEvT1_.num_named_barrier, 0
	.set _ZN7rocprim17ROCPRIM_400000_NS6detail17trampoline_kernelINS0_14default_configENS1_25partition_config_selectorILNS1_17partition_subalgoE8EiNS0_10empty_typeEbEEZZNS1_14partition_implILS5_8ELb0ES3_jN6thrust23THRUST_200600_302600_NS6detail15normal_iteratorINSA_10device_ptrIiEEEEPS6_PKS6_NS0_5tupleIJSF_S6_EEENSJ_IJSG_SG_EEENS0_18inequality_wrapperINSA_8equal_toIiEEEEPmJS6_EEE10hipError_tPvRmT3_T4_T5_T6_T7_T9_mT8_P12ihipStream_tbDpT10_ENKUlT_T0_E_clISt17integral_constantIbLb0EES1A_EEDaS15_S16_EUlS15_E_NS1_11comp_targetILNS1_3genE5ELNS1_11target_archE942ELNS1_3gpuE9ELNS1_3repE0EEENS1_30default_config_static_selectorELNS0_4arch9wavefront6targetE1EEEvT1_.private_seg_size, 0
	.set _ZN7rocprim17ROCPRIM_400000_NS6detail17trampoline_kernelINS0_14default_configENS1_25partition_config_selectorILNS1_17partition_subalgoE8EiNS0_10empty_typeEbEEZZNS1_14partition_implILS5_8ELb0ES3_jN6thrust23THRUST_200600_302600_NS6detail15normal_iteratorINSA_10device_ptrIiEEEEPS6_PKS6_NS0_5tupleIJSF_S6_EEENSJ_IJSG_SG_EEENS0_18inequality_wrapperINSA_8equal_toIiEEEEPmJS6_EEE10hipError_tPvRmT3_T4_T5_T6_T7_T9_mT8_P12ihipStream_tbDpT10_ENKUlT_T0_E_clISt17integral_constantIbLb0EES1A_EEDaS15_S16_EUlS15_E_NS1_11comp_targetILNS1_3genE5ELNS1_11target_archE942ELNS1_3gpuE9ELNS1_3repE0EEENS1_30default_config_static_selectorELNS0_4arch9wavefront6targetE1EEEvT1_.uses_vcc, 0
	.set _ZN7rocprim17ROCPRIM_400000_NS6detail17trampoline_kernelINS0_14default_configENS1_25partition_config_selectorILNS1_17partition_subalgoE8EiNS0_10empty_typeEbEEZZNS1_14partition_implILS5_8ELb0ES3_jN6thrust23THRUST_200600_302600_NS6detail15normal_iteratorINSA_10device_ptrIiEEEEPS6_PKS6_NS0_5tupleIJSF_S6_EEENSJ_IJSG_SG_EEENS0_18inequality_wrapperINSA_8equal_toIiEEEEPmJS6_EEE10hipError_tPvRmT3_T4_T5_T6_T7_T9_mT8_P12ihipStream_tbDpT10_ENKUlT_T0_E_clISt17integral_constantIbLb0EES1A_EEDaS15_S16_EUlS15_E_NS1_11comp_targetILNS1_3genE5ELNS1_11target_archE942ELNS1_3gpuE9ELNS1_3repE0EEENS1_30default_config_static_selectorELNS0_4arch9wavefront6targetE1EEEvT1_.uses_flat_scratch, 0
	.set _ZN7rocprim17ROCPRIM_400000_NS6detail17trampoline_kernelINS0_14default_configENS1_25partition_config_selectorILNS1_17partition_subalgoE8EiNS0_10empty_typeEbEEZZNS1_14partition_implILS5_8ELb0ES3_jN6thrust23THRUST_200600_302600_NS6detail15normal_iteratorINSA_10device_ptrIiEEEEPS6_PKS6_NS0_5tupleIJSF_S6_EEENSJ_IJSG_SG_EEENS0_18inequality_wrapperINSA_8equal_toIiEEEEPmJS6_EEE10hipError_tPvRmT3_T4_T5_T6_T7_T9_mT8_P12ihipStream_tbDpT10_ENKUlT_T0_E_clISt17integral_constantIbLb0EES1A_EEDaS15_S16_EUlS15_E_NS1_11comp_targetILNS1_3genE5ELNS1_11target_archE942ELNS1_3gpuE9ELNS1_3repE0EEENS1_30default_config_static_selectorELNS0_4arch9wavefront6targetE1EEEvT1_.has_dyn_sized_stack, 0
	.set _ZN7rocprim17ROCPRIM_400000_NS6detail17trampoline_kernelINS0_14default_configENS1_25partition_config_selectorILNS1_17partition_subalgoE8EiNS0_10empty_typeEbEEZZNS1_14partition_implILS5_8ELb0ES3_jN6thrust23THRUST_200600_302600_NS6detail15normal_iteratorINSA_10device_ptrIiEEEEPS6_PKS6_NS0_5tupleIJSF_S6_EEENSJ_IJSG_SG_EEENS0_18inequality_wrapperINSA_8equal_toIiEEEEPmJS6_EEE10hipError_tPvRmT3_T4_T5_T6_T7_T9_mT8_P12ihipStream_tbDpT10_ENKUlT_T0_E_clISt17integral_constantIbLb0EES1A_EEDaS15_S16_EUlS15_E_NS1_11comp_targetILNS1_3genE5ELNS1_11target_archE942ELNS1_3gpuE9ELNS1_3repE0EEENS1_30default_config_static_selectorELNS0_4arch9wavefront6targetE1EEEvT1_.has_recursion, 0
	.set _ZN7rocprim17ROCPRIM_400000_NS6detail17trampoline_kernelINS0_14default_configENS1_25partition_config_selectorILNS1_17partition_subalgoE8EiNS0_10empty_typeEbEEZZNS1_14partition_implILS5_8ELb0ES3_jN6thrust23THRUST_200600_302600_NS6detail15normal_iteratorINSA_10device_ptrIiEEEEPS6_PKS6_NS0_5tupleIJSF_S6_EEENSJ_IJSG_SG_EEENS0_18inequality_wrapperINSA_8equal_toIiEEEEPmJS6_EEE10hipError_tPvRmT3_T4_T5_T6_T7_T9_mT8_P12ihipStream_tbDpT10_ENKUlT_T0_E_clISt17integral_constantIbLb0EES1A_EEDaS15_S16_EUlS15_E_NS1_11comp_targetILNS1_3genE5ELNS1_11target_archE942ELNS1_3gpuE9ELNS1_3repE0EEENS1_30default_config_static_selectorELNS0_4arch9wavefront6targetE1EEEvT1_.has_indirect_call, 0
	.section	.AMDGPU.csdata,"",@progbits
; Kernel info:
; codeLenInByte = 0
; TotalNumSgprs: 4
; NumVgprs: 0
; ScratchSize: 0
; MemoryBound: 0
; FloatMode: 240
; IeeeMode: 1
; LDSByteSize: 0 bytes/workgroup (compile time only)
; SGPRBlocks: 0
; VGPRBlocks: 0
; NumSGPRsForWavesPerEU: 4
; NumVGPRsForWavesPerEU: 1
; Occupancy: 10
; WaveLimiterHint : 0
; COMPUTE_PGM_RSRC2:SCRATCH_EN: 0
; COMPUTE_PGM_RSRC2:USER_SGPR: 6
; COMPUTE_PGM_RSRC2:TRAP_HANDLER: 0
; COMPUTE_PGM_RSRC2:TGID_X_EN: 1
; COMPUTE_PGM_RSRC2:TGID_Y_EN: 0
; COMPUTE_PGM_RSRC2:TGID_Z_EN: 0
; COMPUTE_PGM_RSRC2:TIDIG_COMP_CNT: 0
	.section	.text._ZN7rocprim17ROCPRIM_400000_NS6detail17trampoline_kernelINS0_14default_configENS1_25partition_config_selectorILNS1_17partition_subalgoE8EiNS0_10empty_typeEbEEZZNS1_14partition_implILS5_8ELb0ES3_jN6thrust23THRUST_200600_302600_NS6detail15normal_iteratorINSA_10device_ptrIiEEEEPS6_PKS6_NS0_5tupleIJSF_S6_EEENSJ_IJSG_SG_EEENS0_18inequality_wrapperINSA_8equal_toIiEEEEPmJS6_EEE10hipError_tPvRmT3_T4_T5_T6_T7_T9_mT8_P12ihipStream_tbDpT10_ENKUlT_T0_E_clISt17integral_constantIbLb0EES1A_EEDaS15_S16_EUlS15_E_NS1_11comp_targetILNS1_3genE4ELNS1_11target_archE910ELNS1_3gpuE8ELNS1_3repE0EEENS1_30default_config_static_selectorELNS0_4arch9wavefront6targetE1EEEvT1_,"axG",@progbits,_ZN7rocprim17ROCPRIM_400000_NS6detail17trampoline_kernelINS0_14default_configENS1_25partition_config_selectorILNS1_17partition_subalgoE8EiNS0_10empty_typeEbEEZZNS1_14partition_implILS5_8ELb0ES3_jN6thrust23THRUST_200600_302600_NS6detail15normal_iteratorINSA_10device_ptrIiEEEEPS6_PKS6_NS0_5tupleIJSF_S6_EEENSJ_IJSG_SG_EEENS0_18inequality_wrapperINSA_8equal_toIiEEEEPmJS6_EEE10hipError_tPvRmT3_T4_T5_T6_T7_T9_mT8_P12ihipStream_tbDpT10_ENKUlT_T0_E_clISt17integral_constantIbLb0EES1A_EEDaS15_S16_EUlS15_E_NS1_11comp_targetILNS1_3genE4ELNS1_11target_archE910ELNS1_3gpuE8ELNS1_3repE0EEENS1_30default_config_static_selectorELNS0_4arch9wavefront6targetE1EEEvT1_,comdat
	.protected	_ZN7rocprim17ROCPRIM_400000_NS6detail17trampoline_kernelINS0_14default_configENS1_25partition_config_selectorILNS1_17partition_subalgoE8EiNS0_10empty_typeEbEEZZNS1_14partition_implILS5_8ELb0ES3_jN6thrust23THRUST_200600_302600_NS6detail15normal_iteratorINSA_10device_ptrIiEEEEPS6_PKS6_NS0_5tupleIJSF_S6_EEENSJ_IJSG_SG_EEENS0_18inequality_wrapperINSA_8equal_toIiEEEEPmJS6_EEE10hipError_tPvRmT3_T4_T5_T6_T7_T9_mT8_P12ihipStream_tbDpT10_ENKUlT_T0_E_clISt17integral_constantIbLb0EES1A_EEDaS15_S16_EUlS15_E_NS1_11comp_targetILNS1_3genE4ELNS1_11target_archE910ELNS1_3gpuE8ELNS1_3repE0EEENS1_30default_config_static_selectorELNS0_4arch9wavefront6targetE1EEEvT1_ ; -- Begin function _ZN7rocprim17ROCPRIM_400000_NS6detail17trampoline_kernelINS0_14default_configENS1_25partition_config_selectorILNS1_17partition_subalgoE8EiNS0_10empty_typeEbEEZZNS1_14partition_implILS5_8ELb0ES3_jN6thrust23THRUST_200600_302600_NS6detail15normal_iteratorINSA_10device_ptrIiEEEEPS6_PKS6_NS0_5tupleIJSF_S6_EEENSJ_IJSG_SG_EEENS0_18inequality_wrapperINSA_8equal_toIiEEEEPmJS6_EEE10hipError_tPvRmT3_T4_T5_T6_T7_T9_mT8_P12ihipStream_tbDpT10_ENKUlT_T0_E_clISt17integral_constantIbLb0EES1A_EEDaS15_S16_EUlS15_E_NS1_11comp_targetILNS1_3genE4ELNS1_11target_archE910ELNS1_3gpuE8ELNS1_3repE0EEENS1_30default_config_static_selectorELNS0_4arch9wavefront6targetE1EEEvT1_
	.globl	_ZN7rocprim17ROCPRIM_400000_NS6detail17trampoline_kernelINS0_14default_configENS1_25partition_config_selectorILNS1_17partition_subalgoE8EiNS0_10empty_typeEbEEZZNS1_14partition_implILS5_8ELb0ES3_jN6thrust23THRUST_200600_302600_NS6detail15normal_iteratorINSA_10device_ptrIiEEEEPS6_PKS6_NS0_5tupleIJSF_S6_EEENSJ_IJSG_SG_EEENS0_18inequality_wrapperINSA_8equal_toIiEEEEPmJS6_EEE10hipError_tPvRmT3_T4_T5_T6_T7_T9_mT8_P12ihipStream_tbDpT10_ENKUlT_T0_E_clISt17integral_constantIbLb0EES1A_EEDaS15_S16_EUlS15_E_NS1_11comp_targetILNS1_3genE4ELNS1_11target_archE910ELNS1_3gpuE8ELNS1_3repE0EEENS1_30default_config_static_selectorELNS0_4arch9wavefront6targetE1EEEvT1_
	.p2align	8
	.type	_ZN7rocprim17ROCPRIM_400000_NS6detail17trampoline_kernelINS0_14default_configENS1_25partition_config_selectorILNS1_17partition_subalgoE8EiNS0_10empty_typeEbEEZZNS1_14partition_implILS5_8ELb0ES3_jN6thrust23THRUST_200600_302600_NS6detail15normal_iteratorINSA_10device_ptrIiEEEEPS6_PKS6_NS0_5tupleIJSF_S6_EEENSJ_IJSG_SG_EEENS0_18inequality_wrapperINSA_8equal_toIiEEEEPmJS6_EEE10hipError_tPvRmT3_T4_T5_T6_T7_T9_mT8_P12ihipStream_tbDpT10_ENKUlT_T0_E_clISt17integral_constantIbLb0EES1A_EEDaS15_S16_EUlS15_E_NS1_11comp_targetILNS1_3genE4ELNS1_11target_archE910ELNS1_3gpuE8ELNS1_3repE0EEENS1_30default_config_static_selectorELNS0_4arch9wavefront6targetE1EEEvT1_,@function
_ZN7rocprim17ROCPRIM_400000_NS6detail17trampoline_kernelINS0_14default_configENS1_25partition_config_selectorILNS1_17partition_subalgoE8EiNS0_10empty_typeEbEEZZNS1_14partition_implILS5_8ELb0ES3_jN6thrust23THRUST_200600_302600_NS6detail15normal_iteratorINSA_10device_ptrIiEEEEPS6_PKS6_NS0_5tupleIJSF_S6_EEENSJ_IJSG_SG_EEENS0_18inequality_wrapperINSA_8equal_toIiEEEEPmJS6_EEE10hipError_tPvRmT3_T4_T5_T6_T7_T9_mT8_P12ihipStream_tbDpT10_ENKUlT_T0_E_clISt17integral_constantIbLb0EES1A_EEDaS15_S16_EUlS15_E_NS1_11comp_targetILNS1_3genE4ELNS1_11target_archE910ELNS1_3gpuE8ELNS1_3repE0EEENS1_30default_config_static_selectorELNS0_4arch9wavefront6targetE1EEEvT1_: ; @_ZN7rocprim17ROCPRIM_400000_NS6detail17trampoline_kernelINS0_14default_configENS1_25partition_config_selectorILNS1_17partition_subalgoE8EiNS0_10empty_typeEbEEZZNS1_14partition_implILS5_8ELb0ES3_jN6thrust23THRUST_200600_302600_NS6detail15normal_iteratorINSA_10device_ptrIiEEEEPS6_PKS6_NS0_5tupleIJSF_S6_EEENSJ_IJSG_SG_EEENS0_18inequality_wrapperINSA_8equal_toIiEEEEPmJS6_EEE10hipError_tPvRmT3_T4_T5_T6_T7_T9_mT8_P12ihipStream_tbDpT10_ENKUlT_T0_E_clISt17integral_constantIbLb0EES1A_EEDaS15_S16_EUlS15_E_NS1_11comp_targetILNS1_3genE4ELNS1_11target_archE910ELNS1_3gpuE8ELNS1_3repE0EEENS1_30default_config_static_selectorELNS0_4arch9wavefront6targetE1EEEvT1_
; %bb.0:
	.section	.rodata,"a",@progbits
	.p2align	6, 0x0
	.amdhsa_kernel _ZN7rocprim17ROCPRIM_400000_NS6detail17trampoline_kernelINS0_14default_configENS1_25partition_config_selectorILNS1_17partition_subalgoE8EiNS0_10empty_typeEbEEZZNS1_14partition_implILS5_8ELb0ES3_jN6thrust23THRUST_200600_302600_NS6detail15normal_iteratorINSA_10device_ptrIiEEEEPS6_PKS6_NS0_5tupleIJSF_S6_EEENSJ_IJSG_SG_EEENS0_18inequality_wrapperINSA_8equal_toIiEEEEPmJS6_EEE10hipError_tPvRmT3_T4_T5_T6_T7_T9_mT8_P12ihipStream_tbDpT10_ENKUlT_T0_E_clISt17integral_constantIbLb0EES1A_EEDaS15_S16_EUlS15_E_NS1_11comp_targetILNS1_3genE4ELNS1_11target_archE910ELNS1_3gpuE8ELNS1_3repE0EEENS1_30default_config_static_selectorELNS0_4arch9wavefront6targetE1EEEvT1_
		.amdhsa_group_segment_fixed_size 0
		.amdhsa_private_segment_fixed_size 0
		.amdhsa_kernarg_size 112
		.amdhsa_user_sgpr_count 6
		.amdhsa_user_sgpr_private_segment_buffer 1
		.amdhsa_user_sgpr_dispatch_ptr 0
		.amdhsa_user_sgpr_queue_ptr 0
		.amdhsa_user_sgpr_kernarg_segment_ptr 1
		.amdhsa_user_sgpr_dispatch_id 0
		.amdhsa_user_sgpr_flat_scratch_init 0
		.amdhsa_user_sgpr_private_segment_size 0
		.amdhsa_uses_dynamic_stack 0
		.amdhsa_system_sgpr_private_segment_wavefront_offset 0
		.amdhsa_system_sgpr_workgroup_id_x 1
		.amdhsa_system_sgpr_workgroup_id_y 0
		.amdhsa_system_sgpr_workgroup_id_z 0
		.amdhsa_system_sgpr_workgroup_info 0
		.amdhsa_system_vgpr_workitem_id 0
		.amdhsa_next_free_vgpr 1
		.amdhsa_next_free_sgpr 0
		.amdhsa_reserve_vcc 0
		.amdhsa_reserve_flat_scratch 0
		.amdhsa_float_round_mode_32 0
		.amdhsa_float_round_mode_16_64 0
		.amdhsa_float_denorm_mode_32 3
		.amdhsa_float_denorm_mode_16_64 3
		.amdhsa_dx10_clamp 1
		.amdhsa_ieee_mode 1
		.amdhsa_fp16_overflow 0
		.amdhsa_exception_fp_ieee_invalid_op 0
		.amdhsa_exception_fp_denorm_src 0
		.amdhsa_exception_fp_ieee_div_zero 0
		.amdhsa_exception_fp_ieee_overflow 0
		.amdhsa_exception_fp_ieee_underflow 0
		.amdhsa_exception_fp_ieee_inexact 0
		.amdhsa_exception_int_div_zero 0
	.end_amdhsa_kernel
	.section	.text._ZN7rocprim17ROCPRIM_400000_NS6detail17trampoline_kernelINS0_14default_configENS1_25partition_config_selectorILNS1_17partition_subalgoE8EiNS0_10empty_typeEbEEZZNS1_14partition_implILS5_8ELb0ES3_jN6thrust23THRUST_200600_302600_NS6detail15normal_iteratorINSA_10device_ptrIiEEEEPS6_PKS6_NS0_5tupleIJSF_S6_EEENSJ_IJSG_SG_EEENS0_18inequality_wrapperINSA_8equal_toIiEEEEPmJS6_EEE10hipError_tPvRmT3_T4_T5_T6_T7_T9_mT8_P12ihipStream_tbDpT10_ENKUlT_T0_E_clISt17integral_constantIbLb0EES1A_EEDaS15_S16_EUlS15_E_NS1_11comp_targetILNS1_3genE4ELNS1_11target_archE910ELNS1_3gpuE8ELNS1_3repE0EEENS1_30default_config_static_selectorELNS0_4arch9wavefront6targetE1EEEvT1_,"axG",@progbits,_ZN7rocprim17ROCPRIM_400000_NS6detail17trampoline_kernelINS0_14default_configENS1_25partition_config_selectorILNS1_17partition_subalgoE8EiNS0_10empty_typeEbEEZZNS1_14partition_implILS5_8ELb0ES3_jN6thrust23THRUST_200600_302600_NS6detail15normal_iteratorINSA_10device_ptrIiEEEEPS6_PKS6_NS0_5tupleIJSF_S6_EEENSJ_IJSG_SG_EEENS0_18inequality_wrapperINSA_8equal_toIiEEEEPmJS6_EEE10hipError_tPvRmT3_T4_T5_T6_T7_T9_mT8_P12ihipStream_tbDpT10_ENKUlT_T0_E_clISt17integral_constantIbLb0EES1A_EEDaS15_S16_EUlS15_E_NS1_11comp_targetILNS1_3genE4ELNS1_11target_archE910ELNS1_3gpuE8ELNS1_3repE0EEENS1_30default_config_static_selectorELNS0_4arch9wavefront6targetE1EEEvT1_,comdat
.Lfunc_end406:
	.size	_ZN7rocprim17ROCPRIM_400000_NS6detail17trampoline_kernelINS0_14default_configENS1_25partition_config_selectorILNS1_17partition_subalgoE8EiNS0_10empty_typeEbEEZZNS1_14partition_implILS5_8ELb0ES3_jN6thrust23THRUST_200600_302600_NS6detail15normal_iteratorINSA_10device_ptrIiEEEEPS6_PKS6_NS0_5tupleIJSF_S6_EEENSJ_IJSG_SG_EEENS0_18inequality_wrapperINSA_8equal_toIiEEEEPmJS6_EEE10hipError_tPvRmT3_T4_T5_T6_T7_T9_mT8_P12ihipStream_tbDpT10_ENKUlT_T0_E_clISt17integral_constantIbLb0EES1A_EEDaS15_S16_EUlS15_E_NS1_11comp_targetILNS1_3genE4ELNS1_11target_archE910ELNS1_3gpuE8ELNS1_3repE0EEENS1_30default_config_static_selectorELNS0_4arch9wavefront6targetE1EEEvT1_, .Lfunc_end406-_ZN7rocprim17ROCPRIM_400000_NS6detail17trampoline_kernelINS0_14default_configENS1_25partition_config_selectorILNS1_17partition_subalgoE8EiNS0_10empty_typeEbEEZZNS1_14partition_implILS5_8ELb0ES3_jN6thrust23THRUST_200600_302600_NS6detail15normal_iteratorINSA_10device_ptrIiEEEEPS6_PKS6_NS0_5tupleIJSF_S6_EEENSJ_IJSG_SG_EEENS0_18inequality_wrapperINSA_8equal_toIiEEEEPmJS6_EEE10hipError_tPvRmT3_T4_T5_T6_T7_T9_mT8_P12ihipStream_tbDpT10_ENKUlT_T0_E_clISt17integral_constantIbLb0EES1A_EEDaS15_S16_EUlS15_E_NS1_11comp_targetILNS1_3genE4ELNS1_11target_archE910ELNS1_3gpuE8ELNS1_3repE0EEENS1_30default_config_static_selectorELNS0_4arch9wavefront6targetE1EEEvT1_
                                        ; -- End function
	.set _ZN7rocprim17ROCPRIM_400000_NS6detail17trampoline_kernelINS0_14default_configENS1_25partition_config_selectorILNS1_17partition_subalgoE8EiNS0_10empty_typeEbEEZZNS1_14partition_implILS5_8ELb0ES3_jN6thrust23THRUST_200600_302600_NS6detail15normal_iteratorINSA_10device_ptrIiEEEEPS6_PKS6_NS0_5tupleIJSF_S6_EEENSJ_IJSG_SG_EEENS0_18inequality_wrapperINSA_8equal_toIiEEEEPmJS6_EEE10hipError_tPvRmT3_T4_T5_T6_T7_T9_mT8_P12ihipStream_tbDpT10_ENKUlT_T0_E_clISt17integral_constantIbLb0EES1A_EEDaS15_S16_EUlS15_E_NS1_11comp_targetILNS1_3genE4ELNS1_11target_archE910ELNS1_3gpuE8ELNS1_3repE0EEENS1_30default_config_static_selectorELNS0_4arch9wavefront6targetE1EEEvT1_.num_vgpr, 0
	.set _ZN7rocprim17ROCPRIM_400000_NS6detail17trampoline_kernelINS0_14default_configENS1_25partition_config_selectorILNS1_17partition_subalgoE8EiNS0_10empty_typeEbEEZZNS1_14partition_implILS5_8ELb0ES3_jN6thrust23THRUST_200600_302600_NS6detail15normal_iteratorINSA_10device_ptrIiEEEEPS6_PKS6_NS0_5tupleIJSF_S6_EEENSJ_IJSG_SG_EEENS0_18inequality_wrapperINSA_8equal_toIiEEEEPmJS6_EEE10hipError_tPvRmT3_T4_T5_T6_T7_T9_mT8_P12ihipStream_tbDpT10_ENKUlT_T0_E_clISt17integral_constantIbLb0EES1A_EEDaS15_S16_EUlS15_E_NS1_11comp_targetILNS1_3genE4ELNS1_11target_archE910ELNS1_3gpuE8ELNS1_3repE0EEENS1_30default_config_static_selectorELNS0_4arch9wavefront6targetE1EEEvT1_.num_agpr, 0
	.set _ZN7rocprim17ROCPRIM_400000_NS6detail17trampoline_kernelINS0_14default_configENS1_25partition_config_selectorILNS1_17partition_subalgoE8EiNS0_10empty_typeEbEEZZNS1_14partition_implILS5_8ELb0ES3_jN6thrust23THRUST_200600_302600_NS6detail15normal_iteratorINSA_10device_ptrIiEEEEPS6_PKS6_NS0_5tupleIJSF_S6_EEENSJ_IJSG_SG_EEENS0_18inequality_wrapperINSA_8equal_toIiEEEEPmJS6_EEE10hipError_tPvRmT3_T4_T5_T6_T7_T9_mT8_P12ihipStream_tbDpT10_ENKUlT_T0_E_clISt17integral_constantIbLb0EES1A_EEDaS15_S16_EUlS15_E_NS1_11comp_targetILNS1_3genE4ELNS1_11target_archE910ELNS1_3gpuE8ELNS1_3repE0EEENS1_30default_config_static_selectorELNS0_4arch9wavefront6targetE1EEEvT1_.numbered_sgpr, 0
	.set _ZN7rocprim17ROCPRIM_400000_NS6detail17trampoline_kernelINS0_14default_configENS1_25partition_config_selectorILNS1_17partition_subalgoE8EiNS0_10empty_typeEbEEZZNS1_14partition_implILS5_8ELb0ES3_jN6thrust23THRUST_200600_302600_NS6detail15normal_iteratorINSA_10device_ptrIiEEEEPS6_PKS6_NS0_5tupleIJSF_S6_EEENSJ_IJSG_SG_EEENS0_18inequality_wrapperINSA_8equal_toIiEEEEPmJS6_EEE10hipError_tPvRmT3_T4_T5_T6_T7_T9_mT8_P12ihipStream_tbDpT10_ENKUlT_T0_E_clISt17integral_constantIbLb0EES1A_EEDaS15_S16_EUlS15_E_NS1_11comp_targetILNS1_3genE4ELNS1_11target_archE910ELNS1_3gpuE8ELNS1_3repE0EEENS1_30default_config_static_selectorELNS0_4arch9wavefront6targetE1EEEvT1_.num_named_barrier, 0
	.set _ZN7rocprim17ROCPRIM_400000_NS6detail17trampoline_kernelINS0_14default_configENS1_25partition_config_selectorILNS1_17partition_subalgoE8EiNS0_10empty_typeEbEEZZNS1_14partition_implILS5_8ELb0ES3_jN6thrust23THRUST_200600_302600_NS6detail15normal_iteratorINSA_10device_ptrIiEEEEPS6_PKS6_NS0_5tupleIJSF_S6_EEENSJ_IJSG_SG_EEENS0_18inequality_wrapperINSA_8equal_toIiEEEEPmJS6_EEE10hipError_tPvRmT3_T4_T5_T6_T7_T9_mT8_P12ihipStream_tbDpT10_ENKUlT_T0_E_clISt17integral_constantIbLb0EES1A_EEDaS15_S16_EUlS15_E_NS1_11comp_targetILNS1_3genE4ELNS1_11target_archE910ELNS1_3gpuE8ELNS1_3repE0EEENS1_30default_config_static_selectorELNS0_4arch9wavefront6targetE1EEEvT1_.private_seg_size, 0
	.set _ZN7rocprim17ROCPRIM_400000_NS6detail17trampoline_kernelINS0_14default_configENS1_25partition_config_selectorILNS1_17partition_subalgoE8EiNS0_10empty_typeEbEEZZNS1_14partition_implILS5_8ELb0ES3_jN6thrust23THRUST_200600_302600_NS6detail15normal_iteratorINSA_10device_ptrIiEEEEPS6_PKS6_NS0_5tupleIJSF_S6_EEENSJ_IJSG_SG_EEENS0_18inequality_wrapperINSA_8equal_toIiEEEEPmJS6_EEE10hipError_tPvRmT3_T4_T5_T6_T7_T9_mT8_P12ihipStream_tbDpT10_ENKUlT_T0_E_clISt17integral_constantIbLb0EES1A_EEDaS15_S16_EUlS15_E_NS1_11comp_targetILNS1_3genE4ELNS1_11target_archE910ELNS1_3gpuE8ELNS1_3repE0EEENS1_30default_config_static_selectorELNS0_4arch9wavefront6targetE1EEEvT1_.uses_vcc, 0
	.set _ZN7rocprim17ROCPRIM_400000_NS6detail17trampoline_kernelINS0_14default_configENS1_25partition_config_selectorILNS1_17partition_subalgoE8EiNS0_10empty_typeEbEEZZNS1_14partition_implILS5_8ELb0ES3_jN6thrust23THRUST_200600_302600_NS6detail15normal_iteratorINSA_10device_ptrIiEEEEPS6_PKS6_NS0_5tupleIJSF_S6_EEENSJ_IJSG_SG_EEENS0_18inequality_wrapperINSA_8equal_toIiEEEEPmJS6_EEE10hipError_tPvRmT3_T4_T5_T6_T7_T9_mT8_P12ihipStream_tbDpT10_ENKUlT_T0_E_clISt17integral_constantIbLb0EES1A_EEDaS15_S16_EUlS15_E_NS1_11comp_targetILNS1_3genE4ELNS1_11target_archE910ELNS1_3gpuE8ELNS1_3repE0EEENS1_30default_config_static_selectorELNS0_4arch9wavefront6targetE1EEEvT1_.uses_flat_scratch, 0
	.set _ZN7rocprim17ROCPRIM_400000_NS6detail17trampoline_kernelINS0_14default_configENS1_25partition_config_selectorILNS1_17partition_subalgoE8EiNS0_10empty_typeEbEEZZNS1_14partition_implILS5_8ELb0ES3_jN6thrust23THRUST_200600_302600_NS6detail15normal_iteratorINSA_10device_ptrIiEEEEPS6_PKS6_NS0_5tupleIJSF_S6_EEENSJ_IJSG_SG_EEENS0_18inequality_wrapperINSA_8equal_toIiEEEEPmJS6_EEE10hipError_tPvRmT3_T4_T5_T6_T7_T9_mT8_P12ihipStream_tbDpT10_ENKUlT_T0_E_clISt17integral_constantIbLb0EES1A_EEDaS15_S16_EUlS15_E_NS1_11comp_targetILNS1_3genE4ELNS1_11target_archE910ELNS1_3gpuE8ELNS1_3repE0EEENS1_30default_config_static_selectorELNS0_4arch9wavefront6targetE1EEEvT1_.has_dyn_sized_stack, 0
	.set _ZN7rocprim17ROCPRIM_400000_NS6detail17trampoline_kernelINS0_14default_configENS1_25partition_config_selectorILNS1_17partition_subalgoE8EiNS0_10empty_typeEbEEZZNS1_14partition_implILS5_8ELb0ES3_jN6thrust23THRUST_200600_302600_NS6detail15normal_iteratorINSA_10device_ptrIiEEEEPS6_PKS6_NS0_5tupleIJSF_S6_EEENSJ_IJSG_SG_EEENS0_18inequality_wrapperINSA_8equal_toIiEEEEPmJS6_EEE10hipError_tPvRmT3_T4_T5_T6_T7_T9_mT8_P12ihipStream_tbDpT10_ENKUlT_T0_E_clISt17integral_constantIbLb0EES1A_EEDaS15_S16_EUlS15_E_NS1_11comp_targetILNS1_3genE4ELNS1_11target_archE910ELNS1_3gpuE8ELNS1_3repE0EEENS1_30default_config_static_selectorELNS0_4arch9wavefront6targetE1EEEvT1_.has_recursion, 0
	.set _ZN7rocprim17ROCPRIM_400000_NS6detail17trampoline_kernelINS0_14default_configENS1_25partition_config_selectorILNS1_17partition_subalgoE8EiNS0_10empty_typeEbEEZZNS1_14partition_implILS5_8ELb0ES3_jN6thrust23THRUST_200600_302600_NS6detail15normal_iteratorINSA_10device_ptrIiEEEEPS6_PKS6_NS0_5tupleIJSF_S6_EEENSJ_IJSG_SG_EEENS0_18inequality_wrapperINSA_8equal_toIiEEEEPmJS6_EEE10hipError_tPvRmT3_T4_T5_T6_T7_T9_mT8_P12ihipStream_tbDpT10_ENKUlT_T0_E_clISt17integral_constantIbLb0EES1A_EEDaS15_S16_EUlS15_E_NS1_11comp_targetILNS1_3genE4ELNS1_11target_archE910ELNS1_3gpuE8ELNS1_3repE0EEENS1_30default_config_static_selectorELNS0_4arch9wavefront6targetE1EEEvT1_.has_indirect_call, 0
	.section	.AMDGPU.csdata,"",@progbits
; Kernel info:
; codeLenInByte = 0
; TotalNumSgprs: 4
; NumVgprs: 0
; ScratchSize: 0
; MemoryBound: 0
; FloatMode: 240
; IeeeMode: 1
; LDSByteSize: 0 bytes/workgroup (compile time only)
; SGPRBlocks: 0
; VGPRBlocks: 0
; NumSGPRsForWavesPerEU: 4
; NumVGPRsForWavesPerEU: 1
; Occupancy: 10
; WaveLimiterHint : 0
; COMPUTE_PGM_RSRC2:SCRATCH_EN: 0
; COMPUTE_PGM_RSRC2:USER_SGPR: 6
; COMPUTE_PGM_RSRC2:TRAP_HANDLER: 0
; COMPUTE_PGM_RSRC2:TGID_X_EN: 1
; COMPUTE_PGM_RSRC2:TGID_Y_EN: 0
; COMPUTE_PGM_RSRC2:TGID_Z_EN: 0
; COMPUTE_PGM_RSRC2:TIDIG_COMP_CNT: 0
	.section	.text._ZN7rocprim17ROCPRIM_400000_NS6detail17trampoline_kernelINS0_14default_configENS1_25partition_config_selectorILNS1_17partition_subalgoE8EiNS0_10empty_typeEbEEZZNS1_14partition_implILS5_8ELb0ES3_jN6thrust23THRUST_200600_302600_NS6detail15normal_iteratorINSA_10device_ptrIiEEEEPS6_PKS6_NS0_5tupleIJSF_S6_EEENSJ_IJSG_SG_EEENS0_18inequality_wrapperINSA_8equal_toIiEEEEPmJS6_EEE10hipError_tPvRmT3_T4_T5_T6_T7_T9_mT8_P12ihipStream_tbDpT10_ENKUlT_T0_E_clISt17integral_constantIbLb0EES1A_EEDaS15_S16_EUlS15_E_NS1_11comp_targetILNS1_3genE3ELNS1_11target_archE908ELNS1_3gpuE7ELNS1_3repE0EEENS1_30default_config_static_selectorELNS0_4arch9wavefront6targetE1EEEvT1_,"axG",@progbits,_ZN7rocprim17ROCPRIM_400000_NS6detail17trampoline_kernelINS0_14default_configENS1_25partition_config_selectorILNS1_17partition_subalgoE8EiNS0_10empty_typeEbEEZZNS1_14partition_implILS5_8ELb0ES3_jN6thrust23THRUST_200600_302600_NS6detail15normal_iteratorINSA_10device_ptrIiEEEEPS6_PKS6_NS0_5tupleIJSF_S6_EEENSJ_IJSG_SG_EEENS0_18inequality_wrapperINSA_8equal_toIiEEEEPmJS6_EEE10hipError_tPvRmT3_T4_T5_T6_T7_T9_mT8_P12ihipStream_tbDpT10_ENKUlT_T0_E_clISt17integral_constantIbLb0EES1A_EEDaS15_S16_EUlS15_E_NS1_11comp_targetILNS1_3genE3ELNS1_11target_archE908ELNS1_3gpuE7ELNS1_3repE0EEENS1_30default_config_static_selectorELNS0_4arch9wavefront6targetE1EEEvT1_,comdat
	.protected	_ZN7rocprim17ROCPRIM_400000_NS6detail17trampoline_kernelINS0_14default_configENS1_25partition_config_selectorILNS1_17partition_subalgoE8EiNS0_10empty_typeEbEEZZNS1_14partition_implILS5_8ELb0ES3_jN6thrust23THRUST_200600_302600_NS6detail15normal_iteratorINSA_10device_ptrIiEEEEPS6_PKS6_NS0_5tupleIJSF_S6_EEENSJ_IJSG_SG_EEENS0_18inequality_wrapperINSA_8equal_toIiEEEEPmJS6_EEE10hipError_tPvRmT3_T4_T5_T6_T7_T9_mT8_P12ihipStream_tbDpT10_ENKUlT_T0_E_clISt17integral_constantIbLb0EES1A_EEDaS15_S16_EUlS15_E_NS1_11comp_targetILNS1_3genE3ELNS1_11target_archE908ELNS1_3gpuE7ELNS1_3repE0EEENS1_30default_config_static_selectorELNS0_4arch9wavefront6targetE1EEEvT1_ ; -- Begin function _ZN7rocprim17ROCPRIM_400000_NS6detail17trampoline_kernelINS0_14default_configENS1_25partition_config_selectorILNS1_17partition_subalgoE8EiNS0_10empty_typeEbEEZZNS1_14partition_implILS5_8ELb0ES3_jN6thrust23THRUST_200600_302600_NS6detail15normal_iteratorINSA_10device_ptrIiEEEEPS6_PKS6_NS0_5tupleIJSF_S6_EEENSJ_IJSG_SG_EEENS0_18inequality_wrapperINSA_8equal_toIiEEEEPmJS6_EEE10hipError_tPvRmT3_T4_T5_T6_T7_T9_mT8_P12ihipStream_tbDpT10_ENKUlT_T0_E_clISt17integral_constantIbLb0EES1A_EEDaS15_S16_EUlS15_E_NS1_11comp_targetILNS1_3genE3ELNS1_11target_archE908ELNS1_3gpuE7ELNS1_3repE0EEENS1_30default_config_static_selectorELNS0_4arch9wavefront6targetE1EEEvT1_
	.globl	_ZN7rocprim17ROCPRIM_400000_NS6detail17trampoline_kernelINS0_14default_configENS1_25partition_config_selectorILNS1_17partition_subalgoE8EiNS0_10empty_typeEbEEZZNS1_14partition_implILS5_8ELb0ES3_jN6thrust23THRUST_200600_302600_NS6detail15normal_iteratorINSA_10device_ptrIiEEEEPS6_PKS6_NS0_5tupleIJSF_S6_EEENSJ_IJSG_SG_EEENS0_18inequality_wrapperINSA_8equal_toIiEEEEPmJS6_EEE10hipError_tPvRmT3_T4_T5_T6_T7_T9_mT8_P12ihipStream_tbDpT10_ENKUlT_T0_E_clISt17integral_constantIbLb0EES1A_EEDaS15_S16_EUlS15_E_NS1_11comp_targetILNS1_3genE3ELNS1_11target_archE908ELNS1_3gpuE7ELNS1_3repE0EEENS1_30default_config_static_selectorELNS0_4arch9wavefront6targetE1EEEvT1_
	.p2align	8
	.type	_ZN7rocprim17ROCPRIM_400000_NS6detail17trampoline_kernelINS0_14default_configENS1_25partition_config_selectorILNS1_17partition_subalgoE8EiNS0_10empty_typeEbEEZZNS1_14partition_implILS5_8ELb0ES3_jN6thrust23THRUST_200600_302600_NS6detail15normal_iteratorINSA_10device_ptrIiEEEEPS6_PKS6_NS0_5tupleIJSF_S6_EEENSJ_IJSG_SG_EEENS0_18inequality_wrapperINSA_8equal_toIiEEEEPmJS6_EEE10hipError_tPvRmT3_T4_T5_T6_T7_T9_mT8_P12ihipStream_tbDpT10_ENKUlT_T0_E_clISt17integral_constantIbLb0EES1A_EEDaS15_S16_EUlS15_E_NS1_11comp_targetILNS1_3genE3ELNS1_11target_archE908ELNS1_3gpuE7ELNS1_3repE0EEENS1_30default_config_static_selectorELNS0_4arch9wavefront6targetE1EEEvT1_,@function
_ZN7rocprim17ROCPRIM_400000_NS6detail17trampoline_kernelINS0_14default_configENS1_25partition_config_selectorILNS1_17partition_subalgoE8EiNS0_10empty_typeEbEEZZNS1_14partition_implILS5_8ELb0ES3_jN6thrust23THRUST_200600_302600_NS6detail15normal_iteratorINSA_10device_ptrIiEEEEPS6_PKS6_NS0_5tupleIJSF_S6_EEENSJ_IJSG_SG_EEENS0_18inequality_wrapperINSA_8equal_toIiEEEEPmJS6_EEE10hipError_tPvRmT3_T4_T5_T6_T7_T9_mT8_P12ihipStream_tbDpT10_ENKUlT_T0_E_clISt17integral_constantIbLb0EES1A_EEDaS15_S16_EUlS15_E_NS1_11comp_targetILNS1_3genE3ELNS1_11target_archE908ELNS1_3gpuE7ELNS1_3repE0EEENS1_30default_config_static_selectorELNS0_4arch9wavefront6targetE1EEEvT1_: ; @_ZN7rocprim17ROCPRIM_400000_NS6detail17trampoline_kernelINS0_14default_configENS1_25partition_config_selectorILNS1_17partition_subalgoE8EiNS0_10empty_typeEbEEZZNS1_14partition_implILS5_8ELb0ES3_jN6thrust23THRUST_200600_302600_NS6detail15normal_iteratorINSA_10device_ptrIiEEEEPS6_PKS6_NS0_5tupleIJSF_S6_EEENSJ_IJSG_SG_EEENS0_18inequality_wrapperINSA_8equal_toIiEEEEPmJS6_EEE10hipError_tPvRmT3_T4_T5_T6_T7_T9_mT8_P12ihipStream_tbDpT10_ENKUlT_T0_E_clISt17integral_constantIbLb0EES1A_EEDaS15_S16_EUlS15_E_NS1_11comp_targetILNS1_3genE3ELNS1_11target_archE908ELNS1_3gpuE7ELNS1_3repE0EEENS1_30default_config_static_selectorELNS0_4arch9wavefront6targetE1EEEvT1_
; %bb.0:
	.section	.rodata,"a",@progbits
	.p2align	6, 0x0
	.amdhsa_kernel _ZN7rocprim17ROCPRIM_400000_NS6detail17trampoline_kernelINS0_14default_configENS1_25partition_config_selectorILNS1_17partition_subalgoE8EiNS0_10empty_typeEbEEZZNS1_14partition_implILS5_8ELb0ES3_jN6thrust23THRUST_200600_302600_NS6detail15normal_iteratorINSA_10device_ptrIiEEEEPS6_PKS6_NS0_5tupleIJSF_S6_EEENSJ_IJSG_SG_EEENS0_18inequality_wrapperINSA_8equal_toIiEEEEPmJS6_EEE10hipError_tPvRmT3_T4_T5_T6_T7_T9_mT8_P12ihipStream_tbDpT10_ENKUlT_T0_E_clISt17integral_constantIbLb0EES1A_EEDaS15_S16_EUlS15_E_NS1_11comp_targetILNS1_3genE3ELNS1_11target_archE908ELNS1_3gpuE7ELNS1_3repE0EEENS1_30default_config_static_selectorELNS0_4arch9wavefront6targetE1EEEvT1_
		.amdhsa_group_segment_fixed_size 0
		.amdhsa_private_segment_fixed_size 0
		.amdhsa_kernarg_size 112
		.amdhsa_user_sgpr_count 6
		.amdhsa_user_sgpr_private_segment_buffer 1
		.amdhsa_user_sgpr_dispatch_ptr 0
		.amdhsa_user_sgpr_queue_ptr 0
		.amdhsa_user_sgpr_kernarg_segment_ptr 1
		.amdhsa_user_sgpr_dispatch_id 0
		.amdhsa_user_sgpr_flat_scratch_init 0
		.amdhsa_user_sgpr_private_segment_size 0
		.amdhsa_uses_dynamic_stack 0
		.amdhsa_system_sgpr_private_segment_wavefront_offset 0
		.amdhsa_system_sgpr_workgroup_id_x 1
		.amdhsa_system_sgpr_workgroup_id_y 0
		.amdhsa_system_sgpr_workgroup_id_z 0
		.amdhsa_system_sgpr_workgroup_info 0
		.amdhsa_system_vgpr_workitem_id 0
		.amdhsa_next_free_vgpr 1
		.amdhsa_next_free_sgpr 0
		.amdhsa_reserve_vcc 0
		.amdhsa_reserve_flat_scratch 0
		.amdhsa_float_round_mode_32 0
		.amdhsa_float_round_mode_16_64 0
		.amdhsa_float_denorm_mode_32 3
		.amdhsa_float_denorm_mode_16_64 3
		.amdhsa_dx10_clamp 1
		.amdhsa_ieee_mode 1
		.amdhsa_fp16_overflow 0
		.amdhsa_exception_fp_ieee_invalid_op 0
		.amdhsa_exception_fp_denorm_src 0
		.amdhsa_exception_fp_ieee_div_zero 0
		.amdhsa_exception_fp_ieee_overflow 0
		.amdhsa_exception_fp_ieee_underflow 0
		.amdhsa_exception_fp_ieee_inexact 0
		.amdhsa_exception_int_div_zero 0
	.end_amdhsa_kernel
	.section	.text._ZN7rocprim17ROCPRIM_400000_NS6detail17trampoline_kernelINS0_14default_configENS1_25partition_config_selectorILNS1_17partition_subalgoE8EiNS0_10empty_typeEbEEZZNS1_14partition_implILS5_8ELb0ES3_jN6thrust23THRUST_200600_302600_NS6detail15normal_iteratorINSA_10device_ptrIiEEEEPS6_PKS6_NS0_5tupleIJSF_S6_EEENSJ_IJSG_SG_EEENS0_18inequality_wrapperINSA_8equal_toIiEEEEPmJS6_EEE10hipError_tPvRmT3_T4_T5_T6_T7_T9_mT8_P12ihipStream_tbDpT10_ENKUlT_T0_E_clISt17integral_constantIbLb0EES1A_EEDaS15_S16_EUlS15_E_NS1_11comp_targetILNS1_3genE3ELNS1_11target_archE908ELNS1_3gpuE7ELNS1_3repE0EEENS1_30default_config_static_selectorELNS0_4arch9wavefront6targetE1EEEvT1_,"axG",@progbits,_ZN7rocprim17ROCPRIM_400000_NS6detail17trampoline_kernelINS0_14default_configENS1_25partition_config_selectorILNS1_17partition_subalgoE8EiNS0_10empty_typeEbEEZZNS1_14partition_implILS5_8ELb0ES3_jN6thrust23THRUST_200600_302600_NS6detail15normal_iteratorINSA_10device_ptrIiEEEEPS6_PKS6_NS0_5tupleIJSF_S6_EEENSJ_IJSG_SG_EEENS0_18inequality_wrapperINSA_8equal_toIiEEEEPmJS6_EEE10hipError_tPvRmT3_T4_T5_T6_T7_T9_mT8_P12ihipStream_tbDpT10_ENKUlT_T0_E_clISt17integral_constantIbLb0EES1A_EEDaS15_S16_EUlS15_E_NS1_11comp_targetILNS1_3genE3ELNS1_11target_archE908ELNS1_3gpuE7ELNS1_3repE0EEENS1_30default_config_static_selectorELNS0_4arch9wavefront6targetE1EEEvT1_,comdat
.Lfunc_end407:
	.size	_ZN7rocprim17ROCPRIM_400000_NS6detail17trampoline_kernelINS0_14default_configENS1_25partition_config_selectorILNS1_17partition_subalgoE8EiNS0_10empty_typeEbEEZZNS1_14partition_implILS5_8ELb0ES3_jN6thrust23THRUST_200600_302600_NS6detail15normal_iteratorINSA_10device_ptrIiEEEEPS6_PKS6_NS0_5tupleIJSF_S6_EEENSJ_IJSG_SG_EEENS0_18inequality_wrapperINSA_8equal_toIiEEEEPmJS6_EEE10hipError_tPvRmT3_T4_T5_T6_T7_T9_mT8_P12ihipStream_tbDpT10_ENKUlT_T0_E_clISt17integral_constantIbLb0EES1A_EEDaS15_S16_EUlS15_E_NS1_11comp_targetILNS1_3genE3ELNS1_11target_archE908ELNS1_3gpuE7ELNS1_3repE0EEENS1_30default_config_static_selectorELNS0_4arch9wavefront6targetE1EEEvT1_, .Lfunc_end407-_ZN7rocprim17ROCPRIM_400000_NS6detail17trampoline_kernelINS0_14default_configENS1_25partition_config_selectorILNS1_17partition_subalgoE8EiNS0_10empty_typeEbEEZZNS1_14partition_implILS5_8ELb0ES3_jN6thrust23THRUST_200600_302600_NS6detail15normal_iteratorINSA_10device_ptrIiEEEEPS6_PKS6_NS0_5tupleIJSF_S6_EEENSJ_IJSG_SG_EEENS0_18inequality_wrapperINSA_8equal_toIiEEEEPmJS6_EEE10hipError_tPvRmT3_T4_T5_T6_T7_T9_mT8_P12ihipStream_tbDpT10_ENKUlT_T0_E_clISt17integral_constantIbLb0EES1A_EEDaS15_S16_EUlS15_E_NS1_11comp_targetILNS1_3genE3ELNS1_11target_archE908ELNS1_3gpuE7ELNS1_3repE0EEENS1_30default_config_static_selectorELNS0_4arch9wavefront6targetE1EEEvT1_
                                        ; -- End function
	.set _ZN7rocprim17ROCPRIM_400000_NS6detail17trampoline_kernelINS0_14default_configENS1_25partition_config_selectorILNS1_17partition_subalgoE8EiNS0_10empty_typeEbEEZZNS1_14partition_implILS5_8ELb0ES3_jN6thrust23THRUST_200600_302600_NS6detail15normal_iteratorINSA_10device_ptrIiEEEEPS6_PKS6_NS0_5tupleIJSF_S6_EEENSJ_IJSG_SG_EEENS0_18inequality_wrapperINSA_8equal_toIiEEEEPmJS6_EEE10hipError_tPvRmT3_T4_T5_T6_T7_T9_mT8_P12ihipStream_tbDpT10_ENKUlT_T0_E_clISt17integral_constantIbLb0EES1A_EEDaS15_S16_EUlS15_E_NS1_11comp_targetILNS1_3genE3ELNS1_11target_archE908ELNS1_3gpuE7ELNS1_3repE0EEENS1_30default_config_static_selectorELNS0_4arch9wavefront6targetE1EEEvT1_.num_vgpr, 0
	.set _ZN7rocprim17ROCPRIM_400000_NS6detail17trampoline_kernelINS0_14default_configENS1_25partition_config_selectorILNS1_17partition_subalgoE8EiNS0_10empty_typeEbEEZZNS1_14partition_implILS5_8ELb0ES3_jN6thrust23THRUST_200600_302600_NS6detail15normal_iteratorINSA_10device_ptrIiEEEEPS6_PKS6_NS0_5tupleIJSF_S6_EEENSJ_IJSG_SG_EEENS0_18inequality_wrapperINSA_8equal_toIiEEEEPmJS6_EEE10hipError_tPvRmT3_T4_T5_T6_T7_T9_mT8_P12ihipStream_tbDpT10_ENKUlT_T0_E_clISt17integral_constantIbLb0EES1A_EEDaS15_S16_EUlS15_E_NS1_11comp_targetILNS1_3genE3ELNS1_11target_archE908ELNS1_3gpuE7ELNS1_3repE0EEENS1_30default_config_static_selectorELNS0_4arch9wavefront6targetE1EEEvT1_.num_agpr, 0
	.set _ZN7rocprim17ROCPRIM_400000_NS6detail17trampoline_kernelINS0_14default_configENS1_25partition_config_selectorILNS1_17partition_subalgoE8EiNS0_10empty_typeEbEEZZNS1_14partition_implILS5_8ELb0ES3_jN6thrust23THRUST_200600_302600_NS6detail15normal_iteratorINSA_10device_ptrIiEEEEPS6_PKS6_NS0_5tupleIJSF_S6_EEENSJ_IJSG_SG_EEENS0_18inequality_wrapperINSA_8equal_toIiEEEEPmJS6_EEE10hipError_tPvRmT3_T4_T5_T6_T7_T9_mT8_P12ihipStream_tbDpT10_ENKUlT_T0_E_clISt17integral_constantIbLb0EES1A_EEDaS15_S16_EUlS15_E_NS1_11comp_targetILNS1_3genE3ELNS1_11target_archE908ELNS1_3gpuE7ELNS1_3repE0EEENS1_30default_config_static_selectorELNS0_4arch9wavefront6targetE1EEEvT1_.numbered_sgpr, 0
	.set _ZN7rocprim17ROCPRIM_400000_NS6detail17trampoline_kernelINS0_14default_configENS1_25partition_config_selectorILNS1_17partition_subalgoE8EiNS0_10empty_typeEbEEZZNS1_14partition_implILS5_8ELb0ES3_jN6thrust23THRUST_200600_302600_NS6detail15normal_iteratorINSA_10device_ptrIiEEEEPS6_PKS6_NS0_5tupleIJSF_S6_EEENSJ_IJSG_SG_EEENS0_18inequality_wrapperINSA_8equal_toIiEEEEPmJS6_EEE10hipError_tPvRmT3_T4_T5_T6_T7_T9_mT8_P12ihipStream_tbDpT10_ENKUlT_T0_E_clISt17integral_constantIbLb0EES1A_EEDaS15_S16_EUlS15_E_NS1_11comp_targetILNS1_3genE3ELNS1_11target_archE908ELNS1_3gpuE7ELNS1_3repE0EEENS1_30default_config_static_selectorELNS0_4arch9wavefront6targetE1EEEvT1_.num_named_barrier, 0
	.set _ZN7rocprim17ROCPRIM_400000_NS6detail17trampoline_kernelINS0_14default_configENS1_25partition_config_selectorILNS1_17partition_subalgoE8EiNS0_10empty_typeEbEEZZNS1_14partition_implILS5_8ELb0ES3_jN6thrust23THRUST_200600_302600_NS6detail15normal_iteratorINSA_10device_ptrIiEEEEPS6_PKS6_NS0_5tupleIJSF_S6_EEENSJ_IJSG_SG_EEENS0_18inequality_wrapperINSA_8equal_toIiEEEEPmJS6_EEE10hipError_tPvRmT3_T4_T5_T6_T7_T9_mT8_P12ihipStream_tbDpT10_ENKUlT_T0_E_clISt17integral_constantIbLb0EES1A_EEDaS15_S16_EUlS15_E_NS1_11comp_targetILNS1_3genE3ELNS1_11target_archE908ELNS1_3gpuE7ELNS1_3repE0EEENS1_30default_config_static_selectorELNS0_4arch9wavefront6targetE1EEEvT1_.private_seg_size, 0
	.set _ZN7rocprim17ROCPRIM_400000_NS6detail17trampoline_kernelINS0_14default_configENS1_25partition_config_selectorILNS1_17partition_subalgoE8EiNS0_10empty_typeEbEEZZNS1_14partition_implILS5_8ELb0ES3_jN6thrust23THRUST_200600_302600_NS6detail15normal_iteratorINSA_10device_ptrIiEEEEPS6_PKS6_NS0_5tupleIJSF_S6_EEENSJ_IJSG_SG_EEENS0_18inequality_wrapperINSA_8equal_toIiEEEEPmJS6_EEE10hipError_tPvRmT3_T4_T5_T6_T7_T9_mT8_P12ihipStream_tbDpT10_ENKUlT_T0_E_clISt17integral_constantIbLb0EES1A_EEDaS15_S16_EUlS15_E_NS1_11comp_targetILNS1_3genE3ELNS1_11target_archE908ELNS1_3gpuE7ELNS1_3repE0EEENS1_30default_config_static_selectorELNS0_4arch9wavefront6targetE1EEEvT1_.uses_vcc, 0
	.set _ZN7rocprim17ROCPRIM_400000_NS6detail17trampoline_kernelINS0_14default_configENS1_25partition_config_selectorILNS1_17partition_subalgoE8EiNS0_10empty_typeEbEEZZNS1_14partition_implILS5_8ELb0ES3_jN6thrust23THRUST_200600_302600_NS6detail15normal_iteratorINSA_10device_ptrIiEEEEPS6_PKS6_NS0_5tupleIJSF_S6_EEENSJ_IJSG_SG_EEENS0_18inequality_wrapperINSA_8equal_toIiEEEEPmJS6_EEE10hipError_tPvRmT3_T4_T5_T6_T7_T9_mT8_P12ihipStream_tbDpT10_ENKUlT_T0_E_clISt17integral_constantIbLb0EES1A_EEDaS15_S16_EUlS15_E_NS1_11comp_targetILNS1_3genE3ELNS1_11target_archE908ELNS1_3gpuE7ELNS1_3repE0EEENS1_30default_config_static_selectorELNS0_4arch9wavefront6targetE1EEEvT1_.uses_flat_scratch, 0
	.set _ZN7rocprim17ROCPRIM_400000_NS6detail17trampoline_kernelINS0_14default_configENS1_25partition_config_selectorILNS1_17partition_subalgoE8EiNS0_10empty_typeEbEEZZNS1_14partition_implILS5_8ELb0ES3_jN6thrust23THRUST_200600_302600_NS6detail15normal_iteratorINSA_10device_ptrIiEEEEPS6_PKS6_NS0_5tupleIJSF_S6_EEENSJ_IJSG_SG_EEENS0_18inequality_wrapperINSA_8equal_toIiEEEEPmJS6_EEE10hipError_tPvRmT3_T4_T5_T6_T7_T9_mT8_P12ihipStream_tbDpT10_ENKUlT_T0_E_clISt17integral_constantIbLb0EES1A_EEDaS15_S16_EUlS15_E_NS1_11comp_targetILNS1_3genE3ELNS1_11target_archE908ELNS1_3gpuE7ELNS1_3repE0EEENS1_30default_config_static_selectorELNS0_4arch9wavefront6targetE1EEEvT1_.has_dyn_sized_stack, 0
	.set _ZN7rocprim17ROCPRIM_400000_NS6detail17trampoline_kernelINS0_14default_configENS1_25partition_config_selectorILNS1_17partition_subalgoE8EiNS0_10empty_typeEbEEZZNS1_14partition_implILS5_8ELb0ES3_jN6thrust23THRUST_200600_302600_NS6detail15normal_iteratorINSA_10device_ptrIiEEEEPS6_PKS6_NS0_5tupleIJSF_S6_EEENSJ_IJSG_SG_EEENS0_18inequality_wrapperINSA_8equal_toIiEEEEPmJS6_EEE10hipError_tPvRmT3_T4_T5_T6_T7_T9_mT8_P12ihipStream_tbDpT10_ENKUlT_T0_E_clISt17integral_constantIbLb0EES1A_EEDaS15_S16_EUlS15_E_NS1_11comp_targetILNS1_3genE3ELNS1_11target_archE908ELNS1_3gpuE7ELNS1_3repE0EEENS1_30default_config_static_selectorELNS0_4arch9wavefront6targetE1EEEvT1_.has_recursion, 0
	.set _ZN7rocprim17ROCPRIM_400000_NS6detail17trampoline_kernelINS0_14default_configENS1_25partition_config_selectorILNS1_17partition_subalgoE8EiNS0_10empty_typeEbEEZZNS1_14partition_implILS5_8ELb0ES3_jN6thrust23THRUST_200600_302600_NS6detail15normal_iteratorINSA_10device_ptrIiEEEEPS6_PKS6_NS0_5tupleIJSF_S6_EEENSJ_IJSG_SG_EEENS0_18inequality_wrapperINSA_8equal_toIiEEEEPmJS6_EEE10hipError_tPvRmT3_T4_T5_T6_T7_T9_mT8_P12ihipStream_tbDpT10_ENKUlT_T0_E_clISt17integral_constantIbLb0EES1A_EEDaS15_S16_EUlS15_E_NS1_11comp_targetILNS1_3genE3ELNS1_11target_archE908ELNS1_3gpuE7ELNS1_3repE0EEENS1_30default_config_static_selectorELNS0_4arch9wavefront6targetE1EEEvT1_.has_indirect_call, 0
	.section	.AMDGPU.csdata,"",@progbits
; Kernel info:
; codeLenInByte = 0
; TotalNumSgprs: 4
; NumVgprs: 0
; ScratchSize: 0
; MemoryBound: 0
; FloatMode: 240
; IeeeMode: 1
; LDSByteSize: 0 bytes/workgroup (compile time only)
; SGPRBlocks: 0
; VGPRBlocks: 0
; NumSGPRsForWavesPerEU: 4
; NumVGPRsForWavesPerEU: 1
; Occupancy: 10
; WaveLimiterHint : 0
; COMPUTE_PGM_RSRC2:SCRATCH_EN: 0
; COMPUTE_PGM_RSRC2:USER_SGPR: 6
; COMPUTE_PGM_RSRC2:TRAP_HANDLER: 0
; COMPUTE_PGM_RSRC2:TGID_X_EN: 1
; COMPUTE_PGM_RSRC2:TGID_Y_EN: 0
; COMPUTE_PGM_RSRC2:TGID_Z_EN: 0
; COMPUTE_PGM_RSRC2:TIDIG_COMP_CNT: 0
	.section	.text._ZN7rocprim17ROCPRIM_400000_NS6detail17trampoline_kernelINS0_14default_configENS1_25partition_config_selectorILNS1_17partition_subalgoE8EiNS0_10empty_typeEbEEZZNS1_14partition_implILS5_8ELb0ES3_jN6thrust23THRUST_200600_302600_NS6detail15normal_iteratorINSA_10device_ptrIiEEEEPS6_PKS6_NS0_5tupleIJSF_S6_EEENSJ_IJSG_SG_EEENS0_18inequality_wrapperINSA_8equal_toIiEEEEPmJS6_EEE10hipError_tPvRmT3_T4_T5_T6_T7_T9_mT8_P12ihipStream_tbDpT10_ENKUlT_T0_E_clISt17integral_constantIbLb0EES1A_EEDaS15_S16_EUlS15_E_NS1_11comp_targetILNS1_3genE2ELNS1_11target_archE906ELNS1_3gpuE6ELNS1_3repE0EEENS1_30default_config_static_selectorELNS0_4arch9wavefront6targetE1EEEvT1_,"axG",@progbits,_ZN7rocprim17ROCPRIM_400000_NS6detail17trampoline_kernelINS0_14default_configENS1_25partition_config_selectorILNS1_17partition_subalgoE8EiNS0_10empty_typeEbEEZZNS1_14partition_implILS5_8ELb0ES3_jN6thrust23THRUST_200600_302600_NS6detail15normal_iteratorINSA_10device_ptrIiEEEEPS6_PKS6_NS0_5tupleIJSF_S6_EEENSJ_IJSG_SG_EEENS0_18inequality_wrapperINSA_8equal_toIiEEEEPmJS6_EEE10hipError_tPvRmT3_T4_T5_T6_T7_T9_mT8_P12ihipStream_tbDpT10_ENKUlT_T0_E_clISt17integral_constantIbLb0EES1A_EEDaS15_S16_EUlS15_E_NS1_11comp_targetILNS1_3genE2ELNS1_11target_archE906ELNS1_3gpuE6ELNS1_3repE0EEENS1_30default_config_static_selectorELNS0_4arch9wavefront6targetE1EEEvT1_,comdat
	.protected	_ZN7rocprim17ROCPRIM_400000_NS6detail17trampoline_kernelINS0_14default_configENS1_25partition_config_selectorILNS1_17partition_subalgoE8EiNS0_10empty_typeEbEEZZNS1_14partition_implILS5_8ELb0ES3_jN6thrust23THRUST_200600_302600_NS6detail15normal_iteratorINSA_10device_ptrIiEEEEPS6_PKS6_NS0_5tupleIJSF_S6_EEENSJ_IJSG_SG_EEENS0_18inequality_wrapperINSA_8equal_toIiEEEEPmJS6_EEE10hipError_tPvRmT3_T4_T5_T6_T7_T9_mT8_P12ihipStream_tbDpT10_ENKUlT_T0_E_clISt17integral_constantIbLb0EES1A_EEDaS15_S16_EUlS15_E_NS1_11comp_targetILNS1_3genE2ELNS1_11target_archE906ELNS1_3gpuE6ELNS1_3repE0EEENS1_30default_config_static_selectorELNS0_4arch9wavefront6targetE1EEEvT1_ ; -- Begin function _ZN7rocprim17ROCPRIM_400000_NS6detail17trampoline_kernelINS0_14default_configENS1_25partition_config_selectorILNS1_17partition_subalgoE8EiNS0_10empty_typeEbEEZZNS1_14partition_implILS5_8ELb0ES3_jN6thrust23THRUST_200600_302600_NS6detail15normal_iteratorINSA_10device_ptrIiEEEEPS6_PKS6_NS0_5tupleIJSF_S6_EEENSJ_IJSG_SG_EEENS0_18inequality_wrapperINSA_8equal_toIiEEEEPmJS6_EEE10hipError_tPvRmT3_T4_T5_T6_T7_T9_mT8_P12ihipStream_tbDpT10_ENKUlT_T0_E_clISt17integral_constantIbLb0EES1A_EEDaS15_S16_EUlS15_E_NS1_11comp_targetILNS1_3genE2ELNS1_11target_archE906ELNS1_3gpuE6ELNS1_3repE0EEENS1_30default_config_static_selectorELNS0_4arch9wavefront6targetE1EEEvT1_
	.globl	_ZN7rocprim17ROCPRIM_400000_NS6detail17trampoline_kernelINS0_14default_configENS1_25partition_config_selectorILNS1_17partition_subalgoE8EiNS0_10empty_typeEbEEZZNS1_14partition_implILS5_8ELb0ES3_jN6thrust23THRUST_200600_302600_NS6detail15normal_iteratorINSA_10device_ptrIiEEEEPS6_PKS6_NS0_5tupleIJSF_S6_EEENSJ_IJSG_SG_EEENS0_18inequality_wrapperINSA_8equal_toIiEEEEPmJS6_EEE10hipError_tPvRmT3_T4_T5_T6_T7_T9_mT8_P12ihipStream_tbDpT10_ENKUlT_T0_E_clISt17integral_constantIbLb0EES1A_EEDaS15_S16_EUlS15_E_NS1_11comp_targetILNS1_3genE2ELNS1_11target_archE906ELNS1_3gpuE6ELNS1_3repE0EEENS1_30default_config_static_selectorELNS0_4arch9wavefront6targetE1EEEvT1_
	.p2align	8
	.type	_ZN7rocprim17ROCPRIM_400000_NS6detail17trampoline_kernelINS0_14default_configENS1_25partition_config_selectorILNS1_17partition_subalgoE8EiNS0_10empty_typeEbEEZZNS1_14partition_implILS5_8ELb0ES3_jN6thrust23THRUST_200600_302600_NS6detail15normal_iteratorINSA_10device_ptrIiEEEEPS6_PKS6_NS0_5tupleIJSF_S6_EEENSJ_IJSG_SG_EEENS0_18inequality_wrapperINSA_8equal_toIiEEEEPmJS6_EEE10hipError_tPvRmT3_T4_T5_T6_T7_T9_mT8_P12ihipStream_tbDpT10_ENKUlT_T0_E_clISt17integral_constantIbLb0EES1A_EEDaS15_S16_EUlS15_E_NS1_11comp_targetILNS1_3genE2ELNS1_11target_archE906ELNS1_3gpuE6ELNS1_3repE0EEENS1_30default_config_static_selectorELNS0_4arch9wavefront6targetE1EEEvT1_,@function
_ZN7rocprim17ROCPRIM_400000_NS6detail17trampoline_kernelINS0_14default_configENS1_25partition_config_selectorILNS1_17partition_subalgoE8EiNS0_10empty_typeEbEEZZNS1_14partition_implILS5_8ELb0ES3_jN6thrust23THRUST_200600_302600_NS6detail15normal_iteratorINSA_10device_ptrIiEEEEPS6_PKS6_NS0_5tupleIJSF_S6_EEENSJ_IJSG_SG_EEENS0_18inequality_wrapperINSA_8equal_toIiEEEEPmJS6_EEE10hipError_tPvRmT3_T4_T5_T6_T7_T9_mT8_P12ihipStream_tbDpT10_ENKUlT_T0_E_clISt17integral_constantIbLb0EES1A_EEDaS15_S16_EUlS15_E_NS1_11comp_targetILNS1_3genE2ELNS1_11target_archE906ELNS1_3gpuE6ELNS1_3repE0EEENS1_30default_config_static_selectorELNS0_4arch9wavefront6targetE1EEEvT1_: ; @_ZN7rocprim17ROCPRIM_400000_NS6detail17trampoline_kernelINS0_14default_configENS1_25partition_config_selectorILNS1_17partition_subalgoE8EiNS0_10empty_typeEbEEZZNS1_14partition_implILS5_8ELb0ES3_jN6thrust23THRUST_200600_302600_NS6detail15normal_iteratorINSA_10device_ptrIiEEEEPS6_PKS6_NS0_5tupleIJSF_S6_EEENSJ_IJSG_SG_EEENS0_18inequality_wrapperINSA_8equal_toIiEEEEPmJS6_EEE10hipError_tPvRmT3_T4_T5_T6_T7_T9_mT8_P12ihipStream_tbDpT10_ENKUlT_T0_E_clISt17integral_constantIbLb0EES1A_EEDaS15_S16_EUlS15_E_NS1_11comp_targetILNS1_3genE2ELNS1_11target_archE906ELNS1_3gpuE6ELNS1_3repE0EEENS1_30default_config_static_selectorELNS0_4arch9wavefront6targetE1EEEvT1_
; %bb.0:
	s_load_dwordx4 s[0:3], s[4:5], 0x8
	s_load_dwordx4 s[36:39], s[4:5], 0x40
	s_load_dwordx2 s[8:9], s[4:5], 0x50
	s_load_dword s12, s[4:5], 0x68
	v_lshrrev_b32_e32 v18, 3, v0
	s_waitcnt lgkmcnt(0)
	s_lshl_b64 s[10:11], s[2:3], 2
	s_add_u32 s13, s0, s10
	s_addc_u32 s14, s1, s11
	s_add_i32 s15, s12, -1
	s_lshl_b32 s0, s15, 12
	s_lshl_b32 s10, s6, 12
	s_add_i32 s7, s2, s0
	s_lshl_b32 s0, s12, 12
	s_add_u32 s0, s2, s0
	s_addc_u32 s1, s3, 0
	v_mov_b32_e32 v2, s1
	v_mov_b32_e32 v1, s0
	v_cmp_le_u64_e32 vcc, s[8:9], v[1:2]
	s_cmp_eq_u32 s6, s15
	s_load_dwordx2 s[38:39], s[38:39], 0x0
	s_cselect_b64 s[40:41], -1, 0
	s_mov_b32 s11, 0
	s_and_b64 s[44:45], s[40:41], vcc
	s_xor_b64 s[42:43], s[44:45], -1
	s_lshl_b64 s[10:11], s[10:11], 2
	s_add_u32 s9, s13, s10
	s_mov_b64 s[0:1], -1
	s_addc_u32 s10, s14, s11
	s_and_b64 vcc, exec, s[42:43]
	s_cbranch_vccz .LBB408_2
; %bb.1:
	v_lshlrev_b32_e32 v5, 2, v0
	v_mov_b32_e32 v2, s10
	v_add_co_u32_e32 v1, vcc, s9, v5
	v_addc_co_u32_e32 v2, vcc, 0, v2, vcc
	v_add_co_u32_e32 v3, vcc, 0x1000, v1
	v_addc_co_u32_e32 v4, vcc, 0, v2, vcc
	flat_load_dword v6, v[1:2]
	flat_load_dword v7, v[1:2] offset:1024
	flat_load_dword v8, v[1:2] offset:2048
	flat_load_dword v9, v[1:2] offset:3072
	flat_load_dword v10, v[3:4]
	flat_load_dword v11, v[3:4] offset:1024
	flat_load_dword v12, v[3:4] offset:2048
	;; [unrolled: 1-line block ×3, first 2 shown]
	v_add_co_u32_e32 v3, vcc, 0x2000, v1
	v_addc_co_u32_e32 v4, vcc, 0, v2, vcc
	flat_load_dword v14, v[3:4]
	flat_load_dword v15, v[3:4] offset:1024
	flat_load_dword v16, v[3:4] offset:2048
	;; [unrolled: 1-line block ×3, first 2 shown]
	v_add_co_u32_e32 v1, vcc, 0x3000, v1
	v_addc_co_u32_e32 v2, vcc, 0, v2, vcc
	flat_load_dword v3, v[1:2]
	flat_load_dword v4, v[1:2] offset:1024
	flat_load_dword v19, v[1:2] offset:2048
	flat_load_dword v20, v[1:2] offset:3072
	v_or_b32_e32 v2, 0x100, v0
	v_or_b32_e32 v21, 0x200, v0
	;; [unrolled: 1-line block ×9, first 2 shown]
	v_and_b32_e32 v1, 28, v18
	v_lshrrev_b32_e32 v2, 3, v2
	v_lshrrev_b32_e32 v21, 3, v21
	;; [unrolled: 1-line block ×9, first 2 shown]
	v_or_b32_e32 v29, 0xa00, v0
	v_add_u32_e32 v1, v1, v5
	v_and_b32_e32 v2, 60, v2
	v_and_b32_e32 v21, 0x5c, v21
	;; [unrolled: 1-line block ×9, first 2 shown]
	v_add_u32_e32 v2, v2, v5
	v_add_u32_e32 v21, v21, v5
	;; [unrolled: 1-line block ×9, first 2 shown]
	s_mov_b64 s[0:1], 0
	s_waitcnt vmcnt(0) lgkmcnt(0)
	ds_write_b32 v1, v6
	ds_write_b32 v2, v7 offset:1024
	ds_write_b32 v21, v8 offset:2048
	;; [unrolled: 1-line block ×9, first 2 shown]
	v_lshrrev_b32_e32 v1, 3, v29
	v_and_b32_e32 v1, 0x15c, v1
	v_add_u32_e32 v1, v1, v5
	ds_write_b32 v1, v16 offset:10240
	v_or_b32_e32 v1, 0xb00, v0
	v_lshrrev_b32_e32 v1, 3, v1
	v_and_b32_e32 v1, 0x17c, v1
	v_add_u32_e32 v1, v1, v5
	ds_write_b32 v1, v17 offset:11264
	v_or_b32_e32 v1, 0xc00, v0
	;; [unrolled: 5-line block ×5, first 2 shown]
	v_lshrrev_b32_e32 v1, 3, v1
	v_and_b32_e32 v1, 0x1fc, v1
	v_add_u32_e32 v1, v1, v5
	ds_write_b32 v1, v20 offset:15360
	s_waitcnt lgkmcnt(0)
	s_barrier
.LBB408_2:
	s_andn2_b64 vcc, exec, s[0:1]
	s_sub_i32 s7, s8, s7
	s_cbranch_vccnz .LBB408_36
; %bb.3:
	v_mov_b32_e32 v1, 0
	v_cmp_gt_u32_e32 vcc, s7, v0
	v_mov_b32_e32 v2, v1
	v_mov_b32_e32 v3, v1
	;; [unrolled: 1-line block ×15, first 2 shown]
	s_and_saveexec_b64 s[0:1], vcc
	s_cbranch_execz .LBB408_5
; %bb.4:
	v_lshlrev_b32_e32 v2, 2, v0
	v_mov_b32_e32 v3, s10
	v_add_co_u32_e32 v2, vcc, s9, v2
	v_addc_co_u32_e32 v3, vcc, 0, v3, vcc
	flat_load_dword v2, v[2:3]
	v_mov_b32_e32 v3, v1
	v_mov_b32_e32 v4, v1
	;; [unrolled: 1-line block ×15, first 2 shown]
	s_waitcnt vmcnt(0) lgkmcnt(0)
	v_mov_b32_e32 v1, v2
	v_mov_b32_e32 v2, v3
	;; [unrolled: 1-line block ×16, first 2 shown]
.LBB408_5:
	s_or_b64 exec, exec, s[0:1]
	v_or_b32_e32 v17, 0x100, v0
	v_cmp_gt_u32_e32 vcc, s7, v17
	s_and_saveexec_b64 s[0:1], vcc
	s_cbranch_execz .LBB408_7
; %bb.6:
	v_lshlrev_b32_e32 v2, 2, v0
	v_mov_b32_e32 v20, s10
	v_add_co_u32_e32 v19, vcc, s9, v2
	v_addc_co_u32_e32 v20, vcc, 0, v20, vcc
	flat_load_dword v2, v[19:20] offset:1024
.LBB408_7:
	s_or_b64 exec, exec, s[0:1]
	v_or_b32_e32 v19, 0x200, v0
	v_cmp_gt_u32_e32 vcc, s7, v19
	s_and_saveexec_b64 s[0:1], vcc
	s_cbranch_execz .LBB408_9
; %bb.8:
	v_lshlrev_b32_e32 v3, 2, v0
	v_mov_b32_e32 v21, s10
	v_add_co_u32_e32 v20, vcc, s9, v3
	v_addc_co_u32_e32 v21, vcc, 0, v21, vcc
	flat_load_dword v3, v[20:21] offset:2048
.LBB408_9:
	;; [unrolled: 12-line block ×3, first 2 shown]
	s_or_b64 exec, exec, s[0:1]
	v_or_b32_e32 v21, 0x400, v0
	v_cmp_gt_u32_e32 vcc, s7, v21
	s_and_saveexec_b64 s[0:1], vcc
	s_cbranch_execz .LBB408_13
; %bb.12:
	v_lshlrev_b32_e32 v5, 2, v21
	v_mov_b32_e32 v23, s10
	v_add_co_u32_e32 v22, vcc, s9, v5
	v_addc_co_u32_e32 v23, vcc, 0, v23, vcc
	flat_load_dword v5, v[22:23]
.LBB408_13:
	s_or_b64 exec, exec, s[0:1]
	v_or_b32_e32 v22, 0x500, v0
	v_cmp_gt_u32_e32 vcc, s7, v22
	s_and_saveexec_b64 s[0:1], vcc
	s_cbranch_execz .LBB408_15
; %bb.14:
	v_lshlrev_b32_e32 v6, 2, v22
	v_mov_b32_e32 v24, s10
	v_add_co_u32_e32 v23, vcc, s9, v6
	v_addc_co_u32_e32 v24, vcc, 0, v24, vcc
	flat_load_dword v6, v[23:24]
.LBB408_15:
	;; [unrolled: 12-line block ×12, first 2 shown]
	s_or_b64 exec, exec, s[0:1]
	v_and_b32_e32 v18, 28, v18
	v_lshlrev_b32_e32 v33, 2, v0
	v_add_u32_e32 v18, v18, v33
	ds_write_b32 v18, v1
	v_lshrrev_b32_e32 v1, 3, v17
	v_and_b32_e32 v1, 60, v1
	v_add_u32_e32 v1, v1, v33
	s_waitcnt vmcnt(0) lgkmcnt(0)
	ds_write_b32 v1, v2 offset:1024
	v_lshrrev_b32_e32 v1, 3, v19
	v_and_b32_e32 v1, 0x7c, v1
	v_add_u32_e32 v1, v1, v33
	ds_write_b32 v1, v3 offset:2048
	v_lshrrev_b32_e32 v1, 3, v20
	v_and_b32_e32 v1, 0x7c, v1
	v_add_u32_e32 v1, v1, v33
	;; [unrolled: 4-line block ×14, first 2 shown]
	ds_write_b32 v1, v16 offset:15360
	s_waitcnt lgkmcnt(0)
	s_barrier
.LBB408_36:
	v_lshlrev_b32_e32 v1, 1, v0
	v_and_b32_e32 v1, 0x1fc, v1
	v_lshl_add_u32 v1, v0, 6, v1
	s_waitcnt lgkmcnt(0)
	ds_read2_b32 v[15:16], v1 offset1:1
	ds_read2_b32 v[13:14], v1 offset0:2 offset1:3
	ds_read2_b32 v[11:12], v1 offset0:4 offset1:5
	ds_read2_b32 v[9:10], v1 offset0:6 offset1:7
	ds_read2_b32 v[7:8], v1 offset0:8 offset1:9
	ds_read2_b32 v[5:6], v1 offset0:10 offset1:11
	ds_read2_b32 v[3:4], v1 offset0:12 offset1:13
	ds_read2_b32 v[1:2], v1 offset0:14 offset1:15
	s_cmp_lg_u32 s6, 0
	s_cselect_b64 s[46:47], -1, 0
	s_cmp_lg_u64 s[2:3], 0
	s_cselect_b64 s[0:1], -1, 0
	s_or_b64 s[0:1], s[46:47], s[0:1]
	v_lshlrev_b32_e32 v17, 4, v0
	s_mov_b64 s[50:51], 0
	s_and_b64 vcc, exec, s[0:1]
	s_waitcnt lgkmcnt(0)
	s_barrier
	s_cbranch_vccz .LBB408_41
; %bb.37:
	v_mov_b32_e32 v19, s10
	v_add_co_u32_e64 v18, vcc, -4, s9
	v_addc_co_u32_e32 v19, vcc, -1, v19, vcc
	flat_load_dword v18, v[18:19]
	v_lshlrev_b32_e32 v19, 2, v0
	s_and_b64 vcc, exec, s[42:43]
	ds_write_b32 v19, v2
	s_cbranch_vccz .LBB408_42
; %bb.38:
	v_cmp_ne_u32_e32 vcc, 0, v0
	s_waitcnt vmcnt(0) lgkmcnt(0)
	v_mov_b32_e32 v20, v18
	s_barrier
	s_and_saveexec_b64 s[0:1], vcc
; %bb.39:
	v_add_u32_e32 v20, -4, v19
	ds_read_b32 v20, v20
; %bb.40:
	s_or_b64 exec, exec, s[0:1]
	v_cmp_ne_u32_e32 vcc, v1, v2
	v_cndmask_b32_e64 v51, 0, 1, vcc
	v_cmp_ne_u32_e32 vcc, v4, v1
	v_cndmask_b32_e64 v52, 0, 1, vcc
	;; [unrolled: 2-line block ×15, first 2 shown]
	s_waitcnt lgkmcnt(0)
	v_cmp_ne_u32_e64 s[48:49], v20, v15
	s_branch .LBB408_46
.LBB408_41:
                                        ; implicit-def: $sgpr48_sgpr49
                                        ; implicit-def: $vgpr51
                                        ; implicit-def: $vgpr52
                                        ; implicit-def: $vgpr53
                                        ; implicit-def: $vgpr54
                                        ; implicit-def: $vgpr55
                                        ; implicit-def: $vgpr56
                                        ; implicit-def: $vgpr57
                                        ; implicit-def: $vgpr58
                                        ; implicit-def: $vgpr59
                                        ; implicit-def: $vgpr65
                                        ; implicit-def: $vgpr64
                                        ; implicit-def: $vgpr63
                                        ; implicit-def: $vgpr62
                                        ; implicit-def: $vgpr61
                                        ; implicit-def: $vgpr60
	s_branch .LBB408_47
.LBB408_42:
                                        ; implicit-def: $sgpr48_sgpr49
                                        ; implicit-def: $vgpr51
                                        ; implicit-def: $vgpr52
                                        ; implicit-def: $vgpr53
                                        ; implicit-def: $vgpr54
                                        ; implicit-def: $vgpr55
                                        ; implicit-def: $vgpr56
                                        ; implicit-def: $vgpr57
                                        ; implicit-def: $vgpr58
                                        ; implicit-def: $vgpr59
                                        ; implicit-def: $vgpr65
                                        ; implicit-def: $vgpr64
                                        ; implicit-def: $vgpr63
                                        ; implicit-def: $vgpr62
                                        ; implicit-def: $vgpr61
                                        ; implicit-def: $vgpr60
	s_cbranch_execz .LBB408_46
; %bb.43:
	v_cmp_ne_u32_e32 vcc, 0, v0
	s_waitcnt vmcnt(0) lgkmcnt(0)
	s_barrier
	s_and_saveexec_b64 s[0:1], vcc
; %bb.44:
	v_add_u32_e32 v18, -4, v19
	ds_read_b32 v18, v18
; %bb.45:
	s_or_b64 exec, exec, s[0:1]
	v_or_b32_e32 v19, 15, v17
	v_cmp_gt_u32_e32 vcc, s7, v19
	v_cmp_ne_u32_e64 s[0:1], v1, v2
	s_and_b64 s[0:1], vcc, s[0:1]
	v_or_b32_e32 v19, 14, v17
	v_cndmask_b32_e64 v51, 0, 1, s[0:1]
	v_cmp_gt_u32_e32 vcc, s7, v19
	v_cmp_ne_u32_e64 s[0:1], v4, v1
	s_and_b64 s[0:1], vcc, s[0:1]
	v_or_b32_e32 v19, 13, v17
	v_cndmask_b32_e64 v52, 0, 1, s[0:1]
	;; [unrolled: 5-line block ×14, first 2 shown]
	v_cmp_gt_u32_e32 vcc, s7, v19
	v_cmp_ne_u32_e64 s[0:1], v15, v16
	s_and_b64 s[0:1], vcc, s[0:1]
	v_cndmask_b32_e64 v65, 0, 1, s[0:1]
	v_cmp_gt_u32_e32 vcc, s7, v17
	s_waitcnt lgkmcnt(0)
	v_cmp_ne_u32_e64 s[0:1], v18, v15
	s_and_b64 s[48:49], vcc, s[0:1]
.LBB408_46:
	s_mov_b64 s[50:51], -1
	s_cbranch_execnz .LBB408_55
.LBB408_47:
	s_waitcnt vmcnt(0) lgkmcnt(0)
	v_lshlrev_b32_e32 v18, 2, v0
	s_and_b64 vcc, exec, s[42:43]
	v_cmp_ne_u32_e64 s[0:1], v1, v2
	v_cmp_ne_u32_e64 s[2:3], v4, v1
	;; [unrolled: 1-line block ×15, first 2 shown]
	ds_write_b32 v18, v2
	s_cbranch_vccz .LBB408_51
; %bb.48:
	v_cmp_ne_u32_e32 vcc, 0, v0
	s_waitcnt lgkmcnt(0)
	s_barrier
                                        ; implicit-def: $sgpr48_sgpr49
	s_and_saveexec_b64 s[52:53], vcc
	s_xor_b64 s[52:53], exec, s[52:53]
	s_cbranch_execz .LBB408_50
; %bb.49:
	v_add_u32_e32 v19, -4, v18
	ds_read_b32 v19, v19
	s_or_b64 s[50:51], s[50:51], exec
	s_waitcnt lgkmcnt(0)
	v_cmp_ne_u32_e64 s[48:49], v19, v15
.LBB408_50:
	s_or_b64 exec, exec, s[52:53]
	v_cndmask_b32_e64 v51, 0, 1, s[0:1]
	v_cndmask_b32_e64 v52, 0, 1, s[2:3]
	;; [unrolled: 1-line block ×15, first 2 shown]
	s_branch .LBB408_55
.LBB408_51:
                                        ; implicit-def: $sgpr48_sgpr49
                                        ; implicit-def: $vgpr51
                                        ; implicit-def: $vgpr52
                                        ; implicit-def: $vgpr53
                                        ; implicit-def: $vgpr54
                                        ; implicit-def: $vgpr55
                                        ; implicit-def: $vgpr56
                                        ; implicit-def: $vgpr57
                                        ; implicit-def: $vgpr58
                                        ; implicit-def: $vgpr59
                                        ; implicit-def: $vgpr65
                                        ; implicit-def: $vgpr64
                                        ; implicit-def: $vgpr63
                                        ; implicit-def: $vgpr62
                                        ; implicit-def: $vgpr61
                                        ; implicit-def: $vgpr60
	s_cbranch_execz .LBB408_55
; %bb.52:
	v_or_b32_e32 v19, 15, v17
	v_cmp_gt_u32_e32 vcc, s7, v19
	v_cmp_ne_u32_e64 s[0:1], v1, v2
	v_or_b32_e32 v19, 14, v17
	s_and_b64 s[2:3], vcc, s[0:1]
	v_cmp_gt_u32_e32 vcc, s7, v19
	v_cmp_ne_u32_e64 s[0:1], v4, v1
	v_or_b32_e32 v19, 13, v17
	s_and_b64 s[8:9], vcc, s[0:1]
	;; [unrolled: 4-line block ×14, first 2 shown]
	v_cmp_gt_u32_e32 vcc, s7, v19
	v_cmp_ne_u32_e64 s[0:1], v15, v16
	s_and_b64 s[52:53], vcc, s[0:1]
	v_cmp_ne_u32_e32 vcc, 0, v0
	s_waitcnt lgkmcnt(0)
	s_barrier
                                        ; implicit-def: $sgpr48_sgpr49
	s_and_saveexec_b64 s[54:55], vcc
	s_cbranch_execz .LBB408_54
; %bb.53:
	v_add_u32_e32 v18, -4, v18
	ds_read_b32 v18, v18
	v_cmp_gt_u32_e32 vcc, s7, v17
	s_or_b64 s[50:51], s[50:51], exec
	s_waitcnt lgkmcnt(0)
	v_cmp_ne_u32_e64 s[0:1], v18, v15
	s_and_b64 s[48:49], vcc, s[0:1]
.LBB408_54:
	s_or_b64 exec, exec, s[54:55]
	v_cndmask_b32_e64 v51, 0, 1, s[2:3]
	v_cndmask_b32_e64 v52, 0, 1, s[8:9]
	;; [unrolled: 1-line block ×15, first 2 shown]
.LBB408_55:
	v_mov_b32_e32 v28, 1
	s_and_saveexec_b64 s[0:1], s[50:51]
; %bb.56:
	v_cndmask_b32_e64 v28, 0, 1, s[48:49]
; %bb.57:
	s_or_b64 exec, exec, s[0:1]
	s_load_dwordx2 s[22:23], s[4:5], 0x60
	s_andn2_b64 vcc, exec, s[44:45]
	s_cbranch_vccnz .LBB408_59
; %bb.58:
	v_cmp_gt_u32_e32 vcc, s7, v17
	s_waitcnt vmcnt(0) lgkmcnt(0)
	v_or_b32_e32 v18, 1, v17
	v_cndmask_b32_e32 v28, 0, v28, vcc
	v_cmp_gt_u32_e32 vcc, s7, v18
	v_or_b32_e32 v18, 2, v17
	v_cndmask_b32_e32 v65, 0, v65, vcc
	v_cmp_gt_u32_e32 vcc, s7, v18
	;; [unrolled: 3-line block ×15, first 2 shown]
	v_cndmask_b32_e32 v51, 0, v51, vcc
.LBB408_59:
	v_and_b32_e32 v37, 0xff, v63
	v_and_b32_e32 v39, 0xff, v62
	s_waitcnt vmcnt(0) lgkmcnt(0)
	v_add_u32_sdwa v18, v61, v60 dst_sel:DWORD dst_unused:UNUSED_PAD src0_sel:BYTE_0 src1_sel:BYTE_0
	v_and_b32_e32 v33, 0xff, v65
	v_and_b32_e32 v35, 0xff, v64
	v_add3_u32 v18, v18, v39, v37
	v_and_b32_e32 v31, 0xffff, v28
	v_and_b32_e32 v27, 0xff, v59
	v_add3_u32 v18, v18, v35, v33
	;; [unrolled: 3-line block ×6, first 2 shown]
	v_add3_u32 v44, v18, v40, v17
	v_mbcnt_lo_u32_b32 v17, -1, 0
	v_mbcnt_hi_u32_b32 v41, -1, v17
	v_and_b32_e32 v17, 15, v41
	v_cmp_eq_u32_e64 s[14:15], 0, v17
	v_cmp_lt_u32_e64 s[12:13], 1, v17
	v_cmp_lt_u32_e64 s[10:11], 3, v17
	;; [unrolled: 1-line block ×3, first 2 shown]
	v_and_b32_e32 v17, 16, v41
	v_cmp_eq_u32_e64 s[18:19], 0, v17
	v_or_b32_e32 v17, 63, v0
	v_cmp_lt_u32_e64 s[0:1], 31, v41
	v_lshrrev_b32_e32 v42, 6, v0
	v_cmp_eq_u32_e64 s[2:3], v0, v17
	s_and_b64 vcc, exec, s[46:47]
	s_barrier
	s_cbranch_vccz .LBB408_81
; %bb.60:
	v_mov_b32_dpp v17, v44 row_shr:1 row_mask:0xf bank_mask:0xf
	v_cndmask_b32_e64 v17, v17, 0, s[14:15]
	v_add_u32_e32 v17, v17, v44
	s_nop 1
	v_mov_b32_dpp v18, v17 row_shr:2 row_mask:0xf bank_mask:0xf
	v_cndmask_b32_e64 v18, 0, v18, s[12:13]
	v_add_u32_e32 v17, v17, v18
	s_nop 1
	;; [unrolled: 4-line block ×4, first 2 shown]
	v_mov_b32_dpp v18, v17 row_bcast:15 row_mask:0xf bank_mask:0xf
	v_cndmask_b32_e64 v18, v18, 0, s[18:19]
	v_add_u32_e32 v17, v17, v18
	s_nop 1
	v_mov_b32_dpp v18, v17 row_bcast:31 row_mask:0xf bank_mask:0xf
	v_cndmask_b32_e64 v18, 0, v18, s[0:1]
	v_add_u32_e32 v17, v17, v18
	s_and_saveexec_b64 s[16:17], s[2:3]
; %bb.61:
	v_lshlrev_b32_e32 v18, 2, v42
	ds_write_b32 v18, v17
; %bb.62:
	s_or_b64 exec, exec, s[16:17]
	v_cmp_gt_u32_e32 vcc, 4, v0
	s_waitcnt lgkmcnt(0)
	s_barrier
	s_and_saveexec_b64 s[16:17], vcc
	s_cbranch_execz .LBB408_64
; %bb.63:
	v_lshlrev_b32_e32 v18, 2, v0
	ds_read_b32 v19, v18
	v_and_b32_e32 v20, 3, v41
	v_cmp_ne_u32_e32 vcc, 0, v20
	s_waitcnt lgkmcnt(0)
	v_mov_b32_dpp v21, v19 row_shr:1 row_mask:0xf bank_mask:0xf
	v_cndmask_b32_e32 v21, 0, v21, vcc
	v_add_u32_e32 v19, v21, v19
	v_cmp_lt_u32_e32 vcc, 1, v20
	s_nop 0
	v_mov_b32_dpp v21, v19 row_shr:2 row_mask:0xf bank_mask:0xf
	v_cndmask_b32_e32 v20, 0, v21, vcc
	v_add_u32_e32 v19, v19, v20
	ds_write_b32 v18, v19
.LBB408_64:
	s_or_b64 exec, exec, s[16:17]
	v_cmp_gt_u32_e32 vcc, 64, v0
	v_cmp_lt_u32_e64 s[16:17], 63, v0
	s_waitcnt lgkmcnt(0)
	s_barrier
                                        ; implicit-def: $vgpr43
	s_and_saveexec_b64 s[20:21], s[16:17]
	s_cbranch_execz .LBB408_66
; %bb.65:
	v_lshl_add_u32 v18, v42, 2, -4
	ds_read_b32 v43, v18
	s_waitcnt lgkmcnt(0)
	v_add_u32_e32 v17, v43, v17
.LBB408_66:
	s_or_b64 exec, exec, s[20:21]
	v_subrev_co_u32_e64 v18, s[16:17], 1, v41
	v_and_b32_e32 v19, 64, v41
	v_cmp_lt_i32_e64 s[20:21], v18, v19
	v_cndmask_b32_e64 v18, v18, v41, s[20:21]
	v_lshlrev_b32_e32 v18, 2, v18
	ds_bpermute_b32 v45, v18, v17
	s_and_saveexec_b64 s[20:21], vcc
	s_cbranch_execz .LBB408_86
; %bb.67:
	v_mov_b32_e32 v23, 0
	ds_read_b32 v17, v23 offset:12
	s_and_saveexec_b64 s[24:25], s[16:17]
	s_cbranch_execz .LBB408_69
; %bb.68:
	s_add_i32 s26, s6, 64
	s_mov_b32 s27, 0
	s_lshl_b64 s[26:27], s[26:27], 3
	s_add_u32 s26, s22, s26
	v_mov_b32_e32 v18, 1
	s_addc_u32 s27, s23, s27
	s_waitcnt lgkmcnt(0)
	global_store_dwordx2 v23, v[17:18], s[26:27]
.LBB408_69:
	s_or_b64 exec, exec, s[24:25]
	v_xad_u32 v19, v41, -1, s6
	v_add_u32_e32 v22, 64, v19
	v_lshlrev_b64 v[20:21], 3, v[22:23]
	v_mov_b32_e32 v18, s23
	v_add_co_u32_e32 v24, vcc, s22, v20
	v_addc_co_u32_e32 v25, vcc, v18, v21, vcc
	global_load_dwordx2 v[21:22], v[24:25], off glc
	s_waitcnt vmcnt(0)
	v_cmp_eq_u16_sdwa s[26:27], v22, v23 src0_sel:BYTE_0 src1_sel:DWORD
	s_and_saveexec_b64 s[24:25], s[26:27]
	s_cbranch_execz .LBB408_73
; %bb.70:
	s_mov_b64 s[26:27], 0
	v_mov_b32_e32 v18, 0
.LBB408_71:                             ; =>This Inner Loop Header: Depth=1
	global_load_dwordx2 v[21:22], v[24:25], off glc
	s_waitcnt vmcnt(0)
	v_cmp_ne_u16_sdwa s[28:29], v22, v18 src0_sel:BYTE_0 src1_sel:DWORD
	s_or_b64 s[26:27], s[28:29], s[26:27]
	s_andn2_b64 exec, exec, s[26:27]
	s_cbranch_execnz .LBB408_71
; %bb.72:
	s_or_b64 exec, exec, s[26:27]
.LBB408_73:
	s_or_b64 exec, exec, s[24:25]
	v_and_b32_e32 v47, 63, v41
	v_mov_b32_e32 v46, 2
	v_lshlrev_b64 v[23:24], v41, -1
	v_cmp_ne_u32_e32 vcc, 63, v47
	v_cmp_eq_u16_sdwa s[24:25], v22, v46 src0_sel:BYTE_0 src1_sel:DWORD
	v_addc_co_u32_e32 v25, vcc, 0, v41, vcc
	v_and_b32_e32 v18, s25, v24
	v_lshlrev_b32_e32 v48, 2, v25
	v_or_b32_e32 v18, 0x80000000, v18
	ds_bpermute_b32 v25, v48, v21
	v_and_b32_e32 v20, s24, v23
	v_ffbl_b32_e32 v18, v18
	v_add_u32_e32 v18, 32, v18
	v_ffbl_b32_e32 v20, v20
	v_min_u32_e32 v18, v20, v18
	v_cmp_lt_u32_e32 vcc, v47, v18
	s_waitcnt lgkmcnt(0)
	v_cndmask_b32_e32 v20, 0, v25, vcc
	v_cmp_gt_u32_e32 vcc, 62, v47
	v_add_u32_e32 v20, v20, v21
	v_cndmask_b32_e64 v21, 0, 2, vcc
	v_add_lshl_u32 v49, v21, v41, 2
	ds_bpermute_b32 v21, v49, v20
	v_add_u32_e32 v50, 2, v47
	v_cmp_le_u32_e32 vcc, v50, v18
	v_add_u32_e32 v67, 4, v47
	v_add_u32_e32 v69, 8, v47
	s_waitcnt lgkmcnt(0)
	v_cndmask_b32_e32 v21, 0, v21, vcc
	v_cmp_gt_u32_e32 vcc, 60, v47
	v_add_u32_e32 v20, v20, v21
	v_cndmask_b32_e64 v21, 0, 4, vcc
	v_add_lshl_u32 v66, v21, v41, 2
	ds_bpermute_b32 v21, v66, v20
	v_cmp_le_u32_e32 vcc, v67, v18
	v_add_u32_e32 v71, 16, v47
	v_add_u32_e32 v73, 32, v47
	s_waitcnt lgkmcnt(0)
	v_cndmask_b32_e32 v21, 0, v21, vcc
	v_cmp_gt_u32_e32 vcc, 56, v47
	v_add_u32_e32 v20, v20, v21
	v_cndmask_b32_e64 v21, 0, 8, vcc
	v_add_lshl_u32 v68, v21, v41, 2
	ds_bpermute_b32 v21, v68, v20
	v_cmp_le_u32_e32 vcc, v69, v18
	s_waitcnt lgkmcnt(0)
	v_cndmask_b32_e32 v21, 0, v21, vcc
	v_cmp_gt_u32_e32 vcc, 48, v47
	v_add_u32_e32 v20, v20, v21
	v_cndmask_b32_e64 v21, 0, 16, vcc
	v_add_lshl_u32 v70, v21, v41, 2
	ds_bpermute_b32 v21, v70, v20
	v_cmp_le_u32_e32 vcc, v71, v18
	s_waitcnt lgkmcnt(0)
	v_cndmask_b32_e32 v21, 0, v21, vcc
	v_add_u32_e32 v20, v20, v21
	v_mov_b32_e32 v21, 0x80
	v_lshl_or_b32 v72, v41, 2, v21
	ds_bpermute_b32 v21, v72, v20
	v_cmp_le_u32_e32 vcc, v73, v18
	s_waitcnt lgkmcnt(0)
	v_cndmask_b32_e32 v18, 0, v21, vcc
	v_add_u32_e32 v21, v20, v18
	v_mov_b32_e32 v20, 0
	s_branch .LBB408_76
.LBB408_74:                             ;   in Loop: Header=BB408_76 Depth=1
	s_or_b64 exec, exec, s[24:25]
	v_cmp_eq_u16_sdwa s[24:25], v22, v46 src0_sel:BYTE_0 src1_sel:DWORD
	v_and_b32_e32 v25, s25, v24
	v_or_b32_e32 v25, 0x80000000, v25
	ds_bpermute_b32 v74, v48, v21
	v_and_b32_e32 v26, s24, v23
	v_ffbl_b32_e32 v25, v25
	v_add_u32_e32 v25, 32, v25
	v_ffbl_b32_e32 v26, v26
	v_min_u32_e32 v25, v26, v25
	v_cmp_lt_u32_e32 vcc, v47, v25
	s_waitcnt lgkmcnt(0)
	v_cndmask_b32_e32 v26, 0, v74, vcc
	v_add_u32_e32 v21, v26, v21
	ds_bpermute_b32 v26, v49, v21
	v_cmp_le_u32_e32 vcc, v50, v25
	v_subrev_u32_e32 v19, 64, v19
	s_mov_b64 s[24:25], 0
	s_waitcnt lgkmcnt(0)
	v_cndmask_b32_e32 v26, 0, v26, vcc
	v_add_u32_e32 v21, v21, v26
	ds_bpermute_b32 v26, v66, v21
	v_cmp_le_u32_e32 vcc, v67, v25
	s_waitcnt lgkmcnt(0)
	v_cndmask_b32_e32 v26, 0, v26, vcc
	v_add_u32_e32 v21, v21, v26
	ds_bpermute_b32 v26, v68, v21
	v_cmp_le_u32_e32 vcc, v69, v25
	;; [unrolled: 5-line block ×4, first 2 shown]
	s_waitcnt lgkmcnt(0)
	v_cndmask_b32_e32 v25, 0, v26, vcc
	v_add3_u32 v21, v25, v18, v21
.LBB408_75:                             ;   in Loop: Header=BB408_76 Depth=1
	s_and_b64 vcc, exec, s[24:25]
	s_cbranch_vccnz .LBB408_82
.LBB408_76:                             ; =>This Loop Header: Depth=1
                                        ;     Child Loop BB408_79 Depth 2
	v_cmp_ne_u16_sdwa s[24:25], v22, v46 src0_sel:BYTE_0 src1_sel:DWORD
	v_mov_b32_e32 v18, v21
	s_cmp_lg_u64 s[24:25], exec
	s_mov_b64 s[24:25], -1
                                        ; implicit-def: $vgpr21
                                        ; implicit-def: $vgpr22
	s_cbranch_scc1 .LBB408_75
; %bb.77:                               ;   in Loop: Header=BB408_76 Depth=1
	v_lshlrev_b64 v[21:22], 3, v[19:20]
	v_mov_b32_e32 v26, s23
	v_add_co_u32_e32 v25, vcc, s22, v21
	v_addc_co_u32_e32 v26, vcc, v26, v22, vcc
	global_load_dwordx2 v[21:22], v[25:26], off glc
	s_waitcnt vmcnt(0)
	v_cmp_eq_u16_sdwa s[26:27], v22, v20 src0_sel:BYTE_0 src1_sel:DWORD
	s_and_saveexec_b64 s[24:25], s[26:27]
	s_cbranch_execz .LBB408_74
; %bb.78:                               ;   in Loop: Header=BB408_76 Depth=1
	s_mov_b64 s[26:27], 0
.LBB408_79:                             ;   Parent Loop BB408_76 Depth=1
                                        ; =>  This Inner Loop Header: Depth=2
	global_load_dwordx2 v[21:22], v[25:26], off glc
	s_waitcnt vmcnt(0)
	v_cmp_ne_u16_sdwa s[28:29], v22, v20 src0_sel:BYTE_0 src1_sel:DWORD
	s_or_b64 s[26:27], s[28:29], s[26:27]
	s_andn2_b64 exec, exec, s[26:27]
	s_cbranch_execnz .LBB408_79
; %bb.80:                               ;   in Loop: Header=BB408_76 Depth=1
	s_or_b64 exec, exec, s[26:27]
	s_branch .LBB408_74
.LBB408_81:
                                        ; implicit-def: $vgpr18
                                        ; implicit-def: $vgpr43
	s_load_dwordx2 s[4:5], s[4:5], 0x28
	s_cbranch_execnz .LBB408_87
	s_branch .LBB408_96
.LBB408_82:
	s_and_saveexec_b64 s[24:25], s[16:17]
	s_cbranch_execz .LBB408_84
; %bb.83:
	s_add_i32 s6, s6, 64
	s_mov_b32 s7, 0
	s_lshl_b64 s[6:7], s[6:7], 3
	s_add_u32 s6, s22, s6
	v_add_u32_e32 v19, v18, v17
	v_mov_b32_e32 v20, 2
	s_addc_u32 s7, s23, s7
	v_mov_b32_e32 v21, 0
	global_store_dwordx2 v21, v[19:20], s[6:7]
	ds_write_b64 v21, v[17:18] offset:16896
.LBB408_84:
	s_or_b64 exec, exec, s[24:25]
	v_cmp_eq_u32_e32 vcc, 0, v0
	s_and_b64 exec, exec, vcc
; %bb.85:
	v_mov_b32_e32 v17, 0
	ds_write_b32 v17, v18 offset:12
.LBB408_86:
	s_or_b64 exec, exec, s[20:21]
	v_mov_b32_e32 v17, 0
	s_waitcnt vmcnt(0) lgkmcnt(0)
	s_barrier
	ds_read_b32 v20, v17 offset:12
	s_waitcnt lgkmcnt(0)
	s_barrier
	ds_read_b64 v[17:18], v17 offset:16896
	v_cndmask_b32_e64 v19, v45, v43, s[16:17]
	v_cmp_ne_u32_e32 vcc, 0, v0
	v_cndmask_b32_e32 v19, 0, v19, vcc
	v_add_u32_e32 v43, v20, v19
	s_load_dwordx2 s[4:5], s[4:5], 0x28
	s_branch .LBB408_96
.LBB408_87:
	s_waitcnt lgkmcnt(0)
	v_mov_b32_dpp v17, v44 row_shr:1 row_mask:0xf bank_mask:0xf
	v_cndmask_b32_e64 v17, v17, 0, s[14:15]
	v_add_u32_e32 v17, v17, v44
	s_nop 1
	v_mov_b32_dpp v18, v17 row_shr:2 row_mask:0xf bank_mask:0xf
	v_cndmask_b32_e64 v18, 0, v18, s[12:13]
	v_add_u32_e32 v17, v17, v18
	s_nop 1
	;; [unrolled: 4-line block ×4, first 2 shown]
	v_mov_b32_dpp v18, v17 row_bcast:15 row_mask:0xf bank_mask:0xf
	v_cndmask_b32_e64 v18, v18, 0, s[18:19]
	v_add_u32_e32 v17, v17, v18
	s_nop 1
	v_mov_b32_dpp v18, v17 row_bcast:31 row_mask:0xf bank_mask:0xf
	v_cndmask_b32_e64 v18, 0, v18, s[0:1]
	v_add_u32_e32 v17, v17, v18
	s_and_saveexec_b64 s[0:1], s[2:3]
; %bb.88:
	v_lshlrev_b32_e32 v18, 2, v42
	ds_write_b32 v18, v17
; %bb.89:
	s_or_b64 exec, exec, s[0:1]
	v_cmp_gt_u32_e32 vcc, 4, v0
	s_waitcnt lgkmcnt(0)
	s_barrier
	s_and_saveexec_b64 s[0:1], vcc
	s_cbranch_execz .LBB408_91
; %bb.90:
	v_lshlrev_b32_e32 v18, 2, v0
	ds_read_b32 v19, v18
	v_and_b32_e32 v20, 3, v41
	v_cmp_ne_u32_e32 vcc, 0, v20
	s_waitcnt lgkmcnt(0)
	v_mov_b32_dpp v21, v19 row_shr:1 row_mask:0xf bank_mask:0xf
	v_cndmask_b32_e32 v21, 0, v21, vcc
	v_add_u32_e32 v19, v21, v19
	v_cmp_lt_u32_e32 vcc, 1, v20
	s_nop 0
	v_mov_b32_dpp v21, v19 row_shr:2 row_mask:0xf bank_mask:0xf
	v_cndmask_b32_e32 v20, 0, v21, vcc
	v_add_u32_e32 v19, v19, v20
	ds_write_b32 v18, v19
.LBB408_91:
	s_or_b64 exec, exec, s[0:1]
	v_cmp_lt_u32_e32 vcc, 63, v0
	v_mov_b32_e32 v18, 0
	v_mov_b32_e32 v19, 0
	s_waitcnt lgkmcnt(0)
	s_barrier
	s_and_saveexec_b64 s[0:1], vcc
; %bb.92:
	v_lshl_add_u32 v19, v42, 2, -4
	ds_read_b32 v19, v19
; %bb.93:
	s_or_b64 exec, exec, s[0:1]
	v_subrev_co_u32_e32 v20, vcc, 1, v41
	v_and_b32_e32 v21, 64, v41
	v_cmp_lt_i32_e64 s[0:1], v20, v21
	v_cndmask_b32_e64 v20, v20, v41, s[0:1]
	s_waitcnt lgkmcnt(0)
	v_add_u32_e32 v17, v19, v17
	v_lshlrev_b32_e32 v20, 2, v20
	ds_bpermute_b32 v20, v20, v17
	ds_read_b32 v17, v18 offset:12
	v_cmp_eq_u32_e64 s[0:1], 0, v0
	s_and_saveexec_b64 s[2:3], s[0:1]
	s_cbranch_execz .LBB408_95
; %bb.94:
	v_mov_b32_e32 v21, 0
	v_mov_b32_e32 v18, 2
	s_waitcnt lgkmcnt(0)
	global_store_dwordx2 v21, v[17:18], s[22:23] offset:512
.LBB408_95:
	s_or_b64 exec, exec, s[2:3]
	s_waitcnt lgkmcnt(1)
	v_cndmask_b32_e32 v18, v20, v19, vcc
	v_cndmask_b32_e64 v43, v18, 0, s[0:1]
	s_waitcnt vmcnt(0) lgkmcnt(0)
	s_barrier
	v_mov_b32_e32 v18, 0
.LBB408_96:
	v_add_u32_e32 v49, v43, v31
	v_add_u32_e32 v47, v49, v33
	;; [unrolled: 1-line block ×5, first 2 shown]
	v_add_u32_sdwa v37, v39, v61 dst_sel:DWORD dst_unused:UNUSED_PAD src0_sel:DWORD src1_sel:BYTE_0
	v_add_u32_sdwa v35, v37, v60 dst_sel:DWORD dst_unused:UNUSED_PAD src0_sel:DWORD src1_sel:BYTE_0
	v_add_u32_e32 v33, v35, v27
	v_add_u32_e32 v31, v33, v29
	;; [unrolled: 1-line block ×6, first 2 shown]
	s_movk_i32 s2, 0x101
	v_add_u32_e32 v21, v23, v38
	s_waitcnt lgkmcnt(0)
	v_cmp_gt_u32_e32 vcc, s2, v17
	v_add_u32_e32 v19, v21, v40
	s_mov_b64 s[0:1], -1
	v_and_b32_e32 v66, 1, v28
	s_cbranch_vccnz .LBB408_100
; %bb.97:
	s_and_b64 vcc, exec, s[0:1]
	s_cbranch_vccnz .LBB408_133
.LBB408_98:
	v_cmp_eq_u32_e32 vcc, 0, v0
	s_and_b64 s[0:1], vcc, s[40:41]
	s_and_saveexec_b64 s[2:3], s[0:1]
	s_cbranch_execnz .LBB408_169
.LBB408_99:
	s_endpgm
.LBB408_100:
	v_add_u32_e32 v20, v18, v17
	s_lshl_b64 s[0:1], s[38:39], 2
	s_add_u32 s2, s4, s0
	v_cmp_lt_u32_e32 vcc, v43, v20
	s_addc_u32 s3, s5, s1
	s_or_b64 s[0:1], s[42:43], vcc
	v_cmp_eq_u32_e32 vcc, 1, v66
	s_and_b64 s[6:7], s[0:1], vcc
	s_and_saveexec_b64 s[0:1], s[6:7]
	s_cbranch_execz .LBB408_102
; %bb.101:
	v_mov_b32_e32 v44, 0
	v_lshlrev_b64 v[67:68], 2, v[43:44]
	v_mov_b32_e32 v22, s3
	v_add_co_u32_e32 v67, vcc, s2, v67
	v_addc_co_u32_e32 v68, vcc, v22, v68, vcc
	global_store_dword v[67:68], v15, off
.LBB408_102:
	s_or_b64 exec, exec, s[0:1]
	v_cmp_lt_u32_e32 vcc, v49, v20
	v_and_b32_e32 v22, 1, v65
	s_or_b64 s[0:1], s[42:43], vcc
	v_cmp_eq_u32_e32 vcc, 1, v22
	s_and_b64 s[6:7], s[0:1], vcc
	s_and_saveexec_b64 s[0:1], s[6:7]
	s_cbranch_execz .LBB408_104
; %bb.103:
	v_mov_b32_e32 v50, 0
	v_lshlrev_b64 v[67:68], 2, v[49:50]
	v_mov_b32_e32 v22, s3
	v_add_co_u32_e32 v67, vcc, s2, v67
	v_addc_co_u32_e32 v68, vcc, v22, v68, vcc
	global_store_dword v[67:68], v16, off
.LBB408_104:
	s_or_b64 exec, exec, s[0:1]
	v_cmp_lt_u32_e32 vcc, v47, v20
	v_and_b32_e32 v22, 1, v64
	;; [unrolled: 16-line block ×15, first 2 shown]
	s_or_b64 s[0:1], s[42:43], vcc
	v_cmp_eq_u32_e32 vcc, 1, v20
	s_and_b64 s[6:7], s[0:1], vcc
	s_and_saveexec_b64 s[0:1], s[6:7]
	s_cbranch_execz .LBB408_132
; %bb.131:
	v_mov_b32_e32 v20, 0
	v_lshlrev_b64 v[67:68], 2, v[19:20]
	v_mov_b32_e32 v20, s3
	v_add_co_u32_e32 v67, vcc, s2, v67
	v_addc_co_u32_e32 v68, vcc, v20, v68, vcc
	global_store_dword v[67:68], v2, off
.LBB408_132:
	s_or_b64 exec, exec, s[0:1]
	s_branch .LBB408_98
.LBB408_133:
	v_cmp_eq_u32_e32 vcc, 1, v66
	s_and_saveexec_b64 s[0:1], vcc
; %bb.134:
	v_sub_u32_e32 v20, v43, v18
	v_lshlrev_b32_e32 v20, 2, v20
	ds_write_b32 v20, v15
; %bb.135:
	s_or_b64 exec, exec, s[0:1]
	v_and_b32_e32 v15, 1, v65
	v_cmp_eq_u32_e32 vcc, 1, v15
	s_and_saveexec_b64 s[0:1], vcc
; %bb.136:
	v_sub_u32_e32 v15, v49, v18
	v_lshlrev_b32_e32 v15, 2, v15
	ds_write_b32 v15, v16
; %bb.137:
	s_or_b64 exec, exec, s[0:1]
	v_and_b32_e32 v15, 1, v64
	;; [unrolled: 9-line block ×15, first 2 shown]
	v_cmp_eq_u32_e32 vcc, 1, v1
	s_and_saveexec_b64 s[0:1], vcc
; %bb.164:
	v_sub_u32_e32 v1, v19, v18
	v_lshlrev_b32_e32 v1, 2, v1
	ds_write_b32 v1, v2
; %bb.165:
	s_or_b64 exec, exec, s[0:1]
	v_cmp_lt_u32_e32 vcc, v0, v17
	s_waitcnt vmcnt(0) lgkmcnt(0)
	s_barrier
	s_and_saveexec_b64 s[2:3], vcc
	s_cbranch_execz .LBB408_168
; %bb.166:
	v_mov_b32_e32 v2, 0
	v_mov_b32_e32 v1, v18
	s_lshl_b64 s[0:1], s[38:39], 2
	s_add_u32 s0, s4, s0
	v_lshlrev_b64 v[3:4], 2, v[1:2]
	s_addc_u32 s1, s5, s1
	v_mov_b32_e32 v1, s1
	v_add_co_u32_e32 v3, vcc, s0, v3
	v_addc_co_u32_e32 v4, vcc, v1, v4, vcc
	v_lshlrev_b32_e32 v5, 2, v0
	s_mov_b64 s[4:5], 0
	v_mov_b32_e32 v1, v0
.LBB408_167:                            ; =>This Inner Loop Header: Depth=1
	ds_read_b32 v8, v5
	v_lshlrev_b64 v[6:7], 2, v[1:2]
	v_add_u32_e32 v1, 0x100, v1
	v_cmp_ge_u32_e32 vcc, v1, v17
	v_add_co_u32_e64 v6, s[0:1], v3, v6
	v_add_u32_e32 v5, 0x400, v5
	v_addc_co_u32_e64 v7, s[0:1], v4, v7, s[0:1]
	s_or_b64 s[4:5], vcc, s[4:5]
	s_waitcnt lgkmcnt(0)
	global_store_dword v[6:7], v8, off
	s_andn2_b64 exec, exec, s[4:5]
	s_cbranch_execnz .LBB408_167
.LBB408_168:
	s_or_b64 exec, exec, s[2:3]
	v_cmp_eq_u32_e32 vcc, 0, v0
	s_and_b64 s[0:1], vcc, s[40:41]
	s_and_saveexec_b64 s[2:3], s[0:1]
	s_cbranch_execz .LBB408_99
.LBB408_169:
	v_mov_b32_e32 v0, s39
	v_add_co_u32_e32 v1, vcc, s38, v17
	v_addc_co_u32_e32 v3, vcc, 0, v0, vcc
	v_add_co_u32_e32 v0, vcc, v1, v18
	v_mov_b32_e32 v2, 0
	v_addc_co_u32_e32 v1, vcc, 0, v3, vcc
	global_store_dwordx2 v2, v[0:1], s[36:37]
	s_endpgm
	.section	.rodata,"a",@progbits
	.p2align	6, 0x0
	.amdhsa_kernel _ZN7rocprim17ROCPRIM_400000_NS6detail17trampoline_kernelINS0_14default_configENS1_25partition_config_selectorILNS1_17partition_subalgoE8EiNS0_10empty_typeEbEEZZNS1_14partition_implILS5_8ELb0ES3_jN6thrust23THRUST_200600_302600_NS6detail15normal_iteratorINSA_10device_ptrIiEEEEPS6_PKS6_NS0_5tupleIJSF_S6_EEENSJ_IJSG_SG_EEENS0_18inequality_wrapperINSA_8equal_toIiEEEEPmJS6_EEE10hipError_tPvRmT3_T4_T5_T6_T7_T9_mT8_P12ihipStream_tbDpT10_ENKUlT_T0_E_clISt17integral_constantIbLb0EES1A_EEDaS15_S16_EUlS15_E_NS1_11comp_targetILNS1_3genE2ELNS1_11target_archE906ELNS1_3gpuE6ELNS1_3repE0EEENS1_30default_config_static_selectorELNS0_4arch9wavefront6targetE1EEEvT1_
		.amdhsa_group_segment_fixed_size 16904
		.amdhsa_private_segment_fixed_size 0
		.amdhsa_kernarg_size 112
		.amdhsa_user_sgpr_count 6
		.amdhsa_user_sgpr_private_segment_buffer 1
		.amdhsa_user_sgpr_dispatch_ptr 0
		.amdhsa_user_sgpr_queue_ptr 0
		.amdhsa_user_sgpr_kernarg_segment_ptr 1
		.amdhsa_user_sgpr_dispatch_id 0
		.amdhsa_user_sgpr_flat_scratch_init 0
		.amdhsa_user_sgpr_private_segment_size 0
		.amdhsa_uses_dynamic_stack 0
		.amdhsa_system_sgpr_private_segment_wavefront_offset 0
		.amdhsa_system_sgpr_workgroup_id_x 1
		.amdhsa_system_sgpr_workgroup_id_y 0
		.amdhsa_system_sgpr_workgroup_id_z 0
		.amdhsa_system_sgpr_workgroup_info 0
		.amdhsa_system_vgpr_workitem_id 0
		.amdhsa_next_free_vgpr 75
		.amdhsa_next_free_sgpr 98
		.amdhsa_reserve_vcc 1
		.amdhsa_reserve_flat_scratch 0
		.amdhsa_float_round_mode_32 0
		.amdhsa_float_round_mode_16_64 0
		.amdhsa_float_denorm_mode_32 3
		.amdhsa_float_denorm_mode_16_64 3
		.amdhsa_dx10_clamp 1
		.amdhsa_ieee_mode 1
		.amdhsa_fp16_overflow 0
		.amdhsa_exception_fp_ieee_invalid_op 0
		.amdhsa_exception_fp_denorm_src 0
		.amdhsa_exception_fp_ieee_div_zero 0
		.amdhsa_exception_fp_ieee_overflow 0
		.amdhsa_exception_fp_ieee_underflow 0
		.amdhsa_exception_fp_ieee_inexact 0
		.amdhsa_exception_int_div_zero 0
	.end_amdhsa_kernel
	.section	.text._ZN7rocprim17ROCPRIM_400000_NS6detail17trampoline_kernelINS0_14default_configENS1_25partition_config_selectorILNS1_17partition_subalgoE8EiNS0_10empty_typeEbEEZZNS1_14partition_implILS5_8ELb0ES3_jN6thrust23THRUST_200600_302600_NS6detail15normal_iteratorINSA_10device_ptrIiEEEEPS6_PKS6_NS0_5tupleIJSF_S6_EEENSJ_IJSG_SG_EEENS0_18inequality_wrapperINSA_8equal_toIiEEEEPmJS6_EEE10hipError_tPvRmT3_T4_T5_T6_T7_T9_mT8_P12ihipStream_tbDpT10_ENKUlT_T0_E_clISt17integral_constantIbLb0EES1A_EEDaS15_S16_EUlS15_E_NS1_11comp_targetILNS1_3genE2ELNS1_11target_archE906ELNS1_3gpuE6ELNS1_3repE0EEENS1_30default_config_static_selectorELNS0_4arch9wavefront6targetE1EEEvT1_,"axG",@progbits,_ZN7rocprim17ROCPRIM_400000_NS6detail17trampoline_kernelINS0_14default_configENS1_25partition_config_selectorILNS1_17partition_subalgoE8EiNS0_10empty_typeEbEEZZNS1_14partition_implILS5_8ELb0ES3_jN6thrust23THRUST_200600_302600_NS6detail15normal_iteratorINSA_10device_ptrIiEEEEPS6_PKS6_NS0_5tupleIJSF_S6_EEENSJ_IJSG_SG_EEENS0_18inequality_wrapperINSA_8equal_toIiEEEEPmJS6_EEE10hipError_tPvRmT3_T4_T5_T6_T7_T9_mT8_P12ihipStream_tbDpT10_ENKUlT_T0_E_clISt17integral_constantIbLb0EES1A_EEDaS15_S16_EUlS15_E_NS1_11comp_targetILNS1_3genE2ELNS1_11target_archE906ELNS1_3gpuE6ELNS1_3repE0EEENS1_30default_config_static_selectorELNS0_4arch9wavefront6targetE1EEEvT1_,comdat
.Lfunc_end408:
	.size	_ZN7rocprim17ROCPRIM_400000_NS6detail17trampoline_kernelINS0_14default_configENS1_25partition_config_selectorILNS1_17partition_subalgoE8EiNS0_10empty_typeEbEEZZNS1_14partition_implILS5_8ELb0ES3_jN6thrust23THRUST_200600_302600_NS6detail15normal_iteratorINSA_10device_ptrIiEEEEPS6_PKS6_NS0_5tupleIJSF_S6_EEENSJ_IJSG_SG_EEENS0_18inequality_wrapperINSA_8equal_toIiEEEEPmJS6_EEE10hipError_tPvRmT3_T4_T5_T6_T7_T9_mT8_P12ihipStream_tbDpT10_ENKUlT_T0_E_clISt17integral_constantIbLb0EES1A_EEDaS15_S16_EUlS15_E_NS1_11comp_targetILNS1_3genE2ELNS1_11target_archE906ELNS1_3gpuE6ELNS1_3repE0EEENS1_30default_config_static_selectorELNS0_4arch9wavefront6targetE1EEEvT1_, .Lfunc_end408-_ZN7rocprim17ROCPRIM_400000_NS6detail17trampoline_kernelINS0_14default_configENS1_25partition_config_selectorILNS1_17partition_subalgoE8EiNS0_10empty_typeEbEEZZNS1_14partition_implILS5_8ELb0ES3_jN6thrust23THRUST_200600_302600_NS6detail15normal_iteratorINSA_10device_ptrIiEEEEPS6_PKS6_NS0_5tupleIJSF_S6_EEENSJ_IJSG_SG_EEENS0_18inequality_wrapperINSA_8equal_toIiEEEEPmJS6_EEE10hipError_tPvRmT3_T4_T5_T6_T7_T9_mT8_P12ihipStream_tbDpT10_ENKUlT_T0_E_clISt17integral_constantIbLb0EES1A_EEDaS15_S16_EUlS15_E_NS1_11comp_targetILNS1_3genE2ELNS1_11target_archE906ELNS1_3gpuE6ELNS1_3repE0EEENS1_30default_config_static_selectorELNS0_4arch9wavefront6targetE1EEEvT1_
                                        ; -- End function
	.set _ZN7rocprim17ROCPRIM_400000_NS6detail17trampoline_kernelINS0_14default_configENS1_25partition_config_selectorILNS1_17partition_subalgoE8EiNS0_10empty_typeEbEEZZNS1_14partition_implILS5_8ELb0ES3_jN6thrust23THRUST_200600_302600_NS6detail15normal_iteratorINSA_10device_ptrIiEEEEPS6_PKS6_NS0_5tupleIJSF_S6_EEENSJ_IJSG_SG_EEENS0_18inequality_wrapperINSA_8equal_toIiEEEEPmJS6_EEE10hipError_tPvRmT3_T4_T5_T6_T7_T9_mT8_P12ihipStream_tbDpT10_ENKUlT_T0_E_clISt17integral_constantIbLb0EES1A_EEDaS15_S16_EUlS15_E_NS1_11comp_targetILNS1_3genE2ELNS1_11target_archE906ELNS1_3gpuE6ELNS1_3repE0EEENS1_30default_config_static_selectorELNS0_4arch9wavefront6targetE1EEEvT1_.num_vgpr, 75
	.set _ZN7rocprim17ROCPRIM_400000_NS6detail17trampoline_kernelINS0_14default_configENS1_25partition_config_selectorILNS1_17partition_subalgoE8EiNS0_10empty_typeEbEEZZNS1_14partition_implILS5_8ELb0ES3_jN6thrust23THRUST_200600_302600_NS6detail15normal_iteratorINSA_10device_ptrIiEEEEPS6_PKS6_NS0_5tupleIJSF_S6_EEENSJ_IJSG_SG_EEENS0_18inequality_wrapperINSA_8equal_toIiEEEEPmJS6_EEE10hipError_tPvRmT3_T4_T5_T6_T7_T9_mT8_P12ihipStream_tbDpT10_ENKUlT_T0_E_clISt17integral_constantIbLb0EES1A_EEDaS15_S16_EUlS15_E_NS1_11comp_targetILNS1_3genE2ELNS1_11target_archE906ELNS1_3gpuE6ELNS1_3repE0EEENS1_30default_config_static_selectorELNS0_4arch9wavefront6targetE1EEEvT1_.num_agpr, 0
	.set _ZN7rocprim17ROCPRIM_400000_NS6detail17trampoline_kernelINS0_14default_configENS1_25partition_config_selectorILNS1_17partition_subalgoE8EiNS0_10empty_typeEbEEZZNS1_14partition_implILS5_8ELb0ES3_jN6thrust23THRUST_200600_302600_NS6detail15normal_iteratorINSA_10device_ptrIiEEEEPS6_PKS6_NS0_5tupleIJSF_S6_EEENSJ_IJSG_SG_EEENS0_18inequality_wrapperINSA_8equal_toIiEEEEPmJS6_EEE10hipError_tPvRmT3_T4_T5_T6_T7_T9_mT8_P12ihipStream_tbDpT10_ENKUlT_T0_E_clISt17integral_constantIbLb0EES1A_EEDaS15_S16_EUlS15_E_NS1_11comp_targetILNS1_3genE2ELNS1_11target_archE906ELNS1_3gpuE6ELNS1_3repE0EEENS1_30default_config_static_selectorELNS0_4arch9wavefront6targetE1EEEvT1_.numbered_sgpr, 56
	.set _ZN7rocprim17ROCPRIM_400000_NS6detail17trampoline_kernelINS0_14default_configENS1_25partition_config_selectorILNS1_17partition_subalgoE8EiNS0_10empty_typeEbEEZZNS1_14partition_implILS5_8ELb0ES3_jN6thrust23THRUST_200600_302600_NS6detail15normal_iteratorINSA_10device_ptrIiEEEEPS6_PKS6_NS0_5tupleIJSF_S6_EEENSJ_IJSG_SG_EEENS0_18inequality_wrapperINSA_8equal_toIiEEEEPmJS6_EEE10hipError_tPvRmT3_T4_T5_T6_T7_T9_mT8_P12ihipStream_tbDpT10_ENKUlT_T0_E_clISt17integral_constantIbLb0EES1A_EEDaS15_S16_EUlS15_E_NS1_11comp_targetILNS1_3genE2ELNS1_11target_archE906ELNS1_3gpuE6ELNS1_3repE0EEENS1_30default_config_static_selectorELNS0_4arch9wavefront6targetE1EEEvT1_.num_named_barrier, 0
	.set _ZN7rocprim17ROCPRIM_400000_NS6detail17trampoline_kernelINS0_14default_configENS1_25partition_config_selectorILNS1_17partition_subalgoE8EiNS0_10empty_typeEbEEZZNS1_14partition_implILS5_8ELb0ES3_jN6thrust23THRUST_200600_302600_NS6detail15normal_iteratorINSA_10device_ptrIiEEEEPS6_PKS6_NS0_5tupleIJSF_S6_EEENSJ_IJSG_SG_EEENS0_18inequality_wrapperINSA_8equal_toIiEEEEPmJS6_EEE10hipError_tPvRmT3_T4_T5_T6_T7_T9_mT8_P12ihipStream_tbDpT10_ENKUlT_T0_E_clISt17integral_constantIbLb0EES1A_EEDaS15_S16_EUlS15_E_NS1_11comp_targetILNS1_3genE2ELNS1_11target_archE906ELNS1_3gpuE6ELNS1_3repE0EEENS1_30default_config_static_selectorELNS0_4arch9wavefront6targetE1EEEvT1_.private_seg_size, 0
	.set _ZN7rocprim17ROCPRIM_400000_NS6detail17trampoline_kernelINS0_14default_configENS1_25partition_config_selectorILNS1_17partition_subalgoE8EiNS0_10empty_typeEbEEZZNS1_14partition_implILS5_8ELb0ES3_jN6thrust23THRUST_200600_302600_NS6detail15normal_iteratorINSA_10device_ptrIiEEEEPS6_PKS6_NS0_5tupleIJSF_S6_EEENSJ_IJSG_SG_EEENS0_18inequality_wrapperINSA_8equal_toIiEEEEPmJS6_EEE10hipError_tPvRmT3_T4_T5_T6_T7_T9_mT8_P12ihipStream_tbDpT10_ENKUlT_T0_E_clISt17integral_constantIbLb0EES1A_EEDaS15_S16_EUlS15_E_NS1_11comp_targetILNS1_3genE2ELNS1_11target_archE906ELNS1_3gpuE6ELNS1_3repE0EEENS1_30default_config_static_selectorELNS0_4arch9wavefront6targetE1EEEvT1_.uses_vcc, 1
	.set _ZN7rocprim17ROCPRIM_400000_NS6detail17trampoline_kernelINS0_14default_configENS1_25partition_config_selectorILNS1_17partition_subalgoE8EiNS0_10empty_typeEbEEZZNS1_14partition_implILS5_8ELb0ES3_jN6thrust23THRUST_200600_302600_NS6detail15normal_iteratorINSA_10device_ptrIiEEEEPS6_PKS6_NS0_5tupleIJSF_S6_EEENSJ_IJSG_SG_EEENS0_18inequality_wrapperINSA_8equal_toIiEEEEPmJS6_EEE10hipError_tPvRmT3_T4_T5_T6_T7_T9_mT8_P12ihipStream_tbDpT10_ENKUlT_T0_E_clISt17integral_constantIbLb0EES1A_EEDaS15_S16_EUlS15_E_NS1_11comp_targetILNS1_3genE2ELNS1_11target_archE906ELNS1_3gpuE6ELNS1_3repE0EEENS1_30default_config_static_selectorELNS0_4arch9wavefront6targetE1EEEvT1_.uses_flat_scratch, 0
	.set _ZN7rocprim17ROCPRIM_400000_NS6detail17trampoline_kernelINS0_14default_configENS1_25partition_config_selectorILNS1_17partition_subalgoE8EiNS0_10empty_typeEbEEZZNS1_14partition_implILS5_8ELb0ES3_jN6thrust23THRUST_200600_302600_NS6detail15normal_iteratorINSA_10device_ptrIiEEEEPS6_PKS6_NS0_5tupleIJSF_S6_EEENSJ_IJSG_SG_EEENS0_18inequality_wrapperINSA_8equal_toIiEEEEPmJS6_EEE10hipError_tPvRmT3_T4_T5_T6_T7_T9_mT8_P12ihipStream_tbDpT10_ENKUlT_T0_E_clISt17integral_constantIbLb0EES1A_EEDaS15_S16_EUlS15_E_NS1_11comp_targetILNS1_3genE2ELNS1_11target_archE906ELNS1_3gpuE6ELNS1_3repE0EEENS1_30default_config_static_selectorELNS0_4arch9wavefront6targetE1EEEvT1_.has_dyn_sized_stack, 0
	.set _ZN7rocprim17ROCPRIM_400000_NS6detail17trampoline_kernelINS0_14default_configENS1_25partition_config_selectorILNS1_17partition_subalgoE8EiNS0_10empty_typeEbEEZZNS1_14partition_implILS5_8ELb0ES3_jN6thrust23THRUST_200600_302600_NS6detail15normal_iteratorINSA_10device_ptrIiEEEEPS6_PKS6_NS0_5tupleIJSF_S6_EEENSJ_IJSG_SG_EEENS0_18inequality_wrapperINSA_8equal_toIiEEEEPmJS6_EEE10hipError_tPvRmT3_T4_T5_T6_T7_T9_mT8_P12ihipStream_tbDpT10_ENKUlT_T0_E_clISt17integral_constantIbLb0EES1A_EEDaS15_S16_EUlS15_E_NS1_11comp_targetILNS1_3genE2ELNS1_11target_archE906ELNS1_3gpuE6ELNS1_3repE0EEENS1_30default_config_static_selectorELNS0_4arch9wavefront6targetE1EEEvT1_.has_recursion, 0
	.set _ZN7rocprim17ROCPRIM_400000_NS6detail17trampoline_kernelINS0_14default_configENS1_25partition_config_selectorILNS1_17partition_subalgoE8EiNS0_10empty_typeEbEEZZNS1_14partition_implILS5_8ELb0ES3_jN6thrust23THRUST_200600_302600_NS6detail15normal_iteratorINSA_10device_ptrIiEEEEPS6_PKS6_NS0_5tupleIJSF_S6_EEENSJ_IJSG_SG_EEENS0_18inequality_wrapperINSA_8equal_toIiEEEEPmJS6_EEE10hipError_tPvRmT3_T4_T5_T6_T7_T9_mT8_P12ihipStream_tbDpT10_ENKUlT_T0_E_clISt17integral_constantIbLb0EES1A_EEDaS15_S16_EUlS15_E_NS1_11comp_targetILNS1_3genE2ELNS1_11target_archE906ELNS1_3gpuE6ELNS1_3repE0EEENS1_30default_config_static_selectorELNS0_4arch9wavefront6targetE1EEEvT1_.has_indirect_call, 0
	.section	.AMDGPU.csdata,"",@progbits
; Kernel info:
; codeLenInByte = 8048
; TotalNumSgprs: 60
; NumVgprs: 75
; ScratchSize: 0
; MemoryBound: 0
; FloatMode: 240
; IeeeMode: 1
; LDSByteSize: 16904 bytes/workgroup (compile time only)
; SGPRBlocks: 12
; VGPRBlocks: 18
; NumSGPRsForWavesPerEU: 102
; NumVGPRsForWavesPerEU: 75
; Occupancy: 3
; WaveLimiterHint : 1
; COMPUTE_PGM_RSRC2:SCRATCH_EN: 0
; COMPUTE_PGM_RSRC2:USER_SGPR: 6
; COMPUTE_PGM_RSRC2:TRAP_HANDLER: 0
; COMPUTE_PGM_RSRC2:TGID_X_EN: 1
; COMPUTE_PGM_RSRC2:TGID_Y_EN: 0
; COMPUTE_PGM_RSRC2:TGID_Z_EN: 0
; COMPUTE_PGM_RSRC2:TIDIG_COMP_CNT: 0
	.section	.text._ZN7rocprim17ROCPRIM_400000_NS6detail17trampoline_kernelINS0_14default_configENS1_25partition_config_selectorILNS1_17partition_subalgoE8EiNS0_10empty_typeEbEEZZNS1_14partition_implILS5_8ELb0ES3_jN6thrust23THRUST_200600_302600_NS6detail15normal_iteratorINSA_10device_ptrIiEEEEPS6_PKS6_NS0_5tupleIJSF_S6_EEENSJ_IJSG_SG_EEENS0_18inequality_wrapperINSA_8equal_toIiEEEEPmJS6_EEE10hipError_tPvRmT3_T4_T5_T6_T7_T9_mT8_P12ihipStream_tbDpT10_ENKUlT_T0_E_clISt17integral_constantIbLb0EES1A_EEDaS15_S16_EUlS15_E_NS1_11comp_targetILNS1_3genE10ELNS1_11target_archE1200ELNS1_3gpuE4ELNS1_3repE0EEENS1_30default_config_static_selectorELNS0_4arch9wavefront6targetE1EEEvT1_,"axG",@progbits,_ZN7rocprim17ROCPRIM_400000_NS6detail17trampoline_kernelINS0_14default_configENS1_25partition_config_selectorILNS1_17partition_subalgoE8EiNS0_10empty_typeEbEEZZNS1_14partition_implILS5_8ELb0ES3_jN6thrust23THRUST_200600_302600_NS6detail15normal_iteratorINSA_10device_ptrIiEEEEPS6_PKS6_NS0_5tupleIJSF_S6_EEENSJ_IJSG_SG_EEENS0_18inequality_wrapperINSA_8equal_toIiEEEEPmJS6_EEE10hipError_tPvRmT3_T4_T5_T6_T7_T9_mT8_P12ihipStream_tbDpT10_ENKUlT_T0_E_clISt17integral_constantIbLb0EES1A_EEDaS15_S16_EUlS15_E_NS1_11comp_targetILNS1_3genE10ELNS1_11target_archE1200ELNS1_3gpuE4ELNS1_3repE0EEENS1_30default_config_static_selectorELNS0_4arch9wavefront6targetE1EEEvT1_,comdat
	.protected	_ZN7rocprim17ROCPRIM_400000_NS6detail17trampoline_kernelINS0_14default_configENS1_25partition_config_selectorILNS1_17partition_subalgoE8EiNS0_10empty_typeEbEEZZNS1_14partition_implILS5_8ELb0ES3_jN6thrust23THRUST_200600_302600_NS6detail15normal_iteratorINSA_10device_ptrIiEEEEPS6_PKS6_NS0_5tupleIJSF_S6_EEENSJ_IJSG_SG_EEENS0_18inequality_wrapperINSA_8equal_toIiEEEEPmJS6_EEE10hipError_tPvRmT3_T4_T5_T6_T7_T9_mT8_P12ihipStream_tbDpT10_ENKUlT_T0_E_clISt17integral_constantIbLb0EES1A_EEDaS15_S16_EUlS15_E_NS1_11comp_targetILNS1_3genE10ELNS1_11target_archE1200ELNS1_3gpuE4ELNS1_3repE0EEENS1_30default_config_static_selectorELNS0_4arch9wavefront6targetE1EEEvT1_ ; -- Begin function _ZN7rocprim17ROCPRIM_400000_NS6detail17trampoline_kernelINS0_14default_configENS1_25partition_config_selectorILNS1_17partition_subalgoE8EiNS0_10empty_typeEbEEZZNS1_14partition_implILS5_8ELb0ES3_jN6thrust23THRUST_200600_302600_NS6detail15normal_iteratorINSA_10device_ptrIiEEEEPS6_PKS6_NS0_5tupleIJSF_S6_EEENSJ_IJSG_SG_EEENS0_18inequality_wrapperINSA_8equal_toIiEEEEPmJS6_EEE10hipError_tPvRmT3_T4_T5_T6_T7_T9_mT8_P12ihipStream_tbDpT10_ENKUlT_T0_E_clISt17integral_constantIbLb0EES1A_EEDaS15_S16_EUlS15_E_NS1_11comp_targetILNS1_3genE10ELNS1_11target_archE1200ELNS1_3gpuE4ELNS1_3repE0EEENS1_30default_config_static_selectorELNS0_4arch9wavefront6targetE1EEEvT1_
	.globl	_ZN7rocprim17ROCPRIM_400000_NS6detail17trampoline_kernelINS0_14default_configENS1_25partition_config_selectorILNS1_17partition_subalgoE8EiNS0_10empty_typeEbEEZZNS1_14partition_implILS5_8ELb0ES3_jN6thrust23THRUST_200600_302600_NS6detail15normal_iteratorINSA_10device_ptrIiEEEEPS6_PKS6_NS0_5tupleIJSF_S6_EEENSJ_IJSG_SG_EEENS0_18inequality_wrapperINSA_8equal_toIiEEEEPmJS6_EEE10hipError_tPvRmT3_T4_T5_T6_T7_T9_mT8_P12ihipStream_tbDpT10_ENKUlT_T0_E_clISt17integral_constantIbLb0EES1A_EEDaS15_S16_EUlS15_E_NS1_11comp_targetILNS1_3genE10ELNS1_11target_archE1200ELNS1_3gpuE4ELNS1_3repE0EEENS1_30default_config_static_selectorELNS0_4arch9wavefront6targetE1EEEvT1_
	.p2align	8
	.type	_ZN7rocprim17ROCPRIM_400000_NS6detail17trampoline_kernelINS0_14default_configENS1_25partition_config_selectorILNS1_17partition_subalgoE8EiNS0_10empty_typeEbEEZZNS1_14partition_implILS5_8ELb0ES3_jN6thrust23THRUST_200600_302600_NS6detail15normal_iteratorINSA_10device_ptrIiEEEEPS6_PKS6_NS0_5tupleIJSF_S6_EEENSJ_IJSG_SG_EEENS0_18inequality_wrapperINSA_8equal_toIiEEEEPmJS6_EEE10hipError_tPvRmT3_T4_T5_T6_T7_T9_mT8_P12ihipStream_tbDpT10_ENKUlT_T0_E_clISt17integral_constantIbLb0EES1A_EEDaS15_S16_EUlS15_E_NS1_11comp_targetILNS1_3genE10ELNS1_11target_archE1200ELNS1_3gpuE4ELNS1_3repE0EEENS1_30default_config_static_selectorELNS0_4arch9wavefront6targetE1EEEvT1_,@function
_ZN7rocprim17ROCPRIM_400000_NS6detail17trampoline_kernelINS0_14default_configENS1_25partition_config_selectorILNS1_17partition_subalgoE8EiNS0_10empty_typeEbEEZZNS1_14partition_implILS5_8ELb0ES3_jN6thrust23THRUST_200600_302600_NS6detail15normal_iteratorINSA_10device_ptrIiEEEEPS6_PKS6_NS0_5tupleIJSF_S6_EEENSJ_IJSG_SG_EEENS0_18inequality_wrapperINSA_8equal_toIiEEEEPmJS6_EEE10hipError_tPvRmT3_T4_T5_T6_T7_T9_mT8_P12ihipStream_tbDpT10_ENKUlT_T0_E_clISt17integral_constantIbLb0EES1A_EEDaS15_S16_EUlS15_E_NS1_11comp_targetILNS1_3genE10ELNS1_11target_archE1200ELNS1_3gpuE4ELNS1_3repE0EEENS1_30default_config_static_selectorELNS0_4arch9wavefront6targetE1EEEvT1_: ; @_ZN7rocprim17ROCPRIM_400000_NS6detail17trampoline_kernelINS0_14default_configENS1_25partition_config_selectorILNS1_17partition_subalgoE8EiNS0_10empty_typeEbEEZZNS1_14partition_implILS5_8ELb0ES3_jN6thrust23THRUST_200600_302600_NS6detail15normal_iteratorINSA_10device_ptrIiEEEEPS6_PKS6_NS0_5tupleIJSF_S6_EEENSJ_IJSG_SG_EEENS0_18inequality_wrapperINSA_8equal_toIiEEEEPmJS6_EEE10hipError_tPvRmT3_T4_T5_T6_T7_T9_mT8_P12ihipStream_tbDpT10_ENKUlT_T0_E_clISt17integral_constantIbLb0EES1A_EEDaS15_S16_EUlS15_E_NS1_11comp_targetILNS1_3genE10ELNS1_11target_archE1200ELNS1_3gpuE4ELNS1_3repE0EEENS1_30default_config_static_selectorELNS0_4arch9wavefront6targetE1EEEvT1_
; %bb.0:
	.section	.rodata,"a",@progbits
	.p2align	6, 0x0
	.amdhsa_kernel _ZN7rocprim17ROCPRIM_400000_NS6detail17trampoline_kernelINS0_14default_configENS1_25partition_config_selectorILNS1_17partition_subalgoE8EiNS0_10empty_typeEbEEZZNS1_14partition_implILS5_8ELb0ES3_jN6thrust23THRUST_200600_302600_NS6detail15normal_iteratorINSA_10device_ptrIiEEEEPS6_PKS6_NS0_5tupleIJSF_S6_EEENSJ_IJSG_SG_EEENS0_18inequality_wrapperINSA_8equal_toIiEEEEPmJS6_EEE10hipError_tPvRmT3_T4_T5_T6_T7_T9_mT8_P12ihipStream_tbDpT10_ENKUlT_T0_E_clISt17integral_constantIbLb0EES1A_EEDaS15_S16_EUlS15_E_NS1_11comp_targetILNS1_3genE10ELNS1_11target_archE1200ELNS1_3gpuE4ELNS1_3repE0EEENS1_30default_config_static_selectorELNS0_4arch9wavefront6targetE1EEEvT1_
		.amdhsa_group_segment_fixed_size 0
		.amdhsa_private_segment_fixed_size 0
		.amdhsa_kernarg_size 112
		.amdhsa_user_sgpr_count 6
		.amdhsa_user_sgpr_private_segment_buffer 1
		.amdhsa_user_sgpr_dispatch_ptr 0
		.amdhsa_user_sgpr_queue_ptr 0
		.amdhsa_user_sgpr_kernarg_segment_ptr 1
		.amdhsa_user_sgpr_dispatch_id 0
		.amdhsa_user_sgpr_flat_scratch_init 0
		.amdhsa_user_sgpr_private_segment_size 0
		.amdhsa_uses_dynamic_stack 0
		.amdhsa_system_sgpr_private_segment_wavefront_offset 0
		.amdhsa_system_sgpr_workgroup_id_x 1
		.amdhsa_system_sgpr_workgroup_id_y 0
		.amdhsa_system_sgpr_workgroup_id_z 0
		.amdhsa_system_sgpr_workgroup_info 0
		.amdhsa_system_vgpr_workitem_id 0
		.amdhsa_next_free_vgpr 1
		.amdhsa_next_free_sgpr 0
		.amdhsa_reserve_vcc 0
		.amdhsa_reserve_flat_scratch 0
		.amdhsa_float_round_mode_32 0
		.amdhsa_float_round_mode_16_64 0
		.amdhsa_float_denorm_mode_32 3
		.amdhsa_float_denorm_mode_16_64 3
		.amdhsa_dx10_clamp 1
		.amdhsa_ieee_mode 1
		.amdhsa_fp16_overflow 0
		.amdhsa_exception_fp_ieee_invalid_op 0
		.amdhsa_exception_fp_denorm_src 0
		.amdhsa_exception_fp_ieee_div_zero 0
		.amdhsa_exception_fp_ieee_overflow 0
		.amdhsa_exception_fp_ieee_underflow 0
		.amdhsa_exception_fp_ieee_inexact 0
		.amdhsa_exception_int_div_zero 0
	.end_amdhsa_kernel
	.section	.text._ZN7rocprim17ROCPRIM_400000_NS6detail17trampoline_kernelINS0_14default_configENS1_25partition_config_selectorILNS1_17partition_subalgoE8EiNS0_10empty_typeEbEEZZNS1_14partition_implILS5_8ELb0ES3_jN6thrust23THRUST_200600_302600_NS6detail15normal_iteratorINSA_10device_ptrIiEEEEPS6_PKS6_NS0_5tupleIJSF_S6_EEENSJ_IJSG_SG_EEENS0_18inequality_wrapperINSA_8equal_toIiEEEEPmJS6_EEE10hipError_tPvRmT3_T4_T5_T6_T7_T9_mT8_P12ihipStream_tbDpT10_ENKUlT_T0_E_clISt17integral_constantIbLb0EES1A_EEDaS15_S16_EUlS15_E_NS1_11comp_targetILNS1_3genE10ELNS1_11target_archE1200ELNS1_3gpuE4ELNS1_3repE0EEENS1_30default_config_static_selectorELNS0_4arch9wavefront6targetE1EEEvT1_,"axG",@progbits,_ZN7rocprim17ROCPRIM_400000_NS6detail17trampoline_kernelINS0_14default_configENS1_25partition_config_selectorILNS1_17partition_subalgoE8EiNS0_10empty_typeEbEEZZNS1_14partition_implILS5_8ELb0ES3_jN6thrust23THRUST_200600_302600_NS6detail15normal_iteratorINSA_10device_ptrIiEEEEPS6_PKS6_NS0_5tupleIJSF_S6_EEENSJ_IJSG_SG_EEENS0_18inequality_wrapperINSA_8equal_toIiEEEEPmJS6_EEE10hipError_tPvRmT3_T4_T5_T6_T7_T9_mT8_P12ihipStream_tbDpT10_ENKUlT_T0_E_clISt17integral_constantIbLb0EES1A_EEDaS15_S16_EUlS15_E_NS1_11comp_targetILNS1_3genE10ELNS1_11target_archE1200ELNS1_3gpuE4ELNS1_3repE0EEENS1_30default_config_static_selectorELNS0_4arch9wavefront6targetE1EEEvT1_,comdat
.Lfunc_end409:
	.size	_ZN7rocprim17ROCPRIM_400000_NS6detail17trampoline_kernelINS0_14default_configENS1_25partition_config_selectorILNS1_17partition_subalgoE8EiNS0_10empty_typeEbEEZZNS1_14partition_implILS5_8ELb0ES3_jN6thrust23THRUST_200600_302600_NS6detail15normal_iteratorINSA_10device_ptrIiEEEEPS6_PKS6_NS0_5tupleIJSF_S6_EEENSJ_IJSG_SG_EEENS0_18inequality_wrapperINSA_8equal_toIiEEEEPmJS6_EEE10hipError_tPvRmT3_T4_T5_T6_T7_T9_mT8_P12ihipStream_tbDpT10_ENKUlT_T0_E_clISt17integral_constantIbLb0EES1A_EEDaS15_S16_EUlS15_E_NS1_11comp_targetILNS1_3genE10ELNS1_11target_archE1200ELNS1_3gpuE4ELNS1_3repE0EEENS1_30default_config_static_selectorELNS0_4arch9wavefront6targetE1EEEvT1_, .Lfunc_end409-_ZN7rocprim17ROCPRIM_400000_NS6detail17trampoline_kernelINS0_14default_configENS1_25partition_config_selectorILNS1_17partition_subalgoE8EiNS0_10empty_typeEbEEZZNS1_14partition_implILS5_8ELb0ES3_jN6thrust23THRUST_200600_302600_NS6detail15normal_iteratorINSA_10device_ptrIiEEEEPS6_PKS6_NS0_5tupleIJSF_S6_EEENSJ_IJSG_SG_EEENS0_18inequality_wrapperINSA_8equal_toIiEEEEPmJS6_EEE10hipError_tPvRmT3_T4_T5_T6_T7_T9_mT8_P12ihipStream_tbDpT10_ENKUlT_T0_E_clISt17integral_constantIbLb0EES1A_EEDaS15_S16_EUlS15_E_NS1_11comp_targetILNS1_3genE10ELNS1_11target_archE1200ELNS1_3gpuE4ELNS1_3repE0EEENS1_30default_config_static_selectorELNS0_4arch9wavefront6targetE1EEEvT1_
                                        ; -- End function
	.set _ZN7rocprim17ROCPRIM_400000_NS6detail17trampoline_kernelINS0_14default_configENS1_25partition_config_selectorILNS1_17partition_subalgoE8EiNS0_10empty_typeEbEEZZNS1_14partition_implILS5_8ELb0ES3_jN6thrust23THRUST_200600_302600_NS6detail15normal_iteratorINSA_10device_ptrIiEEEEPS6_PKS6_NS0_5tupleIJSF_S6_EEENSJ_IJSG_SG_EEENS0_18inequality_wrapperINSA_8equal_toIiEEEEPmJS6_EEE10hipError_tPvRmT3_T4_T5_T6_T7_T9_mT8_P12ihipStream_tbDpT10_ENKUlT_T0_E_clISt17integral_constantIbLb0EES1A_EEDaS15_S16_EUlS15_E_NS1_11comp_targetILNS1_3genE10ELNS1_11target_archE1200ELNS1_3gpuE4ELNS1_3repE0EEENS1_30default_config_static_selectorELNS0_4arch9wavefront6targetE1EEEvT1_.num_vgpr, 0
	.set _ZN7rocprim17ROCPRIM_400000_NS6detail17trampoline_kernelINS0_14default_configENS1_25partition_config_selectorILNS1_17partition_subalgoE8EiNS0_10empty_typeEbEEZZNS1_14partition_implILS5_8ELb0ES3_jN6thrust23THRUST_200600_302600_NS6detail15normal_iteratorINSA_10device_ptrIiEEEEPS6_PKS6_NS0_5tupleIJSF_S6_EEENSJ_IJSG_SG_EEENS0_18inequality_wrapperINSA_8equal_toIiEEEEPmJS6_EEE10hipError_tPvRmT3_T4_T5_T6_T7_T9_mT8_P12ihipStream_tbDpT10_ENKUlT_T0_E_clISt17integral_constantIbLb0EES1A_EEDaS15_S16_EUlS15_E_NS1_11comp_targetILNS1_3genE10ELNS1_11target_archE1200ELNS1_3gpuE4ELNS1_3repE0EEENS1_30default_config_static_selectorELNS0_4arch9wavefront6targetE1EEEvT1_.num_agpr, 0
	.set _ZN7rocprim17ROCPRIM_400000_NS6detail17trampoline_kernelINS0_14default_configENS1_25partition_config_selectorILNS1_17partition_subalgoE8EiNS0_10empty_typeEbEEZZNS1_14partition_implILS5_8ELb0ES3_jN6thrust23THRUST_200600_302600_NS6detail15normal_iteratorINSA_10device_ptrIiEEEEPS6_PKS6_NS0_5tupleIJSF_S6_EEENSJ_IJSG_SG_EEENS0_18inequality_wrapperINSA_8equal_toIiEEEEPmJS6_EEE10hipError_tPvRmT3_T4_T5_T6_T7_T9_mT8_P12ihipStream_tbDpT10_ENKUlT_T0_E_clISt17integral_constantIbLb0EES1A_EEDaS15_S16_EUlS15_E_NS1_11comp_targetILNS1_3genE10ELNS1_11target_archE1200ELNS1_3gpuE4ELNS1_3repE0EEENS1_30default_config_static_selectorELNS0_4arch9wavefront6targetE1EEEvT1_.numbered_sgpr, 0
	.set _ZN7rocprim17ROCPRIM_400000_NS6detail17trampoline_kernelINS0_14default_configENS1_25partition_config_selectorILNS1_17partition_subalgoE8EiNS0_10empty_typeEbEEZZNS1_14partition_implILS5_8ELb0ES3_jN6thrust23THRUST_200600_302600_NS6detail15normal_iteratorINSA_10device_ptrIiEEEEPS6_PKS6_NS0_5tupleIJSF_S6_EEENSJ_IJSG_SG_EEENS0_18inequality_wrapperINSA_8equal_toIiEEEEPmJS6_EEE10hipError_tPvRmT3_T4_T5_T6_T7_T9_mT8_P12ihipStream_tbDpT10_ENKUlT_T0_E_clISt17integral_constantIbLb0EES1A_EEDaS15_S16_EUlS15_E_NS1_11comp_targetILNS1_3genE10ELNS1_11target_archE1200ELNS1_3gpuE4ELNS1_3repE0EEENS1_30default_config_static_selectorELNS0_4arch9wavefront6targetE1EEEvT1_.num_named_barrier, 0
	.set _ZN7rocprim17ROCPRIM_400000_NS6detail17trampoline_kernelINS0_14default_configENS1_25partition_config_selectorILNS1_17partition_subalgoE8EiNS0_10empty_typeEbEEZZNS1_14partition_implILS5_8ELb0ES3_jN6thrust23THRUST_200600_302600_NS6detail15normal_iteratorINSA_10device_ptrIiEEEEPS6_PKS6_NS0_5tupleIJSF_S6_EEENSJ_IJSG_SG_EEENS0_18inequality_wrapperINSA_8equal_toIiEEEEPmJS6_EEE10hipError_tPvRmT3_T4_T5_T6_T7_T9_mT8_P12ihipStream_tbDpT10_ENKUlT_T0_E_clISt17integral_constantIbLb0EES1A_EEDaS15_S16_EUlS15_E_NS1_11comp_targetILNS1_3genE10ELNS1_11target_archE1200ELNS1_3gpuE4ELNS1_3repE0EEENS1_30default_config_static_selectorELNS0_4arch9wavefront6targetE1EEEvT1_.private_seg_size, 0
	.set _ZN7rocprim17ROCPRIM_400000_NS6detail17trampoline_kernelINS0_14default_configENS1_25partition_config_selectorILNS1_17partition_subalgoE8EiNS0_10empty_typeEbEEZZNS1_14partition_implILS5_8ELb0ES3_jN6thrust23THRUST_200600_302600_NS6detail15normal_iteratorINSA_10device_ptrIiEEEEPS6_PKS6_NS0_5tupleIJSF_S6_EEENSJ_IJSG_SG_EEENS0_18inequality_wrapperINSA_8equal_toIiEEEEPmJS6_EEE10hipError_tPvRmT3_T4_T5_T6_T7_T9_mT8_P12ihipStream_tbDpT10_ENKUlT_T0_E_clISt17integral_constantIbLb0EES1A_EEDaS15_S16_EUlS15_E_NS1_11comp_targetILNS1_3genE10ELNS1_11target_archE1200ELNS1_3gpuE4ELNS1_3repE0EEENS1_30default_config_static_selectorELNS0_4arch9wavefront6targetE1EEEvT1_.uses_vcc, 0
	.set _ZN7rocprim17ROCPRIM_400000_NS6detail17trampoline_kernelINS0_14default_configENS1_25partition_config_selectorILNS1_17partition_subalgoE8EiNS0_10empty_typeEbEEZZNS1_14partition_implILS5_8ELb0ES3_jN6thrust23THRUST_200600_302600_NS6detail15normal_iteratorINSA_10device_ptrIiEEEEPS6_PKS6_NS0_5tupleIJSF_S6_EEENSJ_IJSG_SG_EEENS0_18inequality_wrapperINSA_8equal_toIiEEEEPmJS6_EEE10hipError_tPvRmT3_T4_T5_T6_T7_T9_mT8_P12ihipStream_tbDpT10_ENKUlT_T0_E_clISt17integral_constantIbLb0EES1A_EEDaS15_S16_EUlS15_E_NS1_11comp_targetILNS1_3genE10ELNS1_11target_archE1200ELNS1_3gpuE4ELNS1_3repE0EEENS1_30default_config_static_selectorELNS0_4arch9wavefront6targetE1EEEvT1_.uses_flat_scratch, 0
	.set _ZN7rocprim17ROCPRIM_400000_NS6detail17trampoline_kernelINS0_14default_configENS1_25partition_config_selectorILNS1_17partition_subalgoE8EiNS0_10empty_typeEbEEZZNS1_14partition_implILS5_8ELb0ES3_jN6thrust23THRUST_200600_302600_NS6detail15normal_iteratorINSA_10device_ptrIiEEEEPS6_PKS6_NS0_5tupleIJSF_S6_EEENSJ_IJSG_SG_EEENS0_18inequality_wrapperINSA_8equal_toIiEEEEPmJS6_EEE10hipError_tPvRmT3_T4_T5_T6_T7_T9_mT8_P12ihipStream_tbDpT10_ENKUlT_T0_E_clISt17integral_constantIbLb0EES1A_EEDaS15_S16_EUlS15_E_NS1_11comp_targetILNS1_3genE10ELNS1_11target_archE1200ELNS1_3gpuE4ELNS1_3repE0EEENS1_30default_config_static_selectorELNS0_4arch9wavefront6targetE1EEEvT1_.has_dyn_sized_stack, 0
	.set _ZN7rocprim17ROCPRIM_400000_NS6detail17trampoline_kernelINS0_14default_configENS1_25partition_config_selectorILNS1_17partition_subalgoE8EiNS0_10empty_typeEbEEZZNS1_14partition_implILS5_8ELb0ES3_jN6thrust23THRUST_200600_302600_NS6detail15normal_iteratorINSA_10device_ptrIiEEEEPS6_PKS6_NS0_5tupleIJSF_S6_EEENSJ_IJSG_SG_EEENS0_18inequality_wrapperINSA_8equal_toIiEEEEPmJS6_EEE10hipError_tPvRmT3_T4_T5_T6_T7_T9_mT8_P12ihipStream_tbDpT10_ENKUlT_T0_E_clISt17integral_constantIbLb0EES1A_EEDaS15_S16_EUlS15_E_NS1_11comp_targetILNS1_3genE10ELNS1_11target_archE1200ELNS1_3gpuE4ELNS1_3repE0EEENS1_30default_config_static_selectorELNS0_4arch9wavefront6targetE1EEEvT1_.has_recursion, 0
	.set _ZN7rocprim17ROCPRIM_400000_NS6detail17trampoline_kernelINS0_14default_configENS1_25partition_config_selectorILNS1_17partition_subalgoE8EiNS0_10empty_typeEbEEZZNS1_14partition_implILS5_8ELb0ES3_jN6thrust23THRUST_200600_302600_NS6detail15normal_iteratorINSA_10device_ptrIiEEEEPS6_PKS6_NS0_5tupleIJSF_S6_EEENSJ_IJSG_SG_EEENS0_18inequality_wrapperINSA_8equal_toIiEEEEPmJS6_EEE10hipError_tPvRmT3_T4_T5_T6_T7_T9_mT8_P12ihipStream_tbDpT10_ENKUlT_T0_E_clISt17integral_constantIbLb0EES1A_EEDaS15_S16_EUlS15_E_NS1_11comp_targetILNS1_3genE10ELNS1_11target_archE1200ELNS1_3gpuE4ELNS1_3repE0EEENS1_30default_config_static_selectorELNS0_4arch9wavefront6targetE1EEEvT1_.has_indirect_call, 0
	.section	.AMDGPU.csdata,"",@progbits
; Kernel info:
; codeLenInByte = 0
; TotalNumSgprs: 4
; NumVgprs: 0
; ScratchSize: 0
; MemoryBound: 0
; FloatMode: 240
; IeeeMode: 1
; LDSByteSize: 0 bytes/workgroup (compile time only)
; SGPRBlocks: 0
; VGPRBlocks: 0
; NumSGPRsForWavesPerEU: 4
; NumVGPRsForWavesPerEU: 1
; Occupancy: 10
; WaveLimiterHint : 0
; COMPUTE_PGM_RSRC2:SCRATCH_EN: 0
; COMPUTE_PGM_RSRC2:USER_SGPR: 6
; COMPUTE_PGM_RSRC2:TRAP_HANDLER: 0
; COMPUTE_PGM_RSRC2:TGID_X_EN: 1
; COMPUTE_PGM_RSRC2:TGID_Y_EN: 0
; COMPUTE_PGM_RSRC2:TGID_Z_EN: 0
; COMPUTE_PGM_RSRC2:TIDIG_COMP_CNT: 0
	.section	.text._ZN7rocprim17ROCPRIM_400000_NS6detail17trampoline_kernelINS0_14default_configENS1_25partition_config_selectorILNS1_17partition_subalgoE8EiNS0_10empty_typeEbEEZZNS1_14partition_implILS5_8ELb0ES3_jN6thrust23THRUST_200600_302600_NS6detail15normal_iteratorINSA_10device_ptrIiEEEEPS6_PKS6_NS0_5tupleIJSF_S6_EEENSJ_IJSG_SG_EEENS0_18inequality_wrapperINSA_8equal_toIiEEEEPmJS6_EEE10hipError_tPvRmT3_T4_T5_T6_T7_T9_mT8_P12ihipStream_tbDpT10_ENKUlT_T0_E_clISt17integral_constantIbLb0EES1A_EEDaS15_S16_EUlS15_E_NS1_11comp_targetILNS1_3genE9ELNS1_11target_archE1100ELNS1_3gpuE3ELNS1_3repE0EEENS1_30default_config_static_selectorELNS0_4arch9wavefront6targetE1EEEvT1_,"axG",@progbits,_ZN7rocprim17ROCPRIM_400000_NS6detail17trampoline_kernelINS0_14default_configENS1_25partition_config_selectorILNS1_17partition_subalgoE8EiNS0_10empty_typeEbEEZZNS1_14partition_implILS5_8ELb0ES3_jN6thrust23THRUST_200600_302600_NS6detail15normal_iteratorINSA_10device_ptrIiEEEEPS6_PKS6_NS0_5tupleIJSF_S6_EEENSJ_IJSG_SG_EEENS0_18inequality_wrapperINSA_8equal_toIiEEEEPmJS6_EEE10hipError_tPvRmT3_T4_T5_T6_T7_T9_mT8_P12ihipStream_tbDpT10_ENKUlT_T0_E_clISt17integral_constantIbLb0EES1A_EEDaS15_S16_EUlS15_E_NS1_11comp_targetILNS1_3genE9ELNS1_11target_archE1100ELNS1_3gpuE3ELNS1_3repE0EEENS1_30default_config_static_selectorELNS0_4arch9wavefront6targetE1EEEvT1_,comdat
	.protected	_ZN7rocprim17ROCPRIM_400000_NS6detail17trampoline_kernelINS0_14default_configENS1_25partition_config_selectorILNS1_17partition_subalgoE8EiNS0_10empty_typeEbEEZZNS1_14partition_implILS5_8ELb0ES3_jN6thrust23THRUST_200600_302600_NS6detail15normal_iteratorINSA_10device_ptrIiEEEEPS6_PKS6_NS0_5tupleIJSF_S6_EEENSJ_IJSG_SG_EEENS0_18inequality_wrapperINSA_8equal_toIiEEEEPmJS6_EEE10hipError_tPvRmT3_T4_T5_T6_T7_T9_mT8_P12ihipStream_tbDpT10_ENKUlT_T0_E_clISt17integral_constantIbLb0EES1A_EEDaS15_S16_EUlS15_E_NS1_11comp_targetILNS1_3genE9ELNS1_11target_archE1100ELNS1_3gpuE3ELNS1_3repE0EEENS1_30default_config_static_selectorELNS0_4arch9wavefront6targetE1EEEvT1_ ; -- Begin function _ZN7rocprim17ROCPRIM_400000_NS6detail17trampoline_kernelINS0_14default_configENS1_25partition_config_selectorILNS1_17partition_subalgoE8EiNS0_10empty_typeEbEEZZNS1_14partition_implILS5_8ELb0ES3_jN6thrust23THRUST_200600_302600_NS6detail15normal_iteratorINSA_10device_ptrIiEEEEPS6_PKS6_NS0_5tupleIJSF_S6_EEENSJ_IJSG_SG_EEENS0_18inequality_wrapperINSA_8equal_toIiEEEEPmJS6_EEE10hipError_tPvRmT3_T4_T5_T6_T7_T9_mT8_P12ihipStream_tbDpT10_ENKUlT_T0_E_clISt17integral_constantIbLb0EES1A_EEDaS15_S16_EUlS15_E_NS1_11comp_targetILNS1_3genE9ELNS1_11target_archE1100ELNS1_3gpuE3ELNS1_3repE0EEENS1_30default_config_static_selectorELNS0_4arch9wavefront6targetE1EEEvT1_
	.globl	_ZN7rocprim17ROCPRIM_400000_NS6detail17trampoline_kernelINS0_14default_configENS1_25partition_config_selectorILNS1_17partition_subalgoE8EiNS0_10empty_typeEbEEZZNS1_14partition_implILS5_8ELb0ES3_jN6thrust23THRUST_200600_302600_NS6detail15normal_iteratorINSA_10device_ptrIiEEEEPS6_PKS6_NS0_5tupleIJSF_S6_EEENSJ_IJSG_SG_EEENS0_18inequality_wrapperINSA_8equal_toIiEEEEPmJS6_EEE10hipError_tPvRmT3_T4_T5_T6_T7_T9_mT8_P12ihipStream_tbDpT10_ENKUlT_T0_E_clISt17integral_constantIbLb0EES1A_EEDaS15_S16_EUlS15_E_NS1_11comp_targetILNS1_3genE9ELNS1_11target_archE1100ELNS1_3gpuE3ELNS1_3repE0EEENS1_30default_config_static_selectorELNS0_4arch9wavefront6targetE1EEEvT1_
	.p2align	8
	.type	_ZN7rocprim17ROCPRIM_400000_NS6detail17trampoline_kernelINS0_14default_configENS1_25partition_config_selectorILNS1_17partition_subalgoE8EiNS0_10empty_typeEbEEZZNS1_14partition_implILS5_8ELb0ES3_jN6thrust23THRUST_200600_302600_NS6detail15normal_iteratorINSA_10device_ptrIiEEEEPS6_PKS6_NS0_5tupleIJSF_S6_EEENSJ_IJSG_SG_EEENS0_18inequality_wrapperINSA_8equal_toIiEEEEPmJS6_EEE10hipError_tPvRmT3_T4_T5_T6_T7_T9_mT8_P12ihipStream_tbDpT10_ENKUlT_T0_E_clISt17integral_constantIbLb0EES1A_EEDaS15_S16_EUlS15_E_NS1_11comp_targetILNS1_3genE9ELNS1_11target_archE1100ELNS1_3gpuE3ELNS1_3repE0EEENS1_30default_config_static_selectorELNS0_4arch9wavefront6targetE1EEEvT1_,@function
_ZN7rocprim17ROCPRIM_400000_NS6detail17trampoline_kernelINS0_14default_configENS1_25partition_config_selectorILNS1_17partition_subalgoE8EiNS0_10empty_typeEbEEZZNS1_14partition_implILS5_8ELb0ES3_jN6thrust23THRUST_200600_302600_NS6detail15normal_iteratorINSA_10device_ptrIiEEEEPS6_PKS6_NS0_5tupleIJSF_S6_EEENSJ_IJSG_SG_EEENS0_18inequality_wrapperINSA_8equal_toIiEEEEPmJS6_EEE10hipError_tPvRmT3_T4_T5_T6_T7_T9_mT8_P12ihipStream_tbDpT10_ENKUlT_T0_E_clISt17integral_constantIbLb0EES1A_EEDaS15_S16_EUlS15_E_NS1_11comp_targetILNS1_3genE9ELNS1_11target_archE1100ELNS1_3gpuE3ELNS1_3repE0EEENS1_30default_config_static_selectorELNS0_4arch9wavefront6targetE1EEEvT1_: ; @_ZN7rocprim17ROCPRIM_400000_NS6detail17trampoline_kernelINS0_14default_configENS1_25partition_config_selectorILNS1_17partition_subalgoE8EiNS0_10empty_typeEbEEZZNS1_14partition_implILS5_8ELb0ES3_jN6thrust23THRUST_200600_302600_NS6detail15normal_iteratorINSA_10device_ptrIiEEEEPS6_PKS6_NS0_5tupleIJSF_S6_EEENSJ_IJSG_SG_EEENS0_18inequality_wrapperINSA_8equal_toIiEEEEPmJS6_EEE10hipError_tPvRmT3_T4_T5_T6_T7_T9_mT8_P12ihipStream_tbDpT10_ENKUlT_T0_E_clISt17integral_constantIbLb0EES1A_EEDaS15_S16_EUlS15_E_NS1_11comp_targetILNS1_3genE9ELNS1_11target_archE1100ELNS1_3gpuE3ELNS1_3repE0EEENS1_30default_config_static_selectorELNS0_4arch9wavefront6targetE1EEEvT1_
; %bb.0:
	.section	.rodata,"a",@progbits
	.p2align	6, 0x0
	.amdhsa_kernel _ZN7rocprim17ROCPRIM_400000_NS6detail17trampoline_kernelINS0_14default_configENS1_25partition_config_selectorILNS1_17partition_subalgoE8EiNS0_10empty_typeEbEEZZNS1_14partition_implILS5_8ELb0ES3_jN6thrust23THRUST_200600_302600_NS6detail15normal_iteratorINSA_10device_ptrIiEEEEPS6_PKS6_NS0_5tupleIJSF_S6_EEENSJ_IJSG_SG_EEENS0_18inequality_wrapperINSA_8equal_toIiEEEEPmJS6_EEE10hipError_tPvRmT3_T4_T5_T6_T7_T9_mT8_P12ihipStream_tbDpT10_ENKUlT_T0_E_clISt17integral_constantIbLb0EES1A_EEDaS15_S16_EUlS15_E_NS1_11comp_targetILNS1_3genE9ELNS1_11target_archE1100ELNS1_3gpuE3ELNS1_3repE0EEENS1_30default_config_static_selectorELNS0_4arch9wavefront6targetE1EEEvT1_
		.amdhsa_group_segment_fixed_size 0
		.amdhsa_private_segment_fixed_size 0
		.amdhsa_kernarg_size 112
		.amdhsa_user_sgpr_count 6
		.amdhsa_user_sgpr_private_segment_buffer 1
		.amdhsa_user_sgpr_dispatch_ptr 0
		.amdhsa_user_sgpr_queue_ptr 0
		.amdhsa_user_sgpr_kernarg_segment_ptr 1
		.amdhsa_user_sgpr_dispatch_id 0
		.amdhsa_user_sgpr_flat_scratch_init 0
		.amdhsa_user_sgpr_private_segment_size 0
		.amdhsa_uses_dynamic_stack 0
		.amdhsa_system_sgpr_private_segment_wavefront_offset 0
		.amdhsa_system_sgpr_workgroup_id_x 1
		.amdhsa_system_sgpr_workgroup_id_y 0
		.amdhsa_system_sgpr_workgroup_id_z 0
		.amdhsa_system_sgpr_workgroup_info 0
		.amdhsa_system_vgpr_workitem_id 0
		.amdhsa_next_free_vgpr 1
		.amdhsa_next_free_sgpr 0
		.amdhsa_reserve_vcc 0
		.amdhsa_reserve_flat_scratch 0
		.amdhsa_float_round_mode_32 0
		.amdhsa_float_round_mode_16_64 0
		.amdhsa_float_denorm_mode_32 3
		.amdhsa_float_denorm_mode_16_64 3
		.amdhsa_dx10_clamp 1
		.amdhsa_ieee_mode 1
		.amdhsa_fp16_overflow 0
		.amdhsa_exception_fp_ieee_invalid_op 0
		.amdhsa_exception_fp_denorm_src 0
		.amdhsa_exception_fp_ieee_div_zero 0
		.amdhsa_exception_fp_ieee_overflow 0
		.amdhsa_exception_fp_ieee_underflow 0
		.amdhsa_exception_fp_ieee_inexact 0
		.amdhsa_exception_int_div_zero 0
	.end_amdhsa_kernel
	.section	.text._ZN7rocprim17ROCPRIM_400000_NS6detail17trampoline_kernelINS0_14default_configENS1_25partition_config_selectorILNS1_17partition_subalgoE8EiNS0_10empty_typeEbEEZZNS1_14partition_implILS5_8ELb0ES3_jN6thrust23THRUST_200600_302600_NS6detail15normal_iteratorINSA_10device_ptrIiEEEEPS6_PKS6_NS0_5tupleIJSF_S6_EEENSJ_IJSG_SG_EEENS0_18inequality_wrapperINSA_8equal_toIiEEEEPmJS6_EEE10hipError_tPvRmT3_T4_T5_T6_T7_T9_mT8_P12ihipStream_tbDpT10_ENKUlT_T0_E_clISt17integral_constantIbLb0EES1A_EEDaS15_S16_EUlS15_E_NS1_11comp_targetILNS1_3genE9ELNS1_11target_archE1100ELNS1_3gpuE3ELNS1_3repE0EEENS1_30default_config_static_selectorELNS0_4arch9wavefront6targetE1EEEvT1_,"axG",@progbits,_ZN7rocprim17ROCPRIM_400000_NS6detail17trampoline_kernelINS0_14default_configENS1_25partition_config_selectorILNS1_17partition_subalgoE8EiNS0_10empty_typeEbEEZZNS1_14partition_implILS5_8ELb0ES3_jN6thrust23THRUST_200600_302600_NS6detail15normal_iteratorINSA_10device_ptrIiEEEEPS6_PKS6_NS0_5tupleIJSF_S6_EEENSJ_IJSG_SG_EEENS0_18inequality_wrapperINSA_8equal_toIiEEEEPmJS6_EEE10hipError_tPvRmT3_T4_T5_T6_T7_T9_mT8_P12ihipStream_tbDpT10_ENKUlT_T0_E_clISt17integral_constantIbLb0EES1A_EEDaS15_S16_EUlS15_E_NS1_11comp_targetILNS1_3genE9ELNS1_11target_archE1100ELNS1_3gpuE3ELNS1_3repE0EEENS1_30default_config_static_selectorELNS0_4arch9wavefront6targetE1EEEvT1_,comdat
.Lfunc_end410:
	.size	_ZN7rocprim17ROCPRIM_400000_NS6detail17trampoline_kernelINS0_14default_configENS1_25partition_config_selectorILNS1_17partition_subalgoE8EiNS0_10empty_typeEbEEZZNS1_14partition_implILS5_8ELb0ES3_jN6thrust23THRUST_200600_302600_NS6detail15normal_iteratorINSA_10device_ptrIiEEEEPS6_PKS6_NS0_5tupleIJSF_S6_EEENSJ_IJSG_SG_EEENS0_18inequality_wrapperINSA_8equal_toIiEEEEPmJS6_EEE10hipError_tPvRmT3_T4_T5_T6_T7_T9_mT8_P12ihipStream_tbDpT10_ENKUlT_T0_E_clISt17integral_constantIbLb0EES1A_EEDaS15_S16_EUlS15_E_NS1_11comp_targetILNS1_3genE9ELNS1_11target_archE1100ELNS1_3gpuE3ELNS1_3repE0EEENS1_30default_config_static_selectorELNS0_4arch9wavefront6targetE1EEEvT1_, .Lfunc_end410-_ZN7rocprim17ROCPRIM_400000_NS6detail17trampoline_kernelINS0_14default_configENS1_25partition_config_selectorILNS1_17partition_subalgoE8EiNS0_10empty_typeEbEEZZNS1_14partition_implILS5_8ELb0ES3_jN6thrust23THRUST_200600_302600_NS6detail15normal_iteratorINSA_10device_ptrIiEEEEPS6_PKS6_NS0_5tupleIJSF_S6_EEENSJ_IJSG_SG_EEENS0_18inequality_wrapperINSA_8equal_toIiEEEEPmJS6_EEE10hipError_tPvRmT3_T4_T5_T6_T7_T9_mT8_P12ihipStream_tbDpT10_ENKUlT_T0_E_clISt17integral_constantIbLb0EES1A_EEDaS15_S16_EUlS15_E_NS1_11comp_targetILNS1_3genE9ELNS1_11target_archE1100ELNS1_3gpuE3ELNS1_3repE0EEENS1_30default_config_static_selectorELNS0_4arch9wavefront6targetE1EEEvT1_
                                        ; -- End function
	.set _ZN7rocprim17ROCPRIM_400000_NS6detail17trampoline_kernelINS0_14default_configENS1_25partition_config_selectorILNS1_17partition_subalgoE8EiNS0_10empty_typeEbEEZZNS1_14partition_implILS5_8ELb0ES3_jN6thrust23THRUST_200600_302600_NS6detail15normal_iteratorINSA_10device_ptrIiEEEEPS6_PKS6_NS0_5tupleIJSF_S6_EEENSJ_IJSG_SG_EEENS0_18inequality_wrapperINSA_8equal_toIiEEEEPmJS6_EEE10hipError_tPvRmT3_T4_T5_T6_T7_T9_mT8_P12ihipStream_tbDpT10_ENKUlT_T0_E_clISt17integral_constantIbLb0EES1A_EEDaS15_S16_EUlS15_E_NS1_11comp_targetILNS1_3genE9ELNS1_11target_archE1100ELNS1_3gpuE3ELNS1_3repE0EEENS1_30default_config_static_selectorELNS0_4arch9wavefront6targetE1EEEvT1_.num_vgpr, 0
	.set _ZN7rocprim17ROCPRIM_400000_NS6detail17trampoline_kernelINS0_14default_configENS1_25partition_config_selectorILNS1_17partition_subalgoE8EiNS0_10empty_typeEbEEZZNS1_14partition_implILS5_8ELb0ES3_jN6thrust23THRUST_200600_302600_NS6detail15normal_iteratorINSA_10device_ptrIiEEEEPS6_PKS6_NS0_5tupleIJSF_S6_EEENSJ_IJSG_SG_EEENS0_18inequality_wrapperINSA_8equal_toIiEEEEPmJS6_EEE10hipError_tPvRmT3_T4_T5_T6_T7_T9_mT8_P12ihipStream_tbDpT10_ENKUlT_T0_E_clISt17integral_constantIbLb0EES1A_EEDaS15_S16_EUlS15_E_NS1_11comp_targetILNS1_3genE9ELNS1_11target_archE1100ELNS1_3gpuE3ELNS1_3repE0EEENS1_30default_config_static_selectorELNS0_4arch9wavefront6targetE1EEEvT1_.num_agpr, 0
	.set _ZN7rocprim17ROCPRIM_400000_NS6detail17trampoline_kernelINS0_14default_configENS1_25partition_config_selectorILNS1_17partition_subalgoE8EiNS0_10empty_typeEbEEZZNS1_14partition_implILS5_8ELb0ES3_jN6thrust23THRUST_200600_302600_NS6detail15normal_iteratorINSA_10device_ptrIiEEEEPS6_PKS6_NS0_5tupleIJSF_S6_EEENSJ_IJSG_SG_EEENS0_18inequality_wrapperINSA_8equal_toIiEEEEPmJS6_EEE10hipError_tPvRmT3_T4_T5_T6_T7_T9_mT8_P12ihipStream_tbDpT10_ENKUlT_T0_E_clISt17integral_constantIbLb0EES1A_EEDaS15_S16_EUlS15_E_NS1_11comp_targetILNS1_3genE9ELNS1_11target_archE1100ELNS1_3gpuE3ELNS1_3repE0EEENS1_30default_config_static_selectorELNS0_4arch9wavefront6targetE1EEEvT1_.numbered_sgpr, 0
	.set _ZN7rocprim17ROCPRIM_400000_NS6detail17trampoline_kernelINS0_14default_configENS1_25partition_config_selectorILNS1_17partition_subalgoE8EiNS0_10empty_typeEbEEZZNS1_14partition_implILS5_8ELb0ES3_jN6thrust23THRUST_200600_302600_NS6detail15normal_iteratorINSA_10device_ptrIiEEEEPS6_PKS6_NS0_5tupleIJSF_S6_EEENSJ_IJSG_SG_EEENS0_18inequality_wrapperINSA_8equal_toIiEEEEPmJS6_EEE10hipError_tPvRmT3_T4_T5_T6_T7_T9_mT8_P12ihipStream_tbDpT10_ENKUlT_T0_E_clISt17integral_constantIbLb0EES1A_EEDaS15_S16_EUlS15_E_NS1_11comp_targetILNS1_3genE9ELNS1_11target_archE1100ELNS1_3gpuE3ELNS1_3repE0EEENS1_30default_config_static_selectorELNS0_4arch9wavefront6targetE1EEEvT1_.num_named_barrier, 0
	.set _ZN7rocprim17ROCPRIM_400000_NS6detail17trampoline_kernelINS0_14default_configENS1_25partition_config_selectorILNS1_17partition_subalgoE8EiNS0_10empty_typeEbEEZZNS1_14partition_implILS5_8ELb0ES3_jN6thrust23THRUST_200600_302600_NS6detail15normal_iteratorINSA_10device_ptrIiEEEEPS6_PKS6_NS0_5tupleIJSF_S6_EEENSJ_IJSG_SG_EEENS0_18inequality_wrapperINSA_8equal_toIiEEEEPmJS6_EEE10hipError_tPvRmT3_T4_T5_T6_T7_T9_mT8_P12ihipStream_tbDpT10_ENKUlT_T0_E_clISt17integral_constantIbLb0EES1A_EEDaS15_S16_EUlS15_E_NS1_11comp_targetILNS1_3genE9ELNS1_11target_archE1100ELNS1_3gpuE3ELNS1_3repE0EEENS1_30default_config_static_selectorELNS0_4arch9wavefront6targetE1EEEvT1_.private_seg_size, 0
	.set _ZN7rocprim17ROCPRIM_400000_NS6detail17trampoline_kernelINS0_14default_configENS1_25partition_config_selectorILNS1_17partition_subalgoE8EiNS0_10empty_typeEbEEZZNS1_14partition_implILS5_8ELb0ES3_jN6thrust23THRUST_200600_302600_NS6detail15normal_iteratorINSA_10device_ptrIiEEEEPS6_PKS6_NS0_5tupleIJSF_S6_EEENSJ_IJSG_SG_EEENS0_18inequality_wrapperINSA_8equal_toIiEEEEPmJS6_EEE10hipError_tPvRmT3_T4_T5_T6_T7_T9_mT8_P12ihipStream_tbDpT10_ENKUlT_T0_E_clISt17integral_constantIbLb0EES1A_EEDaS15_S16_EUlS15_E_NS1_11comp_targetILNS1_3genE9ELNS1_11target_archE1100ELNS1_3gpuE3ELNS1_3repE0EEENS1_30default_config_static_selectorELNS0_4arch9wavefront6targetE1EEEvT1_.uses_vcc, 0
	.set _ZN7rocprim17ROCPRIM_400000_NS6detail17trampoline_kernelINS0_14default_configENS1_25partition_config_selectorILNS1_17partition_subalgoE8EiNS0_10empty_typeEbEEZZNS1_14partition_implILS5_8ELb0ES3_jN6thrust23THRUST_200600_302600_NS6detail15normal_iteratorINSA_10device_ptrIiEEEEPS6_PKS6_NS0_5tupleIJSF_S6_EEENSJ_IJSG_SG_EEENS0_18inequality_wrapperINSA_8equal_toIiEEEEPmJS6_EEE10hipError_tPvRmT3_T4_T5_T6_T7_T9_mT8_P12ihipStream_tbDpT10_ENKUlT_T0_E_clISt17integral_constantIbLb0EES1A_EEDaS15_S16_EUlS15_E_NS1_11comp_targetILNS1_3genE9ELNS1_11target_archE1100ELNS1_3gpuE3ELNS1_3repE0EEENS1_30default_config_static_selectorELNS0_4arch9wavefront6targetE1EEEvT1_.uses_flat_scratch, 0
	.set _ZN7rocprim17ROCPRIM_400000_NS6detail17trampoline_kernelINS0_14default_configENS1_25partition_config_selectorILNS1_17partition_subalgoE8EiNS0_10empty_typeEbEEZZNS1_14partition_implILS5_8ELb0ES3_jN6thrust23THRUST_200600_302600_NS6detail15normal_iteratorINSA_10device_ptrIiEEEEPS6_PKS6_NS0_5tupleIJSF_S6_EEENSJ_IJSG_SG_EEENS0_18inequality_wrapperINSA_8equal_toIiEEEEPmJS6_EEE10hipError_tPvRmT3_T4_T5_T6_T7_T9_mT8_P12ihipStream_tbDpT10_ENKUlT_T0_E_clISt17integral_constantIbLb0EES1A_EEDaS15_S16_EUlS15_E_NS1_11comp_targetILNS1_3genE9ELNS1_11target_archE1100ELNS1_3gpuE3ELNS1_3repE0EEENS1_30default_config_static_selectorELNS0_4arch9wavefront6targetE1EEEvT1_.has_dyn_sized_stack, 0
	.set _ZN7rocprim17ROCPRIM_400000_NS6detail17trampoline_kernelINS0_14default_configENS1_25partition_config_selectorILNS1_17partition_subalgoE8EiNS0_10empty_typeEbEEZZNS1_14partition_implILS5_8ELb0ES3_jN6thrust23THRUST_200600_302600_NS6detail15normal_iteratorINSA_10device_ptrIiEEEEPS6_PKS6_NS0_5tupleIJSF_S6_EEENSJ_IJSG_SG_EEENS0_18inequality_wrapperINSA_8equal_toIiEEEEPmJS6_EEE10hipError_tPvRmT3_T4_T5_T6_T7_T9_mT8_P12ihipStream_tbDpT10_ENKUlT_T0_E_clISt17integral_constantIbLb0EES1A_EEDaS15_S16_EUlS15_E_NS1_11comp_targetILNS1_3genE9ELNS1_11target_archE1100ELNS1_3gpuE3ELNS1_3repE0EEENS1_30default_config_static_selectorELNS0_4arch9wavefront6targetE1EEEvT1_.has_recursion, 0
	.set _ZN7rocprim17ROCPRIM_400000_NS6detail17trampoline_kernelINS0_14default_configENS1_25partition_config_selectorILNS1_17partition_subalgoE8EiNS0_10empty_typeEbEEZZNS1_14partition_implILS5_8ELb0ES3_jN6thrust23THRUST_200600_302600_NS6detail15normal_iteratorINSA_10device_ptrIiEEEEPS6_PKS6_NS0_5tupleIJSF_S6_EEENSJ_IJSG_SG_EEENS0_18inequality_wrapperINSA_8equal_toIiEEEEPmJS6_EEE10hipError_tPvRmT3_T4_T5_T6_T7_T9_mT8_P12ihipStream_tbDpT10_ENKUlT_T0_E_clISt17integral_constantIbLb0EES1A_EEDaS15_S16_EUlS15_E_NS1_11comp_targetILNS1_3genE9ELNS1_11target_archE1100ELNS1_3gpuE3ELNS1_3repE0EEENS1_30default_config_static_selectorELNS0_4arch9wavefront6targetE1EEEvT1_.has_indirect_call, 0
	.section	.AMDGPU.csdata,"",@progbits
; Kernel info:
; codeLenInByte = 0
; TotalNumSgprs: 4
; NumVgprs: 0
; ScratchSize: 0
; MemoryBound: 0
; FloatMode: 240
; IeeeMode: 1
; LDSByteSize: 0 bytes/workgroup (compile time only)
; SGPRBlocks: 0
; VGPRBlocks: 0
; NumSGPRsForWavesPerEU: 4
; NumVGPRsForWavesPerEU: 1
; Occupancy: 10
; WaveLimiterHint : 0
; COMPUTE_PGM_RSRC2:SCRATCH_EN: 0
; COMPUTE_PGM_RSRC2:USER_SGPR: 6
; COMPUTE_PGM_RSRC2:TRAP_HANDLER: 0
; COMPUTE_PGM_RSRC2:TGID_X_EN: 1
; COMPUTE_PGM_RSRC2:TGID_Y_EN: 0
; COMPUTE_PGM_RSRC2:TGID_Z_EN: 0
; COMPUTE_PGM_RSRC2:TIDIG_COMP_CNT: 0
	.section	.text._ZN7rocprim17ROCPRIM_400000_NS6detail17trampoline_kernelINS0_14default_configENS1_25partition_config_selectorILNS1_17partition_subalgoE8EiNS0_10empty_typeEbEEZZNS1_14partition_implILS5_8ELb0ES3_jN6thrust23THRUST_200600_302600_NS6detail15normal_iteratorINSA_10device_ptrIiEEEEPS6_PKS6_NS0_5tupleIJSF_S6_EEENSJ_IJSG_SG_EEENS0_18inequality_wrapperINSA_8equal_toIiEEEEPmJS6_EEE10hipError_tPvRmT3_T4_T5_T6_T7_T9_mT8_P12ihipStream_tbDpT10_ENKUlT_T0_E_clISt17integral_constantIbLb0EES1A_EEDaS15_S16_EUlS15_E_NS1_11comp_targetILNS1_3genE8ELNS1_11target_archE1030ELNS1_3gpuE2ELNS1_3repE0EEENS1_30default_config_static_selectorELNS0_4arch9wavefront6targetE1EEEvT1_,"axG",@progbits,_ZN7rocprim17ROCPRIM_400000_NS6detail17trampoline_kernelINS0_14default_configENS1_25partition_config_selectorILNS1_17partition_subalgoE8EiNS0_10empty_typeEbEEZZNS1_14partition_implILS5_8ELb0ES3_jN6thrust23THRUST_200600_302600_NS6detail15normal_iteratorINSA_10device_ptrIiEEEEPS6_PKS6_NS0_5tupleIJSF_S6_EEENSJ_IJSG_SG_EEENS0_18inequality_wrapperINSA_8equal_toIiEEEEPmJS6_EEE10hipError_tPvRmT3_T4_T5_T6_T7_T9_mT8_P12ihipStream_tbDpT10_ENKUlT_T0_E_clISt17integral_constantIbLb0EES1A_EEDaS15_S16_EUlS15_E_NS1_11comp_targetILNS1_3genE8ELNS1_11target_archE1030ELNS1_3gpuE2ELNS1_3repE0EEENS1_30default_config_static_selectorELNS0_4arch9wavefront6targetE1EEEvT1_,comdat
	.protected	_ZN7rocprim17ROCPRIM_400000_NS6detail17trampoline_kernelINS0_14default_configENS1_25partition_config_selectorILNS1_17partition_subalgoE8EiNS0_10empty_typeEbEEZZNS1_14partition_implILS5_8ELb0ES3_jN6thrust23THRUST_200600_302600_NS6detail15normal_iteratorINSA_10device_ptrIiEEEEPS6_PKS6_NS0_5tupleIJSF_S6_EEENSJ_IJSG_SG_EEENS0_18inequality_wrapperINSA_8equal_toIiEEEEPmJS6_EEE10hipError_tPvRmT3_T4_T5_T6_T7_T9_mT8_P12ihipStream_tbDpT10_ENKUlT_T0_E_clISt17integral_constantIbLb0EES1A_EEDaS15_S16_EUlS15_E_NS1_11comp_targetILNS1_3genE8ELNS1_11target_archE1030ELNS1_3gpuE2ELNS1_3repE0EEENS1_30default_config_static_selectorELNS0_4arch9wavefront6targetE1EEEvT1_ ; -- Begin function _ZN7rocprim17ROCPRIM_400000_NS6detail17trampoline_kernelINS0_14default_configENS1_25partition_config_selectorILNS1_17partition_subalgoE8EiNS0_10empty_typeEbEEZZNS1_14partition_implILS5_8ELb0ES3_jN6thrust23THRUST_200600_302600_NS6detail15normal_iteratorINSA_10device_ptrIiEEEEPS6_PKS6_NS0_5tupleIJSF_S6_EEENSJ_IJSG_SG_EEENS0_18inequality_wrapperINSA_8equal_toIiEEEEPmJS6_EEE10hipError_tPvRmT3_T4_T5_T6_T7_T9_mT8_P12ihipStream_tbDpT10_ENKUlT_T0_E_clISt17integral_constantIbLb0EES1A_EEDaS15_S16_EUlS15_E_NS1_11comp_targetILNS1_3genE8ELNS1_11target_archE1030ELNS1_3gpuE2ELNS1_3repE0EEENS1_30default_config_static_selectorELNS0_4arch9wavefront6targetE1EEEvT1_
	.globl	_ZN7rocprim17ROCPRIM_400000_NS6detail17trampoline_kernelINS0_14default_configENS1_25partition_config_selectorILNS1_17partition_subalgoE8EiNS0_10empty_typeEbEEZZNS1_14partition_implILS5_8ELb0ES3_jN6thrust23THRUST_200600_302600_NS6detail15normal_iteratorINSA_10device_ptrIiEEEEPS6_PKS6_NS0_5tupleIJSF_S6_EEENSJ_IJSG_SG_EEENS0_18inequality_wrapperINSA_8equal_toIiEEEEPmJS6_EEE10hipError_tPvRmT3_T4_T5_T6_T7_T9_mT8_P12ihipStream_tbDpT10_ENKUlT_T0_E_clISt17integral_constantIbLb0EES1A_EEDaS15_S16_EUlS15_E_NS1_11comp_targetILNS1_3genE8ELNS1_11target_archE1030ELNS1_3gpuE2ELNS1_3repE0EEENS1_30default_config_static_selectorELNS0_4arch9wavefront6targetE1EEEvT1_
	.p2align	8
	.type	_ZN7rocprim17ROCPRIM_400000_NS6detail17trampoline_kernelINS0_14default_configENS1_25partition_config_selectorILNS1_17partition_subalgoE8EiNS0_10empty_typeEbEEZZNS1_14partition_implILS5_8ELb0ES3_jN6thrust23THRUST_200600_302600_NS6detail15normal_iteratorINSA_10device_ptrIiEEEEPS6_PKS6_NS0_5tupleIJSF_S6_EEENSJ_IJSG_SG_EEENS0_18inequality_wrapperINSA_8equal_toIiEEEEPmJS6_EEE10hipError_tPvRmT3_T4_T5_T6_T7_T9_mT8_P12ihipStream_tbDpT10_ENKUlT_T0_E_clISt17integral_constantIbLb0EES1A_EEDaS15_S16_EUlS15_E_NS1_11comp_targetILNS1_3genE8ELNS1_11target_archE1030ELNS1_3gpuE2ELNS1_3repE0EEENS1_30default_config_static_selectorELNS0_4arch9wavefront6targetE1EEEvT1_,@function
_ZN7rocprim17ROCPRIM_400000_NS6detail17trampoline_kernelINS0_14default_configENS1_25partition_config_selectorILNS1_17partition_subalgoE8EiNS0_10empty_typeEbEEZZNS1_14partition_implILS5_8ELb0ES3_jN6thrust23THRUST_200600_302600_NS6detail15normal_iteratorINSA_10device_ptrIiEEEEPS6_PKS6_NS0_5tupleIJSF_S6_EEENSJ_IJSG_SG_EEENS0_18inequality_wrapperINSA_8equal_toIiEEEEPmJS6_EEE10hipError_tPvRmT3_T4_T5_T6_T7_T9_mT8_P12ihipStream_tbDpT10_ENKUlT_T0_E_clISt17integral_constantIbLb0EES1A_EEDaS15_S16_EUlS15_E_NS1_11comp_targetILNS1_3genE8ELNS1_11target_archE1030ELNS1_3gpuE2ELNS1_3repE0EEENS1_30default_config_static_selectorELNS0_4arch9wavefront6targetE1EEEvT1_: ; @_ZN7rocprim17ROCPRIM_400000_NS6detail17trampoline_kernelINS0_14default_configENS1_25partition_config_selectorILNS1_17partition_subalgoE8EiNS0_10empty_typeEbEEZZNS1_14partition_implILS5_8ELb0ES3_jN6thrust23THRUST_200600_302600_NS6detail15normal_iteratorINSA_10device_ptrIiEEEEPS6_PKS6_NS0_5tupleIJSF_S6_EEENSJ_IJSG_SG_EEENS0_18inequality_wrapperINSA_8equal_toIiEEEEPmJS6_EEE10hipError_tPvRmT3_T4_T5_T6_T7_T9_mT8_P12ihipStream_tbDpT10_ENKUlT_T0_E_clISt17integral_constantIbLb0EES1A_EEDaS15_S16_EUlS15_E_NS1_11comp_targetILNS1_3genE8ELNS1_11target_archE1030ELNS1_3gpuE2ELNS1_3repE0EEENS1_30default_config_static_selectorELNS0_4arch9wavefront6targetE1EEEvT1_
; %bb.0:
	.section	.rodata,"a",@progbits
	.p2align	6, 0x0
	.amdhsa_kernel _ZN7rocprim17ROCPRIM_400000_NS6detail17trampoline_kernelINS0_14default_configENS1_25partition_config_selectorILNS1_17partition_subalgoE8EiNS0_10empty_typeEbEEZZNS1_14partition_implILS5_8ELb0ES3_jN6thrust23THRUST_200600_302600_NS6detail15normal_iteratorINSA_10device_ptrIiEEEEPS6_PKS6_NS0_5tupleIJSF_S6_EEENSJ_IJSG_SG_EEENS0_18inequality_wrapperINSA_8equal_toIiEEEEPmJS6_EEE10hipError_tPvRmT3_T4_T5_T6_T7_T9_mT8_P12ihipStream_tbDpT10_ENKUlT_T0_E_clISt17integral_constantIbLb0EES1A_EEDaS15_S16_EUlS15_E_NS1_11comp_targetILNS1_3genE8ELNS1_11target_archE1030ELNS1_3gpuE2ELNS1_3repE0EEENS1_30default_config_static_selectorELNS0_4arch9wavefront6targetE1EEEvT1_
		.amdhsa_group_segment_fixed_size 0
		.amdhsa_private_segment_fixed_size 0
		.amdhsa_kernarg_size 112
		.amdhsa_user_sgpr_count 6
		.amdhsa_user_sgpr_private_segment_buffer 1
		.amdhsa_user_sgpr_dispatch_ptr 0
		.amdhsa_user_sgpr_queue_ptr 0
		.amdhsa_user_sgpr_kernarg_segment_ptr 1
		.amdhsa_user_sgpr_dispatch_id 0
		.amdhsa_user_sgpr_flat_scratch_init 0
		.amdhsa_user_sgpr_private_segment_size 0
		.amdhsa_uses_dynamic_stack 0
		.amdhsa_system_sgpr_private_segment_wavefront_offset 0
		.amdhsa_system_sgpr_workgroup_id_x 1
		.amdhsa_system_sgpr_workgroup_id_y 0
		.amdhsa_system_sgpr_workgroup_id_z 0
		.amdhsa_system_sgpr_workgroup_info 0
		.amdhsa_system_vgpr_workitem_id 0
		.amdhsa_next_free_vgpr 1
		.amdhsa_next_free_sgpr 0
		.amdhsa_reserve_vcc 0
		.amdhsa_reserve_flat_scratch 0
		.amdhsa_float_round_mode_32 0
		.amdhsa_float_round_mode_16_64 0
		.amdhsa_float_denorm_mode_32 3
		.amdhsa_float_denorm_mode_16_64 3
		.amdhsa_dx10_clamp 1
		.amdhsa_ieee_mode 1
		.amdhsa_fp16_overflow 0
		.amdhsa_exception_fp_ieee_invalid_op 0
		.amdhsa_exception_fp_denorm_src 0
		.amdhsa_exception_fp_ieee_div_zero 0
		.amdhsa_exception_fp_ieee_overflow 0
		.amdhsa_exception_fp_ieee_underflow 0
		.amdhsa_exception_fp_ieee_inexact 0
		.amdhsa_exception_int_div_zero 0
	.end_amdhsa_kernel
	.section	.text._ZN7rocprim17ROCPRIM_400000_NS6detail17trampoline_kernelINS0_14default_configENS1_25partition_config_selectorILNS1_17partition_subalgoE8EiNS0_10empty_typeEbEEZZNS1_14partition_implILS5_8ELb0ES3_jN6thrust23THRUST_200600_302600_NS6detail15normal_iteratorINSA_10device_ptrIiEEEEPS6_PKS6_NS0_5tupleIJSF_S6_EEENSJ_IJSG_SG_EEENS0_18inequality_wrapperINSA_8equal_toIiEEEEPmJS6_EEE10hipError_tPvRmT3_T4_T5_T6_T7_T9_mT8_P12ihipStream_tbDpT10_ENKUlT_T0_E_clISt17integral_constantIbLb0EES1A_EEDaS15_S16_EUlS15_E_NS1_11comp_targetILNS1_3genE8ELNS1_11target_archE1030ELNS1_3gpuE2ELNS1_3repE0EEENS1_30default_config_static_selectorELNS0_4arch9wavefront6targetE1EEEvT1_,"axG",@progbits,_ZN7rocprim17ROCPRIM_400000_NS6detail17trampoline_kernelINS0_14default_configENS1_25partition_config_selectorILNS1_17partition_subalgoE8EiNS0_10empty_typeEbEEZZNS1_14partition_implILS5_8ELb0ES3_jN6thrust23THRUST_200600_302600_NS6detail15normal_iteratorINSA_10device_ptrIiEEEEPS6_PKS6_NS0_5tupleIJSF_S6_EEENSJ_IJSG_SG_EEENS0_18inequality_wrapperINSA_8equal_toIiEEEEPmJS6_EEE10hipError_tPvRmT3_T4_T5_T6_T7_T9_mT8_P12ihipStream_tbDpT10_ENKUlT_T0_E_clISt17integral_constantIbLb0EES1A_EEDaS15_S16_EUlS15_E_NS1_11comp_targetILNS1_3genE8ELNS1_11target_archE1030ELNS1_3gpuE2ELNS1_3repE0EEENS1_30default_config_static_selectorELNS0_4arch9wavefront6targetE1EEEvT1_,comdat
.Lfunc_end411:
	.size	_ZN7rocprim17ROCPRIM_400000_NS6detail17trampoline_kernelINS0_14default_configENS1_25partition_config_selectorILNS1_17partition_subalgoE8EiNS0_10empty_typeEbEEZZNS1_14partition_implILS5_8ELb0ES3_jN6thrust23THRUST_200600_302600_NS6detail15normal_iteratorINSA_10device_ptrIiEEEEPS6_PKS6_NS0_5tupleIJSF_S6_EEENSJ_IJSG_SG_EEENS0_18inequality_wrapperINSA_8equal_toIiEEEEPmJS6_EEE10hipError_tPvRmT3_T4_T5_T6_T7_T9_mT8_P12ihipStream_tbDpT10_ENKUlT_T0_E_clISt17integral_constantIbLb0EES1A_EEDaS15_S16_EUlS15_E_NS1_11comp_targetILNS1_3genE8ELNS1_11target_archE1030ELNS1_3gpuE2ELNS1_3repE0EEENS1_30default_config_static_selectorELNS0_4arch9wavefront6targetE1EEEvT1_, .Lfunc_end411-_ZN7rocprim17ROCPRIM_400000_NS6detail17trampoline_kernelINS0_14default_configENS1_25partition_config_selectorILNS1_17partition_subalgoE8EiNS0_10empty_typeEbEEZZNS1_14partition_implILS5_8ELb0ES3_jN6thrust23THRUST_200600_302600_NS6detail15normal_iteratorINSA_10device_ptrIiEEEEPS6_PKS6_NS0_5tupleIJSF_S6_EEENSJ_IJSG_SG_EEENS0_18inequality_wrapperINSA_8equal_toIiEEEEPmJS6_EEE10hipError_tPvRmT3_T4_T5_T6_T7_T9_mT8_P12ihipStream_tbDpT10_ENKUlT_T0_E_clISt17integral_constantIbLb0EES1A_EEDaS15_S16_EUlS15_E_NS1_11comp_targetILNS1_3genE8ELNS1_11target_archE1030ELNS1_3gpuE2ELNS1_3repE0EEENS1_30default_config_static_selectorELNS0_4arch9wavefront6targetE1EEEvT1_
                                        ; -- End function
	.set _ZN7rocprim17ROCPRIM_400000_NS6detail17trampoline_kernelINS0_14default_configENS1_25partition_config_selectorILNS1_17partition_subalgoE8EiNS0_10empty_typeEbEEZZNS1_14partition_implILS5_8ELb0ES3_jN6thrust23THRUST_200600_302600_NS6detail15normal_iteratorINSA_10device_ptrIiEEEEPS6_PKS6_NS0_5tupleIJSF_S6_EEENSJ_IJSG_SG_EEENS0_18inequality_wrapperINSA_8equal_toIiEEEEPmJS6_EEE10hipError_tPvRmT3_T4_T5_T6_T7_T9_mT8_P12ihipStream_tbDpT10_ENKUlT_T0_E_clISt17integral_constantIbLb0EES1A_EEDaS15_S16_EUlS15_E_NS1_11comp_targetILNS1_3genE8ELNS1_11target_archE1030ELNS1_3gpuE2ELNS1_3repE0EEENS1_30default_config_static_selectorELNS0_4arch9wavefront6targetE1EEEvT1_.num_vgpr, 0
	.set _ZN7rocprim17ROCPRIM_400000_NS6detail17trampoline_kernelINS0_14default_configENS1_25partition_config_selectorILNS1_17partition_subalgoE8EiNS0_10empty_typeEbEEZZNS1_14partition_implILS5_8ELb0ES3_jN6thrust23THRUST_200600_302600_NS6detail15normal_iteratorINSA_10device_ptrIiEEEEPS6_PKS6_NS0_5tupleIJSF_S6_EEENSJ_IJSG_SG_EEENS0_18inequality_wrapperINSA_8equal_toIiEEEEPmJS6_EEE10hipError_tPvRmT3_T4_T5_T6_T7_T9_mT8_P12ihipStream_tbDpT10_ENKUlT_T0_E_clISt17integral_constantIbLb0EES1A_EEDaS15_S16_EUlS15_E_NS1_11comp_targetILNS1_3genE8ELNS1_11target_archE1030ELNS1_3gpuE2ELNS1_3repE0EEENS1_30default_config_static_selectorELNS0_4arch9wavefront6targetE1EEEvT1_.num_agpr, 0
	.set _ZN7rocprim17ROCPRIM_400000_NS6detail17trampoline_kernelINS0_14default_configENS1_25partition_config_selectorILNS1_17partition_subalgoE8EiNS0_10empty_typeEbEEZZNS1_14partition_implILS5_8ELb0ES3_jN6thrust23THRUST_200600_302600_NS6detail15normal_iteratorINSA_10device_ptrIiEEEEPS6_PKS6_NS0_5tupleIJSF_S6_EEENSJ_IJSG_SG_EEENS0_18inequality_wrapperINSA_8equal_toIiEEEEPmJS6_EEE10hipError_tPvRmT3_T4_T5_T6_T7_T9_mT8_P12ihipStream_tbDpT10_ENKUlT_T0_E_clISt17integral_constantIbLb0EES1A_EEDaS15_S16_EUlS15_E_NS1_11comp_targetILNS1_3genE8ELNS1_11target_archE1030ELNS1_3gpuE2ELNS1_3repE0EEENS1_30default_config_static_selectorELNS0_4arch9wavefront6targetE1EEEvT1_.numbered_sgpr, 0
	.set _ZN7rocprim17ROCPRIM_400000_NS6detail17trampoline_kernelINS0_14default_configENS1_25partition_config_selectorILNS1_17partition_subalgoE8EiNS0_10empty_typeEbEEZZNS1_14partition_implILS5_8ELb0ES3_jN6thrust23THRUST_200600_302600_NS6detail15normal_iteratorINSA_10device_ptrIiEEEEPS6_PKS6_NS0_5tupleIJSF_S6_EEENSJ_IJSG_SG_EEENS0_18inequality_wrapperINSA_8equal_toIiEEEEPmJS6_EEE10hipError_tPvRmT3_T4_T5_T6_T7_T9_mT8_P12ihipStream_tbDpT10_ENKUlT_T0_E_clISt17integral_constantIbLb0EES1A_EEDaS15_S16_EUlS15_E_NS1_11comp_targetILNS1_3genE8ELNS1_11target_archE1030ELNS1_3gpuE2ELNS1_3repE0EEENS1_30default_config_static_selectorELNS0_4arch9wavefront6targetE1EEEvT1_.num_named_barrier, 0
	.set _ZN7rocprim17ROCPRIM_400000_NS6detail17trampoline_kernelINS0_14default_configENS1_25partition_config_selectorILNS1_17partition_subalgoE8EiNS0_10empty_typeEbEEZZNS1_14partition_implILS5_8ELb0ES3_jN6thrust23THRUST_200600_302600_NS6detail15normal_iteratorINSA_10device_ptrIiEEEEPS6_PKS6_NS0_5tupleIJSF_S6_EEENSJ_IJSG_SG_EEENS0_18inequality_wrapperINSA_8equal_toIiEEEEPmJS6_EEE10hipError_tPvRmT3_T4_T5_T6_T7_T9_mT8_P12ihipStream_tbDpT10_ENKUlT_T0_E_clISt17integral_constantIbLb0EES1A_EEDaS15_S16_EUlS15_E_NS1_11comp_targetILNS1_3genE8ELNS1_11target_archE1030ELNS1_3gpuE2ELNS1_3repE0EEENS1_30default_config_static_selectorELNS0_4arch9wavefront6targetE1EEEvT1_.private_seg_size, 0
	.set _ZN7rocprim17ROCPRIM_400000_NS6detail17trampoline_kernelINS0_14default_configENS1_25partition_config_selectorILNS1_17partition_subalgoE8EiNS0_10empty_typeEbEEZZNS1_14partition_implILS5_8ELb0ES3_jN6thrust23THRUST_200600_302600_NS6detail15normal_iteratorINSA_10device_ptrIiEEEEPS6_PKS6_NS0_5tupleIJSF_S6_EEENSJ_IJSG_SG_EEENS0_18inequality_wrapperINSA_8equal_toIiEEEEPmJS6_EEE10hipError_tPvRmT3_T4_T5_T6_T7_T9_mT8_P12ihipStream_tbDpT10_ENKUlT_T0_E_clISt17integral_constantIbLb0EES1A_EEDaS15_S16_EUlS15_E_NS1_11comp_targetILNS1_3genE8ELNS1_11target_archE1030ELNS1_3gpuE2ELNS1_3repE0EEENS1_30default_config_static_selectorELNS0_4arch9wavefront6targetE1EEEvT1_.uses_vcc, 0
	.set _ZN7rocprim17ROCPRIM_400000_NS6detail17trampoline_kernelINS0_14default_configENS1_25partition_config_selectorILNS1_17partition_subalgoE8EiNS0_10empty_typeEbEEZZNS1_14partition_implILS5_8ELb0ES3_jN6thrust23THRUST_200600_302600_NS6detail15normal_iteratorINSA_10device_ptrIiEEEEPS6_PKS6_NS0_5tupleIJSF_S6_EEENSJ_IJSG_SG_EEENS0_18inequality_wrapperINSA_8equal_toIiEEEEPmJS6_EEE10hipError_tPvRmT3_T4_T5_T6_T7_T9_mT8_P12ihipStream_tbDpT10_ENKUlT_T0_E_clISt17integral_constantIbLb0EES1A_EEDaS15_S16_EUlS15_E_NS1_11comp_targetILNS1_3genE8ELNS1_11target_archE1030ELNS1_3gpuE2ELNS1_3repE0EEENS1_30default_config_static_selectorELNS0_4arch9wavefront6targetE1EEEvT1_.uses_flat_scratch, 0
	.set _ZN7rocprim17ROCPRIM_400000_NS6detail17trampoline_kernelINS0_14default_configENS1_25partition_config_selectorILNS1_17partition_subalgoE8EiNS0_10empty_typeEbEEZZNS1_14partition_implILS5_8ELb0ES3_jN6thrust23THRUST_200600_302600_NS6detail15normal_iteratorINSA_10device_ptrIiEEEEPS6_PKS6_NS0_5tupleIJSF_S6_EEENSJ_IJSG_SG_EEENS0_18inequality_wrapperINSA_8equal_toIiEEEEPmJS6_EEE10hipError_tPvRmT3_T4_T5_T6_T7_T9_mT8_P12ihipStream_tbDpT10_ENKUlT_T0_E_clISt17integral_constantIbLb0EES1A_EEDaS15_S16_EUlS15_E_NS1_11comp_targetILNS1_3genE8ELNS1_11target_archE1030ELNS1_3gpuE2ELNS1_3repE0EEENS1_30default_config_static_selectorELNS0_4arch9wavefront6targetE1EEEvT1_.has_dyn_sized_stack, 0
	.set _ZN7rocprim17ROCPRIM_400000_NS6detail17trampoline_kernelINS0_14default_configENS1_25partition_config_selectorILNS1_17partition_subalgoE8EiNS0_10empty_typeEbEEZZNS1_14partition_implILS5_8ELb0ES3_jN6thrust23THRUST_200600_302600_NS6detail15normal_iteratorINSA_10device_ptrIiEEEEPS6_PKS6_NS0_5tupleIJSF_S6_EEENSJ_IJSG_SG_EEENS0_18inequality_wrapperINSA_8equal_toIiEEEEPmJS6_EEE10hipError_tPvRmT3_T4_T5_T6_T7_T9_mT8_P12ihipStream_tbDpT10_ENKUlT_T0_E_clISt17integral_constantIbLb0EES1A_EEDaS15_S16_EUlS15_E_NS1_11comp_targetILNS1_3genE8ELNS1_11target_archE1030ELNS1_3gpuE2ELNS1_3repE0EEENS1_30default_config_static_selectorELNS0_4arch9wavefront6targetE1EEEvT1_.has_recursion, 0
	.set _ZN7rocprim17ROCPRIM_400000_NS6detail17trampoline_kernelINS0_14default_configENS1_25partition_config_selectorILNS1_17partition_subalgoE8EiNS0_10empty_typeEbEEZZNS1_14partition_implILS5_8ELb0ES3_jN6thrust23THRUST_200600_302600_NS6detail15normal_iteratorINSA_10device_ptrIiEEEEPS6_PKS6_NS0_5tupleIJSF_S6_EEENSJ_IJSG_SG_EEENS0_18inequality_wrapperINSA_8equal_toIiEEEEPmJS6_EEE10hipError_tPvRmT3_T4_T5_T6_T7_T9_mT8_P12ihipStream_tbDpT10_ENKUlT_T0_E_clISt17integral_constantIbLb0EES1A_EEDaS15_S16_EUlS15_E_NS1_11comp_targetILNS1_3genE8ELNS1_11target_archE1030ELNS1_3gpuE2ELNS1_3repE0EEENS1_30default_config_static_selectorELNS0_4arch9wavefront6targetE1EEEvT1_.has_indirect_call, 0
	.section	.AMDGPU.csdata,"",@progbits
; Kernel info:
; codeLenInByte = 0
; TotalNumSgprs: 4
; NumVgprs: 0
; ScratchSize: 0
; MemoryBound: 0
; FloatMode: 240
; IeeeMode: 1
; LDSByteSize: 0 bytes/workgroup (compile time only)
; SGPRBlocks: 0
; VGPRBlocks: 0
; NumSGPRsForWavesPerEU: 4
; NumVGPRsForWavesPerEU: 1
; Occupancy: 10
; WaveLimiterHint : 0
; COMPUTE_PGM_RSRC2:SCRATCH_EN: 0
; COMPUTE_PGM_RSRC2:USER_SGPR: 6
; COMPUTE_PGM_RSRC2:TRAP_HANDLER: 0
; COMPUTE_PGM_RSRC2:TGID_X_EN: 1
; COMPUTE_PGM_RSRC2:TGID_Y_EN: 0
; COMPUTE_PGM_RSRC2:TGID_Z_EN: 0
; COMPUTE_PGM_RSRC2:TIDIG_COMP_CNT: 0
	.section	.text._ZN7rocprim17ROCPRIM_400000_NS6detail17trampoline_kernelINS0_14default_configENS1_25partition_config_selectorILNS1_17partition_subalgoE8EiNS0_10empty_typeEbEEZZNS1_14partition_implILS5_8ELb0ES3_jN6thrust23THRUST_200600_302600_NS6detail15normal_iteratorINSA_10device_ptrIiEEEEPS6_PKS6_NS0_5tupleIJSF_S6_EEENSJ_IJSG_SG_EEENS0_18inequality_wrapperINSA_8equal_toIiEEEEPmJS6_EEE10hipError_tPvRmT3_T4_T5_T6_T7_T9_mT8_P12ihipStream_tbDpT10_ENKUlT_T0_E_clISt17integral_constantIbLb1EES1A_EEDaS15_S16_EUlS15_E_NS1_11comp_targetILNS1_3genE0ELNS1_11target_archE4294967295ELNS1_3gpuE0ELNS1_3repE0EEENS1_30default_config_static_selectorELNS0_4arch9wavefront6targetE1EEEvT1_,"axG",@progbits,_ZN7rocprim17ROCPRIM_400000_NS6detail17trampoline_kernelINS0_14default_configENS1_25partition_config_selectorILNS1_17partition_subalgoE8EiNS0_10empty_typeEbEEZZNS1_14partition_implILS5_8ELb0ES3_jN6thrust23THRUST_200600_302600_NS6detail15normal_iteratorINSA_10device_ptrIiEEEEPS6_PKS6_NS0_5tupleIJSF_S6_EEENSJ_IJSG_SG_EEENS0_18inequality_wrapperINSA_8equal_toIiEEEEPmJS6_EEE10hipError_tPvRmT3_T4_T5_T6_T7_T9_mT8_P12ihipStream_tbDpT10_ENKUlT_T0_E_clISt17integral_constantIbLb1EES1A_EEDaS15_S16_EUlS15_E_NS1_11comp_targetILNS1_3genE0ELNS1_11target_archE4294967295ELNS1_3gpuE0ELNS1_3repE0EEENS1_30default_config_static_selectorELNS0_4arch9wavefront6targetE1EEEvT1_,comdat
	.protected	_ZN7rocprim17ROCPRIM_400000_NS6detail17trampoline_kernelINS0_14default_configENS1_25partition_config_selectorILNS1_17partition_subalgoE8EiNS0_10empty_typeEbEEZZNS1_14partition_implILS5_8ELb0ES3_jN6thrust23THRUST_200600_302600_NS6detail15normal_iteratorINSA_10device_ptrIiEEEEPS6_PKS6_NS0_5tupleIJSF_S6_EEENSJ_IJSG_SG_EEENS0_18inequality_wrapperINSA_8equal_toIiEEEEPmJS6_EEE10hipError_tPvRmT3_T4_T5_T6_T7_T9_mT8_P12ihipStream_tbDpT10_ENKUlT_T0_E_clISt17integral_constantIbLb1EES1A_EEDaS15_S16_EUlS15_E_NS1_11comp_targetILNS1_3genE0ELNS1_11target_archE4294967295ELNS1_3gpuE0ELNS1_3repE0EEENS1_30default_config_static_selectorELNS0_4arch9wavefront6targetE1EEEvT1_ ; -- Begin function _ZN7rocprim17ROCPRIM_400000_NS6detail17trampoline_kernelINS0_14default_configENS1_25partition_config_selectorILNS1_17partition_subalgoE8EiNS0_10empty_typeEbEEZZNS1_14partition_implILS5_8ELb0ES3_jN6thrust23THRUST_200600_302600_NS6detail15normal_iteratorINSA_10device_ptrIiEEEEPS6_PKS6_NS0_5tupleIJSF_S6_EEENSJ_IJSG_SG_EEENS0_18inequality_wrapperINSA_8equal_toIiEEEEPmJS6_EEE10hipError_tPvRmT3_T4_T5_T6_T7_T9_mT8_P12ihipStream_tbDpT10_ENKUlT_T0_E_clISt17integral_constantIbLb1EES1A_EEDaS15_S16_EUlS15_E_NS1_11comp_targetILNS1_3genE0ELNS1_11target_archE4294967295ELNS1_3gpuE0ELNS1_3repE0EEENS1_30default_config_static_selectorELNS0_4arch9wavefront6targetE1EEEvT1_
	.globl	_ZN7rocprim17ROCPRIM_400000_NS6detail17trampoline_kernelINS0_14default_configENS1_25partition_config_selectorILNS1_17partition_subalgoE8EiNS0_10empty_typeEbEEZZNS1_14partition_implILS5_8ELb0ES3_jN6thrust23THRUST_200600_302600_NS6detail15normal_iteratorINSA_10device_ptrIiEEEEPS6_PKS6_NS0_5tupleIJSF_S6_EEENSJ_IJSG_SG_EEENS0_18inequality_wrapperINSA_8equal_toIiEEEEPmJS6_EEE10hipError_tPvRmT3_T4_T5_T6_T7_T9_mT8_P12ihipStream_tbDpT10_ENKUlT_T0_E_clISt17integral_constantIbLb1EES1A_EEDaS15_S16_EUlS15_E_NS1_11comp_targetILNS1_3genE0ELNS1_11target_archE4294967295ELNS1_3gpuE0ELNS1_3repE0EEENS1_30default_config_static_selectorELNS0_4arch9wavefront6targetE1EEEvT1_
	.p2align	8
	.type	_ZN7rocprim17ROCPRIM_400000_NS6detail17trampoline_kernelINS0_14default_configENS1_25partition_config_selectorILNS1_17partition_subalgoE8EiNS0_10empty_typeEbEEZZNS1_14partition_implILS5_8ELb0ES3_jN6thrust23THRUST_200600_302600_NS6detail15normal_iteratorINSA_10device_ptrIiEEEEPS6_PKS6_NS0_5tupleIJSF_S6_EEENSJ_IJSG_SG_EEENS0_18inequality_wrapperINSA_8equal_toIiEEEEPmJS6_EEE10hipError_tPvRmT3_T4_T5_T6_T7_T9_mT8_P12ihipStream_tbDpT10_ENKUlT_T0_E_clISt17integral_constantIbLb1EES1A_EEDaS15_S16_EUlS15_E_NS1_11comp_targetILNS1_3genE0ELNS1_11target_archE4294967295ELNS1_3gpuE0ELNS1_3repE0EEENS1_30default_config_static_selectorELNS0_4arch9wavefront6targetE1EEEvT1_,@function
_ZN7rocprim17ROCPRIM_400000_NS6detail17trampoline_kernelINS0_14default_configENS1_25partition_config_selectorILNS1_17partition_subalgoE8EiNS0_10empty_typeEbEEZZNS1_14partition_implILS5_8ELb0ES3_jN6thrust23THRUST_200600_302600_NS6detail15normal_iteratorINSA_10device_ptrIiEEEEPS6_PKS6_NS0_5tupleIJSF_S6_EEENSJ_IJSG_SG_EEENS0_18inequality_wrapperINSA_8equal_toIiEEEEPmJS6_EEE10hipError_tPvRmT3_T4_T5_T6_T7_T9_mT8_P12ihipStream_tbDpT10_ENKUlT_T0_E_clISt17integral_constantIbLb1EES1A_EEDaS15_S16_EUlS15_E_NS1_11comp_targetILNS1_3genE0ELNS1_11target_archE4294967295ELNS1_3gpuE0ELNS1_3repE0EEENS1_30default_config_static_selectorELNS0_4arch9wavefront6targetE1EEEvT1_: ; @_ZN7rocprim17ROCPRIM_400000_NS6detail17trampoline_kernelINS0_14default_configENS1_25partition_config_selectorILNS1_17partition_subalgoE8EiNS0_10empty_typeEbEEZZNS1_14partition_implILS5_8ELb0ES3_jN6thrust23THRUST_200600_302600_NS6detail15normal_iteratorINSA_10device_ptrIiEEEEPS6_PKS6_NS0_5tupleIJSF_S6_EEENSJ_IJSG_SG_EEENS0_18inequality_wrapperINSA_8equal_toIiEEEEPmJS6_EEE10hipError_tPvRmT3_T4_T5_T6_T7_T9_mT8_P12ihipStream_tbDpT10_ENKUlT_T0_E_clISt17integral_constantIbLb1EES1A_EEDaS15_S16_EUlS15_E_NS1_11comp_targetILNS1_3genE0ELNS1_11target_archE4294967295ELNS1_3gpuE0ELNS1_3repE0EEENS1_30default_config_static_selectorELNS0_4arch9wavefront6targetE1EEEvT1_
; %bb.0:
	.section	.rodata,"a",@progbits
	.p2align	6, 0x0
	.amdhsa_kernel _ZN7rocprim17ROCPRIM_400000_NS6detail17trampoline_kernelINS0_14default_configENS1_25partition_config_selectorILNS1_17partition_subalgoE8EiNS0_10empty_typeEbEEZZNS1_14partition_implILS5_8ELb0ES3_jN6thrust23THRUST_200600_302600_NS6detail15normal_iteratorINSA_10device_ptrIiEEEEPS6_PKS6_NS0_5tupleIJSF_S6_EEENSJ_IJSG_SG_EEENS0_18inequality_wrapperINSA_8equal_toIiEEEEPmJS6_EEE10hipError_tPvRmT3_T4_T5_T6_T7_T9_mT8_P12ihipStream_tbDpT10_ENKUlT_T0_E_clISt17integral_constantIbLb1EES1A_EEDaS15_S16_EUlS15_E_NS1_11comp_targetILNS1_3genE0ELNS1_11target_archE4294967295ELNS1_3gpuE0ELNS1_3repE0EEENS1_30default_config_static_selectorELNS0_4arch9wavefront6targetE1EEEvT1_
		.amdhsa_group_segment_fixed_size 0
		.amdhsa_private_segment_fixed_size 0
		.amdhsa_kernarg_size 128
		.amdhsa_user_sgpr_count 6
		.amdhsa_user_sgpr_private_segment_buffer 1
		.amdhsa_user_sgpr_dispatch_ptr 0
		.amdhsa_user_sgpr_queue_ptr 0
		.amdhsa_user_sgpr_kernarg_segment_ptr 1
		.amdhsa_user_sgpr_dispatch_id 0
		.amdhsa_user_sgpr_flat_scratch_init 0
		.amdhsa_user_sgpr_private_segment_size 0
		.amdhsa_uses_dynamic_stack 0
		.amdhsa_system_sgpr_private_segment_wavefront_offset 0
		.amdhsa_system_sgpr_workgroup_id_x 1
		.amdhsa_system_sgpr_workgroup_id_y 0
		.amdhsa_system_sgpr_workgroup_id_z 0
		.amdhsa_system_sgpr_workgroup_info 0
		.amdhsa_system_vgpr_workitem_id 0
		.amdhsa_next_free_vgpr 1
		.amdhsa_next_free_sgpr 0
		.amdhsa_reserve_vcc 0
		.amdhsa_reserve_flat_scratch 0
		.amdhsa_float_round_mode_32 0
		.amdhsa_float_round_mode_16_64 0
		.amdhsa_float_denorm_mode_32 3
		.amdhsa_float_denorm_mode_16_64 3
		.amdhsa_dx10_clamp 1
		.amdhsa_ieee_mode 1
		.amdhsa_fp16_overflow 0
		.amdhsa_exception_fp_ieee_invalid_op 0
		.amdhsa_exception_fp_denorm_src 0
		.amdhsa_exception_fp_ieee_div_zero 0
		.amdhsa_exception_fp_ieee_overflow 0
		.amdhsa_exception_fp_ieee_underflow 0
		.amdhsa_exception_fp_ieee_inexact 0
		.amdhsa_exception_int_div_zero 0
	.end_amdhsa_kernel
	.section	.text._ZN7rocprim17ROCPRIM_400000_NS6detail17trampoline_kernelINS0_14default_configENS1_25partition_config_selectorILNS1_17partition_subalgoE8EiNS0_10empty_typeEbEEZZNS1_14partition_implILS5_8ELb0ES3_jN6thrust23THRUST_200600_302600_NS6detail15normal_iteratorINSA_10device_ptrIiEEEEPS6_PKS6_NS0_5tupleIJSF_S6_EEENSJ_IJSG_SG_EEENS0_18inequality_wrapperINSA_8equal_toIiEEEEPmJS6_EEE10hipError_tPvRmT3_T4_T5_T6_T7_T9_mT8_P12ihipStream_tbDpT10_ENKUlT_T0_E_clISt17integral_constantIbLb1EES1A_EEDaS15_S16_EUlS15_E_NS1_11comp_targetILNS1_3genE0ELNS1_11target_archE4294967295ELNS1_3gpuE0ELNS1_3repE0EEENS1_30default_config_static_selectorELNS0_4arch9wavefront6targetE1EEEvT1_,"axG",@progbits,_ZN7rocprim17ROCPRIM_400000_NS6detail17trampoline_kernelINS0_14default_configENS1_25partition_config_selectorILNS1_17partition_subalgoE8EiNS0_10empty_typeEbEEZZNS1_14partition_implILS5_8ELb0ES3_jN6thrust23THRUST_200600_302600_NS6detail15normal_iteratorINSA_10device_ptrIiEEEEPS6_PKS6_NS0_5tupleIJSF_S6_EEENSJ_IJSG_SG_EEENS0_18inequality_wrapperINSA_8equal_toIiEEEEPmJS6_EEE10hipError_tPvRmT3_T4_T5_T6_T7_T9_mT8_P12ihipStream_tbDpT10_ENKUlT_T0_E_clISt17integral_constantIbLb1EES1A_EEDaS15_S16_EUlS15_E_NS1_11comp_targetILNS1_3genE0ELNS1_11target_archE4294967295ELNS1_3gpuE0ELNS1_3repE0EEENS1_30default_config_static_selectorELNS0_4arch9wavefront6targetE1EEEvT1_,comdat
.Lfunc_end412:
	.size	_ZN7rocprim17ROCPRIM_400000_NS6detail17trampoline_kernelINS0_14default_configENS1_25partition_config_selectorILNS1_17partition_subalgoE8EiNS0_10empty_typeEbEEZZNS1_14partition_implILS5_8ELb0ES3_jN6thrust23THRUST_200600_302600_NS6detail15normal_iteratorINSA_10device_ptrIiEEEEPS6_PKS6_NS0_5tupleIJSF_S6_EEENSJ_IJSG_SG_EEENS0_18inequality_wrapperINSA_8equal_toIiEEEEPmJS6_EEE10hipError_tPvRmT3_T4_T5_T6_T7_T9_mT8_P12ihipStream_tbDpT10_ENKUlT_T0_E_clISt17integral_constantIbLb1EES1A_EEDaS15_S16_EUlS15_E_NS1_11comp_targetILNS1_3genE0ELNS1_11target_archE4294967295ELNS1_3gpuE0ELNS1_3repE0EEENS1_30default_config_static_selectorELNS0_4arch9wavefront6targetE1EEEvT1_, .Lfunc_end412-_ZN7rocprim17ROCPRIM_400000_NS6detail17trampoline_kernelINS0_14default_configENS1_25partition_config_selectorILNS1_17partition_subalgoE8EiNS0_10empty_typeEbEEZZNS1_14partition_implILS5_8ELb0ES3_jN6thrust23THRUST_200600_302600_NS6detail15normal_iteratorINSA_10device_ptrIiEEEEPS6_PKS6_NS0_5tupleIJSF_S6_EEENSJ_IJSG_SG_EEENS0_18inequality_wrapperINSA_8equal_toIiEEEEPmJS6_EEE10hipError_tPvRmT3_T4_T5_T6_T7_T9_mT8_P12ihipStream_tbDpT10_ENKUlT_T0_E_clISt17integral_constantIbLb1EES1A_EEDaS15_S16_EUlS15_E_NS1_11comp_targetILNS1_3genE0ELNS1_11target_archE4294967295ELNS1_3gpuE0ELNS1_3repE0EEENS1_30default_config_static_selectorELNS0_4arch9wavefront6targetE1EEEvT1_
                                        ; -- End function
	.set _ZN7rocprim17ROCPRIM_400000_NS6detail17trampoline_kernelINS0_14default_configENS1_25partition_config_selectorILNS1_17partition_subalgoE8EiNS0_10empty_typeEbEEZZNS1_14partition_implILS5_8ELb0ES3_jN6thrust23THRUST_200600_302600_NS6detail15normal_iteratorINSA_10device_ptrIiEEEEPS6_PKS6_NS0_5tupleIJSF_S6_EEENSJ_IJSG_SG_EEENS0_18inequality_wrapperINSA_8equal_toIiEEEEPmJS6_EEE10hipError_tPvRmT3_T4_T5_T6_T7_T9_mT8_P12ihipStream_tbDpT10_ENKUlT_T0_E_clISt17integral_constantIbLb1EES1A_EEDaS15_S16_EUlS15_E_NS1_11comp_targetILNS1_3genE0ELNS1_11target_archE4294967295ELNS1_3gpuE0ELNS1_3repE0EEENS1_30default_config_static_selectorELNS0_4arch9wavefront6targetE1EEEvT1_.num_vgpr, 0
	.set _ZN7rocprim17ROCPRIM_400000_NS6detail17trampoline_kernelINS0_14default_configENS1_25partition_config_selectorILNS1_17partition_subalgoE8EiNS0_10empty_typeEbEEZZNS1_14partition_implILS5_8ELb0ES3_jN6thrust23THRUST_200600_302600_NS6detail15normal_iteratorINSA_10device_ptrIiEEEEPS6_PKS6_NS0_5tupleIJSF_S6_EEENSJ_IJSG_SG_EEENS0_18inequality_wrapperINSA_8equal_toIiEEEEPmJS6_EEE10hipError_tPvRmT3_T4_T5_T6_T7_T9_mT8_P12ihipStream_tbDpT10_ENKUlT_T0_E_clISt17integral_constantIbLb1EES1A_EEDaS15_S16_EUlS15_E_NS1_11comp_targetILNS1_3genE0ELNS1_11target_archE4294967295ELNS1_3gpuE0ELNS1_3repE0EEENS1_30default_config_static_selectorELNS0_4arch9wavefront6targetE1EEEvT1_.num_agpr, 0
	.set _ZN7rocprim17ROCPRIM_400000_NS6detail17trampoline_kernelINS0_14default_configENS1_25partition_config_selectorILNS1_17partition_subalgoE8EiNS0_10empty_typeEbEEZZNS1_14partition_implILS5_8ELb0ES3_jN6thrust23THRUST_200600_302600_NS6detail15normal_iteratorINSA_10device_ptrIiEEEEPS6_PKS6_NS0_5tupleIJSF_S6_EEENSJ_IJSG_SG_EEENS0_18inequality_wrapperINSA_8equal_toIiEEEEPmJS6_EEE10hipError_tPvRmT3_T4_T5_T6_T7_T9_mT8_P12ihipStream_tbDpT10_ENKUlT_T0_E_clISt17integral_constantIbLb1EES1A_EEDaS15_S16_EUlS15_E_NS1_11comp_targetILNS1_3genE0ELNS1_11target_archE4294967295ELNS1_3gpuE0ELNS1_3repE0EEENS1_30default_config_static_selectorELNS0_4arch9wavefront6targetE1EEEvT1_.numbered_sgpr, 0
	.set _ZN7rocprim17ROCPRIM_400000_NS6detail17trampoline_kernelINS0_14default_configENS1_25partition_config_selectorILNS1_17partition_subalgoE8EiNS0_10empty_typeEbEEZZNS1_14partition_implILS5_8ELb0ES3_jN6thrust23THRUST_200600_302600_NS6detail15normal_iteratorINSA_10device_ptrIiEEEEPS6_PKS6_NS0_5tupleIJSF_S6_EEENSJ_IJSG_SG_EEENS0_18inequality_wrapperINSA_8equal_toIiEEEEPmJS6_EEE10hipError_tPvRmT3_T4_T5_T6_T7_T9_mT8_P12ihipStream_tbDpT10_ENKUlT_T0_E_clISt17integral_constantIbLb1EES1A_EEDaS15_S16_EUlS15_E_NS1_11comp_targetILNS1_3genE0ELNS1_11target_archE4294967295ELNS1_3gpuE0ELNS1_3repE0EEENS1_30default_config_static_selectorELNS0_4arch9wavefront6targetE1EEEvT1_.num_named_barrier, 0
	.set _ZN7rocprim17ROCPRIM_400000_NS6detail17trampoline_kernelINS0_14default_configENS1_25partition_config_selectorILNS1_17partition_subalgoE8EiNS0_10empty_typeEbEEZZNS1_14partition_implILS5_8ELb0ES3_jN6thrust23THRUST_200600_302600_NS6detail15normal_iteratorINSA_10device_ptrIiEEEEPS6_PKS6_NS0_5tupleIJSF_S6_EEENSJ_IJSG_SG_EEENS0_18inequality_wrapperINSA_8equal_toIiEEEEPmJS6_EEE10hipError_tPvRmT3_T4_T5_T6_T7_T9_mT8_P12ihipStream_tbDpT10_ENKUlT_T0_E_clISt17integral_constantIbLb1EES1A_EEDaS15_S16_EUlS15_E_NS1_11comp_targetILNS1_3genE0ELNS1_11target_archE4294967295ELNS1_3gpuE0ELNS1_3repE0EEENS1_30default_config_static_selectorELNS0_4arch9wavefront6targetE1EEEvT1_.private_seg_size, 0
	.set _ZN7rocprim17ROCPRIM_400000_NS6detail17trampoline_kernelINS0_14default_configENS1_25partition_config_selectorILNS1_17partition_subalgoE8EiNS0_10empty_typeEbEEZZNS1_14partition_implILS5_8ELb0ES3_jN6thrust23THRUST_200600_302600_NS6detail15normal_iteratorINSA_10device_ptrIiEEEEPS6_PKS6_NS0_5tupleIJSF_S6_EEENSJ_IJSG_SG_EEENS0_18inequality_wrapperINSA_8equal_toIiEEEEPmJS6_EEE10hipError_tPvRmT3_T4_T5_T6_T7_T9_mT8_P12ihipStream_tbDpT10_ENKUlT_T0_E_clISt17integral_constantIbLb1EES1A_EEDaS15_S16_EUlS15_E_NS1_11comp_targetILNS1_3genE0ELNS1_11target_archE4294967295ELNS1_3gpuE0ELNS1_3repE0EEENS1_30default_config_static_selectorELNS0_4arch9wavefront6targetE1EEEvT1_.uses_vcc, 0
	.set _ZN7rocprim17ROCPRIM_400000_NS6detail17trampoline_kernelINS0_14default_configENS1_25partition_config_selectorILNS1_17partition_subalgoE8EiNS0_10empty_typeEbEEZZNS1_14partition_implILS5_8ELb0ES3_jN6thrust23THRUST_200600_302600_NS6detail15normal_iteratorINSA_10device_ptrIiEEEEPS6_PKS6_NS0_5tupleIJSF_S6_EEENSJ_IJSG_SG_EEENS0_18inequality_wrapperINSA_8equal_toIiEEEEPmJS6_EEE10hipError_tPvRmT3_T4_T5_T6_T7_T9_mT8_P12ihipStream_tbDpT10_ENKUlT_T0_E_clISt17integral_constantIbLb1EES1A_EEDaS15_S16_EUlS15_E_NS1_11comp_targetILNS1_3genE0ELNS1_11target_archE4294967295ELNS1_3gpuE0ELNS1_3repE0EEENS1_30default_config_static_selectorELNS0_4arch9wavefront6targetE1EEEvT1_.uses_flat_scratch, 0
	.set _ZN7rocprim17ROCPRIM_400000_NS6detail17trampoline_kernelINS0_14default_configENS1_25partition_config_selectorILNS1_17partition_subalgoE8EiNS0_10empty_typeEbEEZZNS1_14partition_implILS5_8ELb0ES3_jN6thrust23THRUST_200600_302600_NS6detail15normal_iteratorINSA_10device_ptrIiEEEEPS6_PKS6_NS0_5tupleIJSF_S6_EEENSJ_IJSG_SG_EEENS0_18inequality_wrapperINSA_8equal_toIiEEEEPmJS6_EEE10hipError_tPvRmT3_T4_T5_T6_T7_T9_mT8_P12ihipStream_tbDpT10_ENKUlT_T0_E_clISt17integral_constantIbLb1EES1A_EEDaS15_S16_EUlS15_E_NS1_11comp_targetILNS1_3genE0ELNS1_11target_archE4294967295ELNS1_3gpuE0ELNS1_3repE0EEENS1_30default_config_static_selectorELNS0_4arch9wavefront6targetE1EEEvT1_.has_dyn_sized_stack, 0
	.set _ZN7rocprim17ROCPRIM_400000_NS6detail17trampoline_kernelINS0_14default_configENS1_25partition_config_selectorILNS1_17partition_subalgoE8EiNS0_10empty_typeEbEEZZNS1_14partition_implILS5_8ELb0ES3_jN6thrust23THRUST_200600_302600_NS6detail15normal_iteratorINSA_10device_ptrIiEEEEPS6_PKS6_NS0_5tupleIJSF_S6_EEENSJ_IJSG_SG_EEENS0_18inequality_wrapperINSA_8equal_toIiEEEEPmJS6_EEE10hipError_tPvRmT3_T4_T5_T6_T7_T9_mT8_P12ihipStream_tbDpT10_ENKUlT_T0_E_clISt17integral_constantIbLb1EES1A_EEDaS15_S16_EUlS15_E_NS1_11comp_targetILNS1_3genE0ELNS1_11target_archE4294967295ELNS1_3gpuE0ELNS1_3repE0EEENS1_30default_config_static_selectorELNS0_4arch9wavefront6targetE1EEEvT1_.has_recursion, 0
	.set _ZN7rocprim17ROCPRIM_400000_NS6detail17trampoline_kernelINS0_14default_configENS1_25partition_config_selectorILNS1_17partition_subalgoE8EiNS0_10empty_typeEbEEZZNS1_14partition_implILS5_8ELb0ES3_jN6thrust23THRUST_200600_302600_NS6detail15normal_iteratorINSA_10device_ptrIiEEEEPS6_PKS6_NS0_5tupleIJSF_S6_EEENSJ_IJSG_SG_EEENS0_18inequality_wrapperINSA_8equal_toIiEEEEPmJS6_EEE10hipError_tPvRmT3_T4_T5_T6_T7_T9_mT8_P12ihipStream_tbDpT10_ENKUlT_T0_E_clISt17integral_constantIbLb1EES1A_EEDaS15_S16_EUlS15_E_NS1_11comp_targetILNS1_3genE0ELNS1_11target_archE4294967295ELNS1_3gpuE0ELNS1_3repE0EEENS1_30default_config_static_selectorELNS0_4arch9wavefront6targetE1EEEvT1_.has_indirect_call, 0
	.section	.AMDGPU.csdata,"",@progbits
; Kernel info:
; codeLenInByte = 0
; TotalNumSgprs: 4
; NumVgprs: 0
; ScratchSize: 0
; MemoryBound: 0
; FloatMode: 240
; IeeeMode: 1
; LDSByteSize: 0 bytes/workgroup (compile time only)
; SGPRBlocks: 0
; VGPRBlocks: 0
; NumSGPRsForWavesPerEU: 4
; NumVGPRsForWavesPerEU: 1
; Occupancy: 10
; WaveLimiterHint : 0
; COMPUTE_PGM_RSRC2:SCRATCH_EN: 0
; COMPUTE_PGM_RSRC2:USER_SGPR: 6
; COMPUTE_PGM_RSRC2:TRAP_HANDLER: 0
; COMPUTE_PGM_RSRC2:TGID_X_EN: 1
; COMPUTE_PGM_RSRC2:TGID_Y_EN: 0
; COMPUTE_PGM_RSRC2:TGID_Z_EN: 0
; COMPUTE_PGM_RSRC2:TIDIG_COMP_CNT: 0
	.section	.text._ZN7rocprim17ROCPRIM_400000_NS6detail17trampoline_kernelINS0_14default_configENS1_25partition_config_selectorILNS1_17partition_subalgoE8EiNS0_10empty_typeEbEEZZNS1_14partition_implILS5_8ELb0ES3_jN6thrust23THRUST_200600_302600_NS6detail15normal_iteratorINSA_10device_ptrIiEEEEPS6_PKS6_NS0_5tupleIJSF_S6_EEENSJ_IJSG_SG_EEENS0_18inequality_wrapperINSA_8equal_toIiEEEEPmJS6_EEE10hipError_tPvRmT3_T4_T5_T6_T7_T9_mT8_P12ihipStream_tbDpT10_ENKUlT_T0_E_clISt17integral_constantIbLb1EES1A_EEDaS15_S16_EUlS15_E_NS1_11comp_targetILNS1_3genE5ELNS1_11target_archE942ELNS1_3gpuE9ELNS1_3repE0EEENS1_30default_config_static_selectorELNS0_4arch9wavefront6targetE1EEEvT1_,"axG",@progbits,_ZN7rocprim17ROCPRIM_400000_NS6detail17trampoline_kernelINS0_14default_configENS1_25partition_config_selectorILNS1_17partition_subalgoE8EiNS0_10empty_typeEbEEZZNS1_14partition_implILS5_8ELb0ES3_jN6thrust23THRUST_200600_302600_NS6detail15normal_iteratorINSA_10device_ptrIiEEEEPS6_PKS6_NS0_5tupleIJSF_S6_EEENSJ_IJSG_SG_EEENS0_18inequality_wrapperINSA_8equal_toIiEEEEPmJS6_EEE10hipError_tPvRmT3_T4_T5_T6_T7_T9_mT8_P12ihipStream_tbDpT10_ENKUlT_T0_E_clISt17integral_constantIbLb1EES1A_EEDaS15_S16_EUlS15_E_NS1_11comp_targetILNS1_3genE5ELNS1_11target_archE942ELNS1_3gpuE9ELNS1_3repE0EEENS1_30default_config_static_selectorELNS0_4arch9wavefront6targetE1EEEvT1_,comdat
	.protected	_ZN7rocprim17ROCPRIM_400000_NS6detail17trampoline_kernelINS0_14default_configENS1_25partition_config_selectorILNS1_17partition_subalgoE8EiNS0_10empty_typeEbEEZZNS1_14partition_implILS5_8ELb0ES3_jN6thrust23THRUST_200600_302600_NS6detail15normal_iteratorINSA_10device_ptrIiEEEEPS6_PKS6_NS0_5tupleIJSF_S6_EEENSJ_IJSG_SG_EEENS0_18inequality_wrapperINSA_8equal_toIiEEEEPmJS6_EEE10hipError_tPvRmT3_T4_T5_T6_T7_T9_mT8_P12ihipStream_tbDpT10_ENKUlT_T0_E_clISt17integral_constantIbLb1EES1A_EEDaS15_S16_EUlS15_E_NS1_11comp_targetILNS1_3genE5ELNS1_11target_archE942ELNS1_3gpuE9ELNS1_3repE0EEENS1_30default_config_static_selectorELNS0_4arch9wavefront6targetE1EEEvT1_ ; -- Begin function _ZN7rocprim17ROCPRIM_400000_NS6detail17trampoline_kernelINS0_14default_configENS1_25partition_config_selectorILNS1_17partition_subalgoE8EiNS0_10empty_typeEbEEZZNS1_14partition_implILS5_8ELb0ES3_jN6thrust23THRUST_200600_302600_NS6detail15normal_iteratorINSA_10device_ptrIiEEEEPS6_PKS6_NS0_5tupleIJSF_S6_EEENSJ_IJSG_SG_EEENS0_18inequality_wrapperINSA_8equal_toIiEEEEPmJS6_EEE10hipError_tPvRmT3_T4_T5_T6_T7_T9_mT8_P12ihipStream_tbDpT10_ENKUlT_T0_E_clISt17integral_constantIbLb1EES1A_EEDaS15_S16_EUlS15_E_NS1_11comp_targetILNS1_3genE5ELNS1_11target_archE942ELNS1_3gpuE9ELNS1_3repE0EEENS1_30default_config_static_selectorELNS0_4arch9wavefront6targetE1EEEvT1_
	.globl	_ZN7rocprim17ROCPRIM_400000_NS6detail17trampoline_kernelINS0_14default_configENS1_25partition_config_selectorILNS1_17partition_subalgoE8EiNS0_10empty_typeEbEEZZNS1_14partition_implILS5_8ELb0ES3_jN6thrust23THRUST_200600_302600_NS6detail15normal_iteratorINSA_10device_ptrIiEEEEPS6_PKS6_NS0_5tupleIJSF_S6_EEENSJ_IJSG_SG_EEENS0_18inequality_wrapperINSA_8equal_toIiEEEEPmJS6_EEE10hipError_tPvRmT3_T4_T5_T6_T7_T9_mT8_P12ihipStream_tbDpT10_ENKUlT_T0_E_clISt17integral_constantIbLb1EES1A_EEDaS15_S16_EUlS15_E_NS1_11comp_targetILNS1_3genE5ELNS1_11target_archE942ELNS1_3gpuE9ELNS1_3repE0EEENS1_30default_config_static_selectorELNS0_4arch9wavefront6targetE1EEEvT1_
	.p2align	8
	.type	_ZN7rocprim17ROCPRIM_400000_NS6detail17trampoline_kernelINS0_14default_configENS1_25partition_config_selectorILNS1_17partition_subalgoE8EiNS0_10empty_typeEbEEZZNS1_14partition_implILS5_8ELb0ES3_jN6thrust23THRUST_200600_302600_NS6detail15normal_iteratorINSA_10device_ptrIiEEEEPS6_PKS6_NS0_5tupleIJSF_S6_EEENSJ_IJSG_SG_EEENS0_18inequality_wrapperINSA_8equal_toIiEEEEPmJS6_EEE10hipError_tPvRmT3_T4_T5_T6_T7_T9_mT8_P12ihipStream_tbDpT10_ENKUlT_T0_E_clISt17integral_constantIbLb1EES1A_EEDaS15_S16_EUlS15_E_NS1_11comp_targetILNS1_3genE5ELNS1_11target_archE942ELNS1_3gpuE9ELNS1_3repE0EEENS1_30default_config_static_selectorELNS0_4arch9wavefront6targetE1EEEvT1_,@function
_ZN7rocprim17ROCPRIM_400000_NS6detail17trampoline_kernelINS0_14default_configENS1_25partition_config_selectorILNS1_17partition_subalgoE8EiNS0_10empty_typeEbEEZZNS1_14partition_implILS5_8ELb0ES3_jN6thrust23THRUST_200600_302600_NS6detail15normal_iteratorINSA_10device_ptrIiEEEEPS6_PKS6_NS0_5tupleIJSF_S6_EEENSJ_IJSG_SG_EEENS0_18inequality_wrapperINSA_8equal_toIiEEEEPmJS6_EEE10hipError_tPvRmT3_T4_T5_T6_T7_T9_mT8_P12ihipStream_tbDpT10_ENKUlT_T0_E_clISt17integral_constantIbLb1EES1A_EEDaS15_S16_EUlS15_E_NS1_11comp_targetILNS1_3genE5ELNS1_11target_archE942ELNS1_3gpuE9ELNS1_3repE0EEENS1_30default_config_static_selectorELNS0_4arch9wavefront6targetE1EEEvT1_: ; @_ZN7rocprim17ROCPRIM_400000_NS6detail17trampoline_kernelINS0_14default_configENS1_25partition_config_selectorILNS1_17partition_subalgoE8EiNS0_10empty_typeEbEEZZNS1_14partition_implILS5_8ELb0ES3_jN6thrust23THRUST_200600_302600_NS6detail15normal_iteratorINSA_10device_ptrIiEEEEPS6_PKS6_NS0_5tupleIJSF_S6_EEENSJ_IJSG_SG_EEENS0_18inequality_wrapperINSA_8equal_toIiEEEEPmJS6_EEE10hipError_tPvRmT3_T4_T5_T6_T7_T9_mT8_P12ihipStream_tbDpT10_ENKUlT_T0_E_clISt17integral_constantIbLb1EES1A_EEDaS15_S16_EUlS15_E_NS1_11comp_targetILNS1_3genE5ELNS1_11target_archE942ELNS1_3gpuE9ELNS1_3repE0EEENS1_30default_config_static_selectorELNS0_4arch9wavefront6targetE1EEEvT1_
; %bb.0:
	.section	.rodata,"a",@progbits
	.p2align	6, 0x0
	.amdhsa_kernel _ZN7rocprim17ROCPRIM_400000_NS6detail17trampoline_kernelINS0_14default_configENS1_25partition_config_selectorILNS1_17partition_subalgoE8EiNS0_10empty_typeEbEEZZNS1_14partition_implILS5_8ELb0ES3_jN6thrust23THRUST_200600_302600_NS6detail15normal_iteratorINSA_10device_ptrIiEEEEPS6_PKS6_NS0_5tupleIJSF_S6_EEENSJ_IJSG_SG_EEENS0_18inequality_wrapperINSA_8equal_toIiEEEEPmJS6_EEE10hipError_tPvRmT3_T4_T5_T6_T7_T9_mT8_P12ihipStream_tbDpT10_ENKUlT_T0_E_clISt17integral_constantIbLb1EES1A_EEDaS15_S16_EUlS15_E_NS1_11comp_targetILNS1_3genE5ELNS1_11target_archE942ELNS1_3gpuE9ELNS1_3repE0EEENS1_30default_config_static_selectorELNS0_4arch9wavefront6targetE1EEEvT1_
		.amdhsa_group_segment_fixed_size 0
		.amdhsa_private_segment_fixed_size 0
		.amdhsa_kernarg_size 128
		.amdhsa_user_sgpr_count 6
		.amdhsa_user_sgpr_private_segment_buffer 1
		.amdhsa_user_sgpr_dispatch_ptr 0
		.amdhsa_user_sgpr_queue_ptr 0
		.amdhsa_user_sgpr_kernarg_segment_ptr 1
		.amdhsa_user_sgpr_dispatch_id 0
		.amdhsa_user_sgpr_flat_scratch_init 0
		.amdhsa_user_sgpr_private_segment_size 0
		.amdhsa_uses_dynamic_stack 0
		.amdhsa_system_sgpr_private_segment_wavefront_offset 0
		.amdhsa_system_sgpr_workgroup_id_x 1
		.amdhsa_system_sgpr_workgroup_id_y 0
		.amdhsa_system_sgpr_workgroup_id_z 0
		.amdhsa_system_sgpr_workgroup_info 0
		.amdhsa_system_vgpr_workitem_id 0
		.amdhsa_next_free_vgpr 1
		.amdhsa_next_free_sgpr 0
		.amdhsa_reserve_vcc 0
		.amdhsa_reserve_flat_scratch 0
		.amdhsa_float_round_mode_32 0
		.amdhsa_float_round_mode_16_64 0
		.amdhsa_float_denorm_mode_32 3
		.amdhsa_float_denorm_mode_16_64 3
		.amdhsa_dx10_clamp 1
		.amdhsa_ieee_mode 1
		.amdhsa_fp16_overflow 0
		.amdhsa_exception_fp_ieee_invalid_op 0
		.amdhsa_exception_fp_denorm_src 0
		.amdhsa_exception_fp_ieee_div_zero 0
		.amdhsa_exception_fp_ieee_overflow 0
		.amdhsa_exception_fp_ieee_underflow 0
		.amdhsa_exception_fp_ieee_inexact 0
		.amdhsa_exception_int_div_zero 0
	.end_amdhsa_kernel
	.section	.text._ZN7rocprim17ROCPRIM_400000_NS6detail17trampoline_kernelINS0_14default_configENS1_25partition_config_selectorILNS1_17partition_subalgoE8EiNS0_10empty_typeEbEEZZNS1_14partition_implILS5_8ELb0ES3_jN6thrust23THRUST_200600_302600_NS6detail15normal_iteratorINSA_10device_ptrIiEEEEPS6_PKS6_NS0_5tupleIJSF_S6_EEENSJ_IJSG_SG_EEENS0_18inequality_wrapperINSA_8equal_toIiEEEEPmJS6_EEE10hipError_tPvRmT3_T4_T5_T6_T7_T9_mT8_P12ihipStream_tbDpT10_ENKUlT_T0_E_clISt17integral_constantIbLb1EES1A_EEDaS15_S16_EUlS15_E_NS1_11comp_targetILNS1_3genE5ELNS1_11target_archE942ELNS1_3gpuE9ELNS1_3repE0EEENS1_30default_config_static_selectorELNS0_4arch9wavefront6targetE1EEEvT1_,"axG",@progbits,_ZN7rocprim17ROCPRIM_400000_NS6detail17trampoline_kernelINS0_14default_configENS1_25partition_config_selectorILNS1_17partition_subalgoE8EiNS0_10empty_typeEbEEZZNS1_14partition_implILS5_8ELb0ES3_jN6thrust23THRUST_200600_302600_NS6detail15normal_iteratorINSA_10device_ptrIiEEEEPS6_PKS6_NS0_5tupleIJSF_S6_EEENSJ_IJSG_SG_EEENS0_18inequality_wrapperINSA_8equal_toIiEEEEPmJS6_EEE10hipError_tPvRmT3_T4_T5_T6_T7_T9_mT8_P12ihipStream_tbDpT10_ENKUlT_T0_E_clISt17integral_constantIbLb1EES1A_EEDaS15_S16_EUlS15_E_NS1_11comp_targetILNS1_3genE5ELNS1_11target_archE942ELNS1_3gpuE9ELNS1_3repE0EEENS1_30default_config_static_selectorELNS0_4arch9wavefront6targetE1EEEvT1_,comdat
.Lfunc_end413:
	.size	_ZN7rocprim17ROCPRIM_400000_NS6detail17trampoline_kernelINS0_14default_configENS1_25partition_config_selectorILNS1_17partition_subalgoE8EiNS0_10empty_typeEbEEZZNS1_14partition_implILS5_8ELb0ES3_jN6thrust23THRUST_200600_302600_NS6detail15normal_iteratorINSA_10device_ptrIiEEEEPS6_PKS6_NS0_5tupleIJSF_S6_EEENSJ_IJSG_SG_EEENS0_18inequality_wrapperINSA_8equal_toIiEEEEPmJS6_EEE10hipError_tPvRmT3_T4_T5_T6_T7_T9_mT8_P12ihipStream_tbDpT10_ENKUlT_T0_E_clISt17integral_constantIbLb1EES1A_EEDaS15_S16_EUlS15_E_NS1_11comp_targetILNS1_3genE5ELNS1_11target_archE942ELNS1_3gpuE9ELNS1_3repE0EEENS1_30default_config_static_selectorELNS0_4arch9wavefront6targetE1EEEvT1_, .Lfunc_end413-_ZN7rocprim17ROCPRIM_400000_NS6detail17trampoline_kernelINS0_14default_configENS1_25partition_config_selectorILNS1_17partition_subalgoE8EiNS0_10empty_typeEbEEZZNS1_14partition_implILS5_8ELb0ES3_jN6thrust23THRUST_200600_302600_NS6detail15normal_iteratorINSA_10device_ptrIiEEEEPS6_PKS6_NS0_5tupleIJSF_S6_EEENSJ_IJSG_SG_EEENS0_18inequality_wrapperINSA_8equal_toIiEEEEPmJS6_EEE10hipError_tPvRmT3_T4_T5_T6_T7_T9_mT8_P12ihipStream_tbDpT10_ENKUlT_T0_E_clISt17integral_constantIbLb1EES1A_EEDaS15_S16_EUlS15_E_NS1_11comp_targetILNS1_3genE5ELNS1_11target_archE942ELNS1_3gpuE9ELNS1_3repE0EEENS1_30default_config_static_selectorELNS0_4arch9wavefront6targetE1EEEvT1_
                                        ; -- End function
	.set _ZN7rocprim17ROCPRIM_400000_NS6detail17trampoline_kernelINS0_14default_configENS1_25partition_config_selectorILNS1_17partition_subalgoE8EiNS0_10empty_typeEbEEZZNS1_14partition_implILS5_8ELb0ES3_jN6thrust23THRUST_200600_302600_NS6detail15normal_iteratorINSA_10device_ptrIiEEEEPS6_PKS6_NS0_5tupleIJSF_S6_EEENSJ_IJSG_SG_EEENS0_18inequality_wrapperINSA_8equal_toIiEEEEPmJS6_EEE10hipError_tPvRmT3_T4_T5_T6_T7_T9_mT8_P12ihipStream_tbDpT10_ENKUlT_T0_E_clISt17integral_constantIbLb1EES1A_EEDaS15_S16_EUlS15_E_NS1_11comp_targetILNS1_3genE5ELNS1_11target_archE942ELNS1_3gpuE9ELNS1_3repE0EEENS1_30default_config_static_selectorELNS0_4arch9wavefront6targetE1EEEvT1_.num_vgpr, 0
	.set _ZN7rocprim17ROCPRIM_400000_NS6detail17trampoline_kernelINS0_14default_configENS1_25partition_config_selectorILNS1_17partition_subalgoE8EiNS0_10empty_typeEbEEZZNS1_14partition_implILS5_8ELb0ES3_jN6thrust23THRUST_200600_302600_NS6detail15normal_iteratorINSA_10device_ptrIiEEEEPS6_PKS6_NS0_5tupleIJSF_S6_EEENSJ_IJSG_SG_EEENS0_18inequality_wrapperINSA_8equal_toIiEEEEPmJS6_EEE10hipError_tPvRmT3_T4_T5_T6_T7_T9_mT8_P12ihipStream_tbDpT10_ENKUlT_T0_E_clISt17integral_constantIbLb1EES1A_EEDaS15_S16_EUlS15_E_NS1_11comp_targetILNS1_3genE5ELNS1_11target_archE942ELNS1_3gpuE9ELNS1_3repE0EEENS1_30default_config_static_selectorELNS0_4arch9wavefront6targetE1EEEvT1_.num_agpr, 0
	.set _ZN7rocprim17ROCPRIM_400000_NS6detail17trampoline_kernelINS0_14default_configENS1_25partition_config_selectorILNS1_17partition_subalgoE8EiNS0_10empty_typeEbEEZZNS1_14partition_implILS5_8ELb0ES3_jN6thrust23THRUST_200600_302600_NS6detail15normal_iteratorINSA_10device_ptrIiEEEEPS6_PKS6_NS0_5tupleIJSF_S6_EEENSJ_IJSG_SG_EEENS0_18inequality_wrapperINSA_8equal_toIiEEEEPmJS6_EEE10hipError_tPvRmT3_T4_T5_T6_T7_T9_mT8_P12ihipStream_tbDpT10_ENKUlT_T0_E_clISt17integral_constantIbLb1EES1A_EEDaS15_S16_EUlS15_E_NS1_11comp_targetILNS1_3genE5ELNS1_11target_archE942ELNS1_3gpuE9ELNS1_3repE0EEENS1_30default_config_static_selectorELNS0_4arch9wavefront6targetE1EEEvT1_.numbered_sgpr, 0
	.set _ZN7rocprim17ROCPRIM_400000_NS6detail17trampoline_kernelINS0_14default_configENS1_25partition_config_selectorILNS1_17partition_subalgoE8EiNS0_10empty_typeEbEEZZNS1_14partition_implILS5_8ELb0ES3_jN6thrust23THRUST_200600_302600_NS6detail15normal_iteratorINSA_10device_ptrIiEEEEPS6_PKS6_NS0_5tupleIJSF_S6_EEENSJ_IJSG_SG_EEENS0_18inequality_wrapperINSA_8equal_toIiEEEEPmJS6_EEE10hipError_tPvRmT3_T4_T5_T6_T7_T9_mT8_P12ihipStream_tbDpT10_ENKUlT_T0_E_clISt17integral_constantIbLb1EES1A_EEDaS15_S16_EUlS15_E_NS1_11comp_targetILNS1_3genE5ELNS1_11target_archE942ELNS1_3gpuE9ELNS1_3repE0EEENS1_30default_config_static_selectorELNS0_4arch9wavefront6targetE1EEEvT1_.num_named_barrier, 0
	.set _ZN7rocprim17ROCPRIM_400000_NS6detail17trampoline_kernelINS0_14default_configENS1_25partition_config_selectorILNS1_17partition_subalgoE8EiNS0_10empty_typeEbEEZZNS1_14partition_implILS5_8ELb0ES3_jN6thrust23THRUST_200600_302600_NS6detail15normal_iteratorINSA_10device_ptrIiEEEEPS6_PKS6_NS0_5tupleIJSF_S6_EEENSJ_IJSG_SG_EEENS0_18inequality_wrapperINSA_8equal_toIiEEEEPmJS6_EEE10hipError_tPvRmT3_T4_T5_T6_T7_T9_mT8_P12ihipStream_tbDpT10_ENKUlT_T0_E_clISt17integral_constantIbLb1EES1A_EEDaS15_S16_EUlS15_E_NS1_11comp_targetILNS1_3genE5ELNS1_11target_archE942ELNS1_3gpuE9ELNS1_3repE0EEENS1_30default_config_static_selectorELNS0_4arch9wavefront6targetE1EEEvT1_.private_seg_size, 0
	.set _ZN7rocprim17ROCPRIM_400000_NS6detail17trampoline_kernelINS0_14default_configENS1_25partition_config_selectorILNS1_17partition_subalgoE8EiNS0_10empty_typeEbEEZZNS1_14partition_implILS5_8ELb0ES3_jN6thrust23THRUST_200600_302600_NS6detail15normal_iteratorINSA_10device_ptrIiEEEEPS6_PKS6_NS0_5tupleIJSF_S6_EEENSJ_IJSG_SG_EEENS0_18inequality_wrapperINSA_8equal_toIiEEEEPmJS6_EEE10hipError_tPvRmT3_T4_T5_T6_T7_T9_mT8_P12ihipStream_tbDpT10_ENKUlT_T0_E_clISt17integral_constantIbLb1EES1A_EEDaS15_S16_EUlS15_E_NS1_11comp_targetILNS1_3genE5ELNS1_11target_archE942ELNS1_3gpuE9ELNS1_3repE0EEENS1_30default_config_static_selectorELNS0_4arch9wavefront6targetE1EEEvT1_.uses_vcc, 0
	.set _ZN7rocprim17ROCPRIM_400000_NS6detail17trampoline_kernelINS0_14default_configENS1_25partition_config_selectorILNS1_17partition_subalgoE8EiNS0_10empty_typeEbEEZZNS1_14partition_implILS5_8ELb0ES3_jN6thrust23THRUST_200600_302600_NS6detail15normal_iteratorINSA_10device_ptrIiEEEEPS6_PKS6_NS0_5tupleIJSF_S6_EEENSJ_IJSG_SG_EEENS0_18inequality_wrapperINSA_8equal_toIiEEEEPmJS6_EEE10hipError_tPvRmT3_T4_T5_T6_T7_T9_mT8_P12ihipStream_tbDpT10_ENKUlT_T0_E_clISt17integral_constantIbLb1EES1A_EEDaS15_S16_EUlS15_E_NS1_11comp_targetILNS1_3genE5ELNS1_11target_archE942ELNS1_3gpuE9ELNS1_3repE0EEENS1_30default_config_static_selectorELNS0_4arch9wavefront6targetE1EEEvT1_.uses_flat_scratch, 0
	.set _ZN7rocprim17ROCPRIM_400000_NS6detail17trampoline_kernelINS0_14default_configENS1_25partition_config_selectorILNS1_17partition_subalgoE8EiNS0_10empty_typeEbEEZZNS1_14partition_implILS5_8ELb0ES3_jN6thrust23THRUST_200600_302600_NS6detail15normal_iteratorINSA_10device_ptrIiEEEEPS6_PKS6_NS0_5tupleIJSF_S6_EEENSJ_IJSG_SG_EEENS0_18inequality_wrapperINSA_8equal_toIiEEEEPmJS6_EEE10hipError_tPvRmT3_T4_T5_T6_T7_T9_mT8_P12ihipStream_tbDpT10_ENKUlT_T0_E_clISt17integral_constantIbLb1EES1A_EEDaS15_S16_EUlS15_E_NS1_11comp_targetILNS1_3genE5ELNS1_11target_archE942ELNS1_3gpuE9ELNS1_3repE0EEENS1_30default_config_static_selectorELNS0_4arch9wavefront6targetE1EEEvT1_.has_dyn_sized_stack, 0
	.set _ZN7rocprim17ROCPRIM_400000_NS6detail17trampoline_kernelINS0_14default_configENS1_25partition_config_selectorILNS1_17partition_subalgoE8EiNS0_10empty_typeEbEEZZNS1_14partition_implILS5_8ELb0ES3_jN6thrust23THRUST_200600_302600_NS6detail15normal_iteratorINSA_10device_ptrIiEEEEPS6_PKS6_NS0_5tupleIJSF_S6_EEENSJ_IJSG_SG_EEENS0_18inequality_wrapperINSA_8equal_toIiEEEEPmJS6_EEE10hipError_tPvRmT3_T4_T5_T6_T7_T9_mT8_P12ihipStream_tbDpT10_ENKUlT_T0_E_clISt17integral_constantIbLb1EES1A_EEDaS15_S16_EUlS15_E_NS1_11comp_targetILNS1_3genE5ELNS1_11target_archE942ELNS1_3gpuE9ELNS1_3repE0EEENS1_30default_config_static_selectorELNS0_4arch9wavefront6targetE1EEEvT1_.has_recursion, 0
	.set _ZN7rocprim17ROCPRIM_400000_NS6detail17trampoline_kernelINS0_14default_configENS1_25partition_config_selectorILNS1_17partition_subalgoE8EiNS0_10empty_typeEbEEZZNS1_14partition_implILS5_8ELb0ES3_jN6thrust23THRUST_200600_302600_NS6detail15normal_iteratorINSA_10device_ptrIiEEEEPS6_PKS6_NS0_5tupleIJSF_S6_EEENSJ_IJSG_SG_EEENS0_18inequality_wrapperINSA_8equal_toIiEEEEPmJS6_EEE10hipError_tPvRmT3_T4_T5_T6_T7_T9_mT8_P12ihipStream_tbDpT10_ENKUlT_T0_E_clISt17integral_constantIbLb1EES1A_EEDaS15_S16_EUlS15_E_NS1_11comp_targetILNS1_3genE5ELNS1_11target_archE942ELNS1_3gpuE9ELNS1_3repE0EEENS1_30default_config_static_selectorELNS0_4arch9wavefront6targetE1EEEvT1_.has_indirect_call, 0
	.section	.AMDGPU.csdata,"",@progbits
; Kernel info:
; codeLenInByte = 0
; TotalNumSgprs: 4
; NumVgprs: 0
; ScratchSize: 0
; MemoryBound: 0
; FloatMode: 240
; IeeeMode: 1
; LDSByteSize: 0 bytes/workgroup (compile time only)
; SGPRBlocks: 0
; VGPRBlocks: 0
; NumSGPRsForWavesPerEU: 4
; NumVGPRsForWavesPerEU: 1
; Occupancy: 10
; WaveLimiterHint : 0
; COMPUTE_PGM_RSRC2:SCRATCH_EN: 0
; COMPUTE_PGM_RSRC2:USER_SGPR: 6
; COMPUTE_PGM_RSRC2:TRAP_HANDLER: 0
; COMPUTE_PGM_RSRC2:TGID_X_EN: 1
; COMPUTE_PGM_RSRC2:TGID_Y_EN: 0
; COMPUTE_PGM_RSRC2:TGID_Z_EN: 0
; COMPUTE_PGM_RSRC2:TIDIG_COMP_CNT: 0
	.section	.text._ZN7rocprim17ROCPRIM_400000_NS6detail17trampoline_kernelINS0_14default_configENS1_25partition_config_selectorILNS1_17partition_subalgoE8EiNS0_10empty_typeEbEEZZNS1_14partition_implILS5_8ELb0ES3_jN6thrust23THRUST_200600_302600_NS6detail15normal_iteratorINSA_10device_ptrIiEEEEPS6_PKS6_NS0_5tupleIJSF_S6_EEENSJ_IJSG_SG_EEENS0_18inequality_wrapperINSA_8equal_toIiEEEEPmJS6_EEE10hipError_tPvRmT3_T4_T5_T6_T7_T9_mT8_P12ihipStream_tbDpT10_ENKUlT_T0_E_clISt17integral_constantIbLb1EES1A_EEDaS15_S16_EUlS15_E_NS1_11comp_targetILNS1_3genE4ELNS1_11target_archE910ELNS1_3gpuE8ELNS1_3repE0EEENS1_30default_config_static_selectorELNS0_4arch9wavefront6targetE1EEEvT1_,"axG",@progbits,_ZN7rocprim17ROCPRIM_400000_NS6detail17trampoline_kernelINS0_14default_configENS1_25partition_config_selectorILNS1_17partition_subalgoE8EiNS0_10empty_typeEbEEZZNS1_14partition_implILS5_8ELb0ES3_jN6thrust23THRUST_200600_302600_NS6detail15normal_iteratorINSA_10device_ptrIiEEEEPS6_PKS6_NS0_5tupleIJSF_S6_EEENSJ_IJSG_SG_EEENS0_18inequality_wrapperINSA_8equal_toIiEEEEPmJS6_EEE10hipError_tPvRmT3_T4_T5_T6_T7_T9_mT8_P12ihipStream_tbDpT10_ENKUlT_T0_E_clISt17integral_constantIbLb1EES1A_EEDaS15_S16_EUlS15_E_NS1_11comp_targetILNS1_3genE4ELNS1_11target_archE910ELNS1_3gpuE8ELNS1_3repE0EEENS1_30default_config_static_selectorELNS0_4arch9wavefront6targetE1EEEvT1_,comdat
	.protected	_ZN7rocprim17ROCPRIM_400000_NS6detail17trampoline_kernelINS0_14default_configENS1_25partition_config_selectorILNS1_17partition_subalgoE8EiNS0_10empty_typeEbEEZZNS1_14partition_implILS5_8ELb0ES3_jN6thrust23THRUST_200600_302600_NS6detail15normal_iteratorINSA_10device_ptrIiEEEEPS6_PKS6_NS0_5tupleIJSF_S6_EEENSJ_IJSG_SG_EEENS0_18inequality_wrapperINSA_8equal_toIiEEEEPmJS6_EEE10hipError_tPvRmT3_T4_T5_T6_T7_T9_mT8_P12ihipStream_tbDpT10_ENKUlT_T0_E_clISt17integral_constantIbLb1EES1A_EEDaS15_S16_EUlS15_E_NS1_11comp_targetILNS1_3genE4ELNS1_11target_archE910ELNS1_3gpuE8ELNS1_3repE0EEENS1_30default_config_static_selectorELNS0_4arch9wavefront6targetE1EEEvT1_ ; -- Begin function _ZN7rocprim17ROCPRIM_400000_NS6detail17trampoline_kernelINS0_14default_configENS1_25partition_config_selectorILNS1_17partition_subalgoE8EiNS0_10empty_typeEbEEZZNS1_14partition_implILS5_8ELb0ES3_jN6thrust23THRUST_200600_302600_NS6detail15normal_iteratorINSA_10device_ptrIiEEEEPS6_PKS6_NS0_5tupleIJSF_S6_EEENSJ_IJSG_SG_EEENS0_18inequality_wrapperINSA_8equal_toIiEEEEPmJS6_EEE10hipError_tPvRmT3_T4_T5_T6_T7_T9_mT8_P12ihipStream_tbDpT10_ENKUlT_T0_E_clISt17integral_constantIbLb1EES1A_EEDaS15_S16_EUlS15_E_NS1_11comp_targetILNS1_3genE4ELNS1_11target_archE910ELNS1_3gpuE8ELNS1_3repE0EEENS1_30default_config_static_selectorELNS0_4arch9wavefront6targetE1EEEvT1_
	.globl	_ZN7rocprim17ROCPRIM_400000_NS6detail17trampoline_kernelINS0_14default_configENS1_25partition_config_selectorILNS1_17partition_subalgoE8EiNS0_10empty_typeEbEEZZNS1_14partition_implILS5_8ELb0ES3_jN6thrust23THRUST_200600_302600_NS6detail15normal_iteratorINSA_10device_ptrIiEEEEPS6_PKS6_NS0_5tupleIJSF_S6_EEENSJ_IJSG_SG_EEENS0_18inequality_wrapperINSA_8equal_toIiEEEEPmJS6_EEE10hipError_tPvRmT3_T4_T5_T6_T7_T9_mT8_P12ihipStream_tbDpT10_ENKUlT_T0_E_clISt17integral_constantIbLb1EES1A_EEDaS15_S16_EUlS15_E_NS1_11comp_targetILNS1_3genE4ELNS1_11target_archE910ELNS1_3gpuE8ELNS1_3repE0EEENS1_30default_config_static_selectorELNS0_4arch9wavefront6targetE1EEEvT1_
	.p2align	8
	.type	_ZN7rocprim17ROCPRIM_400000_NS6detail17trampoline_kernelINS0_14default_configENS1_25partition_config_selectorILNS1_17partition_subalgoE8EiNS0_10empty_typeEbEEZZNS1_14partition_implILS5_8ELb0ES3_jN6thrust23THRUST_200600_302600_NS6detail15normal_iteratorINSA_10device_ptrIiEEEEPS6_PKS6_NS0_5tupleIJSF_S6_EEENSJ_IJSG_SG_EEENS0_18inequality_wrapperINSA_8equal_toIiEEEEPmJS6_EEE10hipError_tPvRmT3_T4_T5_T6_T7_T9_mT8_P12ihipStream_tbDpT10_ENKUlT_T0_E_clISt17integral_constantIbLb1EES1A_EEDaS15_S16_EUlS15_E_NS1_11comp_targetILNS1_3genE4ELNS1_11target_archE910ELNS1_3gpuE8ELNS1_3repE0EEENS1_30default_config_static_selectorELNS0_4arch9wavefront6targetE1EEEvT1_,@function
_ZN7rocprim17ROCPRIM_400000_NS6detail17trampoline_kernelINS0_14default_configENS1_25partition_config_selectorILNS1_17partition_subalgoE8EiNS0_10empty_typeEbEEZZNS1_14partition_implILS5_8ELb0ES3_jN6thrust23THRUST_200600_302600_NS6detail15normal_iteratorINSA_10device_ptrIiEEEEPS6_PKS6_NS0_5tupleIJSF_S6_EEENSJ_IJSG_SG_EEENS0_18inequality_wrapperINSA_8equal_toIiEEEEPmJS6_EEE10hipError_tPvRmT3_T4_T5_T6_T7_T9_mT8_P12ihipStream_tbDpT10_ENKUlT_T0_E_clISt17integral_constantIbLb1EES1A_EEDaS15_S16_EUlS15_E_NS1_11comp_targetILNS1_3genE4ELNS1_11target_archE910ELNS1_3gpuE8ELNS1_3repE0EEENS1_30default_config_static_selectorELNS0_4arch9wavefront6targetE1EEEvT1_: ; @_ZN7rocprim17ROCPRIM_400000_NS6detail17trampoline_kernelINS0_14default_configENS1_25partition_config_selectorILNS1_17partition_subalgoE8EiNS0_10empty_typeEbEEZZNS1_14partition_implILS5_8ELb0ES3_jN6thrust23THRUST_200600_302600_NS6detail15normal_iteratorINSA_10device_ptrIiEEEEPS6_PKS6_NS0_5tupleIJSF_S6_EEENSJ_IJSG_SG_EEENS0_18inequality_wrapperINSA_8equal_toIiEEEEPmJS6_EEE10hipError_tPvRmT3_T4_T5_T6_T7_T9_mT8_P12ihipStream_tbDpT10_ENKUlT_T0_E_clISt17integral_constantIbLb1EES1A_EEDaS15_S16_EUlS15_E_NS1_11comp_targetILNS1_3genE4ELNS1_11target_archE910ELNS1_3gpuE8ELNS1_3repE0EEENS1_30default_config_static_selectorELNS0_4arch9wavefront6targetE1EEEvT1_
; %bb.0:
	.section	.rodata,"a",@progbits
	.p2align	6, 0x0
	.amdhsa_kernel _ZN7rocprim17ROCPRIM_400000_NS6detail17trampoline_kernelINS0_14default_configENS1_25partition_config_selectorILNS1_17partition_subalgoE8EiNS0_10empty_typeEbEEZZNS1_14partition_implILS5_8ELb0ES3_jN6thrust23THRUST_200600_302600_NS6detail15normal_iteratorINSA_10device_ptrIiEEEEPS6_PKS6_NS0_5tupleIJSF_S6_EEENSJ_IJSG_SG_EEENS0_18inequality_wrapperINSA_8equal_toIiEEEEPmJS6_EEE10hipError_tPvRmT3_T4_T5_T6_T7_T9_mT8_P12ihipStream_tbDpT10_ENKUlT_T0_E_clISt17integral_constantIbLb1EES1A_EEDaS15_S16_EUlS15_E_NS1_11comp_targetILNS1_3genE4ELNS1_11target_archE910ELNS1_3gpuE8ELNS1_3repE0EEENS1_30default_config_static_selectorELNS0_4arch9wavefront6targetE1EEEvT1_
		.amdhsa_group_segment_fixed_size 0
		.amdhsa_private_segment_fixed_size 0
		.amdhsa_kernarg_size 128
		.amdhsa_user_sgpr_count 6
		.amdhsa_user_sgpr_private_segment_buffer 1
		.amdhsa_user_sgpr_dispatch_ptr 0
		.amdhsa_user_sgpr_queue_ptr 0
		.amdhsa_user_sgpr_kernarg_segment_ptr 1
		.amdhsa_user_sgpr_dispatch_id 0
		.amdhsa_user_sgpr_flat_scratch_init 0
		.amdhsa_user_sgpr_private_segment_size 0
		.amdhsa_uses_dynamic_stack 0
		.amdhsa_system_sgpr_private_segment_wavefront_offset 0
		.amdhsa_system_sgpr_workgroup_id_x 1
		.amdhsa_system_sgpr_workgroup_id_y 0
		.amdhsa_system_sgpr_workgroup_id_z 0
		.amdhsa_system_sgpr_workgroup_info 0
		.amdhsa_system_vgpr_workitem_id 0
		.amdhsa_next_free_vgpr 1
		.amdhsa_next_free_sgpr 0
		.amdhsa_reserve_vcc 0
		.amdhsa_reserve_flat_scratch 0
		.amdhsa_float_round_mode_32 0
		.amdhsa_float_round_mode_16_64 0
		.amdhsa_float_denorm_mode_32 3
		.amdhsa_float_denorm_mode_16_64 3
		.amdhsa_dx10_clamp 1
		.amdhsa_ieee_mode 1
		.amdhsa_fp16_overflow 0
		.amdhsa_exception_fp_ieee_invalid_op 0
		.amdhsa_exception_fp_denorm_src 0
		.amdhsa_exception_fp_ieee_div_zero 0
		.amdhsa_exception_fp_ieee_overflow 0
		.amdhsa_exception_fp_ieee_underflow 0
		.amdhsa_exception_fp_ieee_inexact 0
		.amdhsa_exception_int_div_zero 0
	.end_amdhsa_kernel
	.section	.text._ZN7rocprim17ROCPRIM_400000_NS6detail17trampoline_kernelINS0_14default_configENS1_25partition_config_selectorILNS1_17partition_subalgoE8EiNS0_10empty_typeEbEEZZNS1_14partition_implILS5_8ELb0ES3_jN6thrust23THRUST_200600_302600_NS6detail15normal_iteratorINSA_10device_ptrIiEEEEPS6_PKS6_NS0_5tupleIJSF_S6_EEENSJ_IJSG_SG_EEENS0_18inequality_wrapperINSA_8equal_toIiEEEEPmJS6_EEE10hipError_tPvRmT3_T4_T5_T6_T7_T9_mT8_P12ihipStream_tbDpT10_ENKUlT_T0_E_clISt17integral_constantIbLb1EES1A_EEDaS15_S16_EUlS15_E_NS1_11comp_targetILNS1_3genE4ELNS1_11target_archE910ELNS1_3gpuE8ELNS1_3repE0EEENS1_30default_config_static_selectorELNS0_4arch9wavefront6targetE1EEEvT1_,"axG",@progbits,_ZN7rocprim17ROCPRIM_400000_NS6detail17trampoline_kernelINS0_14default_configENS1_25partition_config_selectorILNS1_17partition_subalgoE8EiNS0_10empty_typeEbEEZZNS1_14partition_implILS5_8ELb0ES3_jN6thrust23THRUST_200600_302600_NS6detail15normal_iteratorINSA_10device_ptrIiEEEEPS6_PKS6_NS0_5tupleIJSF_S6_EEENSJ_IJSG_SG_EEENS0_18inequality_wrapperINSA_8equal_toIiEEEEPmJS6_EEE10hipError_tPvRmT3_T4_T5_T6_T7_T9_mT8_P12ihipStream_tbDpT10_ENKUlT_T0_E_clISt17integral_constantIbLb1EES1A_EEDaS15_S16_EUlS15_E_NS1_11comp_targetILNS1_3genE4ELNS1_11target_archE910ELNS1_3gpuE8ELNS1_3repE0EEENS1_30default_config_static_selectorELNS0_4arch9wavefront6targetE1EEEvT1_,comdat
.Lfunc_end414:
	.size	_ZN7rocprim17ROCPRIM_400000_NS6detail17trampoline_kernelINS0_14default_configENS1_25partition_config_selectorILNS1_17partition_subalgoE8EiNS0_10empty_typeEbEEZZNS1_14partition_implILS5_8ELb0ES3_jN6thrust23THRUST_200600_302600_NS6detail15normal_iteratorINSA_10device_ptrIiEEEEPS6_PKS6_NS0_5tupleIJSF_S6_EEENSJ_IJSG_SG_EEENS0_18inequality_wrapperINSA_8equal_toIiEEEEPmJS6_EEE10hipError_tPvRmT3_T4_T5_T6_T7_T9_mT8_P12ihipStream_tbDpT10_ENKUlT_T0_E_clISt17integral_constantIbLb1EES1A_EEDaS15_S16_EUlS15_E_NS1_11comp_targetILNS1_3genE4ELNS1_11target_archE910ELNS1_3gpuE8ELNS1_3repE0EEENS1_30default_config_static_selectorELNS0_4arch9wavefront6targetE1EEEvT1_, .Lfunc_end414-_ZN7rocprim17ROCPRIM_400000_NS6detail17trampoline_kernelINS0_14default_configENS1_25partition_config_selectorILNS1_17partition_subalgoE8EiNS0_10empty_typeEbEEZZNS1_14partition_implILS5_8ELb0ES3_jN6thrust23THRUST_200600_302600_NS6detail15normal_iteratorINSA_10device_ptrIiEEEEPS6_PKS6_NS0_5tupleIJSF_S6_EEENSJ_IJSG_SG_EEENS0_18inequality_wrapperINSA_8equal_toIiEEEEPmJS6_EEE10hipError_tPvRmT3_T4_T5_T6_T7_T9_mT8_P12ihipStream_tbDpT10_ENKUlT_T0_E_clISt17integral_constantIbLb1EES1A_EEDaS15_S16_EUlS15_E_NS1_11comp_targetILNS1_3genE4ELNS1_11target_archE910ELNS1_3gpuE8ELNS1_3repE0EEENS1_30default_config_static_selectorELNS0_4arch9wavefront6targetE1EEEvT1_
                                        ; -- End function
	.set _ZN7rocprim17ROCPRIM_400000_NS6detail17trampoline_kernelINS0_14default_configENS1_25partition_config_selectorILNS1_17partition_subalgoE8EiNS0_10empty_typeEbEEZZNS1_14partition_implILS5_8ELb0ES3_jN6thrust23THRUST_200600_302600_NS6detail15normal_iteratorINSA_10device_ptrIiEEEEPS6_PKS6_NS0_5tupleIJSF_S6_EEENSJ_IJSG_SG_EEENS0_18inequality_wrapperINSA_8equal_toIiEEEEPmJS6_EEE10hipError_tPvRmT3_T4_T5_T6_T7_T9_mT8_P12ihipStream_tbDpT10_ENKUlT_T0_E_clISt17integral_constantIbLb1EES1A_EEDaS15_S16_EUlS15_E_NS1_11comp_targetILNS1_3genE4ELNS1_11target_archE910ELNS1_3gpuE8ELNS1_3repE0EEENS1_30default_config_static_selectorELNS0_4arch9wavefront6targetE1EEEvT1_.num_vgpr, 0
	.set _ZN7rocprim17ROCPRIM_400000_NS6detail17trampoline_kernelINS0_14default_configENS1_25partition_config_selectorILNS1_17partition_subalgoE8EiNS0_10empty_typeEbEEZZNS1_14partition_implILS5_8ELb0ES3_jN6thrust23THRUST_200600_302600_NS6detail15normal_iteratorINSA_10device_ptrIiEEEEPS6_PKS6_NS0_5tupleIJSF_S6_EEENSJ_IJSG_SG_EEENS0_18inequality_wrapperINSA_8equal_toIiEEEEPmJS6_EEE10hipError_tPvRmT3_T4_T5_T6_T7_T9_mT8_P12ihipStream_tbDpT10_ENKUlT_T0_E_clISt17integral_constantIbLb1EES1A_EEDaS15_S16_EUlS15_E_NS1_11comp_targetILNS1_3genE4ELNS1_11target_archE910ELNS1_3gpuE8ELNS1_3repE0EEENS1_30default_config_static_selectorELNS0_4arch9wavefront6targetE1EEEvT1_.num_agpr, 0
	.set _ZN7rocprim17ROCPRIM_400000_NS6detail17trampoline_kernelINS0_14default_configENS1_25partition_config_selectorILNS1_17partition_subalgoE8EiNS0_10empty_typeEbEEZZNS1_14partition_implILS5_8ELb0ES3_jN6thrust23THRUST_200600_302600_NS6detail15normal_iteratorINSA_10device_ptrIiEEEEPS6_PKS6_NS0_5tupleIJSF_S6_EEENSJ_IJSG_SG_EEENS0_18inequality_wrapperINSA_8equal_toIiEEEEPmJS6_EEE10hipError_tPvRmT3_T4_T5_T6_T7_T9_mT8_P12ihipStream_tbDpT10_ENKUlT_T0_E_clISt17integral_constantIbLb1EES1A_EEDaS15_S16_EUlS15_E_NS1_11comp_targetILNS1_3genE4ELNS1_11target_archE910ELNS1_3gpuE8ELNS1_3repE0EEENS1_30default_config_static_selectorELNS0_4arch9wavefront6targetE1EEEvT1_.numbered_sgpr, 0
	.set _ZN7rocprim17ROCPRIM_400000_NS6detail17trampoline_kernelINS0_14default_configENS1_25partition_config_selectorILNS1_17partition_subalgoE8EiNS0_10empty_typeEbEEZZNS1_14partition_implILS5_8ELb0ES3_jN6thrust23THRUST_200600_302600_NS6detail15normal_iteratorINSA_10device_ptrIiEEEEPS6_PKS6_NS0_5tupleIJSF_S6_EEENSJ_IJSG_SG_EEENS0_18inequality_wrapperINSA_8equal_toIiEEEEPmJS6_EEE10hipError_tPvRmT3_T4_T5_T6_T7_T9_mT8_P12ihipStream_tbDpT10_ENKUlT_T0_E_clISt17integral_constantIbLb1EES1A_EEDaS15_S16_EUlS15_E_NS1_11comp_targetILNS1_3genE4ELNS1_11target_archE910ELNS1_3gpuE8ELNS1_3repE0EEENS1_30default_config_static_selectorELNS0_4arch9wavefront6targetE1EEEvT1_.num_named_barrier, 0
	.set _ZN7rocprim17ROCPRIM_400000_NS6detail17trampoline_kernelINS0_14default_configENS1_25partition_config_selectorILNS1_17partition_subalgoE8EiNS0_10empty_typeEbEEZZNS1_14partition_implILS5_8ELb0ES3_jN6thrust23THRUST_200600_302600_NS6detail15normal_iteratorINSA_10device_ptrIiEEEEPS6_PKS6_NS0_5tupleIJSF_S6_EEENSJ_IJSG_SG_EEENS0_18inequality_wrapperINSA_8equal_toIiEEEEPmJS6_EEE10hipError_tPvRmT3_T4_T5_T6_T7_T9_mT8_P12ihipStream_tbDpT10_ENKUlT_T0_E_clISt17integral_constantIbLb1EES1A_EEDaS15_S16_EUlS15_E_NS1_11comp_targetILNS1_3genE4ELNS1_11target_archE910ELNS1_3gpuE8ELNS1_3repE0EEENS1_30default_config_static_selectorELNS0_4arch9wavefront6targetE1EEEvT1_.private_seg_size, 0
	.set _ZN7rocprim17ROCPRIM_400000_NS6detail17trampoline_kernelINS0_14default_configENS1_25partition_config_selectorILNS1_17partition_subalgoE8EiNS0_10empty_typeEbEEZZNS1_14partition_implILS5_8ELb0ES3_jN6thrust23THRUST_200600_302600_NS6detail15normal_iteratorINSA_10device_ptrIiEEEEPS6_PKS6_NS0_5tupleIJSF_S6_EEENSJ_IJSG_SG_EEENS0_18inequality_wrapperINSA_8equal_toIiEEEEPmJS6_EEE10hipError_tPvRmT3_T4_T5_T6_T7_T9_mT8_P12ihipStream_tbDpT10_ENKUlT_T0_E_clISt17integral_constantIbLb1EES1A_EEDaS15_S16_EUlS15_E_NS1_11comp_targetILNS1_3genE4ELNS1_11target_archE910ELNS1_3gpuE8ELNS1_3repE0EEENS1_30default_config_static_selectorELNS0_4arch9wavefront6targetE1EEEvT1_.uses_vcc, 0
	.set _ZN7rocprim17ROCPRIM_400000_NS6detail17trampoline_kernelINS0_14default_configENS1_25partition_config_selectorILNS1_17partition_subalgoE8EiNS0_10empty_typeEbEEZZNS1_14partition_implILS5_8ELb0ES3_jN6thrust23THRUST_200600_302600_NS6detail15normal_iteratorINSA_10device_ptrIiEEEEPS6_PKS6_NS0_5tupleIJSF_S6_EEENSJ_IJSG_SG_EEENS0_18inequality_wrapperINSA_8equal_toIiEEEEPmJS6_EEE10hipError_tPvRmT3_T4_T5_T6_T7_T9_mT8_P12ihipStream_tbDpT10_ENKUlT_T0_E_clISt17integral_constantIbLb1EES1A_EEDaS15_S16_EUlS15_E_NS1_11comp_targetILNS1_3genE4ELNS1_11target_archE910ELNS1_3gpuE8ELNS1_3repE0EEENS1_30default_config_static_selectorELNS0_4arch9wavefront6targetE1EEEvT1_.uses_flat_scratch, 0
	.set _ZN7rocprim17ROCPRIM_400000_NS6detail17trampoline_kernelINS0_14default_configENS1_25partition_config_selectorILNS1_17partition_subalgoE8EiNS0_10empty_typeEbEEZZNS1_14partition_implILS5_8ELb0ES3_jN6thrust23THRUST_200600_302600_NS6detail15normal_iteratorINSA_10device_ptrIiEEEEPS6_PKS6_NS0_5tupleIJSF_S6_EEENSJ_IJSG_SG_EEENS0_18inequality_wrapperINSA_8equal_toIiEEEEPmJS6_EEE10hipError_tPvRmT3_T4_T5_T6_T7_T9_mT8_P12ihipStream_tbDpT10_ENKUlT_T0_E_clISt17integral_constantIbLb1EES1A_EEDaS15_S16_EUlS15_E_NS1_11comp_targetILNS1_3genE4ELNS1_11target_archE910ELNS1_3gpuE8ELNS1_3repE0EEENS1_30default_config_static_selectorELNS0_4arch9wavefront6targetE1EEEvT1_.has_dyn_sized_stack, 0
	.set _ZN7rocprim17ROCPRIM_400000_NS6detail17trampoline_kernelINS0_14default_configENS1_25partition_config_selectorILNS1_17partition_subalgoE8EiNS0_10empty_typeEbEEZZNS1_14partition_implILS5_8ELb0ES3_jN6thrust23THRUST_200600_302600_NS6detail15normal_iteratorINSA_10device_ptrIiEEEEPS6_PKS6_NS0_5tupleIJSF_S6_EEENSJ_IJSG_SG_EEENS0_18inequality_wrapperINSA_8equal_toIiEEEEPmJS6_EEE10hipError_tPvRmT3_T4_T5_T6_T7_T9_mT8_P12ihipStream_tbDpT10_ENKUlT_T0_E_clISt17integral_constantIbLb1EES1A_EEDaS15_S16_EUlS15_E_NS1_11comp_targetILNS1_3genE4ELNS1_11target_archE910ELNS1_3gpuE8ELNS1_3repE0EEENS1_30default_config_static_selectorELNS0_4arch9wavefront6targetE1EEEvT1_.has_recursion, 0
	.set _ZN7rocprim17ROCPRIM_400000_NS6detail17trampoline_kernelINS0_14default_configENS1_25partition_config_selectorILNS1_17partition_subalgoE8EiNS0_10empty_typeEbEEZZNS1_14partition_implILS5_8ELb0ES3_jN6thrust23THRUST_200600_302600_NS6detail15normal_iteratorINSA_10device_ptrIiEEEEPS6_PKS6_NS0_5tupleIJSF_S6_EEENSJ_IJSG_SG_EEENS0_18inequality_wrapperINSA_8equal_toIiEEEEPmJS6_EEE10hipError_tPvRmT3_T4_T5_T6_T7_T9_mT8_P12ihipStream_tbDpT10_ENKUlT_T0_E_clISt17integral_constantIbLb1EES1A_EEDaS15_S16_EUlS15_E_NS1_11comp_targetILNS1_3genE4ELNS1_11target_archE910ELNS1_3gpuE8ELNS1_3repE0EEENS1_30default_config_static_selectorELNS0_4arch9wavefront6targetE1EEEvT1_.has_indirect_call, 0
	.section	.AMDGPU.csdata,"",@progbits
; Kernel info:
; codeLenInByte = 0
; TotalNumSgprs: 4
; NumVgprs: 0
; ScratchSize: 0
; MemoryBound: 0
; FloatMode: 240
; IeeeMode: 1
; LDSByteSize: 0 bytes/workgroup (compile time only)
; SGPRBlocks: 0
; VGPRBlocks: 0
; NumSGPRsForWavesPerEU: 4
; NumVGPRsForWavesPerEU: 1
; Occupancy: 10
; WaveLimiterHint : 0
; COMPUTE_PGM_RSRC2:SCRATCH_EN: 0
; COMPUTE_PGM_RSRC2:USER_SGPR: 6
; COMPUTE_PGM_RSRC2:TRAP_HANDLER: 0
; COMPUTE_PGM_RSRC2:TGID_X_EN: 1
; COMPUTE_PGM_RSRC2:TGID_Y_EN: 0
; COMPUTE_PGM_RSRC2:TGID_Z_EN: 0
; COMPUTE_PGM_RSRC2:TIDIG_COMP_CNT: 0
	.section	.text._ZN7rocprim17ROCPRIM_400000_NS6detail17trampoline_kernelINS0_14default_configENS1_25partition_config_selectorILNS1_17partition_subalgoE8EiNS0_10empty_typeEbEEZZNS1_14partition_implILS5_8ELb0ES3_jN6thrust23THRUST_200600_302600_NS6detail15normal_iteratorINSA_10device_ptrIiEEEEPS6_PKS6_NS0_5tupleIJSF_S6_EEENSJ_IJSG_SG_EEENS0_18inequality_wrapperINSA_8equal_toIiEEEEPmJS6_EEE10hipError_tPvRmT3_T4_T5_T6_T7_T9_mT8_P12ihipStream_tbDpT10_ENKUlT_T0_E_clISt17integral_constantIbLb1EES1A_EEDaS15_S16_EUlS15_E_NS1_11comp_targetILNS1_3genE3ELNS1_11target_archE908ELNS1_3gpuE7ELNS1_3repE0EEENS1_30default_config_static_selectorELNS0_4arch9wavefront6targetE1EEEvT1_,"axG",@progbits,_ZN7rocprim17ROCPRIM_400000_NS6detail17trampoline_kernelINS0_14default_configENS1_25partition_config_selectorILNS1_17partition_subalgoE8EiNS0_10empty_typeEbEEZZNS1_14partition_implILS5_8ELb0ES3_jN6thrust23THRUST_200600_302600_NS6detail15normal_iteratorINSA_10device_ptrIiEEEEPS6_PKS6_NS0_5tupleIJSF_S6_EEENSJ_IJSG_SG_EEENS0_18inequality_wrapperINSA_8equal_toIiEEEEPmJS6_EEE10hipError_tPvRmT3_T4_T5_T6_T7_T9_mT8_P12ihipStream_tbDpT10_ENKUlT_T0_E_clISt17integral_constantIbLb1EES1A_EEDaS15_S16_EUlS15_E_NS1_11comp_targetILNS1_3genE3ELNS1_11target_archE908ELNS1_3gpuE7ELNS1_3repE0EEENS1_30default_config_static_selectorELNS0_4arch9wavefront6targetE1EEEvT1_,comdat
	.protected	_ZN7rocprim17ROCPRIM_400000_NS6detail17trampoline_kernelINS0_14default_configENS1_25partition_config_selectorILNS1_17partition_subalgoE8EiNS0_10empty_typeEbEEZZNS1_14partition_implILS5_8ELb0ES3_jN6thrust23THRUST_200600_302600_NS6detail15normal_iteratorINSA_10device_ptrIiEEEEPS6_PKS6_NS0_5tupleIJSF_S6_EEENSJ_IJSG_SG_EEENS0_18inequality_wrapperINSA_8equal_toIiEEEEPmJS6_EEE10hipError_tPvRmT3_T4_T5_T6_T7_T9_mT8_P12ihipStream_tbDpT10_ENKUlT_T0_E_clISt17integral_constantIbLb1EES1A_EEDaS15_S16_EUlS15_E_NS1_11comp_targetILNS1_3genE3ELNS1_11target_archE908ELNS1_3gpuE7ELNS1_3repE0EEENS1_30default_config_static_selectorELNS0_4arch9wavefront6targetE1EEEvT1_ ; -- Begin function _ZN7rocprim17ROCPRIM_400000_NS6detail17trampoline_kernelINS0_14default_configENS1_25partition_config_selectorILNS1_17partition_subalgoE8EiNS0_10empty_typeEbEEZZNS1_14partition_implILS5_8ELb0ES3_jN6thrust23THRUST_200600_302600_NS6detail15normal_iteratorINSA_10device_ptrIiEEEEPS6_PKS6_NS0_5tupleIJSF_S6_EEENSJ_IJSG_SG_EEENS0_18inequality_wrapperINSA_8equal_toIiEEEEPmJS6_EEE10hipError_tPvRmT3_T4_T5_T6_T7_T9_mT8_P12ihipStream_tbDpT10_ENKUlT_T0_E_clISt17integral_constantIbLb1EES1A_EEDaS15_S16_EUlS15_E_NS1_11comp_targetILNS1_3genE3ELNS1_11target_archE908ELNS1_3gpuE7ELNS1_3repE0EEENS1_30default_config_static_selectorELNS0_4arch9wavefront6targetE1EEEvT1_
	.globl	_ZN7rocprim17ROCPRIM_400000_NS6detail17trampoline_kernelINS0_14default_configENS1_25partition_config_selectorILNS1_17partition_subalgoE8EiNS0_10empty_typeEbEEZZNS1_14partition_implILS5_8ELb0ES3_jN6thrust23THRUST_200600_302600_NS6detail15normal_iteratorINSA_10device_ptrIiEEEEPS6_PKS6_NS0_5tupleIJSF_S6_EEENSJ_IJSG_SG_EEENS0_18inequality_wrapperINSA_8equal_toIiEEEEPmJS6_EEE10hipError_tPvRmT3_T4_T5_T6_T7_T9_mT8_P12ihipStream_tbDpT10_ENKUlT_T0_E_clISt17integral_constantIbLb1EES1A_EEDaS15_S16_EUlS15_E_NS1_11comp_targetILNS1_3genE3ELNS1_11target_archE908ELNS1_3gpuE7ELNS1_3repE0EEENS1_30default_config_static_selectorELNS0_4arch9wavefront6targetE1EEEvT1_
	.p2align	8
	.type	_ZN7rocprim17ROCPRIM_400000_NS6detail17trampoline_kernelINS0_14default_configENS1_25partition_config_selectorILNS1_17partition_subalgoE8EiNS0_10empty_typeEbEEZZNS1_14partition_implILS5_8ELb0ES3_jN6thrust23THRUST_200600_302600_NS6detail15normal_iteratorINSA_10device_ptrIiEEEEPS6_PKS6_NS0_5tupleIJSF_S6_EEENSJ_IJSG_SG_EEENS0_18inequality_wrapperINSA_8equal_toIiEEEEPmJS6_EEE10hipError_tPvRmT3_T4_T5_T6_T7_T9_mT8_P12ihipStream_tbDpT10_ENKUlT_T0_E_clISt17integral_constantIbLb1EES1A_EEDaS15_S16_EUlS15_E_NS1_11comp_targetILNS1_3genE3ELNS1_11target_archE908ELNS1_3gpuE7ELNS1_3repE0EEENS1_30default_config_static_selectorELNS0_4arch9wavefront6targetE1EEEvT1_,@function
_ZN7rocprim17ROCPRIM_400000_NS6detail17trampoline_kernelINS0_14default_configENS1_25partition_config_selectorILNS1_17partition_subalgoE8EiNS0_10empty_typeEbEEZZNS1_14partition_implILS5_8ELb0ES3_jN6thrust23THRUST_200600_302600_NS6detail15normal_iteratorINSA_10device_ptrIiEEEEPS6_PKS6_NS0_5tupleIJSF_S6_EEENSJ_IJSG_SG_EEENS0_18inequality_wrapperINSA_8equal_toIiEEEEPmJS6_EEE10hipError_tPvRmT3_T4_T5_T6_T7_T9_mT8_P12ihipStream_tbDpT10_ENKUlT_T0_E_clISt17integral_constantIbLb1EES1A_EEDaS15_S16_EUlS15_E_NS1_11comp_targetILNS1_3genE3ELNS1_11target_archE908ELNS1_3gpuE7ELNS1_3repE0EEENS1_30default_config_static_selectorELNS0_4arch9wavefront6targetE1EEEvT1_: ; @_ZN7rocprim17ROCPRIM_400000_NS6detail17trampoline_kernelINS0_14default_configENS1_25partition_config_selectorILNS1_17partition_subalgoE8EiNS0_10empty_typeEbEEZZNS1_14partition_implILS5_8ELb0ES3_jN6thrust23THRUST_200600_302600_NS6detail15normal_iteratorINSA_10device_ptrIiEEEEPS6_PKS6_NS0_5tupleIJSF_S6_EEENSJ_IJSG_SG_EEENS0_18inequality_wrapperINSA_8equal_toIiEEEEPmJS6_EEE10hipError_tPvRmT3_T4_T5_T6_T7_T9_mT8_P12ihipStream_tbDpT10_ENKUlT_T0_E_clISt17integral_constantIbLb1EES1A_EEDaS15_S16_EUlS15_E_NS1_11comp_targetILNS1_3genE3ELNS1_11target_archE908ELNS1_3gpuE7ELNS1_3repE0EEENS1_30default_config_static_selectorELNS0_4arch9wavefront6targetE1EEEvT1_
; %bb.0:
	.section	.rodata,"a",@progbits
	.p2align	6, 0x0
	.amdhsa_kernel _ZN7rocprim17ROCPRIM_400000_NS6detail17trampoline_kernelINS0_14default_configENS1_25partition_config_selectorILNS1_17partition_subalgoE8EiNS0_10empty_typeEbEEZZNS1_14partition_implILS5_8ELb0ES3_jN6thrust23THRUST_200600_302600_NS6detail15normal_iteratorINSA_10device_ptrIiEEEEPS6_PKS6_NS0_5tupleIJSF_S6_EEENSJ_IJSG_SG_EEENS0_18inequality_wrapperINSA_8equal_toIiEEEEPmJS6_EEE10hipError_tPvRmT3_T4_T5_T6_T7_T9_mT8_P12ihipStream_tbDpT10_ENKUlT_T0_E_clISt17integral_constantIbLb1EES1A_EEDaS15_S16_EUlS15_E_NS1_11comp_targetILNS1_3genE3ELNS1_11target_archE908ELNS1_3gpuE7ELNS1_3repE0EEENS1_30default_config_static_selectorELNS0_4arch9wavefront6targetE1EEEvT1_
		.amdhsa_group_segment_fixed_size 0
		.amdhsa_private_segment_fixed_size 0
		.amdhsa_kernarg_size 128
		.amdhsa_user_sgpr_count 6
		.amdhsa_user_sgpr_private_segment_buffer 1
		.amdhsa_user_sgpr_dispatch_ptr 0
		.amdhsa_user_sgpr_queue_ptr 0
		.amdhsa_user_sgpr_kernarg_segment_ptr 1
		.amdhsa_user_sgpr_dispatch_id 0
		.amdhsa_user_sgpr_flat_scratch_init 0
		.amdhsa_user_sgpr_private_segment_size 0
		.amdhsa_uses_dynamic_stack 0
		.amdhsa_system_sgpr_private_segment_wavefront_offset 0
		.amdhsa_system_sgpr_workgroup_id_x 1
		.amdhsa_system_sgpr_workgroup_id_y 0
		.amdhsa_system_sgpr_workgroup_id_z 0
		.amdhsa_system_sgpr_workgroup_info 0
		.amdhsa_system_vgpr_workitem_id 0
		.amdhsa_next_free_vgpr 1
		.amdhsa_next_free_sgpr 0
		.amdhsa_reserve_vcc 0
		.amdhsa_reserve_flat_scratch 0
		.amdhsa_float_round_mode_32 0
		.amdhsa_float_round_mode_16_64 0
		.amdhsa_float_denorm_mode_32 3
		.amdhsa_float_denorm_mode_16_64 3
		.amdhsa_dx10_clamp 1
		.amdhsa_ieee_mode 1
		.amdhsa_fp16_overflow 0
		.amdhsa_exception_fp_ieee_invalid_op 0
		.amdhsa_exception_fp_denorm_src 0
		.amdhsa_exception_fp_ieee_div_zero 0
		.amdhsa_exception_fp_ieee_overflow 0
		.amdhsa_exception_fp_ieee_underflow 0
		.amdhsa_exception_fp_ieee_inexact 0
		.amdhsa_exception_int_div_zero 0
	.end_amdhsa_kernel
	.section	.text._ZN7rocprim17ROCPRIM_400000_NS6detail17trampoline_kernelINS0_14default_configENS1_25partition_config_selectorILNS1_17partition_subalgoE8EiNS0_10empty_typeEbEEZZNS1_14partition_implILS5_8ELb0ES3_jN6thrust23THRUST_200600_302600_NS6detail15normal_iteratorINSA_10device_ptrIiEEEEPS6_PKS6_NS0_5tupleIJSF_S6_EEENSJ_IJSG_SG_EEENS0_18inequality_wrapperINSA_8equal_toIiEEEEPmJS6_EEE10hipError_tPvRmT3_T4_T5_T6_T7_T9_mT8_P12ihipStream_tbDpT10_ENKUlT_T0_E_clISt17integral_constantIbLb1EES1A_EEDaS15_S16_EUlS15_E_NS1_11comp_targetILNS1_3genE3ELNS1_11target_archE908ELNS1_3gpuE7ELNS1_3repE0EEENS1_30default_config_static_selectorELNS0_4arch9wavefront6targetE1EEEvT1_,"axG",@progbits,_ZN7rocprim17ROCPRIM_400000_NS6detail17trampoline_kernelINS0_14default_configENS1_25partition_config_selectorILNS1_17partition_subalgoE8EiNS0_10empty_typeEbEEZZNS1_14partition_implILS5_8ELb0ES3_jN6thrust23THRUST_200600_302600_NS6detail15normal_iteratorINSA_10device_ptrIiEEEEPS6_PKS6_NS0_5tupleIJSF_S6_EEENSJ_IJSG_SG_EEENS0_18inequality_wrapperINSA_8equal_toIiEEEEPmJS6_EEE10hipError_tPvRmT3_T4_T5_T6_T7_T9_mT8_P12ihipStream_tbDpT10_ENKUlT_T0_E_clISt17integral_constantIbLb1EES1A_EEDaS15_S16_EUlS15_E_NS1_11comp_targetILNS1_3genE3ELNS1_11target_archE908ELNS1_3gpuE7ELNS1_3repE0EEENS1_30default_config_static_selectorELNS0_4arch9wavefront6targetE1EEEvT1_,comdat
.Lfunc_end415:
	.size	_ZN7rocprim17ROCPRIM_400000_NS6detail17trampoline_kernelINS0_14default_configENS1_25partition_config_selectorILNS1_17partition_subalgoE8EiNS0_10empty_typeEbEEZZNS1_14partition_implILS5_8ELb0ES3_jN6thrust23THRUST_200600_302600_NS6detail15normal_iteratorINSA_10device_ptrIiEEEEPS6_PKS6_NS0_5tupleIJSF_S6_EEENSJ_IJSG_SG_EEENS0_18inequality_wrapperINSA_8equal_toIiEEEEPmJS6_EEE10hipError_tPvRmT3_T4_T5_T6_T7_T9_mT8_P12ihipStream_tbDpT10_ENKUlT_T0_E_clISt17integral_constantIbLb1EES1A_EEDaS15_S16_EUlS15_E_NS1_11comp_targetILNS1_3genE3ELNS1_11target_archE908ELNS1_3gpuE7ELNS1_3repE0EEENS1_30default_config_static_selectorELNS0_4arch9wavefront6targetE1EEEvT1_, .Lfunc_end415-_ZN7rocprim17ROCPRIM_400000_NS6detail17trampoline_kernelINS0_14default_configENS1_25partition_config_selectorILNS1_17partition_subalgoE8EiNS0_10empty_typeEbEEZZNS1_14partition_implILS5_8ELb0ES3_jN6thrust23THRUST_200600_302600_NS6detail15normal_iteratorINSA_10device_ptrIiEEEEPS6_PKS6_NS0_5tupleIJSF_S6_EEENSJ_IJSG_SG_EEENS0_18inequality_wrapperINSA_8equal_toIiEEEEPmJS6_EEE10hipError_tPvRmT3_T4_T5_T6_T7_T9_mT8_P12ihipStream_tbDpT10_ENKUlT_T0_E_clISt17integral_constantIbLb1EES1A_EEDaS15_S16_EUlS15_E_NS1_11comp_targetILNS1_3genE3ELNS1_11target_archE908ELNS1_3gpuE7ELNS1_3repE0EEENS1_30default_config_static_selectorELNS0_4arch9wavefront6targetE1EEEvT1_
                                        ; -- End function
	.set _ZN7rocprim17ROCPRIM_400000_NS6detail17trampoline_kernelINS0_14default_configENS1_25partition_config_selectorILNS1_17partition_subalgoE8EiNS0_10empty_typeEbEEZZNS1_14partition_implILS5_8ELb0ES3_jN6thrust23THRUST_200600_302600_NS6detail15normal_iteratorINSA_10device_ptrIiEEEEPS6_PKS6_NS0_5tupleIJSF_S6_EEENSJ_IJSG_SG_EEENS0_18inequality_wrapperINSA_8equal_toIiEEEEPmJS6_EEE10hipError_tPvRmT3_T4_T5_T6_T7_T9_mT8_P12ihipStream_tbDpT10_ENKUlT_T0_E_clISt17integral_constantIbLb1EES1A_EEDaS15_S16_EUlS15_E_NS1_11comp_targetILNS1_3genE3ELNS1_11target_archE908ELNS1_3gpuE7ELNS1_3repE0EEENS1_30default_config_static_selectorELNS0_4arch9wavefront6targetE1EEEvT1_.num_vgpr, 0
	.set _ZN7rocprim17ROCPRIM_400000_NS6detail17trampoline_kernelINS0_14default_configENS1_25partition_config_selectorILNS1_17partition_subalgoE8EiNS0_10empty_typeEbEEZZNS1_14partition_implILS5_8ELb0ES3_jN6thrust23THRUST_200600_302600_NS6detail15normal_iteratorINSA_10device_ptrIiEEEEPS6_PKS6_NS0_5tupleIJSF_S6_EEENSJ_IJSG_SG_EEENS0_18inequality_wrapperINSA_8equal_toIiEEEEPmJS6_EEE10hipError_tPvRmT3_T4_T5_T6_T7_T9_mT8_P12ihipStream_tbDpT10_ENKUlT_T0_E_clISt17integral_constantIbLb1EES1A_EEDaS15_S16_EUlS15_E_NS1_11comp_targetILNS1_3genE3ELNS1_11target_archE908ELNS1_3gpuE7ELNS1_3repE0EEENS1_30default_config_static_selectorELNS0_4arch9wavefront6targetE1EEEvT1_.num_agpr, 0
	.set _ZN7rocprim17ROCPRIM_400000_NS6detail17trampoline_kernelINS0_14default_configENS1_25partition_config_selectorILNS1_17partition_subalgoE8EiNS0_10empty_typeEbEEZZNS1_14partition_implILS5_8ELb0ES3_jN6thrust23THRUST_200600_302600_NS6detail15normal_iteratorINSA_10device_ptrIiEEEEPS6_PKS6_NS0_5tupleIJSF_S6_EEENSJ_IJSG_SG_EEENS0_18inequality_wrapperINSA_8equal_toIiEEEEPmJS6_EEE10hipError_tPvRmT3_T4_T5_T6_T7_T9_mT8_P12ihipStream_tbDpT10_ENKUlT_T0_E_clISt17integral_constantIbLb1EES1A_EEDaS15_S16_EUlS15_E_NS1_11comp_targetILNS1_3genE3ELNS1_11target_archE908ELNS1_3gpuE7ELNS1_3repE0EEENS1_30default_config_static_selectorELNS0_4arch9wavefront6targetE1EEEvT1_.numbered_sgpr, 0
	.set _ZN7rocprim17ROCPRIM_400000_NS6detail17trampoline_kernelINS0_14default_configENS1_25partition_config_selectorILNS1_17partition_subalgoE8EiNS0_10empty_typeEbEEZZNS1_14partition_implILS5_8ELb0ES3_jN6thrust23THRUST_200600_302600_NS6detail15normal_iteratorINSA_10device_ptrIiEEEEPS6_PKS6_NS0_5tupleIJSF_S6_EEENSJ_IJSG_SG_EEENS0_18inequality_wrapperINSA_8equal_toIiEEEEPmJS6_EEE10hipError_tPvRmT3_T4_T5_T6_T7_T9_mT8_P12ihipStream_tbDpT10_ENKUlT_T0_E_clISt17integral_constantIbLb1EES1A_EEDaS15_S16_EUlS15_E_NS1_11comp_targetILNS1_3genE3ELNS1_11target_archE908ELNS1_3gpuE7ELNS1_3repE0EEENS1_30default_config_static_selectorELNS0_4arch9wavefront6targetE1EEEvT1_.num_named_barrier, 0
	.set _ZN7rocprim17ROCPRIM_400000_NS6detail17trampoline_kernelINS0_14default_configENS1_25partition_config_selectorILNS1_17partition_subalgoE8EiNS0_10empty_typeEbEEZZNS1_14partition_implILS5_8ELb0ES3_jN6thrust23THRUST_200600_302600_NS6detail15normal_iteratorINSA_10device_ptrIiEEEEPS6_PKS6_NS0_5tupleIJSF_S6_EEENSJ_IJSG_SG_EEENS0_18inequality_wrapperINSA_8equal_toIiEEEEPmJS6_EEE10hipError_tPvRmT3_T4_T5_T6_T7_T9_mT8_P12ihipStream_tbDpT10_ENKUlT_T0_E_clISt17integral_constantIbLb1EES1A_EEDaS15_S16_EUlS15_E_NS1_11comp_targetILNS1_3genE3ELNS1_11target_archE908ELNS1_3gpuE7ELNS1_3repE0EEENS1_30default_config_static_selectorELNS0_4arch9wavefront6targetE1EEEvT1_.private_seg_size, 0
	.set _ZN7rocprim17ROCPRIM_400000_NS6detail17trampoline_kernelINS0_14default_configENS1_25partition_config_selectorILNS1_17partition_subalgoE8EiNS0_10empty_typeEbEEZZNS1_14partition_implILS5_8ELb0ES3_jN6thrust23THRUST_200600_302600_NS6detail15normal_iteratorINSA_10device_ptrIiEEEEPS6_PKS6_NS0_5tupleIJSF_S6_EEENSJ_IJSG_SG_EEENS0_18inequality_wrapperINSA_8equal_toIiEEEEPmJS6_EEE10hipError_tPvRmT3_T4_T5_T6_T7_T9_mT8_P12ihipStream_tbDpT10_ENKUlT_T0_E_clISt17integral_constantIbLb1EES1A_EEDaS15_S16_EUlS15_E_NS1_11comp_targetILNS1_3genE3ELNS1_11target_archE908ELNS1_3gpuE7ELNS1_3repE0EEENS1_30default_config_static_selectorELNS0_4arch9wavefront6targetE1EEEvT1_.uses_vcc, 0
	.set _ZN7rocprim17ROCPRIM_400000_NS6detail17trampoline_kernelINS0_14default_configENS1_25partition_config_selectorILNS1_17partition_subalgoE8EiNS0_10empty_typeEbEEZZNS1_14partition_implILS5_8ELb0ES3_jN6thrust23THRUST_200600_302600_NS6detail15normal_iteratorINSA_10device_ptrIiEEEEPS6_PKS6_NS0_5tupleIJSF_S6_EEENSJ_IJSG_SG_EEENS0_18inequality_wrapperINSA_8equal_toIiEEEEPmJS6_EEE10hipError_tPvRmT3_T4_T5_T6_T7_T9_mT8_P12ihipStream_tbDpT10_ENKUlT_T0_E_clISt17integral_constantIbLb1EES1A_EEDaS15_S16_EUlS15_E_NS1_11comp_targetILNS1_3genE3ELNS1_11target_archE908ELNS1_3gpuE7ELNS1_3repE0EEENS1_30default_config_static_selectorELNS0_4arch9wavefront6targetE1EEEvT1_.uses_flat_scratch, 0
	.set _ZN7rocprim17ROCPRIM_400000_NS6detail17trampoline_kernelINS0_14default_configENS1_25partition_config_selectorILNS1_17partition_subalgoE8EiNS0_10empty_typeEbEEZZNS1_14partition_implILS5_8ELb0ES3_jN6thrust23THRUST_200600_302600_NS6detail15normal_iteratorINSA_10device_ptrIiEEEEPS6_PKS6_NS0_5tupleIJSF_S6_EEENSJ_IJSG_SG_EEENS0_18inequality_wrapperINSA_8equal_toIiEEEEPmJS6_EEE10hipError_tPvRmT3_T4_T5_T6_T7_T9_mT8_P12ihipStream_tbDpT10_ENKUlT_T0_E_clISt17integral_constantIbLb1EES1A_EEDaS15_S16_EUlS15_E_NS1_11comp_targetILNS1_3genE3ELNS1_11target_archE908ELNS1_3gpuE7ELNS1_3repE0EEENS1_30default_config_static_selectorELNS0_4arch9wavefront6targetE1EEEvT1_.has_dyn_sized_stack, 0
	.set _ZN7rocprim17ROCPRIM_400000_NS6detail17trampoline_kernelINS0_14default_configENS1_25partition_config_selectorILNS1_17partition_subalgoE8EiNS0_10empty_typeEbEEZZNS1_14partition_implILS5_8ELb0ES3_jN6thrust23THRUST_200600_302600_NS6detail15normal_iteratorINSA_10device_ptrIiEEEEPS6_PKS6_NS0_5tupleIJSF_S6_EEENSJ_IJSG_SG_EEENS0_18inequality_wrapperINSA_8equal_toIiEEEEPmJS6_EEE10hipError_tPvRmT3_T4_T5_T6_T7_T9_mT8_P12ihipStream_tbDpT10_ENKUlT_T0_E_clISt17integral_constantIbLb1EES1A_EEDaS15_S16_EUlS15_E_NS1_11comp_targetILNS1_3genE3ELNS1_11target_archE908ELNS1_3gpuE7ELNS1_3repE0EEENS1_30default_config_static_selectorELNS0_4arch9wavefront6targetE1EEEvT1_.has_recursion, 0
	.set _ZN7rocprim17ROCPRIM_400000_NS6detail17trampoline_kernelINS0_14default_configENS1_25partition_config_selectorILNS1_17partition_subalgoE8EiNS0_10empty_typeEbEEZZNS1_14partition_implILS5_8ELb0ES3_jN6thrust23THRUST_200600_302600_NS6detail15normal_iteratorINSA_10device_ptrIiEEEEPS6_PKS6_NS0_5tupleIJSF_S6_EEENSJ_IJSG_SG_EEENS0_18inequality_wrapperINSA_8equal_toIiEEEEPmJS6_EEE10hipError_tPvRmT3_T4_T5_T6_T7_T9_mT8_P12ihipStream_tbDpT10_ENKUlT_T0_E_clISt17integral_constantIbLb1EES1A_EEDaS15_S16_EUlS15_E_NS1_11comp_targetILNS1_3genE3ELNS1_11target_archE908ELNS1_3gpuE7ELNS1_3repE0EEENS1_30default_config_static_selectorELNS0_4arch9wavefront6targetE1EEEvT1_.has_indirect_call, 0
	.section	.AMDGPU.csdata,"",@progbits
; Kernel info:
; codeLenInByte = 0
; TotalNumSgprs: 4
; NumVgprs: 0
; ScratchSize: 0
; MemoryBound: 0
; FloatMode: 240
; IeeeMode: 1
; LDSByteSize: 0 bytes/workgroup (compile time only)
; SGPRBlocks: 0
; VGPRBlocks: 0
; NumSGPRsForWavesPerEU: 4
; NumVGPRsForWavesPerEU: 1
; Occupancy: 10
; WaveLimiterHint : 0
; COMPUTE_PGM_RSRC2:SCRATCH_EN: 0
; COMPUTE_PGM_RSRC2:USER_SGPR: 6
; COMPUTE_PGM_RSRC2:TRAP_HANDLER: 0
; COMPUTE_PGM_RSRC2:TGID_X_EN: 1
; COMPUTE_PGM_RSRC2:TGID_Y_EN: 0
; COMPUTE_PGM_RSRC2:TGID_Z_EN: 0
; COMPUTE_PGM_RSRC2:TIDIG_COMP_CNT: 0
	.section	.text._ZN7rocprim17ROCPRIM_400000_NS6detail17trampoline_kernelINS0_14default_configENS1_25partition_config_selectorILNS1_17partition_subalgoE8EiNS0_10empty_typeEbEEZZNS1_14partition_implILS5_8ELb0ES3_jN6thrust23THRUST_200600_302600_NS6detail15normal_iteratorINSA_10device_ptrIiEEEEPS6_PKS6_NS0_5tupleIJSF_S6_EEENSJ_IJSG_SG_EEENS0_18inequality_wrapperINSA_8equal_toIiEEEEPmJS6_EEE10hipError_tPvRmT3_T4_T5_T6_T7_T9_mT8_P12ihipStream_tbDpT10_ENKUlT_T0_E_clISt17integral_constantIbLb1EES1A_EEDaS15_S16_EUlS15_E_NS1_11comp_targetILNS1_3genE2ELNS1_11target_archE906ELNS1_3gpuE6ELNS1_3repE0EEENS1_30default_config_static_selectorELNS0_4arch9wavefront6targetE1EEEvT1_,"axG",@progbits,_ZN7rocprim17ROCPRIM_400000_NS6detail17trampoline_kernelINS0_14default_configENS1_25partition_config_selectorILNS1_17partition_subalgoE8EiNS0_10empty_typeEbEEZZNS1_14partition_implILS5_8ELb0ES3_jN6thrust23THRUST_200600_302600_NS6detail15normal_iteratorINSA_10device_ptrIiEEEEPS6_PKS6_NS0_5tupleIJSF_S6_EEENSJ_IJSG_SG_EEENS0_18inequality_wrapperINSA_8equal_toIiEEEEPmJS6_EEE10hipError_tPvRmT3_T4_T5_T6_T7_T9_mT8_P12ihipStream_tbDpT10_ENKUlT_T0_E_clISt17integral_constantIbLb1EES1A_EEDaS15_S16_EUlS15_E_NS1_11comp_targetILNS1_3genE2ELNS1_11target_archE906ELNS1_3gpuE6ELNS1_3repE0EEENS1_30default_config_static_selectorELNS0_4arch9wavefront6targetE1EEEvT1_,comdat
	.protected	_ZN7rocprim17ROCPRIM_400000_NS6detail17trampoline_kernelINS0_14default_configENS1_25partition_config_selectorILNS1_17partition_subalgoE8EiNS0_10empty_typeEbEEZZNS1_14partition_implILS5_8ELb0ES3_jN6thrust23THRUST_200600_302600_NS6detail15normal_iteratorINSA_10device_ptrIiEEEEPS6_PKS6_NS0_5tupleIJSF_S6_EEENSJ_IJSG_SG_EEENS0_18inequality_wrapperINSA_8equal_toIiEEEEPmJS6_EEE10hipError_tPvRmT3_T4_T5_T6_T7_T9_mT8_P12ihipStream_tbDpT10_ENKUlT_T0_E_clISt17integral_constantIbLb1EES1A_EEDaS15_S16_EUlS15_E_NS1_11comp_targetILNS1_3genE2ELNS1_11target_archE906ELNS1_3gpuE6ELNS1_3repE0EEENS1_30default_config_static_selectorELNS0_4arch9wavefront6targetE1EEEvT1_ ; -- Begin function _ZN7rocprim17ROCPRIM_400000_NS6detail17trampoline_kernelINS0_14default_configENS1_25partition_config_selectorILNS1_17partition_subalgoE8EiNS0_10empty_typeEbEEZZNS1_14partition_implILS5_8ELb0ES3_jN6thrust23THRUST_200600_302600_NS6detail15normal_iteratorINSA_10device_ptrIiEEEEPS6_PKS6_NS0_5tupleIJSF_S6_EEENSJ_IJSG_SG_EEENS0_18inequality_wrapperINSA_8equal_toIiEEEEPmJS6_EEE10hipError_tPvRmT3_T4_T5_T6_T7_T9_mT8_P12ihipStream_tbDpT10_ENKUlT_T0_E_clISt17integral_constantIbLb1EES1A_EEDaS15_S16_EUlS15_E_NS1_11comp_targetILNS1_3genE2ELNS1_11target_archE906ELNS1_3gpuE6ELNS1_3repE0EEENS1_30default_config_static_selectorELNS0_4arch9wavefront6targetE1EEEvT1_
	.globl	_ZN7rocprim17ROCPRIM_400000_NS6detail17trampoline_kernelINS0_14default_configENS1_25partition_config_selectorILNS1_17partition_subalgoE8EiNS0_10empty_typeEbEEZZNS1_14partition_implILS5_8ELb0ES3_jN6thrust23THRUST_200600_302600_NS6detail15normal_iteratorINSA_10device_ptrIiEEEEPS6_PKS6_NS0_5tupleIJSF_S6_EEENSJ_IJSG_SG_EEENS0_18inequality_wrapperINSA_8equal_toIiEEEEPmJS6_EEE10hipError_tPvRmT3_T4_T5_T6_T7_T9_mT8_P12ihipStream_tbDpT10_ENKUlT_T0_E_clISt17integral_constantIbLb1EES1A_EEDaS15_S16_EUlS15_E_NS1_11comp_targetILNS1_3genE2ELNS1_11target_archE906ELNS1_3gpuE6ELNS1_3repE0EEENS1_30default_config_static_selectorELNS0_4arch9wavefront6targetE1EEEvT1_
	.p2align	8
	.type	_ZN7rocprim17ROCPRIM_400000_NS6detail17trampoline_kernelINS0_14default_configENS1_25partition_config_selectorILNS1_17partition_subalgoE8EiNS0_10empty_typeEbEEZZNS1_14partition_implILS5_8ELb0ES3_jN6thrust23THRUST_200600_302600_NS6detail15normal_iteratorINSA_10device_ptrIiEEEEPS6_PKS6_NS0_5tupleIJSF_S6_EEENSJ_IJSG_SG_EEENS0_18inequality_wrapperINSA_8equal_toIiEEEEPmJS6_EEE10hipError_tPvRmT3_T4_T5_T6_T7_T9_mT8_P12ihipStream_tbDpT10_ENKUlT_T0_E_clISt17integral_constantIbLb1EES1A_EEDaS15_S16_EUlS15_E_NS1_11comp_targetILNS1_3genE2ELNS1_11target_archE906ELNS1_3gpuE6ELNS1_3repE0EEENS1_30default_config_static_selectorELNS0_4arch9wavefront6targetE1EEEvT1_,@function
_ZN7rocprim17ROCPRIM_400000_NS6detail17trampoline_kernelINS0_14default_configENS1_25partition_config_selectorILNS1_17partition_subalgoE8EiNS0_10empty_typeEbEEZZNS1_14partition_implILS5_8ELb0ES3_jN6thrust23THRUST_200600_302600_NS6detail15normal_iteratorINSA_10device_ptrIiEEEEPS6_PKS6_NS0_5tupleIJSF_S6_EEENSJ_IJSG_SG_EEENS0_18inequality_wrapperINSA_8equal_toIiEEEEPmJS6_EEE10hipError_tPvRmT3_T4_T5_T6_T7_T9_mT8_P12ihipStream_tbDpT10_ENKUlT_T0_E_clISt17integral_constantIbLb1EES1A_EEDaS15_S16_EUlS15_E_NS1_11comp_targetILNS1_3genE2ELNS1_11target_archE906ELNS1_3gpuE6ELNS1_3repE0EEENS1_30default_config_static_selectorELNS0_4arch9wavefront6targetE1EEEvT1_: ; @_ZN7rocprim17ROCPRIM_400000_NS6detail17trampoline_kernelINS0_14default_configENS1_25partition_config_selectorILNS1_17partition_subalgoE8EiNS0_10empty_typeEbEEZZNS1_14partition_implILS5_8ELb0ES3_jN6thrust23THRUST_200600_302600_NS6detail15normal_iteratorINSA_10device_ptrIiEEEEPS6_PKS6_NS0_5tupleIJSF_S6_EEENSJ_IJSG_SG_EEENS0_18inequality_wrapperINSA_8equal_toIiEEEEPmJS6_EEE10hipError_tPvRmT3_T4_T5_T6_T7_T9_mT8_P12ihipStream_tbDpT10_ENKUlT_T0_E_clISt17integral_constantIbLb1EES1A_EEDaS15_S16_EUlS15_E_NS1_11comp_targetILNS1_3genE2ELNS1_11target_archE906ELNS1_3gpuE6ELNS1_3repE0EEENS1_30default_config_static_selectorELNS0_4arch9wavefront6targetE1EEEvT1_
; %bb.0:
	s_endpgm
	.section	.rodata,"a",@progbits
	.p2align	6, 0x0
	.amdhsa_kernel _ZN7rocprim17ROCPRIM_400000_NS6detail17trampoline_kernelINS0_14default_configENS1_25partition_config_selectorILNS1_17partition_subalgoE8EiNS0_10empty_typeEbEEZZNS1_14partition_implILS5_8ELb0ES3_jN6thrust23THRUST_200600_302600_NS6detail15normal_iteratorINSA_10device_ptrIiEEEEPS6_PKS6_NS0_5tupleIJSF_S6_EEENSJ_IJSG_SG_EEENS0_18inequality_wrapperINSA_8equal_toIiEEEEPmJS6_EEE10hipError_tPvRmT3_T4_T5_T6_T7_T9_mT8_P12ihipStream_tbDpT10_ENKUlT_T0_E_clISt17integral_constantIbLb1EES1A_EEDaS15_S16_EUlS15_E_NS1_11comp_targetILNS1_3genE2ELNS1_11target_archE906ELNS1_3gpuE6ELNS1_3repE0EEENS1_30default_config_static_selectorELNS0_4arch9wavefront6targetE1EEEvT1_
		.amdhsa_group_segment_fixed_size 0
		.amdhsa_private_segment_fixed_size 0
		.amdhsa_kernarg_size 128
		.amdhsa_user_sgpr_count 6
		.amdhsa_user_sgpr_private_segment_buffer 1
		.amdhsa_user_sgpr_dispatch_ptr 0
		.amdhsa_user_sgpr_queue_ptr 0
		.amdhsa_user_sgpr_kernarg_segment_ptr 1
		.amdhsa_user_sgpr_dispatch_id 0
		.amdhsa_user_sgpr_flat_scratch_init 0
		.amdhsa_user_sgpr_private_segment_size 0
		.amdhsa_uses_dynamic_stack 0
		.amdhsa_system_sgpr_private_segment_wavefront_offset 0
		.amdhsa_system_sgpr_workgroup_id_x 1
		.amdhsa_system_sgpr_workgroup_id_y 0
		.amdhsa_system_sgpr_workgroup_id_z 0
		.amdhsa_system_sgpr_workgroup_info 0
		.amdhsa_system_vgpr_workitem_id 0
		.amdhsa_next_free_vgpr 1
		.amdhsa_next_free_sgpr 0
		.amdhsa_reserve_vcc 0
		.amdhsa_reserve_flat_scratch 0
		.amdhsa_float_round_mode_32 0
		.amdhsa_float_round_mode_16_64 0
		.amdhsa_float_denorm_mode_32 3
		.amdhsa_float_denorm_mode_16_64 3
		.amdhsa_dx10_clamp 1
		.amdhsa_ieee_mode 1
		.amdhsa_fp16_overflow 0
		.amdhsa_exception_fp_ieee_invalid_op 0
		.amdhsa_exception_fp_denorm_src 0
		.amdhsa_exception_fp_ieee_div_zero 0
		.amdhsa_exception_fp_ieee_overflow 0
		.amdhsa_exception_fp_ieee_underflow 0
		.amdhsa_exception_fp_ieee_inexact 0
		.amdhsa_exception_int_div_zero 0
	.end_amdhsa_kernel
	.section	.text._ZN7rocprim17ROCPRIM_400000_NS6detail17trampoline_kernelINS0_14default_configENS1_25partition_config_selectorILNS1_17partition_subalgoE8EiNS0_10empty_typeEbEEZZNS1_14partition_implILS5_8ELb0ES3_jN6thrust23THRUST_200600_302600_NS6detail15normal_iteratorINSA_10device_ptrIiEEEEPS6_PKS6_NS0_5tupleIJSF_S6_EEENSJ_IJSG_SG_EEENS0_18inequality_wrapperINSA_8equal_toIiEEEEPmJS6_EEE10hipError_tPvRmT3_T4_T5_T6_T7_T9_mT8_P12ihipStream_tbDpT10_ENKUlT_T0_E_clISt17integral_constantIbLb1EES1A_EEDaS15_S16_EUlS15_E_NS1_11comp_targetILNS1_3genE2ELNS1_11target_archE906ELNS1_3gpuE6ELNS1_3repE0EEENS1_30default_config_static_selectorELNS0_4arch9wavefront6targetE1EEEvT1_,"axG",@progbits,_ZN7rocprim17ROCPRIM_400000_NS6detail17trampoline_kernelINS0_14default_configENS1_25partition_config_selectorILNS1_17partition_subalgoE8EiNS0_10empty_typeEbEEZZNS1_14partition_implILS5_8ELb0ES3_jN6thrust23THRUST_200600_302600_NS6detail15normal_iteratorINSA_10device_ptrIiEEEEPS6_PKS6_NS0_5tupleIJSF_S6_EEENSJ_IJSG_SG_EEENS0_18inequality_wrapperINSA_8equal_toIiEEEEPmJS6_EEE10hipError_tPvRmT3_T4_T5_T6_T7_T9_mT8_P12ihipStream_tbDpT10_ENKUlT_T0_E_clISt17integral_constantIbLb1EES1A_EEDaS15_S16_EUlS15_E_NS1_11comp_targetILNS1_3genE2ELNS1_11target_archE906ELNS1_3gpuE6ELNS1_3repE0EEENS1_30default_config_static_selectorELNS0_4arch9wavefront6targetE1EEEvT1_,comdat
.Lfunc_end416:
	.size	_ZN7rocprim17ROCPRIM_400000_NS6detail17trampoline_kernelINS0_14default_configENS1_25partition_config_selectorILNS1_17partition_subalgoE8EiNS0_10empty_typeEbEEZZNS1_14partition_implILS5_8ELb0ES3_jN6thrust23THRUST_200600_302600_NS6detail15normal_iteratorINSA_10device_ptrIiEEEEPS6_PKS6_NS0_5tupleIJSF_S6_EEENSJ_IJSG_SG_EEENS0_18inequality_wrapperINSA_8equal_toIiEEEEPmJS6_EEE10hipError_tPvRmT3_T4_T5_T6_T7_T9_mT8_P12ihipStream_tbDpT10_ENKUlT_T0_E_clISt17integral_constantIbLb1EES1A_EEDaS15_S16_EUlS15_E_NS1_11comp_targetILNS1_3genE2ELNS1_11target_archE906ELNS1_3gpuE6ELNS1_3repE0EEENS1_30default_config_static_selectorELNS0_4arch9wavefront6targetE1EEEvT1_, .Lfunc_end416-_ZN7rocprim17ROCPRIM_400000_NS6detail17trampoline_kernelINS0_14default_configENS1_25partition_config_selectorILNS1_17partition_subalgoE8EiNS0_10empty_typeEbEEZZNS1_14partition_implILS5_8ELb0ES3_jN6thrust23THRUST_200600_302600_NS6detail15normal_iteratorINSA_10device_ptrIiEEEEPS6_PKS6_NS0_5tupleIJSF_S6_EEENSJ_IJSG_SG_EEENS0_18inequality_wrapperINSA_8equal_toIiEEEEPmJS6_EEE10hipError_tPvRmT3_T4_T5_T6_T7_T9_mT8_P12ihipStream_tbDpT10_ENKUlT_T0_E_clISt17integral_constantIbLb1EES1A_EEDaS15_S16_EUlS15_E_NS1_11comp_targetILNS1_3genE2ELNS1_11target_archE906ELNS1_3gpuE6ELNS1_3repE0EEENS1_30default_config_static_selectorELNS0_4arch9wavefront6targetE1EEEvT1_
                                        ; -- End function
	.set _ZN7rocprim17ROCPRIM_400000_NS6detail17trampoline_kernelINS0_14default_configENS1_25partition_config_selectorILNS1_17partition_subalgoE8EiNS0_10empty_typeEbEEZZNS1_14partition_implILS5_8ELb0ES3_jN6thrust23THRUST_200600_302600_NS6detail15normal_iteratorINSA_10device_ptrIiEEEEPS6_PKS6_NS0_5tupleIJSF_S6_EEENSJ_IJSG_SG_EEENS0_18inequality_wrapperINSA_8equal_toIiEEEEPmJS6_EEE10hipError_tPvRmT3_T4_T5_T6_T7_T9_mT8_P12ihipStream_tbDpT10_ENKUlT_T0_E_clISt17integral_constantIbLb1EES1A_EEDaS15_S16_EUlS15_E_NS1_11comp_targetILNS1_3genE2ELNS1_11target_archE906ELNS1_3gpuE6ELNS1_3repE0EEENS1_30default_config_static_selectorELNS0_4arch9wavefront6targetE1EEEvT1_.num_vgpr, 0
	.set _ZN7rocprim17ROCPRIM_400000_NS6detail17trampoline_kernelINS0_14default_configENS1_25partition_config_selectorILNS1_17partition_subalgoE8EiNS0_10empty_typeEbEEZZNS1_14partition_implILS5_8ELb0ES3_jN6thrust23THRUST_200600_302600_NS6detail15normal_iteratorINSA_10device_ptrIiEEEEPS6_PKS6_NS0_5tupleIJSF_S6_EEENSJ_IJSG_SG_EEENS0_18inequality_wrapperINSA_8equal_toIiEEEEPmJS6_EEE10hipError_tPvRmT3_T4_T5_T6_T7_T9_mT8_P12ihipStream_tbDpT10_ENKUlT_T0_E_clISt17integral_constantIbLb1EES1A_EEDaS15_S16_EUlS15_E_NS1_11comp_targetILNS1_3genE2ELNS1_11target_archE906ELNS1_3gpuE6ELNS1_3repE0EEENS1_30default_config_static_selectorELNS0_4arch9wavefront6targetE1EEEvT1_.num_agpr, 0
	.set _ZN7rocprim17ROCPRIM_400000_NS6detail17trampoline_kernelINS0_14default_configENS1_25partition_config_selectorILNS1_17partition_subalgoE8EiNS0_10empty_typeEbEEZZNS1_14partition_implILS5_8ELb0ES3_jN6thrust23THRUST_200600_302600_NS6detail15normal_iteratorINSA_10device_ptrIiEEEEPS6_PKS6_NS0_5tupleIJSF_S6_EEENSJ_IJSG_SG_EEENS0_18inequality_wrapperINSA_8equal_toIiEEEEPmJS6_EEE10hipError_tPvRmT3_T4_T5_T6_T7_T9_mT8_P12ihipStream_tbDpT10_ENKUlT_T0_E_clISt17integral_constantIbLb1EES1A_EEDaS15_S16_EUlS15_E_NS1_11comp_targetILNS1_3genE2ELNS1_11target_archE906ELNS1_3gpuE6ELNS1_3repE0EEENS1_30default_config_static_selectorELNS0_4arch9wavefront6targetE1EEEvT1_.numbered_sgpr, 0
	.set _ZN7rocprim17ROCPRIM_400000_NS6detail17trampoline_kernelINS0_14default_configENS1_25partition_config_selectorILNS1_17partition_subalgoE8EiNS0_10empty_typeEbEEZZNS1_14partition_implILS5_8ELb0ES3_jN6thrust23THRUST_200600_302600_NS6detail15normal_iteratorINSA_10device_ptrIiEEEEPS6_PKS6_NS0_5tupleIJSF_S6_EEENSJ_IJSG_SG_EEENS0_18inequality_wrapperINSA_8equal_toIiEEEEPmJS6_EEE10hipError_tPvRmT3_T4_T5_T6_T7_T9_mT8_P12ihipStream_tbDpT10_ENKUlT_T0_E_clISt17integral_constantIbLb1EES1A_EEDaS15_S16_EUlS15_E_NS1_11comp_targetILNS1_3genE2ELNS1_11target_archE906ELNS1_3gpuE6ELNS1_3repE0EEENS1_30default_config_static_selectorELNS0_4arch9wavefront6targetE1EEEvT1_.num_named_barrier, 0
	.set _ZN7rocprim17ROCPRIM_400000_NS6detail17trampoline_kernelINS0_14default_configENS1_25partition_config_selectorILNS1_17partition_subalgoE8EiNS0_10empty_typeEbEEZZNS1_14partition_implILS5_8ELb0ES3_jN6thrust23THRUST_200600_302600_NS6detail15normal_iteratorINSA_10device_ptrIiEEEEPS6_PKS6_NS0_5tupleIJSF_S6_EEENSJ_IJSG_SG_EEENS0_18inequality_wrapperINSA_8equal_toIiEEEEPmJS6_EEE10hipError_tPvRmT3_T4_T5_T6_T7_T9_mT8_P12ihipStream_tbDpT10_ENKUlT_T0_E_clISt17integral_constantIbLb1EES1A_EEDaS15_S16_EUlS15_E_NS1_11comp_targetILNS1_3genE2ELNS1_11target_archE906ELNS1_3gpuE6ELNS1_3repE0EEENS1_30default_config_static_selectorELNS0_4arch9wavefront6targetE1EEEvT1_.private_seg_size, 0
	.set _ZN7rocprim17ROCPRIM_400000_NS6detail17trampoline_kernelINS0_14default_configENS1_25partition_config_selectorILNS1_17partition_subalgoE8EiNS0_10empty_typeEbEEZZNS1_14partition_implILS5_8ELb0ES3_jN6thrust23THRUST_200600_302600_NS6detail15normal_iteratorINSA_10device_ptrIiEEEEPS6_PKS6_NS0_5tupleIJSF_S6_EEENSJ_IJSG_SG_EEENS0_18inequality_wrapperINSA_8equal_toIiEEEEPmJS6_EEE10hipError_tPvRmT3_T4_T5_T6_T7_T9_mT8_P12ihipStream_tbDpT10_ENKUlT_T0_E_clISt17integral_constantIbLb1EES1A_EEDaS15_S16_EUlS15_E_NS1_11comp_targetILNS1_3genE2ELNS1_11target_archE906ELNS1_3gpuE6ELNS1_3repE0EEENS1_30default_config_static_selectorELNS0_4arch9wavefront6targetE1EEEvT1_.uses_vcc, 0
	.set _ZN7rocprim17ROCPRIM_400000_NS6detail17trampoline_kernelINS0_14default_configENS1_25partition_config_selectorILNS1_17partition_subalgoE8EiNS0_10empty_typeEbEEZZNS1_14partition_implILS5_8ELb0ES3_jN6thrust23THRUST_200600_302600_NS6detail15normal_iteratorINSA_10device_ptrIiEEEEPS6_PKS6_NS0_5tupleIJSF_S6_EEENSJ_IJSG_SG_EEENS0_18inequality_wrapperINSA_8equal_toIiEEEEPmJS6_EEE10hipError_tPvRmT3_T4_T5_T6_T7_T9_mT8_P12ihipStream_tbDpT10_ENKUlT_T0_E_clISt17integral_constantIbLb1EES1A_EEDaS15_S16_EUlS15_E_NS1_11comp_targetILNS1_3genE2ELNS1_11target_archE906ELNS1_3gpuE6ELNS1_3repE0EEENS1_30default_config_static_selectorELNS0_4arch9wavefront6targetE1EEEvT1_.uses_flat_scratch, 0
	.set _ZN7rocprim17ROCPRIM_400000_NS6detail17trampoline_kernelINS0_14default_configENS1_25partition_config_selectorILNS1_17partition_subalgoE8EiNS0_10empty_typeEbEEZZNS1_14partition_implILS5_8ELb0ES3_jN6thrust23THRUST_200600_302600_NS6detail15normal_iteratorINSA_10device_ptrIiEEEEPS6_PKS6_NS0_5tupleIJSF_S6_EEENSJ_IJSG_SG_EEENS0_18inequality_wrapperINSA_8equal_toIiEEEEPmJS6_EEE10hipError_tPvRmT3_T4_T5_T6_T7_T9_mT8_P12ihipStream_tbDpT10_ENKUlT_T0_E_clISt17integral_constantIbLb1EES1A_EEDaS15_S16_EUlS15_E_NS1_11comp_targetILNS1_3genE2ELNS1_11target_archE906ELNS1_3gpuE6ELNS1_3repE0EEENS1_30default_config_static_selectorELNS0_4arch9wavefront6targetE1EEEvT1_.has_dyn_sized_stack, 0
	.set _ZN7rocprim17ROCPRIM_400000_NS6detail17trampoline_kernelINS0_14default_configENS1_25partition_config_selectorILNS1_17partition_subalgoE8EiNS0_10empty_typeEbEEZZNS1_14partition_implILS5_8ELb0ES3_jN6thrust23THRUST_200600_302600_NS6detail15normal_iteratorINSA_10device_ptrIiEEEEPS6_PKS6_NS0_5tupleIJSF_S6_EEENSJ_IJSG_SG_EEENS0_18inequality_wrapperINSA_8equal_toIiEEEEPmJS6_EEE10hipError_tPvRmT3_T4_T5_T6_T7_T9_mT8_P12ihipStream_tbDpT10_ENKUlT_T0_E_clISt17integral_constantIbLb1EES1A_EEDaS15_S16_EUlS15_E_NS1_11comp_targetILNS1_3genE2ELNS1_11target_archE906ELNS1_3gpuE6ELNS1_3repE0EEENS1_30default_config_static_selectorELNS0_4arch9wavefront6targetE1EEEvT1_.has_recursion, 0
	.set _ZN7rocprim17ROCPRIM_400000_NS6detail17trampoline_kernelINS0_14default_configENS1_25partition_config_selectorILNS1_17partition_subalgoE8EiNS0_10empty_typeEbEEZZNS1_14partition_implILS5_8ELb0ES3_jN6thrust23THRUST_200600_302600_NS6detail15normal_iteratorINSA_10device_ptrIiEEEEPS6_PKS6_NS0_5tupleIJSF_S6_EEENSJ_IJSG_SG_EEENS0_18inequality_wrapperINSA_8equal_toIiEEEEPmJS6_EEE10hipError_tPvRmT3_T4_T5_T6_T7_T9_mT8_P12ihipStream_tbDpT10_ENKUlT_T0_E_clISt17integral_constantIbLb1EES1A_EEDaS15_S16_EUlS15_E_NS1_11comp_targetILNS1_3genE2ELNS1_11target_archE906ELNS1_3gpuE6ELNS1_3repE0EEENS1_30default_config_static_selectorELNS0_4arch9wavefront6targetE1EEEvT1_.has_indirect_call, 0
	.section	.AMDGPU.csdata,"",@progbits
; Kernel info:
; codeLenInByte = 4
; TotalNumSgprs: 4
; NumVgprs: 0
; ScratchSize: 0
; MemoryBound: 0
; FloatMode: 240
; IeeeMode: 1
; LDSByteSize: 0 bytes/workgroup (compile time only)
; SGPRBlocks: 0
; VGPRBlocks: 0
; NumSGPRsForWavesPerEU: 4
; NumVGPRsForWavesPerEU: 1
; Occupancy: 10
; WaveLimiterHint : 0
; COMPUTE_PGM_RSRC2:SCRATCH_EN: 0
; COMPUTE_PGM_RSRC2:USER_SGPR: 6
; COMPUTE_PGM_RSRC2:TRAP_HANDLER: 0
; COMPUTE_PGM_RSRC2:TGID_X_EN: 1
; COMPUTE_PGM_RSRC2:TGID_Y_EN: 0
; COMPUTE_PGM_RSRC2:TGID_Z_EN: 0
; COMPUTE_PGM_RSRC2:TIDIG_COMP_CNT: 0
	.section	.text._ZN7rocprim17ROCPRIM_400000_NS6detail17trampoline_kernelINS0_14default_configENS1_25partition_config_selectorILNS1_17partition_subalgoE8EiNS0_10empty_typeEbEEZZNS1_14partition_implILS5_8ELb0ES3_jN6thrust23THRUST_200600_302600_NS6detail15normal_iteratorINSA_10device_ptrIiEEEEPS6_PKS6_NS0_5tupleIJSF_S6_EEENSJ_IJSG_SG_EEENS0_18inequality_wrapperINSA_8equal_toIiEEEEPmJS6_EEE10hipError_tPvRmT3_T4_T5_T6_T7_T9_mT8_P12ihipStream_tbDpT10_ENKUlT_T0_E_clISt17integral_constantIbLb1EES1A_EEDaS15_S16_EUlS15_E_NS1_11comp_targetILNS1_3genE10ELNS1_11target_archE1200ELNS1_3gpuE4ELNS1_3repE0EEENS1_30default_config_static_selectorELNS0_4arch9wavefront6targetE1EEEvT1_,"axG",@progbits,_ZN7rocprim17ROCPRIM_400000_NS6detail17trampoline_kernelINS0_14default_configENS1_25partition_config_selectorILNS1_17partition_subalgoE8EiNS0_10empty_typeEbEEZZNS1_14partition_implILS5_8ELb0ES3_jN6thrust23THRUST_200600_302600_NS6detail15normal_iteratorINSA_10device_ptrIiEEEEPS6_PKS6_NS0_5tupleIJSF_S6_EEENSJ_IJSG_SG_EEENS0_18inequality_wrapperINSA_8equal_toIiEEEEPmJS6_EEE10hipError_tPvRmT3_T4_T5_T6_T7_T9_mT8_P12ihipStream_tbDpT10_ENKUlT_T0_E_clISt17integral_constantIbLb1EES1A_EEDaS15_S16_EUlS15_E_NS1_11comp_targetILNS1_3genE10ELNS1_11target_archE1200ELNS1_3gpuE4ELNS1_3repE0EEENS1_30default_config_static_selectorELNS0_4arch9wavefront6targetE1EEEvT1_,comdat
	.protected	_ZN7rocprim17ROCPRIM_400000_NS6detail17trampoline_kernelINS0_14default_configENS1_25partition_config_selectorILNS1_17partition_subalgoE8EiNS0_10empty_typeEbEEZZNS1_14partition_implILS5_8ELb0ES3_jN6thrust23THRUST_200600_302600_NS6detail15normal_iteratorINSA_10device_ptrIiEEEEPS6_PKS6_NS0_5tupleIJSF_S6_EEENSJ_IJSG_SG_EEENS0_18inequality_wrapperINSA_8equal_toIiEEEEPmJS6_EEE10hipError_tPvRmT3_T4_T5_T6_T7_T9_mT8_P12ihipStream_tbDpT10_ENKUlT_T0_E_clISt17integral_constantIbLb1EES1A_EEDaS15_S16_EUlS15_E_NS1_11comp_targetILNS1_3genE10ELNS1_11target_archE1200ELNS1_3gpuE4ELNS1_3repE0EEENS1_30default_config_static_selectorELNS0_4arch9wavefront6targetE1EEEvT1_ ; -- Begin function _ZN7rocprim17ROCPRIM_400000_NS6detail17trampoline_kernelINS0_14default_configENS1_25partition_config_selectorILNS1_17partition_subalgoE8EiNS0_10empty_typeEbEEZZNS1_14partition_implILS5_8ELb0ES3_jN6thrust23THRUST_200600_302600_NS6detail15normal_iteratorINSA_10device_ptrIiEEEEPS6_PKS6_NS0_5tupleIJSF_S6_EEENSJ_IJSG_SG_EEENS0_18inequality_wrapperINSA_8equal_toIiEEEEPmJS6_EEE10hipError_tPvRmT3_T4_T5_T6_T7_T9_mT8_P12ihipStream_tbDpT10_ENKUlT_T0_E_clISt17integral_constantIbLb1EES1A_EEDaS15_S16_EUlS15_E_NS1_11comp_targetILNS1_3genE10ELNS1_11target_archE1200ELNS1_3gpuE4ELNS1_3repE0EEENS1_30default_config_static_selectorELNS0_4arch9wavefront6targetE1EEEvT1_
	.globl	_ZN7rocprim17ROCPRIM_400000_NS6detail17trampoline_kernelINS0_14default_configENS1_25partition_config_selectorILNS1_17partition_subalgoE8EiNS0_10empty_typeEbEEZZNS1_14partition_implILS5_8ELb0ES3_jN6thrust23THRUST_200600_302600_NS6detail15normal_iteratorINSA_10device_ptrIiEEEEPS6_PKS6_NS0_5tupleIJSF_S6_EEENSJ_IJSG_SG_EEENS0_18inequality_wrapperINSA_8equal_toIiEEEEPmJS6_EEE10hipError_tPvRmT3_T4_T5_T6_T7_T9_mT8_P12ihipStream_tbDpT10_ENKUlT_T0_E_clISt17integral_constantIbLb1EES1A_EEDaS15_S16_EUlS15_E_NS1_11comp_targetILNS1_3genE10ELNS1_11target_archE1200ELNS1_3gpuE4ELNS1_3repE0EEENS1_30default_config_static_selectorELNS0_4arch9wavefront6targetE1EEEvT1_
	.p2align	8
	.type	_ZN7rocprim17ROCPRIM_400000_NS6detail17trampoline_kernelINS0_14default_configENS1_25partition_config_selectorILNS1_17partition_subalgoE8EiNS0_10empty_typeEbEEZZNS1_14partition_implILS5_8ELb0ES3_jN6thrust23THRUST_200600_302600_NS6detail15normal_iteratorINSA_10device_ptrIiEEEEPS6_PKS6_NS0_5tupleIJSF_S6_EEENSJ_IJSG_SG_EEENS0_18inequality_wrapperINSA_8equal_toIiEEEEPmJS6_EEE10hipError_tPvRmT3_T4_T5_T6_T7_T9_mT8_P12ihipStream_tbDpT10_ENKUlT_T0_E_clISt17integral_constantIbLb1EES1A_EEDaS15_S16_EUlS15_E_NS1_11comp_targetILNS1_3genE10ELNS1_11target_archE1200ELNS1_3gpuE4ELNS1_3repE0EEENS1_30default_config_static_selectorELNS0_4arch9wavefront6targetE1EEEvT1_,@function
_ZN7rocprim17ROCPRIM_400000_NS6detail17trampoline_kernelINS0_14default_configENS1_25partition_config_selectorILNS1_17partition_subalgoE8EiNS0_10empty_typeEbEEZZNS1_14partition_implILS5_8ELb0ES3_jN6thrust23THRUST_200600_302600_NS6detail15normal_iteratorINSA_10device_ptrIiEEEEPS6_PKS6_NS0_5tupleIJSF_S6_EEENSJ_IJSG_SG_EEENS0_18inequality_wrapperINSA_8equal_toIiEEEEPmJS6_EEE10hipError_tPvRmT3_T4_T5_T6_T7_T9_mT8_P12ihipStream_tbDpT10_ENKUlT_T0_E_clISt17integral_constantIbLb1EES1A_EEDaS15_S16_EUlS15_E_NS1_11comp_targetILNS1_3genE10ELNS1_11target_archE1200ELNS1_3gpuE4ELNS1_3repE0EEENS1_30default_config_static_selectorELNS0_4arch9wavefront6targetE1EEEvT1_: ; @_ZN7rocprim17ROCPRIM_400000_NS6detail17trampoline_kernelINS0_14default_configENS1_25partition_config_selectorILNS1_17partition_subalgoE8EiNS0_10empty_typeEbEEZZNS1_14partition_implILS5_8ELb0ES3_jN6thrust23THRUST_200600_302600_NS6detail15normal_iteratorINSA_10device_ptrIiEEEEPS6_PKS6_NS0_5tupleIJSF_S6_EEENSJ_IJSG_SG_EEENS0_18inequality_wrapperINSA_8equal_toIiEEEEPmJS6_EEE10hipError_tPvRmT3_T4_T5_T6_T7_T9_mT8_P12ihipStream_tbDpT10_ENKUlT_T0_E_clISt17integral_constantIbLb1EES1A_EEDaS15_S16_EUlS15_E_NS1_11comp_targetILNS1_3genE10ELNS1_11target_archE1200ELNS1_3gpuE4ELNS1_3repE0EEENS1_30default_config_static_selectorELNS0_4arch9wavefront6targetE1EEEvT1_
; %bb.0:
	.section	.rodata,"a",@progbits
	.p2align	6, 0x0
	.amdhsa_kernel _ZN7rocprim17ROCPRIM_400000_NS6detail17trampoline_kernelINS0_14default_configENS1_25partition_config_selectorILNS1_17partition_subalgoE8EiNS0_10empty_typeEbEEZZNS1_14partition_implILS5_8ELb0ES3_jN6thrust23THRUST_200600_302600_NS6detail15normal_iteratorINSA_10device_ptrIiEEEEPS6_PKS6_NS0_5tupleIJSF_S6_EEENSJ_IJSG_SG_EEENS0_18inequality_wrapperINSA_8equal_toIiEEEEPmJS6_EEE10hipError_tPvRmT3_T4_T5_T6_T7_T9_mT8_P12ihipStream_tbDpT10_ENKUlT_T0_E_clISt17integral_constantIbLb1EES1A_EEDaS15_S16_EUlS15_E_NS1_11comp_targetILNS1_3genE10ELNS1_11target_archE1200ELNS1_3gpuE4ELNS1_3repE0EEENS1_30default_config_static_selectorELNS0_4arch9wavefront6targetE1EEEvT1_
		.amdhsa_group_segment_fixed_size 0
		.amdhsa_private_segment_fixed_size 0
		.amdhsa_kernarg_size 128
		.amdhsa_user_sgpr_count 6
		.amdhsa_user_sgpr_private_segment_buffer 1
		.amdhsa_user_sgpr_dispatch_ptr 0
		.amdhsa_user_sgpr_queue_ptr 0
		.amdhsa_user_sgpr_kernarg_segment_ptr 1
		.amdhsa_user_sgpr_dispatch_id 0
		.amdhsa_user_sgpr_flat_scratch_init 0
		.amdhsa_user_sgpr_private_segment_size 0
		.amdhsa_uses_dynamic_stack 0
		.amdhsa_system_sgpr_private_segment_wavefront_offset 0
		.amdhsa_system_sgpr_workgroup_id_x 1
		.amdhsa_system_sgpr_workgroup_id_y 0
		.amdhsa_system_sgpr_workgroup_id_z 0
		.amdhsa_system_sgpr_workgroup_info 0
		.amdhsa_system_vgpr_workitem_id 0
		.amdhsa_next_free_vgpr 1
		.amdhsa_next_free_sgpr 0
		.amdhsa_reserve_vcc 0
		.amdhsa_reserve_flat_scratch 0
		.amdhsa_float_round_mode_32 0
		.amdhsa_float_round_mode_16_64 0
		.amdhsa_float_denorm_mode_32 3
		.amdhsa_float_denorm_mode_16_64 3
		.amdhsa_dx10_clamp 1
		.amdhsa_ieee_mode 1
		.amdhsa_fp16_overflow 0
		.amdhsa_exception_fp_ieee_invalid_op 0
		.amdhsa_exception_fp_denorm_src 0
		.amdhsa_exception_fp_ieee_div_zero 0
		.amdhsa_exception_fp_ieee_overflow 0
		.amdhsa_exception_fp_ieee_underflow 0
		.amdhsa_exception_fp_ieee_inexact 0
		.amdhsa_exception_int_div_zero 0
	.end_amdhsa_kernel
	.section	.text._ZN7rocprim17ROCPRIM_400000_NS6detail17trampoline_kernelINS0_14default_configENS1_25partition_config_selectorILNS1_17partition_subalgoE8EiNS0_10empty_typeEbEEZZNS1_14partition_implILS5_8ELb0ES3_jN6thrust23THRUST_200600_302600_NS6detail15normal_iteratorINSA_10device_ptrIiEEEEPS6_PKS6_NS0_5tupleIJSF_S6_EEENSJ_IJSG_SG_EEENS0_18inequality_wrapperINSA_8equal_toIiEEEEPmJS6_EEE10hipError_tPvRmT3_T4_T5_T6_T7_T9_mT8_P12ihipStream_tbDpT10_ENKUlT_T0_E_clISt17integral_constantIbLb1EES1A_EEDaS15_S16_EUlS15_E_NS1_11comp_targetILNS1_3genE10ELNS1_11target_archE1200ELNS1_3gpuE4ELNS1_3repE0EEENS1_30default_config_static_selectorELNS0_4arch9wavefront6targetE1EEEvT1_,"axG",@progbits,_ZN7rocprim17ROCPRIM_400000_NS6detail17trampoline_kernelINS0_14default_configENS1_25partition_config_selectorILNS1_17partition_subalgoE8EiNS0_10empty_typeEbEEZZNS1_14partition_implILS5_8ELb0ES3_jN6thrust23THRUST_200600_302600_NS6detail15normal_iteratorINSA_10device_ptrIiEEEEPS6_PKS6_NS0_5tupleIJSF_S6_EEENSJ_IJSG_SG_EEENS0_18inequality_wrapperINSA_8equal_toIiEEEEPmJS6_EEE10hipError_tPvRmT3_T4_T5_T6_T7_T9_mT8_P12ihipStream_tbDpT10_ENKUlT_T0_E_clISt17integral_constantIbLb1EES1A_EEDaS15_S16_EUlS15_E_NS1_11comp_targetILNS1_3genE10ELNS1_11target_archE1200ELNS1_3gpuE4ELNS1_3repE0EEENS1_30default_config_static_selectorELNS0_4arch9wavefront6targetE1EEEvT1_,comdat
.Lfunc_end417:
	.size	_ZN7rocprim17ROCPRIM_400000_NS6detail17trampoline_kernelINS0_14default_configENS1_25partition_config_selectorILNS1_17partition_subalgoE8EiNS0_10empty_typeEbEEZZNS1_14partition_implILS5_8ELb0ES3_jN6thrust23THRUST_200600_302600_NS6detail15normal_iteratorINSA_10device_ptrIiEEEEPS6_PKS6_NS0_5tupleIJSF_S6_EEENSJ_IJSG_SG_EEENS0_18inequality_wrapperINSA_8equal_toIiEEEEPmJS6_EEE10hipError_tPvRmT3_T4_T5_T6_T7_T9_mT8_P12ihipStream_tbDpT10_ENKUlT_T0_E_clISt17integral_constantIbLb1EES1A_EEDaS15_S16_EUlS15_E_NS1_11comp_targetILNS1_3genE10ELNS1_11target_archE1200ELNS1_3gpuE4ELNS1_3repE0EEENS1_30default_config_static_selectorELNS0_4arch9wavefront6targetE1EEEvT1_, .Lfunc_end417-_ZN7rocprim17ROCPRIM_400000_NS6detail17trampoline_kernelINS0_14default_configENS1_25partition_config_selectorILNS1_17partition_subalgoE8EiNS0_10empty_typeEbEEZZNS1_14partition_implILS5_8ELb0ES3_jN6thrust23THRUST_200600_302600_NS6detail15normal_iteratorINSA_10device_ptrIiEEEEPS6_PKS6_NS0_5tupleIJSF_S6_EEENSJ_IJSG_SG_EEENS0_18inequality_wrapperINSA_8equal_toIiEEEEPmJS6_EEE10hipError_tPvRmT3_T4_T5_T6_T7_T9_mT8_P12ihipStream_tbDpT10_ENKUlT_T0_E_clISt17integral_constantIbLb1EES1A_EEDaS15_S16_EUlS15_E_NS1_11comp_targetILNS1_3genE10ELNS1_11target_archE1200ELNS1_3gpuE4ELNS1_3repE0EEENS1_30default_config_static_selectorELNS0_4arch9wavefront6targetE1EEEvT1_
                                        ; -- End function
	.set _ZN7rocprim17ROCPRIM_400000_NS6detail17trampoline_kernelINS0_14default_configENS1_25partition_config_selectorILNS1_17partition_subalgoE8EiNS0_10empty_typeEbEEZZNS1_14partition_implILS5_8ELb0ES3_jN6thrust23THRUST_200600_302600_NS6detail15normal_iteratorINSA_10device_ptrIiEEEEPS6_PKS6_NS0_5tupleIJSF_S6_EEENSJ_IJSG_SG_EEENS0_18inequality_wrapperINSA_8equal_toIiEEEEPmJS6_EEE10hipError_tPvRmT3_T4_T5_T6_T7_T9_mT8_P12ihipStream_tbDpT10_ENKUlT_T0_E_clISt17integral_constantIbLb1EES1A_EEDaS15_S16_EUlS15_E_NS1_11comp_targetILNS1_3genE10ELNS1_11target_archE1200ELNS1_3gpuE4ELNS1_3repE0EEENS1_30default_config_static_selectorELNS0_4arch9wavefront6targetE1EEEvT1_.num_vgpr, 0
	.set _ZN7rocprim17ROCPRIM_400000_NS6detail17trampoline_kernelINS0_14default_configENS1_25partition_config_selectorILNS1_17partition_subalgoE8EiNS0_10empty_typeEbEEZZNS1_14partition_implILS5_8ELb0ES3_jN6thrust23THRUST_200600_302600_NS6detail15normal_iteratorINSA_10device_ptrIiEEEEPS6_PKS6_NS0_5tupleIJSF_S6_EEENSJ_IJSG_SG_EEENS0_18inequality_wrapperINSA_8equal_toIiEEEEPmJS6_EEE10hipError_tPvRmT3_T4_T5_T6_T7_T9_mT8_P12ihipStream_tbDpT10_ENKUlT_T0_E_clISt17integral_constantIbLb1EES1A_EEDaS15_S16_EUlS15_E_NS1_11comp_targetILNS1_3genE10ELNS1_11target_archE1200ELNS1_3gpuE4ELNS1_3repE0EEENS1_30default_config_static_selectorELNS0_4arch9wavefront6targetE1EEEvT1_.num_agpr, 0
	.set _ZN7rocprim17ROCPRIM_400000_NS6detail17trampoline_kernelINS0_14default_configENS1_25partition_config_selectorILNS1_17partition_subalgoE8EiNS0_10empty_typeEbEEZZNS1_14partition_implILS5_8ELb0ES3_jN6thrust23THRUST_200600_302600_NS6detail15normal_iteratorINSA_10device_ptrIiEEEEPS6_PKS6_NS0_5tupleIJSF_S6_EEENSJ_IJSG_SG_EEENS0_18inequality_wrapperINSA_8equal_toIiEEEEPmJS6_EEE10hipError_tPvRmT3_T4_T5_T6_T7_T9_mT8_P12ihipStream_tbDpT10_ENKUlT_T0_E_clISt17integral_constantIbLb1EES1A_EEDaS15_S16_EUlS15_E_NS1_11comp_targetILNS1_3genE10ELNS1_11target_archE1200ELNS1_3gpuE4ELNS1_3repE0EEENS1_30default_config_static_selectorELNS0_4arch9wavefront6targetE1EEEvT1_.numbered_sgpr, 0
	.set _ZN7rocprim17ROCPRIM_400000_NS6detail17trampoline_kernelINS0_14default_configENS1_25partition_config_selectorILNS1_17partition_subalgoE8EiNS0_10empty_typeEbEEZZNS1_14partition_implILS5_8ELb0ES3_jN6thrust23THRUST_200600_302600_NS6detail15normal_iteratorINSA_10device_ptrIiEEEEPS6_PKS6_NS0_5tupleIJSF_S6_EEENSJ_IJSG_SG_EEENS0_18inequality_wrapperINSA_8equal_toIiEEEEPmJS6_EEE10hipError_tPvRmT3_T4_T5_T6_T7_T9_mT8_P12ihipStream_tbDpT10_ENKUlT_T0_E_clISt17integral_constantIbLb1EES1A_EEDaS15_S16_EUlS15_E_NS1_11comp_targetILNS1_3genE10ELNS1_11target_archE1200ELNS1_3gpuE4ELNS1_3repE0EEENS1_30default_config_static_selectorELNS0_4arch9wavefront6targetE1EEEvT1_.num_named_barrier, 0
	.set _ZN7rocprim17ROCPRIM_400000_NS6detail17trampoline_kernelINS0_14default_configENS1_25partition_config_selectorILNS1_17partition_subalgoE8EiNS0_10empty_typeEbEEZZNS1_14partition_implILS5_8ELb0ES3_jN6thrust23THRUST_200600_302600_NS6detail15normal_iteratorINSA_10device_ptrIiEEEEPS6_PKS6_NS0_5tupleIJSF_S6_EEENSJ_IJSG_SG_EEENS0_18inequality_wrapperINSA_8equal_toIiEEEEPmJS6_EEE10hipError_tPvRmT3_T4_T5_T6_T7_T9_mT8_P12ihipStream_tbDpT10_ENKUlT_T0_E_clISt17integral_constantIbLb1EES1A_EEDaS15_S16_EUlS15_E_NS1_11comp_targetILNS1_3genE10ELNS1_11target_archE1200ELNS1_3gpuE4ELNS1_3repE0EEENS1_30default_config_static_selectorELNS0_4arch9wavefront6targetE1EEEvT1_.private_seg_size, 0
	.set _ZN7rocprim17ROCPRIM_400000_NS6detail17trampoline_kernelINS0_14default_configENS1_25partition_config_selectorILNS1_17partition_subalgoE8EiNS0_10empty_typeEbEEZZNS1_14partition_implILS5_8ELb0ES3_jN6thrust23THRUST_200600_302600_NS6detail15normal_iteratorINSA_10device_ptrIiEEEEPS6_PKS6_NS0_5tupleIJSF_S6_EEENSJ_IJSG_SG_EEENS0_18inequality_wrapperINSA_8equal_toIiEEEEPmJS6_EEE10hipError_tPvRmT3_T4_T5_T6_T7_T9_mT8_P12ihipStream_tbDpT10_ENKUlT_T0_E_clISt17integral_constantIbLb1EES1A_EEDaS15_S16_EUlS15_E_NS1_11comp_targetILNS1_3genE10ELNS1_11target_archE1200ELNS1_3gpuE4ELNS1_3repE0EEENS1_30default_config_static_selectorELNS0_4arch9wavefront6targetE1EEEvT1_.uses_vcc, 0
	.set _ZN7rocprim17ROCPRIM_400000_NS6detail17trampoline_kernelINS0_14default_configENS1_25partition_config_selectorILNS1_17partition_subalgoE8EiNS0_10empty_typeEbEEZZNS1_14partition_implILS5_8ELb0ES3_jN6thrust23THRUST_200600_302600_NS6detail15normal_iteratorINSA_10device_ptrIiEEEEPS6_PKS6_NS0_5tupleIJSF_S6_EEENSJ_IJSG_SG_EEENS0_18inequality_wrapperINSA_8equal_toIiEEEEPmJS6_EEE10hipError_tPvRmT3_T4_T5_T6_T7_T9_mT8_P12ihipStream_tbDpT10_ENKUlT_T0_E_clISt17integral_constantIbLb1EES1A_EEDaS15_S16_EUlS15_E_NS1_11comp_targetILNS1_3genE10ELNS1_11target_archE1200ELNS1_3gpuE4ELNS1_3repE0EEENS1_30default_config_static_selectorELNS0_4arch9wavefront6targetE1EEEvT1_.uses_flat_scratch, 0
	.set _ZN7rocprim17ROCPRIM_400000_NS6detail17trampoline_kernelINS0_14default_configENS1_25partition_config_selectorILNS1_17partition_subalgoE8EiNS0_10empty_typeEbEEZZNS1_14partition_implILS5_8ELb0ES3_jN6thrust23THRUST_200600_302600_NS6detail15normal_iteratorINSA_10device_ptrIiEEEEPS6_PKS6_NS0_5tupleIJSF_S6_EEENSJ_IJSG_SG_EEENS0_18inequality_wrapperINSA_8equal_toIiEEEEPmJS6_EEE10hipError_tPvRmT3_T4_T5_T6_T7_T9_mT8_P12ihipStream_tbDpT10_ENKUlT_T0_E_clISt17integral_constantIbLb1EES1A_EEDaS15_S16_EUlS15_E_NS1_11comp_targetILNS1_3genE10ELNS1_11target_archE1200ELNS1_3gpuE4ELNS1_3repE0EEENS1_30default_config_static_selectorELNS0_4arch9wavefront6targetE1EEEvT1_.has_dyn_sized_stack, 0
	.set _ZN7rocprim17ROCPRIM_400000_NS6detail17trampoline_kernelINS0_14default_configENS1_25partition_config_selectorILNS1_17partition_subalgoE8EiNS0_10empty_typeEbEEZZNS1_14partition_implILS5_8ELb0ES3_jN6thrust23THRUST_200600_302600_NS6detail15normal_iteratorINSA_10device_ptrIiEEEEPS6_PKS6_NS0_5tupleIJSF_S6_EEENSJ_IJSG_SG_EEENS0_18inequality_wrapperINSA_8equal_toIiEEEEPmJS6_EEE10hipError_tPvRmT3_T4_T5_T6_T7_T9_mT8_P12ihipStream_tbDpT10_ENKUlT_T0_E_clISt17integral_constantIbLb1EES1A_EEDaS15_S16_EUlS15_E_NS1_11comp_targetILNS1_3genE10ELNS1_11target_archE1200ELNS1_3gpuE4ELNS1_3repE0EEENS1_30default_config_static_selectorELNS0_4arch9wavefront6targetE1EEEvT1_.has_recursion, 0
	.set _ZN7rocprim17ROCPRIM_400000_NS6detail17trampoline_kernelINS0_14default_configENS1_25partition_config_selectorILNS1_17partition_subalgoE8EiNS0_10empty_typeEbEEZZNS1_14partition_implILS5_8ELb0ES3_jN6thrust23THRUST_200600_302600_NS6detail15normal_iteratorINSA_10device_ptrIiEEEEPS6_PKS6_NS0_5tupleIJSF_S6_EEENSJ_IJSG_SG_EEENS0_18inequality_wrapperINSA_8equal_toIiEEEEPmJS6_EEE10hipError_tPvRmT3_T4_T5_T6_T7_T9_mT8_P12ihipStream_tbDpT10_ENKUlT_T0_E_clISt17integral_constantIbLb1EES1A_EEDaS15_S16_EUlS15_E_NS1_11comp_targetILNS1_3genE10ELNS1_11target_archE1200ELNS1_3gpuE4ELNS1_3repE0EEENS1_30default_config_static_selectorELNS0_4arch9wavefront6targetE1EEEvT1_.has_indirect_call, 0
	.section	.AMDGPU.csdata,"",@progbits
; Kernel info:
; codeLenInByte = 0
; TotalNumSgprs: 4
; NumVgprs: 0
; ScratchSize: 0
; MemoryBound: 0
; FloatMode: 240
; IeeeMode: 1
; LDSByteSize: 0 bytes/workgroup (compile time only)
; SGPRBlocks: 0
; VGPRBlocks: 0
; NumSGPRsForWavesPerEU: 4
; NumVGPRsForWavesPerEU: 1
; Occupancy: 10
; WaveLimiterHint : 0
; COMPUTE_PGM_RSRC2:SCRATCH_EN: 0
; COMPUTE_PGM_RSRC2:USER_SGPR: 6
; COMPUTE_PGM_RSRC2:TRAP_HANDLER: 0
; COMPUTE_PGM_RSRC2:TGID_X_EN: 1
; COMPUTE_PGM_RSRC2:TGID_Y_EN: 0
; COMPUTE_PGM_RSRC2:TGID_Z_EN: 0
; COMPUTE_PGM_RSRC2:TIDIG_COMP_CNT: 0
	.section	.text._ZN7rocprim17ROCPRIM_400000_NS6detail17trampoline_kernelINS0_14default_configENS1_25partition_config_selectorILNS1_17partition_subalgoE8EiNS0_10empty_typeEbEEZZNS1_14partition_implILS5_8ELb0ES3_jN6thrust23THRUST_200600_302600_NS6detail15normal_iteratorINSA_10device_ptrIiEEEEPS6_PKS6_NS0_5tupleIJSF_S6_EEENSJ_IJSG_SG_EEENS0_18inequality_wrapperINSA_8equal_toIiEEEEPmJS6_EEE10hipError_tPvRmT3_T4_T5_T6_T7_T9_mT8_P12ihipStream_tbDpT10_ENKUlT_T0_E_clISt17integral_constantIbLb1EES1A_EEDaS15_S16_EUlS15_E_NS1_11comp_targetILNS1_3genE9ELNS1_11target_archE1100ELNS1_3gpuE3ELNS1_3repE0EEENS1_30default_config_static_selectorELNS0_4arch9wavefront6targetE1EEEvT1_,"axG",@progbits,_ZN7rocprim17ROCPRIM_400000_NS6detail17trampoline_kernelINS0_14default_configENS1_25partition_config_selectorILNS1_17partition_subalgoE8EiNS0_10empty_typeEbEEZZNS1_14partition_implILS5_8ELb0ES3_jN6thrust23THRUST_200600_302600_NS6detail15normal_iteratorINSA_10device_ptrIiEEEEPS6_PKS6_NS0_5tupleIJSF_S6_EEENSJ_IJSG_SG_EEENS0_18inequality_wrapperINSA_8equal_toIiEEEEPmJS6_EEE10hipError_tPvRmT3_T4_T5_T6_T7_T9_mT8_P12ihipStream_tbDpT10_ENKUlT_T0_E_clISt17integral_constantIbLb1EES1A_EEDaS15_S16_EUlS15_E_NS1_11comp_targetILNS1_3genE9ELNS1_11target_archE1100ELNS1_3gpuE3ELNS1_3repE0EEENS1_30default_config_static_selectorELNS0_4arch9wavefront6targetE1EEEvT1_,comdat
	.protected	_ZN7rocprim17ROCPRIM_400000_NS6detail17trampoline_kernelINS0_14default_configENS1_25partition_config_selectorILNS1_17partition_subalgoE8EiNS0_10empty_typeEbEEZZNS1_14partition_implILS5_8ELb0ES3_jN6thrust23THRUST_200600_302600_NS6detail15normal_iteratorINSA_10device_ptrIiEEEEPS6_PKS6_NS0_5tupleIJSF_S6_EEENSJ_IJSG_SG_EEENS0_18inequality_wrapperINSA_8equal_toIiEEEEPmJS6_EEE10hipError_tPvRmT3_T4_T5_T6_T7_T9_mT8_P12ihipStream_tbDpT10_ENKUlT_T0_E_clISt17integral_constantIbLb1EES1A_EEDaS15_S16_EUlS15_E_NS1_11comp_targetILNS1_3genE9ELNS1_11target_archE1100ELNS1_3gpuE3ELNS1_3repE0EEENS1_30default_config_static_selectorELNS0_4arch9wavefront6targetE1EEEvT1_ ; -- Begin function _ZN7rocprim17ROCPRIM_400000_NS6detail17trampoline_kernelINS0_14default_configENS1_25partition_config_selectorILNS1_17partition_subalgoE8EiNS0_10empty_typeEbEEZZNS1_14partition_implILS5_8ELb0ES3_jN6thrust23THRUST_200600_302600_NS6detail15normal_iteratorINSA_10device_ptrIiEEEEPS6_PKS6_NS0_5tupleIJSF_S6_EEENSJ_IJSG_SG_EEENS0_18inequality_wrapperINSA_8equal_toIiEEEEPmJS6_EEE10hipError_tPvRmT3_T4_T5_T6_T7_T9_mT8_P12ihipStream_tbDpT10_ENKUlT_T0_E_clISt17integral_constantIbLb1EES1A_EEDaS15_S16_EUlS15_E_NS1_11comp_targetILNS1_3genE9ELNS1_11target_archE1100ELNS1_3gpuE3ELNS1_3repE0EEENS1_30default_config_static_selectorELNS0_4arch9wavefront6targetE1EEEvT1_
	.globl	_ZN7rocprim17ROCPRIM_400000_NS6detail17trampoline_kernelINS0_14default_configENS1_25partition_config_selectorILNS1_17partition_subalgoE8EiNS0_10empty_typeEbEEZZNS1_14partition_implILS5_8ELb0ES3_jN6thrust23THRUST_200600_302600_NS6detail15normal_iteratorINSA_10device_ptrIiEEEEPS6_PKS6_NS0_5tupleIJSF_S6_EEENSJ_IJSG_SG_EEENS0_18inequality_wrapperINSA_8equal_toIiEEEEPmJS6_EEE10hipError_tPvRmT3_T4_T5_T6_T7_T9_mT8_P12ihipStream_tbDpT10_ENKUlT_T0_E_clISt17integral_constantIbLb1EES1A_EEDaS15_S16_EUlS15_E_NS1_11comp_targetILNS1_3genE9ELNS1_11target_archE1100ELNS1_3gpuE3ELNS1_3repE0EEENS1_30default_config_static_selectorELNS0_4arch9wavefront6targetE1EEEvT1_
	.p2align	8
	.type	_ZN7rocprim17ROCPRIM_400000_NS6detail17trampoline_kernelINS0_14default_configENS1_25partition_config_selectorILNS1_17partition_subalgoE8EiNS0_10empty_typeEbEEZZNS1_14partition_implILS5_8ELb0ES3_jN6thrust23THRUST_200600_302600_NS6detail15normal_iteratorINSA_10device_ptrIiEEEEPS6_PKS6_NS0_5tupleIJSF_S6_EEENSJ_IJSG_SG_EEENS0_18inequality_wrapperINSA_8equal_toIiEEEEPmJS6_EEE10hipError_tPvRmT3_T4_T5_T6_T7_T9_mT8_P12ihipStream_tbDpT10_ENKUlT_T0_E_clISt17integral_constantIbLb1EES1A_EEDaS15_S16_EUlS15_E_NS1_11comp_targetILNS1_3genE9ELNS1_11target_archE1100ELNS1_3gpuE3ELNS1_3repE0EEENS1_30default_config_static_selectorELNS0_4arch9wavefront6targetE1EEEvT1_,@function
_ZN7rocprim17ROCPRIM_400000_NS6detail17trampoline_kernelINS0_14default_configENS1_25partition_config_selectorILNS1_17partition_subalgoE8EiNS0_10empty_typeEbEEZZNS1_14partition_implILS5_8ELb0ES3_jN6thrust23THRUST_200600_302600_NS6detail15normal_iteratorINSA_10device_ptrIiEEEEPS6_PKS6_NS0_5tupleIJSF_S6_EEENSJ_IJSG_SG_EEENS0_18inequality_wrapperINSA_8equal_toIiEEEEPmJS6_EEE10hipError_tPvRmT3_T4_T5_T6_T7_T9_mT8_P12ihipStream_tbDpT10_ENKUlT_T0_E_clISt17integral_constantIbLb1EES1A_EEDaS15_S16_EUlS15_E_NS1_11comp_targetILNS1_3genE9ELNS1_11target_archE1100ELNS1_3gpuE3ELNS1_3repE0EEENS1_30default_config_static_selectorELNS0_4arch9wavefront6targetE1EEEvT1_: ; @_ZN7rocprim17ROCPRIM_400000_NS6detail17trampoline_kernelINS0_14default_configENS1_25partition_config_selectorILNS1_17partition_subalgoE8EiNS0_10empty_typeEbEEZZNS1_14partition_implILS5_8ELb0ES3_jN6thrust23THRUST_200600_302600_NS6detail15normal_iteratorINSA_10device_ptrIiEEEEPS6_PKS6_NS0_5tupleIJSF_S6_EEENSJ_IJSG_SG_EEENS0_18inequality_wrapperINSA_8equal_toIiEEEEPmJS6_EEE10hipError_tPvRmT3_T4_T5_T6_T7_T9_mT8_P12ihipStream_tbDpT10_ENKUlT_T0_E_clISt17integral_constantIbLb1EES1A_EEDaS15_S16_EUlS15_E_NS1_11comp_targetILNS1_3genE9ELNS1_11target_archE1100ELNS1_3gpuE3ELNS1_3repE0EEENS1_30default_config_static_selectorELNS0_4arch9wavefront6targetE1EEEvT1_
; %bb.0:
	.section	.rodata,"a",@progbits
	.p2align	6, 0x0
	.amdhsa_kernel _ZN7rocprim17ROCPRIM_400000_NS6detail17trampoline_kernelINS0_14default_configENS1_25partition_config_selectorILNS1_17partition_subalgoE8EiNS0_10empty_typeEbEEZZNS1_14partition_implILS5_8ELb0ES3_jN6thrust23THRUST_200600_302600_NS6detail15normal_iteratorINSA_10device_ptrIiEEEEPS6_PKS6_NS0_5tupleIJSF_S6_EEENSJ_IJSG_SG_EEENS0_18inequality_wrapperINSA_8equal_toIiEEEEPmJS6_EEE10hipError_tPvRmT3_T4_T5_T6_T7_T9_mT8_P12ihipStream_tbDpT10_ENKUlT_T0_E_clISt17integral_constantIbLb1EES1A_EEDaS15_S16_EUlS15_E_NS1_11comp_targetILNS1_3genE9ELNS1_11target_archE1100ELNS1_3gpuE3ELNS1_3repE0EEENS1_30default_config_static_selectorELNS0_4arch9wavefront6targetE1EEEvT1_
		.amdhsa_group_segment_fixed_size 0
		.amdhsa_private_segment_fixed_size 0
		.amdhsa_kernarg_size 128
		.amdhsa_user_sgpr_count 6
		.amdhsa_user_sgpr_private_segment_buffer 1
		.amdhsa_user_sgpr_dispatch_ptr 0
		.amdhsa_user_sgpr_queue_ptr 0
		.amdhsa_user_sgpr_kernarg_segment_ptr 1
		.amdhsa_user_sgpr_dispatch_id 0
		.amdhsa_user_sgpr_flat_scratch_init 0
		.amdhsa_user_sgpr_private_segment_size 0
		.amdhsa_uses_dynamic_stack 0
		.amdhsa_system_sgpr_private_segment_wavefront_offset 0
		.amdhsa_system_sgpr_workgroup_id_x 1
		.amdhsa_system_sgpr_workgroup_id_y 0
		.amdhsa_system_sgpr_workgroup_id_z 0
		.amdhsa_system_sgpr_workgroup_info 0
		.amdhsa_system_vgpr_workitem_id 0
		.amdhsa_next_free_vgpr 1
		.amdhsa_next_free_sgpr 0
		.amdhsa_reserve_vcc 0
		.amdhsa_reserve_flat_scratch 0
		.amdhsa_float_round_mode_32 0
		.amdhsa_float_round_mode_16_64 0
		.amdhsa_float_denorm_mode_32 3
		.amdhsa_float_denorm_mode_16_64 3
		.amdhsa_dx10_clamp 1
		.amdhsa_ieee_mode 1
		.amdhsa_fp16_overflow 0
		.amdhsa_exception_fp_ieee_invalid_op 0
		.amdhsa_exception_fp_denorm_src 0
		.amdhsa_exception_fp_ieee_div_zero 0
		.amdhsa_exception_fp_ieee_overflow 0
		.amdhsa_exception_fp_ieee_underflow 0
		.amdhsa_exception_fp_ieee_inexact 0
		.amdhsa_exception_int_div_zero 0
	.end_amdhsa_kernel
	.section	.text._ZN7rocprim17ROCPRIM_400000_NS6detail17trampoline_kernelINS0_14default_configENS1_25partition_config_selectorILNS1_17partition_subalgoE8EiNS0_10empty_typeEbEEZZNS1_14partition_implILS5_8ELb0ES3_jN6thrust23THRUST_200600_302600_NS6detail15normal_iteratorINSA_10device_ptrIiEEEEPS6_PKS6_NS0_5tupleIJSF_S6_EEENSJ_IJSG_SG_EEENS0_18inequality_wrapperINSA_8equal_toIiEEEEPmJS6_EEE10hipError_tPvRmT3_T4_T5_T6_T7_T9_mT8_P12ihipStream_tbDpT10_ENKUlT_T0_E_clISt17integral_constantIbLb1EES1A_EEDaS15_S16_EUlS15_E_NS1_11comp_targetILNS1_3genE9ELNS1_11target_archE1100ELNS1_3gpuE3ELNS1_3repE0EEENS1_30default_config_static_selectorELNS0_4arch9wavefront6targetE1EEEvT1_,"axG",@progbits,_ZN7rocprim17ROCPRIM_400000_NS6detail17trampoline_kernelINS0_14default_configENS1_25partition_config_selectorILNS1_17partition_subalgoE8EiNS0_10empty_typeEbEEZZNS1_14partition_implILS5_8ELb0ES3_jN6thrust23THRUST_200600_302600_NS6detail15normal_iteratorINSA_10device_ptrIiEEEEPS6_PKS6_NS0_5tupleIJSF_S6_EEENSJ_IJSG_SG_EEENS0_18inequality_wrapperINSA_8equal_toIiEEEEPmJS6_EEE10hipError_tPvRmT3_T4_T5_T6_T7_T9_mT8_P12ihipStream_tbDpT10_ENKUlT_T0_E_clISt17integral_constantIbLb1EES1A_EEDaS15_S16_EUlS15_E_NS1_11comp_targetILNS1_3genE9ELNS1_11target_archE1100ELNS1_3gpuE3ELNS1_3repE0EEENS1_30default_config_static_selectorELNS0_4arch9wavefront6targetE1EEEvT1_,comdat
.Lfunc_end418:
	.size	_ZN7rocprim17ROCPRIM_400000_NS6detail17trampoline_kernelINS0_14default_configENS1_25partition_config_selectorILNS1_17partition_subalgoE8EiNS0_10empty_typeEbEEZZNS1_14partition_implILS5_8ELb0ES3_jN6thrust23THRUST_200600_302600_NS6detail15normal_iteratorINSA_10device_ptrIiEEEEPS6_PKS6_NS0_5tupleIJSF_S6_EEENSJ_IJSG_SG_EEENS0_18inequality_wrapperINSA_8equal_toIiEEEEPmJS6_EEE10hipError_tPvRmT3_T4_T5_T6_T7_T9_mT8_P12ihipStream_tbDpT10_ENKUlT_T0_E_clISt17integral_constantIbLb1EES1A_EEDaS15_S16_EUlS15_E_NS1_11comp_targetILNS1_3genE9ELNS1_11target_archE1100ELNS1_3gpuE3ELNS1_3repE0EEENS1_30default_config_static_selectorELNS0_4arch9wavefront6targetE1EEEvT1_, .Lfunc_end418-_ZN7rocprim17ROCPRIM_400000_NS6detail17trampoline_kernelINS0_14default_configENS1_25partition_config_selectorILNS1_17partition_subalgoE8EiNS0_10empty_typeEbEEZZNS1_14partition_implILS5_8ELb0ES3_jN6thrust23THRUST_200600_302600_NS6detail15normal_iteratorINSA_10device_ptrIiEEEEPS6_PKS6_NS0_5tupleIJSF_S6_EEENSJ_IJSG_SG_EEENS0_18inequality_wrapperINSA_8equal_toIiEEEEPmJS6_EEE10hipError_tPvRmT3_T4_T5_T6_T7_T9_mT8_P12ihipStream_tbDpT10_ENKUlT_T0_E_clISt17integral_constantIbLb1EES1A_EEDaS15_S16_EUlS15_E_NS1_11comp_targetILNS1_3genE9ELNS1_11target_archE1100ELNS1_3gpuE3ELNS1_3repE0EEENS1_30default_config_static_selectorELNS0_4arch9wavefront6targetE1EEEvT1_
                                        ; -- End function
	.set _ZN7rocprim17ROCPRIM_400000_NS6detail17trampoline_kernelINS0_14default_configENS1_25partition_config_selectorILNS1_17partition_subalgoE8EiNS0_10empty_typeEbEEZZNS1_14partition_implILS5_8ELb0ES3_jN6thrust23THRUST_200600_302600_NS6detail15normal_iteratorINSA_10device_ptrIiEEEEPS6_PKS6_NS0_5tupleIJSF_S6_EEENSJ_IJSG_SG_EEENS0_18inequality_wrapperINSA_8equal_toIiEEEEPmJS6_EEE10hipError_tPvRmT3_T4_T5_T6_T7_T9_mT8_P12ihipStream_tbDpT10_ENKUlT_T0_E_clISt17integral_constantIbLb1EES1A_EEDaS15_S16_EUlS15_E_NS1_11comp_targetILNS1_3genE9ELNS1_11target_archE1100ELNS1_3gpuE3ELNS1_3repE0EEENS1_30default_config_static_selectorELNS0_4arch9wavefront6targetE1EEEvT1_.num_vgpr, 0
	.set _ZN7rocprim17ROCPRIM_400000_NS6detail17trampoline_kernelINS0_14default_configENS1_25partition_config_selectorILNS1_17partition_subalgoE8EiNS0_10empty_typeEbEEZZNS1_14partition_implILS5_8ELb0ES3_jN6thrust23THRUST_200600_302600_NS6detail15normal_iteratorINSA_10device_ptrIiEEEEPS6_PKS6_NS0_5tupleIJSF_S6_EEENSJ_IJSG_SG_EEENS0_18inequality_wrapperINSA_8equal_toIiEEEEPmJS6_EEE10hipError_tPvRmT3_T4_T5_T6_T7_T9_mT8_P12ihipStream_tbDpT10_ENKUlT_T0_E_clISt17integral_constantIbLb1EES1A_EEDaS15_S16_EUlS15_E_NS1_11comp_targetILNS1_3genE9ELNS1_11target_archE1100ELNS1_3gpuE3ELNS1_3repE0EEENS1_30default_config_static_selectorELNS0_4arch9wavefront6targetE1EEEvT1_.num_agpr, 0
	.set _ZN7rocprim17ROCPRIM_400000_NS6detail17trampoline_kernelINS0_14default_configENS1_25partition_config_selectorILNS1_17partition_subalgoE8EiNS0_10empty_typeEbEEZZNS1_14partition_implILS5_8ELb0ES3_jN6thrust23THRUST_200600_302600_NS6detail15normal_iteratorINSA_10device_ptrIiEEEEPS6_PKS6_NS0_5tupleIJSF_S6_EEENSJ_IJSG_SG_EEENS0_18inequality_wrapperINSA_8equal_toIiEEEEPmJS6_EEE10hipError_tPvRmT3_T4_T5_T6_T7_T9_mT8_P12ihipStream_tbDpT10_ENKUlT_T0_E_clISt17integral_constantIbLb1EES1A_EEDaS15_S16_EUlS15_E_NS1_11comp_targetILNS1_3genE9ELNS1_11target_archE1100ELNS1_3gpuE3ELNS1_3repE0EEENS1_30default_config_static_selectorELNS0_4arch9wavefront6targetE1EEEvT1_.numbered_sgpr, 0
	.set _ZN7rocprim17ROCPRIM_400000_NS6detail17trampoline_kernelINS0_14default_configENS1_25partition_config_selectorILNS1_17partition_subalgoE8EiNS0_10empty_typeEbEEZZNS1_14partition_implILS5_8ELb0ES3_jN6thrust23THRUST_200600_302600_NS6detail15normal_iteratorINSA_10device_ptrIiEEEEPS6_PKS6_NS0_5tupleIJSF_S6_EEENSJ_IJSG_SG_EEENS0_18inequality_wrapperINSA_8equal_toIiEEEEPmJS6_EEE10hipError_tPvRmT3_T4_T5_T6_T7_T9_mT8_P12ihipStream_tbDpT10_ENKUlT_T0_E_clISt17integral_constantIbLb1EES1A_EEDaS15_S16_EUlS15_E_NS1_11comp_targetILNS1_3genE9ELNS1_11target_archE1100ELNS1_3gpuE3ELNS1_3repE0EEENS1_30default_config_static_selectorELNS0_4arch9wavefront6targetE1EEEvT1_.num_named_barrier, 0
	.set _ZN7rocprim17ROCPRIM_400000_NS6detail17trampoline_kernelINS0_14default_configENS1_25partition_config_selectorILNS1_17partition_subalgoE8EiNS0_10empty_typeEbEEZZNS1_14partition_implILS5_8ELb0ES3_jN6thrust23THRUST_200600_302600_NS6detail15normal_iteratorINSA_10device_ptrIiEEEEPS6_PKS6_NS0_5tupleIJSF_S6_EEENSJ_IJSG_SG_EEENS0_18inequality_wrapperINSA_8equal_toIiEEEEPmJS6_EEE10hipError_tPvRmT3_T4_T5_T6_T7_T9_mT8_P12ihipStream_tbDpT10_ENKUlT_T0_E_clISt17integral_constantIbLb1EES1A_EEDaS15_S16_EUlS15_E_NS1_11comp_targetILNS1_3genE9ELNS1_11target_archE1100ELNS1_3gpuE3ELNS1_3repE0EEENS1_30default_config_static_selectorELNS0_4arch9wavefront6targetE1EEEvT1_.private_seg_size, 0
	.set _ZN7rocprim17ROCPRIM_400000_NS6detail17trampoline_kernelINS0_14default_configENS1_25partition_config_selectorILNS1_17partition_subalgoE8EiNS0_10empty_typeEbEEZZNS1_14partition_implILS5_8ELb0ES3_jN6thrust23THRUST_200600_302600_NS6detail15normal_iteratorINSA_10device_ptrIiEEEEPS6_PKS6_NS0_5tupleIJSF_S6_EEENSJ_IJSG_SG_EEENS0_18inequality_wrapperINSA_8equal_toIiEEEEPmJS6_EEE10hipError_tPvRmT3_T4_T5_T6_T7_T9_mT8_P12ihipStream_tbDpT10_ENKUlT_T0_E_clISt17integral_constantIbLb1EES1A_EEDaS15_S16_EUlS15_E_NS1_11comp_targetILNS1_3genE9ELNS1_11target_archE1100ELNS1_3gpuE3ELNS1_3repE0EEENS1_30default_config_static_selectorELNS0_4arch9wavefront6targetE1EEEvT1_.uses_vcc, 0
	.set _ZN7rocprim17ROCPRIM_400000_NS6detail17trampoline_kernelINS0_14default_configENS1_25partition_config_selectorILNS1_17partition_subalgoE8EiNS0_10empty_typeEbEEZZNS1_14partition_implILS5_8ELb0ES3_jN6thrust23THRUST_200600_302600_NS6detail15normal_iteratorINSA_10device_ptrIiEEEEPS6_PKS6_NS0_5tupleIJSF_S6_EEENSJ_IJSG_SG_EEENS0_18inequality_wrapperINSA_8equal_toIiEEEEPmJS6_EEE10hipError_tPvRmT3_T4_T5_T6_T7_T9_mT8_P12ihipStream_tbDpT10_ENKUlT_T0_E_clISt17integral_constantIbLb1EES1A_EEDaS15_S16_EUlS15_E_NS1_11comp_targetILNS1_3genE9ELNS1_11target_archE1100ELNS1_3gpuE3ELNS1_3repE0EEENS1_30default_config_static_selectorELNS0_4arch9wavefront6targetE1EEEvT1_.uses_flat_scratch, 0
	.set _ZN7rocprim17ROCPRIM_400000_NS6detail17trampoline_kernelINS0_14default_configENS1_25partition_config_selectorILNS1_17partition_subalgoE8EiNS0_10empty_typeEbEEZZNS1_14partition_implILS5_8ELb0ES3_jN6thrust23THRUST_200600_302600_NS6detail15normal_iteratorINSA_10device_ptrIiEEEEPS6_PKS6_NS0_5tupleIJSF_S6_EEENSJ_IJSG_SG_EEENS0_18inequality_wrapperINSA_8equal_toIiEEEEPmJS6_EEE10hipError_tPvRmT3_T4_T5_T6_T7_T9_mT8_P12ihipStream_tbDpT10_ENKUlT_T0_E_clISt17integral_constantIbLb1EES1A_EEDaS15_S16_EUlS15_E_NS1_11comp_targetILNS1_3genE9ELNS1_11target_archE1100ELNS1_3gpuE3ELNS1_3repE0EEENS1_30default_config_static_selectorELNS0_4arch9wavefront6targetE1EEEvT1_.has_dyn_sized_stack, 0
	.set _ZN7rocprim17ROCPRIM_400000_NS6detail17trampoline_kernelINS0_14default_configENS1_25partition_config_selectorILNS1_17partition_subalgoE8EiNS0_10empty_typeEbEEZZNS1_14partition_implILS5_8ELb0ES3_jN6thrust23THRUST_200600_302600_NS6detail15normal_iteratorINSA_10device_ptrIiEEEEPS6_PKS6_NS0_5tupleIJSF_S6_EEENSJ_IJSG_SG_EEENS0_18inequality_wrapperINSA_8equal_toIiEEEEPmJS6_EEE10hipError_tPvRmT3_T4_T5_T6_T7_T9_mT8_P12ihipStream_tbDpT10_ENKUlT_T0_E_clISt17integral_constantIbLb1EES1A_EEDaS15_S16_EUlS15_E_NS1_11comp_targetILNS1_3genE9ELNS1_11target_archE1100ELNS1_3gpuE3ELNS1_3repE0EEENS1_30default_config_static_selectorELNS0_4arch9wavefront6targetE1EEEvT1_.has_recursion, 0
	.set _ZN7rocprim17ROCPRIM_400000_NS6detail17trampoline_kernelINS0_14default_configENS1_25partition_config_selectorILNS1_17partition_subalgoE8EiNS0_10empty_typeEbEEZZNS1_14partition_implILS5_8ELb0ES3_jN6thrust23THRUST_200600_302600_NS6detail15normal_iteratorINSA_10device_ptrIiEEEEPS6_PKS6_NS0_5tupleIJSF_S6_EEENSJ_IJSG_SG_EEENS0_18inequality_wrapperINSA_8equal_toIiEEEEPmJS6_EEE10hipError_tPvRmT3_T4_T5_T6_T7_T9_mT8_P12ihipStream_tbDpT10_ENKUlT_T0_E_clISt17integral_constantIbLb1EES1A_EEDaS15_S16_EUlS15_E_NS1_11comp_targetILNS1_3genE9ELNS1_11target_archE1100ELNS1_3gpuE3ELNS1_3repE0EEENS1_30default_config_static_selectorELNS0_4arch9wavefront6targetE1EEEvT1_.has_indirect_call, 0
	.section	.AMDGPU.csdata,"",@progbits
; Kernel info:
; codeLenInByte = 0
; TotalNumSgprs: 4
; NumVgprs: 0
; ScratchSize: 0
; MemoryBound: 0
; FloatMode: 240
; IeeeMode: 1
; LDSByteSize: 0 bytes/workgroup (compile time only)
; SGPRBlocks: 0
; VGPRBlocks: 0
; NumSGPRsForWavesPerEU: 4
; NumVGPRsForWavesPerEU: 1
; Occupancy: 10
; WaveLimiterHint : 0
; COMPUTE_PGM_RSRC2:SCRATCH_EN: 0
; COMPUTE_PGM_RSRC2:USER_SGPR: 6
; COMPUTE_PGM_RSRC2:TRAP_HANDLER: 0
; COMPUTE_PGM_RSRC2:TGID_X_EN: 1
; COMPUTE_PGM_RSRC2:TGID_Y_EN: 0
; COMPUTE_PGM_RSRC2:TGID_Z_EN: 0
; COMPUTE_PGM_RSRC2:TIDIG_COMP_CNT: 0
	.section	.text._ZN7rocprim17ROCPRIM_400000_NS6detail17trampoline_kernelINS0_14default_configENS1_25partition_config_selectorILNS1_17partition_subalgoE8EiNS0_10empty_typeEbEEZZNS1_14partition_implILS5_8ELb0ES3_jN6thrust23THRUST_200600_302600_NS6detail15normal_iteratorINSA_10device_ptrIiEEEEPS6_PKS6_NS0_5tupleIJSF_S6_EEENSJ_IJSG_SG_EEENS0_18inequality_wrapperINSA_8equal_toIiEEEEPmJS6_EEE10hipError_tPvRmT3_T4_T5_T6_T7_T9_mT8_P12ihipStream_tbDpT10_ENKUlT_T0_E_clISt17integral_constantIbLb1EES1A_EEDaS15_S16_EUlS15_E_NS1_11comp_targetILNS1_3genE8ELNS1_11target_archE1030ELNS1_3gpuE2ELNS1_3repE0EEENS1_30default_config_static_selectorELNS0_4arch9wavefront6targetE1EEEvT1_,"axG",@progbits,_ZN7rocprim17ROCPRIM_400000_NS6detail17trampoline_kernelINS0_14default_configENS1_25partition_config_selectorILNS1_17partition_subalgoE8EiNS0_10empty_typeEbEEZZNS1_14partition_implILS5_8ELb0ES3_jN6thrust23THRUST_200600_302600_NS6detail15normal_iteratorINSA_10device_ptrIiEEEEPS6_PKS6_NS0_5tupleIJSF_S6_EEENSJ_IJSG_SG_EEENS0_18inequality_wrapperINSA_8equal_toIiEEEEPmJS6_EEE10hipError_tPvRmT3_T4_T5_T6_T7_T9_mT8_P12ihipStream_tbDpT10_ENKUlT_T0_E_clISt17integral_constantIbLb1EES1A_EEDaS15_S16_EUlS15_E_NS1_11comp_targetILNS1_3genE8ELNS1_11target_archE1030ELNS1_3gpuE2ELNS1_3repE0EEENS1_30default_config_static_selectorELNS0_4arch9wavefront6targetE1EEEvT1_,comdat
	.protected	_ZN7rocprim17ROCPRIM_400000_NS6detail17trampoline_kernelINS0_14default_configENS1_25partition_config_selectorILNS1_17partition_subalgoE8EiNS0_10empty_typeEbEEZZNS1_14partition_implILS5_8ELb0ES3_jN6thrust23THRUST_200600_302600_NS6detail15normal_iteratorINSA_10device_ptrIiEEEEPS6_PKS6_NS0_5tupleIJSF_S6_EEENSJ_IJSG_SG_EEENS0_18inequality_wrapperINSA_8equal_toIiEEEEPmJS6_EEE10hipError_tPvRmT3_T4_T5_T6_T7_T9_mT8_P12ihipStream_tbDpT10_ENKUlT_T0_E_clISt17integral_constantIbLb1EES1A_EEDaS15_S16_EUlS15_E_NS1_11comp_targetILNS1_3genE8ELNS1_11target_archE1030ELNS1_3gpuE2ELNS1_3repE0EEENS1_30default_config_static_selectorELNS0_4arch9wavefront6targetE1EEEvT1_ ; -- Begin function _ZN7rocprim17ROCPRIM_400000_NS6detail17trampoline_kernelINS0_14default_configENS1_25partition_config_selectorILNS1_17partition_subalgoE8EiNS0_10empty_typeEbEEZZNS1_14partition_implILS5_8ELb0ES3_jN6thrust23THRUST_200600_302600_NS6detail15normal_iteratorINSA_10device_ptrIiEEEEPS6_PKS6_NS0_5tupleIJSF_S6_EEENSJ_IJSG_SG_EEENS0_18inequality_wrapperINSA_8equal_toIiEEEEPmJS6_EEE10hipError_tPvRmT3_T4_T5_T6_T7_T9_mT8_P12ihipStream_tbDpT10_ENKUlT_T0_E_clISt17integral_constantIbLb1EES1A_EEDaS15_S16_EUlS15_E_NS1_11comp_targetILNS1_3genE8ELNS1_11target_archE1030ELNS1_3gpuE2ELNS1_3repE0EEENS1_30default_config_static_selectorELNS0_4arch9wavefront6targetE1EEEvT1_
	.globl	_ZN7rocprim17ROCPRIM_400000_NS6detail17trampoline_kernelINS0_14default_configENS1_25partition_config_selectorILNS1_17partition_subalgoE8EiNS0_10empty_typeEbEEZZNS1_14partition_implILS5_8ELb0ES3_jN6thrust23THRUST_200600_302600_NS6detail15normal_iteratorINSA_10device_ptrIiEEEEPS6_PKS6_NS0_5tupleIJSF_S6_EEENSJ_IJSG_SG_EEENS0_18inequality_wrapperINSA_8equal_toIiEEEEPmJS6_EEE10hipError_tPvRmT3_T4_T5_T6_T7_T9_mT8_P12ihipStream_tbDpT10_ENKUlT_T0_E_clISt17integral_constantIbLb1EES1A_EEDaS15_S16_EUlS15_E_NS1_11comp_targetILNS1_3genE8ELNS1_11target_archE1030ELNS1_3gpuE2ELNS1_3repE0EEENS1_30default_config_static_selectorELNS0_4arch9wavefront6targetE1EEEvT1_
	.p2align	8
	.type	_ZN7rocprim17ROCPRIM_400000_NS6detail17trampoline_kernelINS0_14default_configENS1_25partition_config_selectorILNS1_17partition_subalgoE8EiNS0_10empty_typeEbEEZZNS1_14partition_implILS5_8ELb0ES3_jN6thrust23THRUST_200600_302600_NS6detail15normal_iteratorINSA_10device_ptrIiEEEEPS6_PKS6_NS0_5tupleIJSF_S6_EEENSJ_IJSG_SG_EEENS0_18inequality_wrapperINSA_8equal_toIiEEEEPmJS6_EEE10hipError_tPvRmT3_T4_T5_T6_T7_T9_mT8_P12ihipStream_tbDpT10_ENKUlT_T0_E_clISt17integral_constantIbLb1EES1A_EEDaS15_S16_EUlS15_E_NS1_11comp_targetILNS1_3genE8ELNS1_11target_archE1030ELNS1_3gpuE2ELNS1_3repE0EEENS1_30default_config_static_selectorELNS0_4arch9wavefront6targetE1EEEvT1_,@function
_ZN7rocprim17ROCPRIM_400000_NS6detail17trampoline_kernelINS0_14default_configENS1_25partition_config_selectorILNS1_17partition_subalgoE8EiNS0_10empty_typeEbEEZZNS1_14partition_implILS5_8ELb0ES3_jN6thrust23THRUST_200600_302600_NS6detail15normal_iteratorINSA_10device_ptrIiEEEEPS6_PKS6_NS0_5tupleIJSF_S6_EEENSJ_IJSG_SG_EEENS0_18inequality_wrapperINSA_8equal_toIiEEEEPmJS6_EEE10hipError_tPvRmT3_T4_T5_T6_T7_T9_mT8_P12ihipStream_tbDpT10_ENKUlT_T0_E_clISt17integral_constantIbLb1EES1A_EEDaS15_S16_EUlS15_E_NS1_11comp_targetILNS1_3genE8ELNS1_11target_archE1030ELNS1_3gpuE2ELNS1_3repE0EEENS1_30default_config_static_selectorELNS0_4arch9wavefront6targetE1EEEvT1_: ; @_ZN7rocprim17ROCPRIM_400000_NS6detail17trampoline_kernelINS0_14default_configENS1_25partition_config_selectorILNS1_17partition_subalgoE8EiNS0_10empty_typeEbEEZZNS1_14partition_implILS5_8ELb0ES3_jN6thrust23THRUST_200600_302600_NS6detail15normal_iteratorINSA_10device_ptrIiEEEEPS6_PKS6_NS0_5tupleIJSF_S6_EEENSJ_IJSG_SG_EEENS0_18inequality_wrapperINSA_8equal_toIiEEEEPmJS6_EEE10hipError_tPvRmT3_T4_T5_T6_T7_T9_mT8_P12ihipStream_tbDpT10_ENKUlT_T0_E_clISt17integral_constantIbLb1EES1A_EEDaS15_S16_EUlS15_E_NS1_11comp_targetILNS1_3genE8ELNS1_11target_archE1030ELNS1_3gpuE2ELNS1_3repE0EEENS1_30default_config_static_selectorELNS0_4arch9wavefront6targetE1EEEvT1_
; %bb.0:
	.section	.rodata,"a",@progbits
	.p2align	6, 0x0
	.amdhsa_kernel _ZN7rocprim17ROCPRIM_400000_NS6detail17trampoline_kernelINS0_14default_configENS1_25partition_config_selectorILNS1_17partition_subalgoE8EiNS0_10empty_typeEbEEZZNS1_14partition_implILS5_8ELb0ES3_jN6thrust23THRUST_200600_302600_NS6detail15normal_iteratorINSA_10device_ptrIiEEEEPS6_PKS6_NS0_5tupleIJSF_S6_EEENSJ_IJSG_SG_EEENS0_18inequality_wrapperINSA_8equal_toIiEEEEPmJS6_EEE10hipError_tPvRmT3_T4_T5_T6_T7_T9_mT8_P12ihipStream_tbDpT10_ENKUlT_T0_E_clISt17integral_constantIbLb1EES1A_EEDaS15_S16_EUlS15_E_NS1_11comp_targetILNS1_3genE8ELNS1_11target_archE1030ELNS1_3gpuE2ELNS1_3repE0EEENS1_30default_config_static_selectorELNS0_4arch9wavefront6targetE1EEEvT1_
		.amdhsa_group_segment_fixed_size 0
		.amdhsa_private_segment_fixed_size 0
		.amdhsa_kernarg_size 128
		.amdhsa_user_sgpr_count 6
		.amdhsa_user_sgpr_private_segment_buffer 1
		.amdhsa_user_sgpr_dispatch_ptr 0
		.amdhsa_user_sgpr_queue_ptr 0
		.amdhsa_user_sgpr_kernarg_segment_ptr 1
		.amdhsa_user_sgpr_dispatch_id 0
		.amdhsa_user_sgpr_flat_scratch_init 0
		.amdhsa_user_sgpr_private_segment_size 0
		.amdhsa_uses_dynamic_stack 0
		.amdhsa_system_sgpr_private_segment_wavefront_offset 0
		.amdhsa_system_sgpr_workgroup_id_x 1
		.amdhsa_system_sgpr_workgroup_id_y 0
		.amdhsa_system_sgpr_workgroup_id_z 0
		.amdhsa_system_sgpr_workgroup_info 0
		.amdhsa_system_vgpr_workitem_id 0
		.amdhsa_next_free_vgpr 1
		.amdhsa_next_free_sgpr 0
		.amdhsa_reserve_vcc 0
		.amdhsa_reserve_flat_scratch 0
		.amdhsa_float_round_mode_32 0
		.amdhsa_float_round_mode_16_64 0
		.amdhsa_float_denorm_mode_32 3
		.amdhsa_float_denorm_mode_16_64 3
		.amdhsa_dx10_clamp 1
		.amdhsa_ieee_mode 1
		.amdhsa_fp16_overflow 0
		.amdhsa_exception_fp_ieee_invalid_op 0
		.amdhsa_exception_fp_denorm_src 0
		.amdhsa_exception_fp_ieee_div_zero 0
		.amdhsa_exception_fp_ieee_overflow 0
		.amdhsa_exception_fp_ieee_underflow 0
		.amdhsa_exception_fp_ieee_inexact 0
		.amdhsa_exception_int_div_zero 0
	.end_amdhsa_kernel
	.section	.text._ZN7rocprim17ROCPRIM_400000_NS6detail17trampoline_kernelINS0_14default_configENS1_25partition_config_selectorILNS1_17partition_subalgoE8EiNS0_10empty_typeEbEEZZNS1_14partition_implILS5_8ELb0ES3_jN6thrust23THRUST_200600_302600_NS6detail15normal_iteratorINSA_10device_ptrIiEEEEPS6_PKS6_NS0_5tupleIJSF_S6_EEENSJ_IJSG_SG_EEENS0_18inequality_wrapperINSA_8equal_toIiEEEEPmJS6_EEE10hipError_tPvRmT3_T4_T5_T6_T7_T9_mT8_P12ihipStream_tbDpT10_ENKUlT_T0_E_clISt17integral_constantIbLb1EES1A_EEDaS15_S16_EUlS15_E_NS1_11comp_targetILNS1_3genE8ELNS1_11target_archE1030ELNS1_3gpuE2ELNS1_3repE0EEENS1_30default_config_static_selectorELNS0_4arch9wavefront6targetE1EEEvT1_,"axG",@progbits,_ZN7rocprim17ROCPRIM_400000_NS6detail17trampoline_kernelINS0_14default_configENS1_25partition_config_selectorILNS1_17partition_subalgoE8EiNS0_10empty_typeEbEEZZNS1_14partition_implILS5_8ELb0ES3_jN6thrust23THRUST_200600_302600_NS6detail15normal_iteratorINSA_10device_ptrIiEEEEPS6_PKS6_NS0_5tupleIJSF_S6_EEENSJ_IJSG_SG_EEENS0_18inequality_wrapperINSA_8equal_toIiEEEEPmJS6_EEE10hipError_tPvRmT3_T4_T5_T6_T7_T9_mT8_P12ihipStream_tbDpT10_ENKUlT_T0_E_clISt17integral_constantIbLb1EES1A_EEDaS15_S16_EUlS15_E_NS1_11comp_targetILNS1_3genE8ELNS1_11target_archE1030ELNS1_3gpuE2ELNS1_3repE0EEENS1_30default_config_static_selectorELNS0_4arch9wavefront6targetE1EEEvT1_,comdat
.Lfunc_end419:
	.size	_ZN7rocprim17ROCPRIM_400000_NS6detail17trampoline_kernelINS0_14default_configENS1_25partition_config_selectorILNS1_17partition_subalgoE8EiNS0_10empty_typeEbEEZZNS1_14partition_implILS5_8ELb0ES3_jN6thrust23THRUST_200600_302600_NS6detail15normal_iteratorINSA_10device_ptrIiEEEEPS6_PKS6_NS0_5tupleIJSF_S6_EEENSJ_IJSG_SG_EEENS0_18inequality_wrapperINSA_8equal_toIiEEEEPmJS6_EEE10hipError_tPvRmT3_T4_T5_T6_T7_T9_mT8_P12ihipStream_tbDpT10_ENKUlT_T0_E_clISt17integral_constantIbLb1EES1A_EEDaS15_S16_EUlS15_E_NS1_11comp_targetILNS1_3genE8ELNS1_11target_archE1030ELNS1_3gpuE2ELNS1_3repE0EEENS1_30default_config_static_selectorELNS0_4arch9wavefront6targetE1EEEvT1_, .Lfunc_end419-_ZN7rocprim17ROCPRIM_400000_NS6detail17trampoline_kernelINS0_14default_configENS1_25partition_config_selectorILNS1_17partition_subalgoE8EiNS0_10empty_typeEbEEZZNS1_14partition_implILS5_8ELb0ES3_jN6thrust23THRUST_200600_302600_NS6detail15normal_iteratorINSA_10device_ptrIiEEEEPS6_PKS6_NS0_5tupleIJSF_S6_EEENSJ_IJSG_SG_EEENS0_18inequality_wrapperINSA_8equal_toIiEEEEPmJS6_EEE10hipError_tPvRmT3_T4_T5_T6_T7_T9_mT8_P12ihipStream_tbDpT10_ENKUlT_T0_E_clISt17integral_constantIbLb1EES1A_EEDaS15_S16_EUlS15_E_NS1_11comp_targetILNS1_3genE8ELNS1_11target_archE1030ELNS1_3gpuE2ELNS1_3repE0EEENS1_30default_config_static_selectorELNS0_4arch9wavefront6targetE1EEEvT1_
                                        ; -- End function
	.set _ZN7rocprim17ROCPRIM_400000_NS6detail17trampoline_kernelINS0_14default_configENS1_25partition_config_selectorILNS1_17partition_subalgoE8EiNS0_10empty_typeEbEEZZNS1_14partition_implILS5_8ELb0ES3_jN6thrust23THRUST_200600_302600_NS6detail15normal_iteratorINSA_10device_ptrIiEEEEPS6_PKS6_NS0_5tupleIJSF_S6_EEENSJ_IJSG_SG_EEENS0_18inequality_wrapperINSA_8equal_toIiEEEEPmJS6_EEE10hipError_tPvRmT3_T4_T5_T6_T7_T9_mT8_P12ihipStream_tbDpT10_ENKUlT_T0_E_clISt17integral_constantIbLb1EES1A_EEDaS15_S16_EUlS15_E_NS1_11comp_targetILNS1_3genE8ELNS1_11target_archE1030ELNS1_3gpuE2ELNS1_3repE0EEENS1_30default_config_static_selectorELNS0_4arch9wavefront6targetE1EEEvT1_.num_vgpr, 0
	.set _ZN7rocprim17ROCPRIM_400000_NS6detail17trampoline_kernelINS0_14default_configENS1_25partition_config_selectorILNS1_17partition_subalgoE8EiNS0_10empty_typeEbEEZZNS1_14partition_implILS5_8ELb0ES3_jN6thrust23THRUST_200600_302600_NS6detail15normal_iteratorINSA_10device_ptrIiEEEEPS6_PKS6_NS0_5tupleIJSF_S6_EEENSJ_IJSG_SG_EEENS0_18inequality_wrapperINSA_8equal_toIiEEEEPmJS6_EEE10hipError_tPvRmT3_T4_T5_T6_T7_T9_mT8_P12ihipStream_tbDpT10_ENKUlT_T0_E_clISt17integral_constantIbLb1EES1A_EEDaS15_S16_EUlS15_E_NS1_11comp_targetILNS1_3genE8ELNS1_11target_archE1030ELNS1_3gpuE2ELNS1_3repE0EEENS1_30default_config_static_selectorELNS0_4arch9wavefront6targetE1EEEvT1_.num_agpr, 0
	.set _ZN7rocprim17ROCPRIM_400000_NS6detail17trampoline_kernelINS0_14default_configENS1_25partition_config_selectorILNS1_17partition_subalgoE8EiNS0_10empty_typeEbEEZZNS1_14partition_implILS5_8ELb0ES3_jN6thrust23THRUST_200600_302600_NS6detail15normal_iteratorINSA_10device_ptrIiEEEEPS6_PKS6_NS0_5tupleIJSF_S6_EEENSJ_IJSG_SG_EEENS0_18inequality_wrapperINSA_8equal_toIiEEEEPmJS6_EEE10hipError_tPvRmT3_T4_T5_T6_T7_T9_mT8_P12ihipStream_tbDpT10_ENKUlT_T0_E_clISt17integral_constantIbLb1EES1A_EEDaS15_S16_EUlS15_E_NS1_11comp_targetILNS1_3genE8ELNS1_11target_archE1030ELNS1_3gpuE2ELNS1_3repE0EEENS1_30default_config_static_selectorELNS0_4arch9wavefront6targetE1EEEvT1_.numbered_sgpr, 0
	.set _ZN7rocprim17ROCPRIM_400000_NS6detail17trampoline_kernelINS0_14default_configENS1_25partition_config_selectorILNS1_17partition_subalgoE8EiNS0_10empty_typeEbEEZZNS1_14partition_implILS5_8ELb0ES3_jN6thrust23THRUST_200600_302600_NS6detail15normal_iteratorINSA_10device_ptrIiEEEEPS6_PKS6_NS0_5tupleIJSF_S6_EEENSJ_IJSG_SG_EEENS0_18inequality_wrapperINSA_8equal_toIiEEEEPmJS6_EEE10hipError_tPvRmT3_T4_T5_T6_T7_T9_mT8_P12ihipStream_tbDpT10_ENKUlT_T0_E_clISt17integral_constantIbLb1EES1A_EEDaS15_S16_EUlS15_E_NS1_11comp_targetILNS1_3genE8ELNS1_11target_archE1030ELNS1_3gpuE2ELNS1_3repE0EEENS1_30default_config_static_selectorELNS0_4arch9wavefront6targetE1EEEvT1_.num_named_barrier, 0
	.set _ZN7rocprim17ROCPRIM_400000_NS6detail17trampoline_kernelINS0_14default_configENS1_25partition_config_selectorILNS1_17partition_subalgoE8EiNS0_10empty_typeEbEEZZNS1_14partition_implILS5_8ELb0ES3_jN6thrust23THRUST_200600_302600_NS6detail15normal_iteratorINSA_10device_ptrIiEEEEPS6_PKS6_NS0_5tupleIJSF_S6_EEENSJ_IJSG_SG_EEENS0_18inequality_wrapperINSA_8equal_toIiEEEEPmJS6_EEE10hipError_tPvRmT3_T4_T5_T6_T7_T9_mT8_P12ihipStream_tbDpT10_ENKUlT_T0_E_clISt17integral_constantIbLb1EES1A_EEDaS15_S16_EUlS15_E_NS1_11comp_targetILNS1_3genE8ELNS1_11target_archE1030ELNS1_3gpuE2ELNS1_3repE0EEENS1_30default_config_static_selectorELNS0_4arch9wavefront6targetE1EEEvT1_.private_seg_size, 0
	.set _ZN7rocprim17ROCPRIM_400000_NS6detail17trampoline_kernelINS0_14default_configENS1_25partition_config_selectorILNS1_17partition_subalgoE8EiNS0_10empty_typeEbEEZZNS1_14partition_implILS5_8ELb0ES3_jN6thrust23THRUST_200600_302600_NS6detail15normal_iteratorINSA_10device_ptrIiEEEEPS6_PKS6_NS0_5tupleIJSF_S6_EEENSJ_IJSG_SG_EEENS0_18inequality_wrapperINSA_8equal_toIiEEEEPmJS6_EEE10hipError_tPvRmT3_T4_T5_T6_T7_T9_mT8_P12ihipStream_tbDpT10_ENKUlT_T0_E_clISt17integral_constantIbLb1EES1A_EEDaS15_S16_EUlS15_E_NS1_11comp_targetILNS1_3genE8ELNS1_11target_archE1030ELNS1_3gpuE2ELNS1_3repE0EEENS1_30default_config_static_selectorELNS0_4arch9wavefront6targetE1EEEvT1_.uses_vcc, 0
	.set _ZN7rocprim17ROCPRIM_400000_NS6detail17trampoline_kernelINS0_14default_configENS1_25partition_config_selectorILNS1_17partition_subalgoE8EiNS0_10empty_typeEbEEZZNS1_14partition_implILS5_8ELb0ES3_jN6thrust23THRUST_200600_302600_NS6detail15normal_iteratorINSA_10device_ptrIiEEEEPS6_PKS6_NS0_5tupleIJSF_S6_EEENSJ_IJSG_SG_EEENS0_18inequality_wrapperINSA_8equal_toIiEEEEPmJS6_EEE10hipError_tPvRmT3_T4_T5_T6_T7_T9_mT8_P12ihipStream_tbDpT10_ENKUlT_T0_E_clISt17integral_constantIbLb1EES1A_EEDaS15_S16_EUlS15_E_NS1_11comp_targetILNS1_3genE8ELNS1_11target_archE1030ELNS1_3gpuE2ELNS1_3repE0EEENS1_30default_config_static_selectorELNS0_4arch9wavefront6targetE1EEEvT1_.uses_flat_scratch, 0
	.set _ZN7rocprim17ROCPRIM_400000_NS6detail17trampoline_kernelINS0_14default_configENS1_25partition_config_selectorILNS1_17partition_subalgoE8EiNS0_10empty_typeEbEEZZNS1_14partition_implILS5_8ELb0ES3_jN6thrust23THRUST_200600_302600_NS6detail15normal_iteratorINSA_10device_ptrIiEEEEPS6_PKS6_NS0_5tupleIJSF_S6_EEENSJ_IJSG_SG_EEENS0_18inequality_wrapperINSA_8equal_toIiEEEEPmJS6_EEE10hipError_tPvRmT3_T4_T5_T6_T7_T9_mT8_P12ihipStream_tbDpT10_ENKUlT_T0_E_clISt17integral_constantIbLb1EES1A_EEDaS15_S16_EUlS15_E_NS1_11comp_targetILNS1_3genE8ELNS1_11target_archE1030ELNS1_3gpuE2ELNS1_3repE0EEENS1_30default_config_static_selectorELNS0_4arch9wavefront6targetE1EEEvT1_.has_dyn_sized_stack, 0
	.set _ZN7rocprim17ROCPRIM_400000_NS6detail17trampoline_kernelINS0_14default_configENS1_25partition_config_selectorILNS1_17partition_subalgoE8EiNS0_10empty_typeEbEEZZNS1_14partition_implILS5_8ELb0ES3_jN6thrust23THRUST_200600_302600_NS6detail15normal_iteratorINSA_10device_ptrIiEEEEPS6_PKS6_NS0_5tupleIJSF_S6_EEENSJ_IJSG_SG_EEENS0_18inequality_wrapperINSA_8equal_toIiEEEEPmJS6_EEE10hipError_tPvRmT3_T4_T5_T6_T7_T9_mT8_P12ihipStream_tbDpT10_ENKUlT_T0_E_clISt17integral_constantIbLb1EES1A_EEDaS15_S16_EUlS15_E_NS1_11comp_targetILNS1_3genE8ELNS1_11target_archE1030ELNS1_3gpuE2ELNS1_3repE0EEENS1_30default_config_static_selectorELNS0_4arch9wavefront6targetE1EEEvT1_.has_recursion, 0
	.set _ZN7rocprim17ROCPRIM_400000_NS6detail17trampoline_kernelINS0_14default_configENS1_25partition_config_selectorILNS1_17partition_subalgoE8EiNS0_10empty_typeEbEEZZNS1_14partition_implILS5_8ELb0ES3_jN6thrust23THRUST_200600_302600_NS6detail15normal_iteratorINSA_10device_ptrIiEEEEPS6_PKS6_NS0_5tupleIJSF_S6_EEENSJ_IJSG_SG_EEENS0_18inequality_wrapperINSA_8equal_toIiEEEEPmJS6_EEE10hipError_tPvRmT3_T4_T5_T6_T7_T9_mT8_P12ihipStream_tbDpT10_ENKUlT_T0_E_clISt17integral_constantIbLb1EES1A_EEDaS15_S16_EUlS15_E_NS1_11comp_targetILNS1_3genE8ELNS1_11target_archE1030ELNS1_3gpuE2ELNS1_3repE0EEENS1_30default_config_static_selectorELNS0_4arch9wavefront6targetE1EEEvT1_.has_indirect_call, 0
	.section	.AMDGPU.csdata,"",@progbits
; Kernel info:
; codeLenInByte = 0
; TotalNumSgprs: 4
; NumVgprs: 0
; ScratchSize: 0
; MemoryBound: 0
; FloatMode: 240
; IeeeMode: 1
; LDSByteSize: 0 bytes/workgroup (compile time only)
; SGPRBlocks: 0
; VGPRBlocks: 0
; NumSGPRsForWavesPerEU: 4
; NumVGPRsForWavesPerEU: 1
; Occupancy: 10
; WaveLimiterHint : 0
; COMPUTE_PGM_RSRC2:SCRATCH_EN: 0
; COMPUTE_PGM_RSRC2:USER_SGPR: 6
; COMPUTE_PGM_RSRC2:TRAP_HANDLER: 0
; COMPUTE_PGM_RSRC2:TGID_X_EN: 1
; COMPUTE_PGM_RSRC2:TGID_Y_EN: 0
; COMPUTE_PGM_RSRC2:TGID_Z_EN: 0
; COMPUTE_PGM_RSRC2:TIDIG_COMP_CNT: 0
	.section	.text._ZN7rocprim17ROCPRIM_400000_NS6detail17trampoline_kernelINS0_14default_configENS1_25partition_config_selectorILNS1_17partition_subalgoE8EiNS0_10empty_typeEbEEZZNS1_14partition_implILS5_8ELb0ES3_jN6thrust23THRUST_200600_302600_NS6detail15normal_iteratorINSA_10device_ptrIiEEEEPS6_PKS6_NS0_5tupleIJSF_S6_EEENSJ_IJSG_SG_EEENS0_18inequality_wrapperINSA_8equal_toIiEEEEPmJS6_EEE10hipError_tPvRmT3_T4_T5_T6_T7_T9_mT8_P12ihipStream_tbDpT10_ENKUlT_T0_E_clISt17integral_constantIbLb1EES19_IbLb0EEEEDaS15_S16_EUlS15_E_NS1_11comp_targetILNS1_3genE0ELNS1_11target_archE4294967295ELNS1_3gpuE0ELNS1_3repE0EEENS1_30default_config_static_selectorELNS0_4arch9wavefront6targetE1EEEvT1_,"axG",@progbits,_ZN7rocprim17ROCPRIM_400000_NS6detail17trampoline_kernelINS0_14default_configENS1_25partition_config_selectorILNS1_17partition_subalgoE8EiNS0_10empty_typeEbEEZZNS1_14partition_implILS5_8ELb0ES3_jN6thrust23THRUST_200600_302600_NS6detail15normal_iteratorINSA_10device_ptrIiEEEEPS6_PKS6_NS0_5tupleIJSF_S6_EEENSJ_IJSG_SG_EEENS0_18inequality_wrapperINSA_8equal_toIiEEEEPmJS6_EEE10hipError_tPvRmT3_T4_T5_T6_T7_T9_mT8_P12ihipStream_tbDpT10_ENKUlT_T0_E_clISt17integral_constantIbLb1EES19_IbLb0EEEEDaS15_S16_EUlS15_E_NS1_11comp_targetILNS1_3genE0ELNS1_11target_archE4294967295ELNS1_3gpuE0ELNS1_3repE0EEENS1_30default_config_static_selectorELNS0_4arch9wavefront6targetE1EEEvT1_,comdat
	.protected	_ZN7rocprim17ROCPRIM_400000_NS6detail17trampoline_kernelINS0_14default_configENS1_25partition_config_selectorILNS1_17partition_subalgoE8EiNS0_10empty_typeEbEEZZNS1_14partition_implILS5_8ELb0ES3_jN6thrust23THRUST_200600_302600_NS6detail15normal_iteratorINSA_10device_ptrIiEEEEPS6_PKS6_NS0_5tupleIJSF_S6_EEENSJ_IJSG_SG_EEENS0_18inequality_wrapperINSA_8equal_toIiEEEEPmJS6_EEE10hipError_tPvRmT3_T4_T5_T6_T7_T9_mT8_P12ihipStream_tbDpT10_ENKUlT_T0_E_clISt17integral_constantIbLb1EES19_IbLb0EEEEDaS15_S16_EUlS15_E_NS1_11comp_targetILNS1_3genE0ELNS1_11target_archE4294967295ELNS1_3gpuE0ELNS1_3repE0EEENS1_30default_config_static_selectorELNS0_4arch9wavefront6targetE1EEEvT1_ ; -- Begin function _ZN7rocprim17ROCPRIM_400000_NS6detail17trampoline_kernelINS0_14default_configENS1_25partition_config_selectorILNS1_17partition_subalgoE8EiNS0_10empty_typeEbEEZZNS1_14partition_implILS5_8ELb0ES3_jN6thrust23THRUST_200600_302600_NS6detail15normal_iteratorINSA_10device_ptrIiEEEEPS6_PKS6_NS0_5tupleIJSF_S6_EEENSJ_IJSG_SG_EEENS0_18inequality_wrapperINSA_8equal_toIiEEEEPmJS6_EEE10hipError_tPvRmT3_T4_T5_T6_T7_T9_mT8_P12ihipStream_tbDpT10_ENKUlT_T0_E_clISt17integral_constantIbLb1EES19_IbLb0EEEEDaS15_S16_EUlS15_E_NS1_11comp_targetILNS1_3genE0ELNS1_11target_archE4294967295ELNS1_3gpuE0ELNS1_3repE0EEENS1_30default_config_static_selectorELNS0_4arch9wavefront6targetE1EEEvT1_
	.globl	_ZN7rocprim17ROCPRIM_400000_NS6detail17trampoline_kernelINS0_14default_configENS1_25partition_config_selectorILNS1_17partition_subalgoE8EiNS0_10empty_typeEbEEZZNS1_14partition_implILS5_8ELb0ES3_jN6thrust23THRUST_200600_302600_NS6detail15normal_iteratorINSA_10device_ptrIiEEEEPS6_PKS6_NS0_5tupleIJSF_S6_EEENSJ_IJSG_SG_EEENS0_18inequality_wrapperINSA_8equal_toIiEEEEPmJS6_EEE10hipError_tPvRmT3_T4_T5_T6_T7_T9_mT8_P12ihipStream_tbDpT10_ENKUlT_T0_E_clISt17integral_constantIbLb1EES19_IbLb0EEEEDaS15_S16_EUlS15_E_NS1_11comp_targetILNS1_3genE0ELNS1_11target_archE4294967295ELNS1_3gpuE0ELNS1_3repE0EEENS1_30default_config_static_selectorELNS0_4arch9wavefront6targetE1EEEvT1_
	.p2align	8
	.type	_ZN7rocprim17ROCPRIM_400000_NS6detail17trampoline_kernelINS0_14default_configENS1_25partition_config_selectorILNS1_17partition_subalgoE8EiNS0_10empty_typeEbEEZZNS1_14partition_implILS5_8ELb0ES3_jN6thrust23THRUST_200600_302600_NS6detail15normal_iteratorINSA_10device_ptrIiEEEEPS6_PKS6_NS0_5tupleIJSF_S6_EEENSJ_IJSG_SG_EEENS0_18inequality_wrapperINSA_8equal_toIiEEEEPmJS6_EEE10hipError_tPvRmT3_T4_T5_T6_T7_T9_mT8_P12ihipStream_tbDpT10_ENKUlT_T0_E_clISt17integral_constantIbLb1EES19_IbLb0EEEEDaS15_S16_EUlS15_E_NS1_11comp_targetILNS1_3genE0ELNS1_11target_archE4294967295ELNS1_3gpuE0ELNS1_3repE0EEENS1_30default_config_static_selectorELNS0_4arch9wavefront6targetE1EEEvT1_,@function
_ZN7rocprim17ROCPRIM_400000_NS6detail17trampoline_kernelINS0_14default_configENS1_25partition_config_selectorILNS1_17partition_subalgoE8EiNS0_10empty_typeEbEEZZNS1_14partition_implILS5_8ELb0ES3_jN6thrust23THRUST_200600_302600_NS6detail15normal_iteratorINSA_10device_ptrIiEEEEPS6_PKS6_NS0_5tupleIJSF_S6_EEENSJ_IJSG_SG_EEENS0_18inequality_wrapperINSA_8equal_toIiEEEEPmJS6_EEE10hipError_tPvRmT3_T4_T5_T6_T7_T9_mT8_P12ihipStream_tbDpT10_ENKUlT_T0_E_clISt17integral_constantIbLb1EES19_IbLb0EEEEDaS15_S16_EUlS15_E_NS1_11comp_targetILNS1_3genE0ELNS1_11target_archE4294967295ELNS1_3gpuE0ELNS1_3repE0EEENS1_30default_config_static_selectorELNS0_4arch9wavefront6targetE1EEEvT1_: ; @_ZN7rocprim17ROCPRIM_400000_NS6detail17trampoline_kernelINS0_14default_configENS1_25partition_config_selectorILNS1_17partition_subalgoE8EiNS0_10empty_typeEbEEZZNS1_14partition_implILS5_8ELb0ES3_jN6thrust23THRUST_200600_302600_NS6detail15normal_iteratorINSA_10device_ptrIiEEEEPS6_PKS6_NS0_5tupleIJSF_S6_EEENSJ_IJSG_SG_EEENS0_18inequality_wrapperINSA_8equal_toIiEEEEPmJS6_EEE10hipError_tPvRmT3_T4_T5_T6_T7_T9_mT8_P12ihipStream_tbDpT10_ENKUlT_T0_E_clISt17integral_constantIbLb1EES19_IbLb0EEEEDaS15_S16_EUlS15_E_NS1_11comp_targetILNS1_3genE0ELNS1_11target_archE4294967295ELNS1_3gpuE0ELNS1_3repE0EEENS1_30default_config_static_selectorELNS0_4arch9wavefront6targetE1EEEvT1_
; %bb.0:
	.section	.rodata,"a",@progbits
	.p2align	6, 0x0
	.amdhsa_kernel _ZN7rocprim17ROCPRIM_400000_NS6detail17trampoline_kernelINS0_14default_configENS1_25partition_config_selectorILNS1_17partition_subalgoE8EiNS0_10empty_typeEbEEZZNS1_14partition_implILS5_8ELb0ES3_jN6thrust23THRUST_200600_302600_NS6detail15normal_iteratorINSA_10device_ptrIiEEEEPS6_PKS6_NS0_5tupleIJSF_S6_EEENSJ_IJSG_SG_EEENS0_18inequality_wrapperINSA_8equal_toIiEEEEPmJS6_EEE10hipError_tPvRmT3_T4_T5_T6_T7_T9_mT8_P12ihipStream_tbDpT10_ENKUlT_T0_E_clISt17integral_constantIbLb1EES19_IbLb0EEEEDaS15_S16_EUlS15_E_NS1_11comp_targetILNS1_3genE0ELNS1_11target_archE4294967295ELNS1_3gpuE0ELNS1_3repE0EEENS1_30default_config_static_selectorELNS0_4arch9wavefront6targetE1EEEvT1_
		.amdhsa_group_segment_fixed_size 0
		.amdhsa_private_segment_fixed_size 0
		.amdhsa_kernarg_size 112
		.amdhsa_user_sgpr_count 6
		.amdhsa_user_sgpr_private_segment_buffer 1
		.amdhsa_user_sgpr_dispatch_ptr 0
		.amdhsa_user_sgpr_queue_ptr 0
		.amdhsa_user_sgpr_kernarg_segment_ptr 1
		.amdhsa_user_sgpr_dispatch_id 0
		.amdhsa_user_sgpr_flat_scratch_init 0
		.amdhsa_user_sgpr_private_segment_size 0
		.amdhsa_uses_dynamic_stack 0
		.amdhsa_system_sgpr_private_segment_wavefront_offset 0
		.amdhsa_system_sgpr_workgroup_id_x 1
		.amdhsa_system_sgpr_workgroup_id_y 0
		.amdhsa_system_sgpr_workgroup_id_z 0
		.amdhsa_system_sgpr_workgroup_info 0
		.amdhsa_system_vgpr_workitem_id 0
		.amdhsa_next_free_vgpr 1
		.amdhsa_next_free_sgpr 0
		.amdhsa_reserve_vcc 0
		.amdhsa_reserve_flat_scratch 0
		.amdhsa_float_round_mode_32 0
		.amdhsa_float_round_mode_16_64 0
		.amdhsa_float_denorm_mode_32 3
		.amdhsa_float_denorm_mode_16_64 3
		.amdhsa_dx10_clamp 1
		.amdhsa_ieee_mode 1
		.amdhsa_fp16_overflow 0
		.amdhsa_exception_fp_ieee_invalid_op 0
		.amdhsa_exception_fp_denorm_src 0
		.amdhsa_exception_fp_ieee_div_zero 0
		.amdhsa_exception_fp_ieee_overflow 0
		.amdhsa_exception_fp_ieee_underflow 0
		.amdhsa_exception_fp_ieee_inexact 0
		.amdhsa_exception_int_div_zero 0
	.end_amdhsa_kernel
	.section	.text._ZN7rocprim17ROCPRIM_400000_NS6detail17trampoline_kernelINS0_14default_configENS1_25partition_config_selectorILNS1_17partition_subalgoE8EiNS0_10empty_typeEbEEZZNS1_14partition_implILS5_8ELb0ES3_jN6thrust23THRUST_200600_302600_NS6detail15normal_iteratorINSA_10device_ptrIiEEEEPS6_PKS6_NS0_5tupleIJSF_S6_EEENSJ_IJSG_SG_EEENS0_18inequality_wrapperINSA_8equal_toIiEEEEPmJS6_EEE10hipError_tPvRmT3_T4_T5_T6_T7_T9_mT8_P12ihipStream_tbDpT10_ENKUlT_T0_E_clISt17integral_constantIbLb1EES19_IbLb0EEEEDaS15_S16_EUlS15_E_NS1_11comp_targetILNS1_3genE0ELNS1_11target_archE4294967295ELNS1_3gpuE0ELNS1_3repE0EEENS1_30default_config_static_selectorELNS0_4arch9wavefront6targetE1EEEvT1_,"axG",@progbits,_ZN7rocprim17ROCPRIM_400000_NS6detail17trampoline_kernelINS0_14default_configENS1_25partition_config_selectorILNS1_17partition_subalgoE8EiNS0_10empty_typeEbEEZZNS1_14partition_implILS5_8ELb0ES3_jN6thrust23THRUST_200600_302600_NS6detail15normal_iteratorINSA_10device_ptrIiEEEEPS6_PKS6_NS0_5tupleIJSF_S6_EEENSJ_IJSG_SG_EEENS0_18inequality_wrapperINSA_8equal_toIiEEEEPmJS6_EEE10hipError_tPvRmT3_T4_T5_T6_T7_T9_mT8_P12ihipStream_tbDpT10_ENKUlT_T0_E_clISt17integral_constantIbLb1EES19_IbLb0EEEEDaS15_S16_EUlS15_E_NS1_11comp_targetILNS1_3genE0ELNS1_11target_archE4294967295ELNS1_3gpuE0ELNS1_3repE0EEENS1_30default_config_static_selectorELNS0_4arch9wavefront6targetE1EEEvT1_,comdat
.Lfunc_end420:
	.size	_ZN7rocprim17ROCPRIM_400000_NS6detail17trampoline_kernelINS0_14default_configENS1_25partition_config_selectorILNS1_17partition_subalgoE8EiNS0_10empty_typeEbEEZZNS1_14partition_implILS5_8ELb0ES3_jN6thrust23THRUST_200600_302600_NS6detail15normal_iteratorINSA_10device_ptrIiEEEEPS6_PKS6_NS0_5tupleIJSF_S6_EEENSJ_IJSG_SG_EEENS0_18inequality_wrapperINSA_8equal_toIiEEEEPmJS6_EEE10hipError_tPvRmT3_T4_T5_T6_T7_T9_mT8_P12ihipStream_tbDpT10_ENKUlT_T0_E_clISt17integral_constantIbLb1EES19_IbLb0EEEEDaS15_S16_EUlS15_E_NS1_11comp_targetILNS1_3genE0ELNS1_11target_archE4294967295ELNS1_3gpuE0ELNS1_3repE0EEENS1_30default_config_static_selectorELNS0_4arch9wavefront6targetE1EEEvT1_, .Lfunc_end420-_ZN7rocprim17ROCPRIM_400000_NS6detail17trampoline_kernelINS0_14default_configENS1_25partition_config_selectorILNS1_17partition_subalgoE8EiNS0_10empty_typeEbEEZZNS1_14partition_implILS5_8ELb0ES3_jN6thrust23THRUST_200600_302600_NS6detail15normal_iteratorINSA_10device_ptrIiEEEEPS6_PKS6_NS0_5tupleIJSF_S6_EEENSJ_IJSG_SG_EEENS0_18inequality_wrapperINSA_8equal_toIiEEEEPmJS6_EEE10hipError_tPvRmT3_T4_T5_T6_T7_T9_mT8_P12ihipStream_tbDpT10_ENKUlT_T0_E_clISt17integral_constantIbLb1EES19_IbLb0EEEEDaS15_S16_EUlS15_E_NS1_11comp_targetILNS1_3genE0ELNS1_11target_archE4294967295ELNS1_3gpuE0ELNS1_3repE0EEENS1_30default_config_static_selectorELNS0_4arch9wavefront6targetE1EEEvT1_
                                        ; -- End function
	.set _ZN7rocprim17ROCPRIM_400000_NS6detail17trampoline_kernelINS0_14default_configENS1_25partition_config_selectorILNS1_17partition_subalgoE8EiNS0_10empty_typeEbEEZZNS1_14partition_implILS5_8ELb0ES3_jN6thrust23THRUST_200600_302600_NS6detail15normal_iteratorINSA_10device_ptrIiEEEEPS6_PKS6_NS0_5tupleIJSF_S6_EEENSJ_IJSG_SG_EEENS0_18inequality_wrapperINSA_8equal_toIiEEEEPmJS6_EEE10hipError_tPvRmT3_T4_T5_T6_T7_T9_mT8_P12ihipStream_tbDpT10_ENKUlT_T0_E_clISt17integral_constantIbLb1EES19_IbLb0EEEEDaS15_S16_EUlS15_E_NS1_11comp_targetILNS1_3genE0ELNS1_11target_archE4294967295ELNS1_3gpuE0ELNS1_3repE0EEENS1_30default_config_static_selectorELNS0_4arch9wavefront6targetE1EEEvT1_.num_vgpr, 0
	.set _ZN7rocprim17ROCPRIM_400000_NS6detail17trampoline_kernelINS0_14default_configENS1_25partition_config_selectorILNS1_17partition_subalgoE8EiNS0_10empty_typeEbEEZZNS1_14partition_implILS5_8ELb0ES3_jN6thrust23THRUST_200600_302600_NS6detail15normal_iteratorINSA_10device_ptrIiEEEEPS6_PKS6_NS0_5tupleIJSF_S6_EEENSJ_IJSG_SG_EEENS0_18inequality_wrapperINSA_8equal_toIiEEEEPmJS6_EEE10hipError_tPvRmT3_T4_T5_T6_T7_T9_mT8_P12ihipStream_tbDpT10_ENKUlT_T0_E_clISt17integral_constantIbLb1EES19_IbLb0EEEEDaS15_S16_EUlS15_E_NS1_11comp_targetILNS1_3genE0ELNS1_11target_archE4294967295ELNS1_3gpuE0ELNS1_3repE0EEENS1_30default_config_static_selectorELNS0_4arch9wavefront6targetE1EEEvT1_.num_agpr, 0
	.set _ZN7rocprim17ROCPRIM_400000_NS6detail17trampoline_kernelINS0_14default_configENS1_25partition_config_selectorILNS1_17partition_subalgoE8EiNS0_10empty_typeEbEEZZNS1_14partition_implILS5_8ELb0ES3_jN6thrust23THRUST_200600_302600_NS6detail15normal_iteratorINSA_10device_ptrIiEEEEPS6_PKS6_NS0_5tupleIJSF_S6_EEENSJ_IJSG_SG_EEENS0_18inequality_wrapperINSA_8equal_toIiEEEEPmJS6_EEE10hipError_tPvRmT3_T4_T5_T6_T7_T9_mT8_P12ihipStream_tbDpT10_ENKUlT_T0_E_clISt17integral_constantIbLb1EES19_IbLb0EEEEDaS15_S16_EUlS15_E_NS1_11comp_targetILNS1_3genE0ELNS1_11target_archE4294967295ELNS1_3gpuE0ELNS1_3repE0EEENS1_30default_config_static_selectorELNS0_4arch9wavefront6targetE1EEEvT1_.numbered_sgpr, 0
	.set _ZN7rocprim17ROCPRIM_400000_NS6detail17trampoline_kernelINS0_14default_configENS1_25partition_config_selectorILNS1_17partition_subalgoE8EiNS0_10empty_typeEbEEZZNS1_14partition_implILS5_8ELb0ES3_jN6thrust23THRUST_200600_302600_NS6detail15normal_iteratorINSA_10device_ptrIiEEEEPS6_PKS6_NS0_5tupleIJSF_S6_EEENSJ_IJSG_SG_EEENS0_18inequality_wrapperINSA_8equal_toIiEEEEPmJS6_EEE10hipError_tPvRmT3_T4_T5_T6_T7_T9_mT8_P12ihipStream_tbDpT10_ENKUlT_T0_E_clISt17integral_constantIbLb1EES19_IbLb0EEEEDaS15_S16_EUlS15_E_NS1_11comp_targetILNS1_3genE0ELNS1_11target_archE4294967295ELNS1_3gpuE0ELNS1_3repE0EEENS1_30default_config_static_selectorELNS0_4arch9wavefront6targetE1EEEvT1_.num_named_barrier, 0
	.set _ZN7rocprim17ROCPRIM_400000_NS6detail17trampoline_kernelINS0_14default_configENS1_25partition_config_selectorILNS1_17partition_subalgoE8EiNS0_10empty_typeEbEEZZNS1_14partition_implILS5_8ELb0ES3_jN6thrust23THRUST_200600_302600_NS6detail15normal_iteratorINSA_10device_ptrIiEEEEPS6_PKS6_NS0_5tupleIJSF_S6_EEENSJ_IJSG_SG_EEENS0_18inequality_wrapperINSA_8equal_toIiEEEEPmJS6_EEE10hipError_tPvRmT3_T4_T5_T6_T7_T9_mT8_P12ihipStream_tbDpT10_ENKUlT_T0_E_clISt17integral_constantIbLb1EES19_IbLb0EEEEDaS15_S16_EUlS15_E_NS1_11comp_targetILNS1_3genE0ELNS1_11target_archE4294967295ELNS1_3gpuE0ELNS1_3repE0EEENS1_30default_config_static_selectorELNS0_4arch9wavefront6targetE1EEEvT1_.private_seg_size, 0
	.set _ZN7rocprim17ROCPRIM_400000_NS6detail17trampoline_kernelINS0_14default_configENS1_25partition_config_selectorILNS1_17partition_subalgoE8EiNS0_10empty_typeEbEEZZNS1_14partition_implILS5_8ELb0ES3_jN6thrust23THRUST_200600_302600_NS6detail15normal_iteratorINSA_10device_ptrIiEEEEPS6_PKS6_NS0_5tupleIJSF_S6_EEENSJ_IJSG_SG_EEENS0_18inequality_wrapperINSA_8equal_toIiEEEEPmJS6_EEE10hipError_tPvRmT3_T4_T5_T6_T7_T9_mT8_P12ihipStream_tbDpT10_ENKUlT_T0_E_clISt17integral_constantIbLb1EES19_IbLb0EEEEDaS15_S16_EUlS15_E_NS1_11comp_targetILNS1_3genE0ELNS1_11target_archE4294967295ELNS1_3gpuE0ELNS1_3repE0EEENS1_30default_config_static_selectorELNS0_4arch9wavefront6targetE1EEEvT1_.uses_vcc, 0
	.set _ZN7rocprim17ROCPRIM_400000_NS6detail17trampoline_kernelINS0_14default_configENS1_25partition_config_selectorILNS1_17partition_subalgoE8EiNS0_10empty_typeEbEEZZNS1_14partition_implILS5_8ELb0ES3_jN6thrust23THRUST_200600_302600_NS6detail15normal_iteratorINSA_10device_ptrIiEEEEPS6_PKS6_NS0_5tupleIJSF_S6_EEENSJ_IJSG_SG_EEENS0_18inequality_wrapperINSA_8equal_toIiEEEEPmJS6_EEE10hipError_tPvRmT3_T4_T5_T6_T7_T9_mT8_P12ihipStream_tbDpT10_ENKUlT_T0_E_clISt17integral_constantIbLb1EES19_IbLb0EEEEDaS15_S16_EUlS15_E_NS1_11comp_targetILNS1_3genE0ELNS1_11target_archE4294967295ELNS1_3gpuE0ELNS1_3repE0EEENS1_30default_config_static_selectorELNS0_4arch9wavefront6targetE1EEEvT1_.uses_flat_scratch, 0
	.set _ZN7rocprim17ROCPRIM_400000_NS6detail17trampoline_kernelINS0_14default_configENS1_25partition_config_selectorILNS1_17partition_subalgoE8EiNS0_10empty_typeEbEEZZNS1_14partition_implILS5_8ELb0ES3_jN6thrust23THRUST_200600_302600_NS6detail15normal_iteratorINSA_10device_ptrIiEEEEPS6_PKS6_NS0_5tupleIJSF_S6_EEENSJ_IJSG_SG_EEENS0_18inequality_wrapperINSA_8equal_toIiEEEEPmJS6_EEE10hipError_tPvRmT3_T4_T5_T6_T7_T9_mT8_P12ihipStream_tbDpT10_ENKUlT_T0_E_clISt17integral_constantIbLb1EES19_IbLb0EEEEDaS15_S16_EUlS15_E_NS1_11comp_targetILNS1_3genE0ELNS1_11target_archE4294967295ELNS1_3gpuE0ELNS1_3repE0EEENS1_30default_config_static_selectorELNS0_4arch9wavefront6targetE1EEEvT1_.has_dyn_sized_stack, 0
	.set _ZN7rocprim17ROCPRIM_400000_NS6detail17trampoline_kernelINS0_14default_configENS1_25partition_config_selectorILNS1_17partition_subalgoE8EiNS0_10empty_typeEbEEZZNS1_14partition_implILS5_8ELb0ES3_jN6thrust23THRUST_200600_302600_NS6detail15normal_iteratorINSA_10device_ptrIiEEEEPS6_PKS6_NS0_5tupleIJSF_S6_EEENSJ_IJSG_SG_EEENS0_18inequality_wrapperINSA_8equal_toIiEEEEPmJS6_EEE10hipError_tPvRmT3_T4_T5_T6_T7_T9_mT8_P12ihipStream_tbDpT10_ENKUlT_T0_E_clISt17integral_constantIbLb1EES19_IbLb0EEEEDaS15_S16_EUlS15_E_NS1_11comp_targetILNS1_3genE0ELNS1_11target_archE4294967295ELNS1_3gpuE0ELNS1_3repE0EEENS1_30default_config_static_selectorELNS0_4arch9wavefront6targetE1EEEvT1_.has_recursion, 0
	.set _ZN7rocprim17ROCPRIM_400000_NS6detail17trampoline_kernelINS0_14default_configENS1_25partition_config_selectorILNS1_17partition_subalgoE8EiNS0_10empty_typeEbEEZZNS1_14partition_implILS5_8ELb0ES3_jN6thrust23THRUST_200600_302600_NS6detail15normal_iteratorINSA_10device_ptrIiEEEEPS6_PKS6_NS0_5tupleIJSF_S6_EEENSJ_IJSG_SG_EEENS0_18inequality_wrapperINSA_8equal_toIiEEEEPmJS6_EEE10hipError_tPvRmT3_T4_T5_T6_T7_T9_mT8_P12ihipStream_tbDpT10_ENKUlT_T0_E_clISt17integral_constantIbLb1EES19_IbLb0EEEEDaS15_S16_EUlS15_E_NS1_11comp_targetILNS1_3genE0ELNS1_11target_archE4294967295ELNS1_3gpuE0ELNS1_3repE0EEENS1_30default_config_static_selectorELNS0_4arch9wavefront6targetE1EEEvT1_.has_indirect_call, 0
	.section	.AMDGPU.csdata,"",@progbits
; Kernel info:
; codeLenInByte = 0
; TotalNumSgprs: 4
; NumVgprs: 0
; ScratchSize: 0
; MemoryBound: 0
; FloatMode: 240
; IeeeMode: 1
; LDSByteSize: 0 bytes/workgroup (compile time only)
; SGPRBlocks: 0
; VGPRBlocks: 0
; NumSGPRsForWavesPerEU: 4
; NumVGPRsForWavesPerEU: 1
; Occupancy: 10
; WaveLimiterHint : 0
; COMPUTE_PGM_RSRC2:SCRATCH_EN: 0
; COMPUTE_PGM_RSRC2:USER_SGPR: 6
; COMPUTE_PGM_RSRC2:TRAP_HANDLER: 0
; COMPUTE_PGM_RSRC2:TGID_X_EN: 1
; COMPUTE_PGM_RSRC2:TGID_Y_EN: 0
; COMPUTE_PGM_RSRC2:TGID_Z_EN: 0
; COMPUTE_PGM_RSRC2:TIDIG_COMP_CNT: 0
	.section	.text._ZN7rocprim17ROCPRIM_400000_NS6detail17trampoline_kernelINS0_14default_configENS1_25partition_config_selectorILNS1_17partition_subalgoE8EiNS0_10empty_typeEbEEZZNS1_14partition_implILS5_8ELb0ES3_jN6thrust23THRUST_200600_302600_NS6detail15normal_iteratorINSA_10device_ptrIiEEEEPS6_PKS6_NS0_5tupleIJSF_S6_EEENSJ_IJSG_SG_EEENS0_18inequality_wrapperINSA_8equal_toIiEEEEPmJS6_EEE10hipError_tPvRmT3_T4_T5_T6_T7_T9_mT8_P12ihipStream_tbDpT10_ENKUlT_T0_E_clISt17integral_constantIbLb1EES19_IbLb0EEEEDaS15_S16_EUlS15_E_NS1_11comp_targetILNS1_3genE5ELNS1_11target_archE942ELNS1_3gpuE9ELNS1_3repE0EEENS1_30default_config_static_selectorELNS0_4arch9wavefront6targetE1EEEvT1_,"axG",@progbits,_ZN7rocprim17ROCPRIM_400000_NS6detail17trampoline_kernelINS0_14default_configENS1_25partition_config_selectorILNS1_17partition_subalgoE8EiNS0_10empty_typeEbEEZZNS1_14partition_implILS5_8ELb0ES3_jN6thrust23THRUST_200600_302600_NS6detail15normal_iteratorINSA_10device_ptrIiEEEEPS6_PKS6_NS0_5tupleIJSF_S6_EEENSJ_IJSG_SG_EEENS0_18inequality_wrapperINSA_8equal_toIiEEEEPmJS6_EEE10hipError_tPvRmT3_T4_T5_T6_T7_T9_mT8_P12ihipStream_tbDpT10_ENKUlT_T0_E_clISt17integral_constantIbLb1EES19_IbLb0EEEEDaS15_S16_EUlS15_E_NS1_11comp_targetILNS1_3genE5ELNS1_11target_archE942ELNS1_3gpuE9ELNS1_3repE0EEENS1_30default_config_static_selectorELNS0_4arch9wavefront6targetE1EEEvT1_,comdat
	.protected	_ZN7rocprim17ROCPRIM_400000_NS6detail17trampoline_kernelINS0_14default_configENS1_25partition_config_selectorILNS1_17partition_subalgoE8EiNS0_10empty_typeEbEEZZNS1_14partition_implILS5_8ELb0ES3_jN6thrust23THRUST_200600_302600_NS6detail15normal_iteratorINSA_10device_ptrIiEEEEPS6_PKS6_NS0_5tupleIJSF_S6_EEENSJ_IJSG_SG_EEENS0_18inequality_wrapperINSA_8equal_toIiEEEEPmJS6_EEE10hipError_tPvRmT3_T4_T5_T6_T7_T9_mT8_P12ihipStream_tbDpT10_ENKUlT_T0_E_clISt17integral_constantIbLb1EES19_IbLb0EEEEDaS15_S16_EUlS15_E_NS1_11comp_targetILNS1_3genE5ELNS1_11target_archE942ELNS1_3gpuE9ELNS1_3repE0EEENS1_30default_config_static_selectorELNS0_4arch9wavefront6targetE1EEEvT1_ ; -- Begin function _ZN7rocprim17ROCPRIM_400000_NS6detail17trampoline_kernelINS0_14default_configENS1_25partition_config_selectorILNS1_17partition_subalgoE8EiNS0_10empty_typeEbEEZZNS1_14partition_implILS5_8ELb0ES3_jN6thrust23THRUST_200600_302600_NS6detail15normal_iteratorINSA_10device_ptrIiEEEEPS6_PKS6_NS0_5tupleIJSF_S6_EEENSJ_IJSG_SG_EEENS0_18inequality_wrapperINSA_8equal_toIiEEEEPmJS6_EEE10hipError_tPvRmT3_T4_T5_T6_T7_T9_mT8_P12ihipStream_tbDpT10_ENKUlT_T0_E_clISt17integral_constantIbLb1EES19_IbLb0EEEEDaS15_S16_EUlS15_E_NS1_11comp_targetILNS1_3genE5ELNS1_11target_archE942ELNS1_3gpuE9ELNS1_3repE0EEENS1_30default_config_static_selectorELNS0_4arch9wavefront6targetE1EEEvT1_
	.globl	_ZN7rocprim17ROCPRIM_400000_NS6detail17trampoline_kernelINS0_14default_configENS1_25partition_config_selectorILNS1_17partition_subalgoE8EiNS0_10empty_typeEbEEZZNS1_14partition_implILS5_8ELb0ES3_jN6thrust23THRUST_200600_302600_NS6detail15normal_iteratorINSA_10device_ptrIiEEEEPS6_PKS6_NS0_5tupleIJSF_S6_EEENSJ_IJSG_SG_EEENS0_18inequality_wrapperINSA_8equal_toIiEEEEPmJS6_EEE10hipError_tPvRmT3_T4_T5_T6_T7_T9_mT8_P12ihipStream_tbDpT10_ENKUlT_T0_E_clISt17integral_constantIbLb1EES19_IbLb0EEEEDaS15_S16_EUlS15_E_NS1_11comp_targetILNS1_3genE5ELNS1_11target_archE942ELNS1_3gpuE9ELNS1_3repE0EEENS1_30default_config_static_selectorELNS0_4arch9wavefront6targetE1EEEvT1_
	.p2align	8
	.type	_ZN7rocprim17ROCPRIM_400000_NS6detail17trampoline_kernelINS0_14default_configENS1_25partition_config_selectorILNS1_17partition_subalgoE8EiNS0_10empty_typeEbEEZZNS1_14partition_implILS5_8ELb0ES3_jN6thrust23THRUST_200600_302600_NS6detail15normal_iteratorINSA_10device_ptrIiEEEEPS6_PKS6_NS0_5tupleIJSF_S6_EEENSJ_IJSG_SG_EEENS0_18inequality_wrapperINSA_8equal_toIiEEEEPmJS6_EEE10hipError_tPvRmT3_T4_T5_T6_T7_T9_mT8_P12ihipStream_tbDpT10_ENKUlT_T0_E_clISt17integral_constantIbLb1EES19_IbLb0EEEEDaS15_S16_EUlS15_E_NS1_11comp_targetILNS1_3genE5ELNS1_11target_archE942ELNS1_3gpuE9ELNS1_3repE0EEENS1_30default_config_static_selectorELNS0_4arch9wavefront6targetE1EEEvT1_,@function
_ZN7rocprim17ROCPRIM_400000_NS6detail17trampoline_kernelINS0_14default_configENS1_25partition_config_selectorILNS1_17partition_subalgoE8EiNS0_10empty_typeEbEEZZNS1_14partition_implILS5_8ELb0ES3_jN6thrust23THRUST_200600_302600_NS6detail15normal_iteratorINSA_10device_ptrIiEEEEPS6_PKS6_NS0_5tupleIJSF_S6_EEENSJ_IJSG_SG_EEENS0_18inequality_wrapperINSA_8equal_toIiEEEEPmJS6_EEE10hipError_tPvRmT3_T4_T5_T6_T7_T9_mT8_P12ihipStream_tbDpT10_ENKUlT_T0_E_clISt17integral_constantIbLb1EES19_IbLb0EEEEDaS15_S16_EUlS15_E_NS1_11comp_targetILNS1_3genE5ELNS1_11target_archE942ELNS1_3gpuE9ELNS1_3repE0EEENS1_30default_config_static_selectorELNS0_4arch9wavefront6targetE1EEEvT1_: ; @_ZN7rocprim17ROCPRIM_400000_NS6detail17trampoline_kernelINS0_14default_configENS1_25partition_config_selectorILNS1_17partition_subalgoE8EiNS0_10empty_typeEbEEZZNS1_14partition_implILS5_8ELb0ES3_jN6thrust23THRUST_200600_302600_NS6detail15normal_iteratorINSA_10device_ptrIiEEEEPS6_PKS6_NS0_5tupleIJSF_S6_EEENSJ_IJSG_SG_EEENS0_18inequality_wrapperINSA_8equal_toIiEEEEPmJS6_EEE10hipError_tPvRmT3_T4_T5_T6_T7_T9_mT8_P12ihipStream_tbDpT10_ENKUlT_T0_E_clISt17integral_constantIbLb1EES19_IbLb0EEEEDaS15_S16_EUlS15_E_NS1_11comp_targetILNS1_3genE5ELNS1_11target_archE942ELNS1_3gpuE9ELNS1_3repE0EEENS1_30default_config_static_selectorELNS0_4arch9wavefront6targetE1EEEvT1_
; %bb.0:
	.section	.rodata,"a",@progbits
	.p2align	6, 0x0
	.amdhsa_kernel _ZN7rocprim17ROCPRIM_400000_NS6detail17trampoline_kernelINS0_14default_configENS1_25partition_config_selectorILNS1_17partition_subalgoE8EiNS0_10empty_typeEbEEZZNS1_14partition_implILS5_8ELb0ES3_jN6thrust23THRUST_200600_302600_NS6detail15normal_iteratorINSA_10device_ptrIiEEEEPS6_PKS6_NS0_5tupleIJSF_S6_EEENSJ_IJSG_SG_EEENS0_18inequality_wrapperINSA_8equal_toIiEEEEPmJS6_EEE10hipError_tPvRmT3_T4_T5_T6_T7_T9_mT8_P12ihipStream_tbDpT10_ENKUlT_T0_E_clISt17integral_constantIbLb1EES19_IbLb0EEEEDaS15_S16_EUlS15_E_NS1_11comp_targetILNS1_3genE5ELNS1_11target_archE942ELNS1_3gpuE9ELNS1_3repE0EEENS1_30default_config_static_selectorELNS0_4arch9wavefront6targetE1EEEvT1_
		.amdhsa_group_segment_fixed_size 0
		.amdhsa_private_segment_fixed_size 0
		.amdhsa_kernarg_size 112
		.amdhsa_user_sgpr_count 6
		.amdhsa_user_sgpr_private_segment_buffer 1
		.amdhsa_user_sgpr_dispatch_ptr 0
		.amdhsa_user_sgpr_queue_ptr 0
		.amdhsa_user_sgpr_kernarg_segment_ptr 1
		.amdhsa_user_sgpr_dispatch_id 0
		.amdhsa_user_sgpr_flat_scratch_init 0
		.amdhsa_user_sgpr_private_segment_size 0
		.amdhsa_uses_dynamic_stack 0
		.amdhsa_system_sgpr_private_segment_wavefront_offset 0
		.amdhsa_system_sgpr_workgroup_id_x 1
		.amdhsa_system_sgpr_workgroup_id_y 0
		.amdhsa_system_sgpr_workgroup_id_z 0
		.amdhsa_system_sgpr_workgroup_info 0
		.amdhsa_system_vgpr_workitem_id 0
		.amdhsa_next_free_vgpr 1
		.amdhsa_next_free_sgpr 0
		.amdhsa_reserve_vcc 0
		.amdhsa_reserve_flat_scratch 0
		.amdhsa_float_round_mode_32 0
		.amdhsa_float_round_mode_16_64 0
		.amdhsa_float_denorm_mode_32 3
		.amdhsa_float_denorm_mode_16_64 3
		.amdhsa_dx10_clamp 1
		.amdhsa_ieee_mode 1
		.amdhsa_fp16_overflow 0
		.amdhsa_exception_fp_ieee_invalid_op 0
		.amdhsa_exception_fp_denorm_src 0
		.amdhsa_exception_fp_ieee_div_zero 0
		.amdhsa_exception_fp_ieee_overflow 0
		.amdhsa_exception_fp_ieee_underflow 0
		.amdhsa_exception_fp_ieee_inexact 0
		.amdhsa_exception_int_div_zero 0
	.end_amdhsa_kernel
	.section	.text._ZN7rocprim17ROCPRIM_400000_NS6detail17trampoline_kernelINS0_14default_configENS1_25partition_config_selectorILNS1_17partition_subalgoE8EiNS0_10empty_typeEbEEZZNS1_14partition_implILS5_8ELb0ES3_jN6thrust23THRUST_200600_302600_NS6detail15normal_iteratorINSA_10device_ptrIiEEEEPS6_PKS6_NS0_5tupleIJSF_S6_EEENSJ_IJSG_SG_EEENS0_18inequality_wrapperINSA_8equal_toIiEEEEPmJS6_EEE10hipError_tPvRmT3_T4_T5_T6_T7_T9_mT8_P12ihipStream_tbDpT10_ENKUlT_T0_E_clISt17integral_constantIbLb1EES19_IbLb0EEEEDaS15_S16_EUlS15_E_NS1_11comp_targetILNS1_3genE5ELNS1_11target_archE942ELNS1_3gpuE9ELNS1_3repE0EEENS1_30default_config_static_selectorELNS0_4arch9wavefront6targetE1EEEvT1_,"axG",@progbits,_ZN7rocprim17ROCPRIM_400000_NS6detail17trampoline_kernelINS0_14default_configENS1_25partition_config_selectorILNS1_17partition_subalgoE8EiNS0_10empty_typeEbEEZZNS1_14partition_implILS5_8ELb0ES3_jN6thrust23THRUST_200600_302600_NS6detail15normal_iteratorINSA_10device_ptrIiEEEEPS6_PKS6_NS0_5tupleIJSF_S6_EEENSJ_IJSG_SG_EEENS0_18inequality_wrapperINSA_8equal_toIiEEEEPmJS6_EEE10hipError_tPvRmT3_T4_T5_T6_T7_T9_mT8_P12ihipStream_tbDpT10_ENKUlT_T0_E_clISt17integral_constantIbLb1EES19_IbLb0EEEEDaS15_S16_EUlS15_E_NS1_11comp_targetILNS1_3genE5ELNS1_11target_archE942ELNS1_3gpuE9ELNS1_3repE0EEENS1_30default_config_static_selectorELNS0_4arch9wavefront6targetE1EEEvT1_,comdat
.Lfunc_end421:
	.size	_ZN7rocprim17ROCPRIM_400000_NS6detail17trampoline_kernelINS0_14default_configENS1_25partition_config_selectorILNS1_17partition_subalgoE8EiNS0_10empty_typeEbEEZZNS1_14partition_implILS5_8ELb0ES3_jN6thrust23THRUST_200600_302600_NS6detail15normal_iteratorINSA_10device_ptrIiEEEEPS6_PKS6_NS0_5tupleIJSF_S6_EEENSJ_IJSG_SG_EEENS0_18inequality_wrapperINSA_8equal_toIiEEEEPmJS6_EEE10hipError_tPvRmT3_T4_T5_T6_T7_T9_mT8_P12ihipStream_tbDpT10_ENKUlT_T0_E_clISt17integral_constantIbLb1EES19_IbLb0EEEEDaS15_S16_EUlS15_E_NS1_11comp_targetILNS1_3genE5ELNS1_11target_archE942ELNS1_3gpuE9ELNS1_3repE0EEENS1_30default_config_static_selectorELNS0_4arch9wavefront6targetE1EEEvT1_, .Lfunc_end421-_ZN7rocprim17ROCPRIM_400000_NS6detail17trampoline_kernelINS0_14default_configENS1_25partition_config_selectorILNS1_17partition_subalgoE8EiNS0_10empty_typeEbEEZZNS1_14partition_implILS5_8ELb0ES3_jN6thrust23THRUST_200600_302600_NS6detail15normal_iteratorINSA_10device_ptrIiEEEEPS6_PKS6_NS0_5tupleIJSF_S6_EEENSJ_IJSG_SG_EEENS0_18inequality_wrapperINSA_8equal_toIiEEEEPmJS6_EEE10hipError_tPvRmT3_T4_T5_T6_T7_T9_mT8_P12ihipStream_tbDpT10_ENKUlT_T0_E_clISt17integral_constantIbLb1EES19_IbLb0EEEEDaS15_S16_EUlS15_E_NS1_11comp_targetILNS1_3genE5ELNS1_11target_archE942ELNS1_3gpuE9ELNS1_3repE0EEENS1_30default_config_static_selectorELNS0_4arch9wavefront6targetE1EEEvT1_
                                        ; -- End function
	.set _ZN7rocprim17ROCPRIM_400000_NS6detail17trampoline_kernelINS0_14default_configENS1_25partition_config_selectorILNS1_17partition_subalgoE8EiNS0_10empty_typeEbEEZZNS1_14partition_implILS5_8ELb0ES3_jN6thrust23THRUST_200600_302600_NS6detail15normal_iteratorINSA_10device_ptrIiEEEEPS6_PKS6_NS0_5tupleIJSF_S6_EEENSJ_IJSG_SG_EEENS0_18inequality_wrapperINSA_8equal_toIiEEEEPmJS6_EEE10hipError_tPvRmT3_T4_T5_T6_T7_T9_mT8_P12ihipStream_tbDpT10_ENKUlT_T0_E_clISt17integral_constantIbLb1EES19_IbLb0EEEEDaS15_S16_EUlS15_E_NS1_11comp_targetILNS1_3genE5ELNS1_11target_archE942ELNS1_3gpuE9ELNS1_3repE0EEENS1_30default_config_static_selectorELNS0_4arch9wavefront6targetE1EEEvT1_.num_vgpr, 0
	.set _ZN7rocprim17ROCPRIM_400000_NS6detail17trampoline_kernelINS0_14default_configENS1_25partition_config_selectorILNS1_17partition_subalgoE8EiNS0_10empty_typeEbEEZZNS1_14partition_implILS5_8ELb0ES3_jN6thrust23THRUST_200600_302600_NS6detail15normal_iteratorINSA_10device_ptrIiEEEEPS6_PKS6_NS0_5tupleIJSF_S6_EEENSJ_IJSG_SG_EEENS0_18inequality_wrapperINSA_8equal_toIiEEEEPmJS6_EEE10hipError_tPvRmT3_T4_T5_T6_T7_T9_mT8_P12ihipStream_tbDpT10_ENKUlT_T0_E_clISt17integral_constantIbLb1EES19_IbLb0EEEEDaS15_S16_EUlS15_E_NS1_11comp_targetILNS1_3genE5ELNS1_11target_archE942ELNS1_3gpuE9ELNS1_3repE0EEENS1_30default_config_static_selectorELNS0_4arch9wavefront6targetE1EEEvT1_.num_agpr, 0
	.set _ZN7rocprim17ROCPRIM_400000_NS6detail17trampoline_kernelINS0_14default_configENS1_25partition_config_selectorILNS1_17partition_subalgoE8EiNS0_10empty_typeEbEEZZNS1_14partition_implILS5_8ELb0ES3_jN6thrust23THRUST_200600_302600_NS6detail15normal_iteratorINSA_10device_ptrIiEEEEPS6_PKS6_NS0_5tupleIJSF_S6_EEENSJ_IJSG_SG_EEENS0_18inequality_wrapperINSA_8equal_toIiEEEEPmJS6_EEE10hipError_tPvRmT3_T4_T5_T6_T7_T9_mT8_P12ihipStream_tbDpT10_ENKUlT_T0_E_clISt17integral_constantIbLb1EES19_IbLb0EEEEDaS15_S16_EUlS15_E_NS1_11comp_targetILNS1_3genE5ELNS1_11target_archE942ELNS1_3gpuE9ELNS1_3repE0EEENS1_30default_config_static_selectorELNS0_4arch9wavefront6targetE1EEEvT1_.numbered_sgpr, 0
	.set _ZN7rocprim17ROCPRIM_400000_NS6detail17trampoline_kernelINS0_14default_configENS1_25partition_config_selectorILNS1_17partition_subalgoE8EiNS0_10empty_typeEbEEZZNS1_14partition_implILS5_8ELb0ES3_jN6thrust23THRUST_200600_302600_NS6detail15normal_iteratorINSA_10device_ptrIiEEEEPS6_PKS6_NS0_5tupleIJSF_S6_EEENSJ_IJSG_SG_EEENS0_18inequality_wrapperINSA_8equal_toIiEEEEPmJS6_EEE10hipError_tPvRmT3_T4_T5_T6_T7_T9_mT8_P12ihipStream_tbDpT10_ENKUlT_T0_E_clISt17integral_constantIbLb1EES19_IbLb0EEEEDaS15_S16_EUlS15_E_NS1_11comp_targetILNS1_3genE5ELNS1_11target_archE942ELNS1_3gpuE9ELNS1_3repE0EEENS1_30default_config_static_selectorELNS0_4arch9wavefront6targetE1EEEvT1_.num_named_barrier, 0
	.set _ZN7rocprim17ROCPRIM_400000_NS6detail17trampoline_kernelINS0_14default_configENS1_25partition_config_selectorILNS1_17partition_subalgoE8EiNS0_10empty_typeEbEEZZNS1_14partition_implILS5_8ELb0ES3_jN6thrust23THRUST_200600_302600_NS6detail15normal_iteratorINSA_10device_ptrIiEEEEPS6_PKS6_NS0_5tupleIJSF_S6_EEENSJ_IJSG_SG_EEENS0_18inequality_wrapperINSA_8equal_toIiEEEEPmJS6_EEE10hipError_tPvRmT3_T4_T5_T6_T7_T9_mT8_P12ihipStream_tbDpT10_ENKUlT_T0_E_clISt17integral_constantIbLb1EES19_IbLb0EEEEDaS15_S16_EUlS15_E_NS1_11comp_targetILNS1_3genE5ELNS1_11target_archE942ELNS1_3gpuE9ELNS1_3repE0EEENS1_30default_config_static_selectorELNS0_4arch9wavefront6targetE1EEEvT1_.private_seg_size, 0
	.set _ZN7rocprim17ROCPRIM_400000_NS6detail17trampoline_kernelINS0_14default_configENS1_25partition_config_selectorILNS1_17partition_subalgoE8EiNS0_10empty_typeEbEEZZNS1_14partition_implILS5_8ELb0ES3_jN6thrust23THRUST_200600_302600_NS6detail15normal_iteratorINSA_10device_ptrIiEEEEPS6_PKS6_NS0_5tupleIJSF_S6_EEENSJ_IJSG_SG_EEENS0_18inequality_wrapperINSA_8equal_toIiEEEEPmJS6_EEE10hipError_tPvRmT3_T4_T5_T6_T7_T9_mT8_P12ihipStream_tbDpT10_ENKUlT_T0_E_clISt17integral_constantIbLb1EES19_IbLb0EEEEDaS15_S16_EUlS15_E_NS1_11comp_targetILNS1_3genE5ELNS1_11target_archE942ELNS1_3gpuE9ELNS1_3repE0EEENS1_30default_config_static_selectorELNS0_4arch9wavefront6targetE1EEEvT1_.uses_vcc, 0
	.set _ZN7rocprim17ROCPRIM_400000_NS6detail17trampoline_kernelINS0_14default_configENS1_25partition_config_selectorILNS1_17partition_subalgoE8EiNS0_10empty_typeEbEEZZNS1_14partition_implILS5_8ELb0ES3_jN6thrust23THRUST_200600_302600_NS6detail15normal_iteratorINSA_10device_ptrIiEEEEPS6_PKS6_NS0_5tupleIJSF_S6_EEENSJ_IJSG_SG_EEENS0_18inequality_wrapperINSA_8equal_toIiEEEEPmJS6_EEE10hipError_tPvRmT3_T4_T5_T6_T7_T9_mT8_P12ihipStream_tbDpT10_ENKUlT_T0_E_clISt17integral_constantIbLb1EES19_IbLb0EEEEDaS15_S16_EUlS15_E_NS1_11comp_targetILNS1_3genE5ELNS1_11target_archE942ELNS1_3gpuE9ELNS1_3repE0EEENS1_30default_config_static_selectorELNS0_4arch9wavefront6targetE1EEEvT1_.uses_flat_scratch, 0
	.set _ZN7rocprim17ROCPRIM_400000_NS6detail17trampoline_kernelINS0_14default_configENS1_25partition_config_selectorILNS1_17partition_subalgoE8EiNS0_10empty_typeEbEEZZNS1_14partition_implILS5_8ELb0ES3_jN6thrust23THRUST_200600_302600_NS6detail15normal_iteratorINSA_10device_ptrIiEEEEPS6_PKS6_NS0_5tupleIJSF_S6_EEENSJ_IJSG_SG_EEENS0_18inequality_wrapperINSA_8equal_toIiEEEEPmJS6_EEE10hipError_tPvRmT3_T4_T5_T6_T7_T9_mT8_P12ihipStream_tbDpT10_ENKUlT_T0_E_clISt17integral_constantIbLb1EES19_IbLb0EEEEDaS15_S16_EUlS15_E_NS1_11comp_targetILNS1_3genE5ELNS1_11target_archE942ELNS1_3gpuE9ELNS1_3repE0EEENS1_30default_config_static_selectorELNS0_4arch9wavefront6targetE1EEEvT1_.has_dyn_sized_stack, 0
	.set _ZN7rocprim17ROCPRIM_400000_NS6detail17trampoline_kernelINS0_14default_configENS1_25partition_config_selectorILNS1_17partition_subalgoE8EiNS0_10empty_typeEbEEZZNS1_14partition_implILS5_8ELb0ES3_jN6thrust23THRUST_200600_302600_NS6detail15normal_iteratorINSA_10device_ptrIiEEEEPS6_PKS6_NS0_5tupleIJSF_S6_EEENSJ_IJSG_SG_EEENS0_18inequality_wrapperINSA_8equal_toIiEEEEPmJS6_EEE10hipError_tPvRmT3_T4_T5_T6_T7_T9_mT8_P12ihipStream_tbDpT10_ENKUlT_T0_E_clISt17integral_constantIbLb1EES19_IbLb0EEEEDaS15_S16_EUlS15_E_NS1_11comp_targetILNS1_3genE5ELNS1_11target_archE942ELNS1_3gpuE9ELNS1_3repE0EEENS1_30default_config_static_selectorELNS0_4arch9wavefront6targetE1EEEvT1_.has_recursion, 0
	.set _ZN7rocprim17ROCPRIM_400000_NS6detail17trampoline_kernelINS0_14default_configENS1_25partition_config_selectorILNS1_17partition_subalgoE8EiNS0_10empty_typeEbEEZZNS1_14partition_implILS5_8ELb0ES3_jN6thrust23THRUST_200600_302600_NS6detail15normal_iteratorINSA_10device_ptrIiEEEEPS6_PKS6_NS0_5tupleIJSF_S6_EEENSJ_IJSG_SG_EEENS0_18inequality_wrapperINSA_8equal_toIiEEEEPmJS6_EEE10hipError_tPvRmT3_T4_T5_T6_T7_T9_mT8_P12ihipStream_tbDpT10_ENKUlT_T0_E_clISt17integral_constantIbLb1EES19_IbLb0EEEEDaS15_S16_EUlS15_E_NS1_11comp_targetILNS1_3genE5ELNS1_11target_archE942ELNS1_3gpuE9ELNS1_3repE0EEENS1_30default_config_static_selectorELNS0_4arch9wavefront6targetE1EEEvT1_.has_indirect_call, 0
	.section	.AMDGPU.csdata,"",@progbits
; Kernel info:
; codeLenInByte = 0
; TotalNumSgprs: 4
; NumVgprs: 0
; ScratchSize: 0
; MemoryBound: 0
; FloatMode: 240
; IeeeMode: 1
; LDSByteSize: 0 bytes/workgroup (compile time only)
; SGPRBlocks: 0
; VGPRBlocks: 0
; NumSGPRsForWavesPerEU: 4
; NumVGPRsForWavesPerEU: 1
; Occupancy: 10
; WaveLimiterHint : 0
; COMPUTE_PGM_RSRC2:SCRATCH_EN: 0
; COMPUTE_PGM_RSRC2:USER_SGPR: 6
; COMPUTE_PGM_RSRC2:TRAP_HANDLER: 0
; COMPUTE_PGM_RSRC2:TGID_X_EN: 1
; COMPUTE_PGM_RSRC2:TGID_Y_EN: 0
; COMPUTE_PGM_RSRC2:TGID_Z_EN: 0
; COMPUTE_PGM_RSRC2:TIDIG_COMP_CNT: 0
	.section	.text._ZN7rocprim17ROCPRIM_400000_NS6detail17trampoline_kernelINS0_14default_configENS1_25partition_config_selectorILNS1_17partition_subalgoE8EiNS0_10empty_typeEbEEZZNS1_14partition_implILS5_8ELb0ES3_jN6thrust23THRUST_200600_302600_NS6detail15normal_iteratorINSA_10device_ptrIiEEEEPS6_PKS6_NS0_5tupleIJSF_S6_EEENSJ_IJSG_SG_EEENS0_18inequality_wrapperINSA_8equal_toIiEEEEPmJS6_EEE10hipError_tPvRmT3_T4_T5_T6_T7_T9_mT8_P12ihipStream_tbDpT10_ENKUlT_T0_E_clISt17integral_constantIbLb1EES19_IbLb0EEEEDaS15_S16_EUlS15_E_NS1_11comp_targetILNS1_3genE4ELNS1_11target_archE910ELNS1_3gpuE8ELNS1_3repE0EEENS1_30default_config_static_selectorELNS0_4arch9wavefront6targetE1EEEvT1_,"axG",@progbits,_ZN7rocprim17ROCPRIM_400000_NS6detail17trampoline_kernelINS0_14default_configENS1_25partition_config_selectorILNS1_17partition_subalgoE8EiNS0_10empty_typeEbEEZZNS1_14partition_implILS5_8ELb0ES3_jN6thrust23THRUST_200600_302600_NS6detail15normal_iteratorINSA_10device_ptrIiEEEEPS6_PKS6_NS0_5tupleIJSF_S6_EEENSJ_IJSG_SG_EEENS0_18inequality_wrapperINSA_8equal_toIiEEEEPmJS6_EEE10hipError_tPvRmT3_T4_T5_T6_T7_T9_mT8_P12ihipStream_tbDpT10_ENKUlT_T0_E_clISt17integral_constantIbLb1EES19_IbLb0EEEEDaS15_S16_EUlS15_E_NS1_11comp_targetILNS1_3genE4ELNS1_11target_archE910ELNS1_3gpuE8ELNS1_3repE0EEENS1_30default_config_static_selectorELNS0_4arch9wavefront6targetE1EEEvT1_,comdat
	.protected	_ZN7rocprim17ROCPRIM_400000_NS6detail17trampoline_kernelINS0_14default_configENS1_25partition_config_selectorILNS1_17partition_subalgoE8EiNS0_10empty_typeEbEEZZNS1_14partition_implILS5_8ELb0ES3_jN6thrust23THRUST_200600_302600_NS6detail15normal_iteratorINSA_10device_ptrIiEEEEPS6_PKS6_NS0_5tupleIJSF_S6_EEENSJ_IJSG_SG_EEENS0_18inequality_wrapperINSA_8equal_toIiEEEEPmJS6_EEE10hipError_tPvRmT3_T4_T5_T6_T7_T9_mT8_P12ihipStream_tbDpT10_ENKUlT_T0_E_clISt17integral_constantIbLb1EES19_IbLb0EEEEDaS15_S16_EUlS15_E_NS1_11comp_targetILNS1_3genE4ELNS1_11target_archE910ELNS1_3gpuE8ELNS1_3repE0EEENS1_30default_config_static_selectorELNS0_4arch9wavefront6targetE1EEEvT1_ ; -- Begin function _ZN7rocprim17ROCPRIM_400000_NS6detail17trampoline_kernelINS0_14default_configENS1_25partition_config_selectorILNS1_17partition_subalgoE8EiNS0_10empty_typeEbEEZZNS1_14partition_implILS5_8ELb0ES3_jN6thrust23THRUST_200600_302600_NS6detail15normal_iteratorINSA_10device_ptrIiEEEEPS6_PKS6_NS0_5tupleIJSF_S6_EEENSJ_IJSG_SG_EEENS0_18inequality_wrapperINSA_8equal_toIiEEEEPmJS6_EEE10hipError_tPvRmT3_T4_T5_T6_T7_T9_mT8_P12ihipStream_tbDpT10_ENKUlT_T0_E_clISt17integral_constantIbLb1EES19_IbLb0EEEEDaS15_S16_EUlS15_E_NS1_11comp_targetILNS1_3genE4ELNS1_11target_archE910ELNS1_3gpuE8ELNS1_3repE0EEENS1_30default_config_static_selectorELNS0_4arch9wavefront6targetE1EEEvT1_
	.globl	_ZN7rocprim17ROCPRIM_400000_NS6detail17trampoline_kernelINS0_14default_configENS1_25partition_config_selectorILNS1_17partition_subalgoE8EiNS0_10empty_typeEbEEZZNS1_14partition_implILS5_8ELb0ES3_jN6thrust23THRUST_200600_302600_NS6detail15normal_iteratorINSA_10device_ptrIiEEEEPS6_PKS6_NS0_5tupleIJSF_S6_EEENSJ_IJSG_SG_EEENS0_18inequality_wrapperINSA_8equal_toIiEEEEPmJS6_EEE10hipError_tPvRmT3_T4_T5_T6_T7_T9_mT8_P12ihipStream_tbDpT10_ENKUlT_T0_E_clISt17integral_constantIbLb1EES19_IbLb0EEEEDaS15_S16_EUlS15_E_NS1_11comp_targetILNS1_3genE4ELNS1_11target_archE910ELNS1_3gpuE8ELNS1_3repE0EEENS1_30default_config_static_selectorELNS0_4arch9wavefront6targetE1EEEvT1_
	.p2align	8
	.type	_ZN7rocprim17ROCPRIM_400000_NS6detail17trampoline_kernelINS0_14default_configENS1_25partition_config_selectorILNS1_17partition_subalgoE8EiNS0_10empty_typeEbEEZZNS1_14partition_implILS5_8ELb0ES3_jN6thrust23THRUST_200600_302600_NS6detail15normal_iteratorINSA_10device_ptrIiEEEEPS6_PKS6_NS0_5tupleIJSF_S6_EEENSJ_IJSG_SG_EEENS0_18inequality_wrapperINSA_8equal_toIiEEEEPmJS6_EEE10hipError_tPvRmT3_T4_T5_T6_T7_T9_mT8_P12ihipStream_tbDpT10_ENKUlT_T0_E_clISt17integral_constantIbLb1EES19_IbLb0EEEEDaS15_S16_EUlS15_E_NS1_11comp_targetILNS1_3genE4ELNS1_11target_archE910ELNS1_3gpuE8ELNS1_3repE0EEENS1_30default_config_static_selectorELNS0_4arch9wavefront6targetE1EEEvT1_,@function
_ZN7rocprim17ROCPRIM_400000_NS6detail17trampoline_kernelINS0_14default_configENS1_25partition_config_selectorILNS1_17partition_subalgoE8EiNS0_10empty_typeEbEEZZNS1_14partition_implILS5_8ELb0ES3_jN6thrust23THRUST_200600_302600_NS6detail15normal_iteratorINSA_10device_ptrIiEEEEPS6_PKS6_NS0_5tupleIJSF_S6_EEENSJ_IJSG_SG_EEENS0_18inequality_wrapperINSA_8equal_toIiEEEEPmJS6_EEE10hipError_tPvRmT3_T4_T5_T6_T7_T9_mT8_P12ihipStream_tbDpT10_ENKUlT_T0_E_clISt17integral_constantIbLb1EES19_IbLb0EEEEDaS15_S16_EUlS15_E_NS1_11comp_targetILNS1_3genE4ELNS1_11target_archE910ELNS1_3gpuE8ELNS1_3repE0EEENS1_30default_config_static_selectorELNS0_4arch9wavefront6targetE1EEEvT1_: ; @_ZN7rocprim17ROCPRIM_400000_NS6detail17trampoline_kernelINS0_14default_configENS1_25partition_config_selectorILNS1_17partition_subalgoE8EiNS0_10empty_typeEbEEZZNS1_14partition_implILS5_8ELb0ES3_jN6thrust23THRUST_200600_302600_NS6detail15normal_iteratorINSA_10device_ptrIiEEEEPS6_PKS6_NS0_5tupleIJSF_S6_EEENSJ_IJSG_SG_EEENS0_18inequality_wrapperINSA_8equal_toIiEEEEPmJS6_EEE10hipError_tPvRmT3_T4_T5_T6_T7_T9_mT8_P12ihipStream_tbDpT10_ENKUlT_T0_E_clISt17integral_constantIbLb1EES19_IbLb0EEEEDaS15_S16_EUlS15_E_NS1_11comp_targetILNS1_3genE4ELNS1_11target_archE910ELNS1_3gpuE8ELNS1_3repE0EEENS1_30default_config_static_selectorELNS0_4arch9wavefront6targetE1EEEvT1_
; %bb.0:
	.section	.rodata,"a",@progbits
	.p2align	6, 0x0
	.amdhsa_kernel _ZN7rocprim17ROCPRIM_400000_NS6detail17trampoline_kernelINS0_14default_configENS1_25partition_config_selectorILNS1_17partition_subalgoE8EiNS0_10empty_typeEbEEZZNS1_14partition_implILS5_8ELb0ES3_jN6thrust23THRUST_200600_302600_NS6detail15normal_iteratorINSA_10device_ptrIiEEEEPS6_PKS6_NS0_5tupleIJSF_S6_EEENSJ_IJSG_SG_EEENS0_18inequality_wrapperINSA_8equal_toIiEEEEPmJS6_EEE10hipError_tPvRmT3_T4_T5_T6_T7_T9_mT8_P12ihipStream_tbDpT10_ENKUlT_T0_E_clISt17integral_constantIbLb1EES19_IbLb0EEEEDaS15_S16_EUlS15_E_NS1_11comp_targetILNS1_3genE4ELNS1_11target_archE910ELNS1_3gpuE8ELNS1_3repE0EEENS1_30default_config_static_selectorELNS0_4arch9wavefront6targetE1EEEvT1_
		.amdhsa_group_segment_fixed_size 0
		.amdhsa_private_segment_fixed_size 0
		.amdhsa_kernarg_size 112
		.amdhsa_user_sgpr_count 6
		.amdhsa_user_sgpr_private_segment_buffer 1
		.amdhsa_user_sgpr_dispatch_ptr 0
		.amdhsa_user_sgpr_queue_ptr 0
		.amdhsa_user_sgpr_kernarg_segment_ptr 1
		.amdhsa_user_sgpr_dispatch_id 0
		.amdhsa_user_sgpr_flat_scratch_init 0
		.amdhsa_user_sgpr_private_segment_size 0
		.amdhsa_uses_dynamic_stack 0
		.amdhsa_system_sgpr_private_segment_wavefront_offset 0
		.amdhsa_system_sgpr_workgroup_id_x 1
		.amdhsa_system_sgpr_workgroup_id_y 0
		.amdhsa_system_sgpr_workgroup_id_z 0
		.amdhsa_system_sgpr_workgroup_info 0
		.amdhsa_system_vgpr_workitem_id 0
		.amdhsa_next_free_vgpr 1
		.amdhsa_next_free_sgpr 0
		.amdhsa_reserve_vcc 0
		.amdhsa_reserve_flat_scratch 0
		.amdhsa_float_round_mode_32 0
		.amdhsa_float_round_mode_16_64 0
		.amdhsa_float_denorm_mode_32 3
		.amdhsa_float_denorm_mode_16_64 3
		.amdhsa_dx10_clamp 1
		.amdhsa_ieee_mode 1
		.amdhsa_fp16_overflow 0
		.amdhsa_exception_fp_ieee_invalid_op 0
		.amdhsa_exception_fp_denorm_src 0
		.amdhsa_exception_fp_ieee_div_zero 0
		.amdhsa_exception_fp_ieee_overflow 0
		.amdhsa_exception_fp_ieee_underflow 0
		.amdhsa_exception_fp_ieee_inexact 0
		.amdhsa_exception_int_div_zero 0
	.end_amdhsa_kernel
	.section	.text._ZN7rocprim17ROCPRIM_400000_NS6detail17trampoline_kernelINS0_14default_configENS1_25partition_config_selectorILNS1_17partition_subalgoE8EiNS0_10empty_typeEbEEZZNS1_14partition_implILS5_8ELb0ES3_jN6thrust23THRUST_200600_302600_NS6detail15normal_iteratorINSA_10device_ptrIiEEEEPS6_PKS6_NS0_5tupleIJSF_S6_EEENSJ_IJSG_SG_EEENS0_18inequality_wrapperINSA_8equal_toIiEEEEPmJS6_EEE10hipError_tPvRmT3_T4_T5_T6_T7_T9_mT8_P12ihipStream_tbDpT10_ENKUlT_T0_E_clISt17integral_constantIbLb1EES19_IbLb0EEEEDaS15_S16_EUlS15_E_NS1_11comp_targetILNS1_3genE4ELNS1_11target_archE910ELNS1_3gpuE8ELNS1_3repE0EEENS1_30default_config_static_selectorELNS0_4arch9wavefront6targetE1EEEvT1_,"axG",@progbits,_ZN7rocprim17ROCPRIM_400000_NS6detail17trampoline_kernelINS0_14default_configENS1_25partition_config_selectorILNS1_17partition_subalgoE8EiNS0_10empty_typeEbEEZZNS1_14partition_implILS5_8ELb0ES3_jN6thrust23THRUST_200600_302600_NS6detail15normal_iteratorINSA_10device_ptrIiEEEEPS6_PKS6_NS0_5tupleIJSF_S6_EEENSJ_IJSG_SG_EEENS0_18inequality_wrapperINSA_8equal_toIiEEEEPmJS6_EEE10hipError_tPvRmT3_T4_T5_T6_T7_T9_mT8_P12ihipStream_tbDpT10_ENKUlT_T0_E_clISt17integral_constantIbLb1EES19_IbLb0EEEEDaS15_S16_EUlS15_E_NS1_11comp_targetILNS1_3genE4ELNS1_11target_archE910ELNS1_3gpuE8ELNS1_3repE0EEENS1_30default_config_static_selectorELNS0_4arch9wavefront6targetE1EEEvT1_,comdat
.Lfunc_end422:
	.size	_ZN7rocprim17ROCPRIM_400000_NS6detail17trampoline_kernelINS0_14default_configENS1_25partition_config_selectorILNS1_17partition_subalgoE8EiNS0_10empty_typeEbEEZZNS1_14partition_implILS5_8ELb0ES3_jN6thrust23THRUST_200600_302600_NS6detail15normal_iteratorINSA_10device_ptrIiEEEEPS6_PKS6_NS0_5tupleIJSF_S6_EEENSJ_IJSG_SG_EEENS0_18inequality_wrapperINSA_8equal_toIiEEEEPmJS6_EEE10hipError_tPvRmT3_T4_T5_T6_T7_T9_mT8_P12ihipStream_tbDpT10_ENKUlT_T0_E_clISt17integral_constantIbLb1EES19_IbLb0EEEEDaS15_S16_EUlS15_E_NS1_11comp_targetILNS1_3genE4ELNS1_11target_archE910ELNS1_3gpuE8ELNS1_3repE0EEENS1_30default_config_static_selectorELNS0_4arch9wavefront6targetE1EEEvT1_, .Lfunc_end422-_ZN7rocprim17ROCPRIM_400000_NS6detail17trampoline_kernelINS0_14default_configENS1_25partition_config_selectorILNS1_17partition_subalgoE8EiNS0_10empty_typeEbEEZZNS1_14partition_implILS5_8ELb0ES3_jN6thrust23THRUST_200600_302600_NS6detail15normal_iteratorINSA_10device_ptrIiEEEEPS6_PKS6_NS0_5tupleIJSF_S6_EEENSJ_IJSG_SG_EEENS0_18inequality_wrapperINSA_8equal_toIiEEEEPmJS6_EEE10hipError_tPvRmT3_T4_T5_T6_T7_T9_mT8_P12ihipStream_tbDpT10_ENKUlT_T0_E_clISt17integral_constantIbLb1EES19_IbLb0EEEEDaS15_S16_EUlS15_E_NS1_11comp_targetILNS1_3genE4ELNS1_11target_archE910ELNS1_3gpuE8ELNS1_3repE0EEENS1_30default_config_static_selectorELNS0_4arch9wavefront6targetE1EEEvT1_
                                        ; -- End function
	.set _ZN7rocprim17ROCPRIM_400000_NS6detail17trampoline_kernelINS0_14default_configENS1_25partition_config_selectorILNS1_17partition_subalgoE8EiNS0_10empty_typeEbEEZZNS1_14partition_implILS5_8ELb0ES3_jN6thrust23THRUST_200600_302600_NS6detail15normal_iteratorINSA_10device_ptrIiEEEEPS6_PKS6_NS0_5tupleIJSF_S6_EEENSJ_IJSG_SG_EEENS0_18inequality_wrapperINSA_8equal_toIiEEEEPmJS6_EEE10hipError_tPvRmT3_T4_T5_T6_T7_T9_mT8_P12ihipStream_tbDpT10_ENKUlT_T0_E_clISt17integral_constantIbLb1EES19_IbLb0EEEEDaS15_S16_EUlS15_E_NS1_11comp_targetILNS1_3genE4ELNS1_11target_archE910ELNS1_3gpuE8ELNS1_3repE0EEENS1_30default_config_static_selectorELNS0_4arch9wavefront6targetE1EEEvT1_.num_vgpr, 0
	.set _ZN7rocprim17ROCPRIM_400000_NS6detail17trampoline_kernelINS0_14default_configENS1_25partition_config_selectorILNS1_17partition_subalgoE8EiNS0_10empty_typeEbEEZZNS1_14partition_implILS5_8ELb0ES3_jN6thrust23THRUST_200600_302600_NS6detail15normal_iteratorINSA_10device_ptrIiEEEEPS6_PKS6_NS0_5tupleIJSF_S6_EEENSJ_IJSG_SG_EEENS0_18inequality_wrapperINSA_8equal_toIiEEEEPmJS6_EEE10hipError_tPvRmT3_T4_T5_T6_T7_T9_mT8_P12ihipStream_tbDpT10_ENKUlT_T0_E_clISt17integral_constantIbLb1EES19_IbLb0EEEEDaS15_S16_EUlS15_E_NS1_11comp_targetILNS1_3genE4ELNS1_11target_archE910ELNS1_3gpuE8ELNS1_3repE0EEENS1_30default_config_static_selectorELNS0_4arch9wavefront6targetE1EEEvT1_.num_agpr, 0
	.set _ZN7rocprim17ROCPRIM_400000_NS6detail17trampoline_kernelINS0_14default_configENS1_25partition_config_selectorILNS1_17partition_subalgoE8EiNS0_10empty_typeEbEEZZNS1_14partition_implILS5_8ELb0ES3_jN6thrust23THRUST_200600_302600_NS6detail15normal_iteratorINSA_10device_ptrIiEEEEPS6_PKS6_NS0_5tupleIJSF_S6_EEENSJ_IJSG_SG_EEENS0_18inequality_wrapperINSA_8equal_toIiEEEEPmJS6_EEE10hipError_tPvRmT3_T4_T5_T6_T7_T9_mT8_P12ihipStream_tbDpT10_ENKUlT_T0_E_clISt17integral_constantIbLb1EES19_IbLb0EEEEDaS15_S16_EUlS15_E_NS1_11comp_targetILNS1_3genE4ELNS1_11target_archE910ELNS1_3gpuE8ELNS1_3repE0EEENS1_30default_config_static_selectorELNS0_4arch9wavefront6targetE1EEEvT1_.numbered_sgpr, 0
	.set _ZN7rocprim17ROCPRIM_400000_NS6detail17trampoline_kernelINS0_14default_configENS1_25partition_config_selectorILNS1_17partition_subalgoE8EiNS0_10empty_typeEbEEZZNS1_14partition_implILS5_8ELb0ES3_jN6thrust23THRUST_200600_302600_NS6detail15normal_iteratorINSA_10device_ptrIiEEEEPS6_PKS6_NS0_5tupleIJSF_S6_EEENSJ_IJSG_SG_EEENS0_18inequality_wrapperINSA_8equal_toIiEEEEPmJS6_EEE10hipError_tPvRmT3_T4_T5_T6_T7_T9_mT8_P12ihipStream_tbDpT10_ENKUlT_T0_E_clISt17integral_constantIbLb1EES19_IbLb0EEEEDaS15_S16_EUlS15_E_NS1_11comp_targetILNS1_3genE4ELNS1_11target_archE910ELNS1_3gpuE8ELNS1_3repE0EEENS1_30default_config_static_selectorELNS0_4arch9wavefront6targetE1EEEvT1_.num_named_barrier, 0
	.set _ZN7rocprim17ROCPRIM_400000_NS6detail17trampoline_kernelINS0_14default_configENS1_25partition_config_selectorILNS1_17partition_subalgoE8EiNS0_10empty_typeEbEEZZNS1_14partition_implILS5_8ELb0ES3_jN6thrust23THRUST_200600_302600_NS6detail15normal_iteratorINSA_10device_ptrIiEEEEPS6_PKS6_NS0_5tupleIJSF_S6_EEENSJ_IJSG_SG_EEENS0_18inequality_wrapperINSA_8equal_toIiEEEEPmJS6_EEE10hipError_tPvRmT3_T4_T5_T6_T7_T9_mT8_P12ihipStream_tbDpT10_ENKUlT_T0_E_clISt17integral_constantIbLb1EES19_IbLb0EEEEDaS15_S16_EUlS15_E_NS1_11comp_targetILNS1_3genE4ELNS1_11target_archE910ELNS1_3gpuE8ELNS1_3repE0EEENS1_30default_config_static_selectorELNS0_4arch9wavefront6targetE1EEEvT1_.private_seg_size, 0
	.set _ZN7rocprim17ROCPRIM_400000_NS6detail17trampoline_kernelINS0_14default_configENS1_25partition_config_selectorILNS1_17partition_subalgoE8EiNS0_10empty_typeEbEEZZNS1_14partition_implILS5_8ELb0ES3_jN6thrust23THRUST_200600_302600_NS6detail15normal_iteratorINSA_10device_ptrIiEEEEPS6_PKS6_NS0_5tupleIJSF_S6_EEENSJ_IJSG_SG_EEENS0_18inequality_wrapperINSA_8equal_toIiEEEEPmJS6_EEE10hipError_tPvRmT3_T4_T5_T6_T7_T9_mT8_P12ihipStream_tbDpT10_ENKUlT_T0_E_clISt17integral_constantIbLb1EES19_IbLb0EEEEDaS15_S16_EUlS15_E_NS1_11comp_targetILNS1_3genE4ELNS1_11target_archE910ELNS1_3gpuE8ELNS1_3repE0EEENS1_30default_config_static_selectorELNS0_4arch9wavefront6targetE1EEEvT1_.uses_vcc, 0
	.set _ZN7rocprim17ROCPRIM_400000_NS6detail17trampoline_kernelINS0_14default_configENS1_25partition_config_selectorILNS1_17partition_subalgoE8EiNS0_10empty_typeEbEEZZNS1_14partition_implILS5_8ELb0ES3_jN6thrust23THRUST_200600_302600_NS6detail15normal_iteratorINSA_10device_ptrIiEEEEPS6_PKS6_NS0_5tupleIJSF_S6_EEENSJ_IJSG_SG_EEENS0_18inequality_wrapperINSA_8equal_toIiEEEEPmJS6_EEE10hipError_tPvRmT3_T4_T5_T6_T7_T9_mT8_P12ihipStream_tbDpT10_ENKUlT_T0_E_clISt17integral_constantIbLb1EES19_IbLb0EEEEDaS15_S16_EUlS15_E_NS1_11comp_targetILNS1_3genE4ELNS1_11target_archE910ELNS1_3gpuE8ELNS1_3repE0EEENS1_30default_config_static_selectorELNS0_4arch9wavefront6targetE1EEEvT1_.uses_flat_scratch, 0
	.set _ZN7rocprim17ROCPRIM_400000_NS6detail17trampoline_kernelINS0_14default_configENS1_25partition_config_selectorILNS1_17partition_subalgoE8EiNS0_10empty_typeEbEEZZNS1_14partition_implILS5_8ELb0ES3_jN6thrust23THRUST_200600_302600_NS6detail15normal_iteratorINSA_10device_ptrIiEEEEPS6_PKS6_NS0_5tupleIJSF_S6_EEENSJ_IJSG_SG_EEENS0_18inequality_wrapperINSA_8equal_toIiEEEEPmJS6_EEE10hipError_tPvRmT3_T4_T5_T6_T7_T9_mT8_P12ihipStream_tbDpT10_ENKUlT_T0_E_clISt17integral_constantIbLb1EES19_IbLb0EEEEDaS15_S16_EUlS15_E_NS1_11comp_targetILNS1_3genE4ELNS1_11target_archE910ELNS1_3gpuE8ELNS1_3repE0EEENS1_30default_config_static_selectorELNS0_4arch9wavefront6targetE1EEEvT1_.has_dyn_sized_stack, 0
	.set _ZN7rocprim17ROCPRIM_400000_NS6detail17trampoline_kernelINS0_14default_configENS1_25partition_config_selectorILNS1_17partition_subalgoE8EiNS0_10empty_typeEbEEZZNS1_14partition_implILS5_8ELb0ES3_jN6thrust23THRUST_200600_302600_NS6detail15normal_iteratorINSA_10device_ptrIiEEEEPS6_PKS6_NS0_5tupleIJSF_S6_EEENSJ_IJSG_SG_EEENS0_18inequality_wrapperINSA_8equal_toIiEEEEPmJS6_EEE10hipError_tPvRmT3_T4_T5_T6_T7_T9_mT8_P12ihipStream_tbDpT10_ENKUlT_T0_E_clISt17integral_constantIbLb1EES19_IbLb0EEEEDaS15_S16_EUlS15_E_NS1_11comp_targetILNS1_3genE4ELNS1_11target_archE910ELNS1_3gpuE8ELNS1_3repE0EEENS1_30default_config_static_selectorELNS0_4arch9wavefront6targetE1EEEvT1_.has_recursion, 0
	.set _ZN7rocprim17ROCPRIM_400000_NS6detail17trampoline_kernelINS0_14default_configENS1_25partition_config_selectorILNS1_17partition_subalgoE8EiNS0_10empty_typeEbEEZZNS1_14partition_implILS5_8ELb0ES3_jN6thrust23THRUST_200600_302600_NS6detail15normal_iteratorINSA_10device_ptrIiEEEEPS6_PKS6_NS0_5tupleIJSF_S6_EEENSJ_IJSG_SG_EEENS0_18inequality_wrapperINSA_8equal_toIiEEEEPmJS6_EEE10hipError_tPvRmT3_T4_T5_T6_T7_T9_mT8_P12ihipStream_tbDpT10_ENKUlT_T0_E_clISt17integral_constantIbLb1EES19_IbLb0EEEEDaS15_S16_EUlS15_E_NS1_11comp_targetILNS1_3genE4ELNS1_11target_archE910ELNS1_3gpuE8ELNS1_3repE0EEENS1_30default_config_static_selectorELNS0_4arch9wavefront6targetE1EEEvT1_.has_indirect_call, 0
	.section	.AMDGPU.csdata,"",@progbits
; Kernel info:
; codeLenInByte = 0
; TotalNumSgprs: 4
; NumVgprs: 0
; ScratchSize: 0
; MemoryBound: 0
; FloatMode: 240
; IeeeMode: 1
; LDSByteSize: 0 bytes/workgroup (compile time only)
; SGPRBlocks: 0
; VGPRBlocks: 0
; NumSGPRsForWavesPerEU: 4
; NumVGPRsForWavesPerEU: 1
; Occupancy: 10
; WaveLimiterHint : 0
; COMPUTE_PGM_RSRC2:SCRATCH_EN: 0
; COMPUTE_PGM_RSRC2:USER_SGPR: 6
; COMPUTE_PGM_RSRC2:TRAP_HANDLER: 0
; COMPUTE_PGM_RSRC2:TGID_X_EN: 1
; COMPUTE_PGM_RSRC2:TGID_Y_EN: 0
; COMPUTE_PGM_RSRC2:TGID_Z_EN: 0
; COMPUTE_PGM_RSRC2:TIDIG_COMP_CNT: 0
	.section	.text._ZN7rocprim17ROCPRIM_400000_NS6detail17trampoline_kernelINS0_14default_configENS1_25partition_config_selectorILNS1_17partition_subalgoE8EiNS0_10empty_typeEbEEZZNS1_14partition_implILS5_8ELb0ES3_jN6thrust23THRUST_200600_302600_NS6detail15normal_iteratorINSA_10device_ptrIiEEEEPS6_PKS6_NS0_5tupleIJSF_S6_EEENSJ_IJSG_SG_EEENS0_18inequality_wrapperINSA_8equal_toIiEEEEPmJS6_EEE10hipError_tPvRmT3_T4_T5_T6_T7_T9_mT8_P12ihipStream_tbDpT10_ENKUlT_T0_E_clISt17integral_constantIbLb1EES19_IbLb0EEEEDaS15_S16_EUlS15_E_NS1_11comp_targetILNS1_3genE3ELNS1_11target_archE908ELNS1_3gpuE7ELNS1_3repE0EEENS1_30default_config_static_selectorELNS0_4arch9wavefront6targetE1EEEvT1_,"axG",@progbits,_ZN7rocprim17ROCPRIM_400000_NS6detail17trampoline_kernelINS0_14default_configENS1_25partition_config_selectorILNS1_17partition_subalgoE8EiNS0_10empty_typeEbEEZZNS1_14partition_implILS5_8ELb0ES3_jN6thrust23THRUST_200600_302600_NS6detail15normal_iteratorINSA_10device_ptrIiEEEEPS6_PKS6_NS0_5tupleIJSF_S6_EEENSJ_IJSG_SG_EEENS0_18inequality_wrapperINSA_8equal_toIiEEEEPmJS6_EEE10hipError_tPvRmT3_T4_T5_T6_T7_T9_mT8_P12ihipStream_tbDpT10_ENKUlT_T0_E_clISt17integral_constantIbLb1EES19_IbLb0EEEEDaS15_S16_EUlS15_E_NS1_11comp_targetILNS1_3genE3ELNS1_11target_archE908ELNS1_3gpuE7ELNS1_3repE0EEENS1_30default_config_static_selectorELNS0_4arch9wavefront6targetE1EEEvT1_,comdat
	.protected	_ZN7rocprim17ROCPRIM_400000_NS6detail17trampoline_kernelINS0_14default_configENS1_25partition_config_selectorILNS1_17partition_subalgoE8EiNS0_10empty_typeEbEEZZNS1_14partition_implILS5_8ELb0ES3_jN6thrust23THRUST_200600_302600_NS6detail15normal_iteratorINSA_10device_ptrIiEEEEPS6_PKS6_NS0_5tupleIJSF_S6_EEENSJ_IJSG_SG_EEENS0_18inequality_wrapperINSA_8equal_toIiEEEEPmJS6_EEE10hipError_tPvRmT3_T4_T5_T6_T7_T9_mT8_P12ihipStream_tbDpT10_ENKUlT_T0_E_clISt17integral_constantIbLb1EES19_IbLb0EEEEDaS15_S16_EUlS15_E_NS1_11comp_targetILNS1_3genE3ELNS1_11target_archE908ELNS1_3gpuE7ELNS1_3repE0EEENS1_30default_config_static_selectorELNS0_4arch9wavefront6targetE1EEEvT1_ ; -- Begin function _ZN7rocprim17ROCPRIM_400000_NS6detail17trampoline_kernelINS0_14default_configENS1_25partition_config_selectorILNS1_17partition_subalgoE8EiNS0_10empty_typeEbEEZZNS1_14partition_implILS5_8ELb0ES3_jN6thrust23THRUST_200600_302600_NS6detail15normal_iteratorINSA_10device_ptrIiEEEEPS6_PKS6_NS0_5tupleIJSF_S6_EEENSJ_IJSG_SG_EEENS0_18inequality_wrapperINSA_8equal_toIiEEEEPmJS6_EEE10hipError_tPvRmT3_T4_T5_T6_T7_T9_mT8_P12ihipStream_tbDpT10_ENKUlT_T0_E_clISt17integral_constantIbLb1EES19_IbLb0EEEEDaS15_S16_EUlS15_E_NS1_11comp_targetILNS1_3genE3ELNS1_11target_archE908ELNS1_3gpuE7ELNS1_3repE0EEENS1_30default_config_static_selectorELNS0_4arch9wavefront6targetE1EEEvT1_
	.globl	_ZN7rocprim17ROCPRIM_400000_NS6detail17trampoline_kernelINS0_14default_configENS1_25partition_config_selectorILNS1_17partition_subalgoE8EiNS0_10empty_typeEbEEZZNS1_14partition_implILS5_8ELb0ES3_jN6thrust23THRUST_200600_302600_NS6detail15normal_iteratorINSA_10device_ptrIiEEEEPS6_PKS6_NS0_5tupleIJSF_S6_EEENSJ_IJSG_SG_EEENS0_18inequality_wrapperINSA_8equal_toIiEEEEPmJS6_EEE10hipError_tPvRmT3_T4_T5_T6_T7_T9_mT8_P12ihipStream_tbDpT10_ENKUlT_T0_E_clISt17integral_constantIbLb1EES19_IbLb0EEEEDaS15_S16_EUlS15_E_NS1_11comp_targetILNS1_3genE3ELNS1_11target_archE908ELNS1_3gpuE7ELNS1_3repE0EEENS1_30default_config_static_selectorELNS0_4arch9wavefront6targetE1EEEvT1_
	.p2align	8
	.type	_ZN7rocprim17ROCPRIM_400000_NS6detail17trampoline_kernelINS0_14default_configENS1_25partition_config_selectorILNS1_17partition_subalgoE8EiNS0_10empty_typeEbEEZZNS1_14partition_implILS5_8ELb0ES3_jN6thrust23THRUST_200600_302600_NS6detail15normal_iteratorINSA_10device_ptrIiEEEEPS6_PKS6_NS0_5tupleIJSF_S6_EEENSJ_IJSG_SG_EEENS0_18inequality_wrapperINSA_8equal_toIiEEEEPmJS6_EEE10hipError_tPvRmT3_T4_T5_T6_T7_T9_mT8_P12ihipStream_tbDpT10_ENKUlT_T0_E_clISt17integral_constantIbLb1EES19_IbLb0EEEEDaS15_S16_EUlS15_E_NS1_11comp_targetILNS1_3genE3ELNS1_11target_archE908ELNS1_3gpuE7ELNS1_3repE0EEENS1_30default_config_static_selectorELNS0_4arch9wavefront6targetE1EEEvT1_,@function
_ZN7rocprim17ROCPRIM_400000_NS6detail17trampoline_kernelINS0_14default_configENS1_25partition_config_selectorILNS1_17partition_subalgoE8EiNS0_10empty_typeEbEEZZNS1_14partition_implILS5_8ELb0ES3_jN6thrust23THRUST_200600_302600_NS6detail15normal_iteratorINSA_10device_ptrIiEEEEPS6_PKS6_NS0_5tupleIJSF_S6_EEENSJ_IJSG_SG_EEENS0_18inequality_wrapperINSA_8equal_toIiEEEEPmJS6_EEE10hipError_tPvRmT3_T4_T5_T6_T7_T9_mT8_P12ihipStream_tbDpT10_ENKUlT_T0_E_clISt17integral_constantIbLb1EES19_IbLb0EEEEDaS15_S16_EUlS15_E_NS1_11comp_targetILNS1_3genE3ELNS1_11target_archE908ELNS1_3gpuE7ELNS1_3repE0EEENS1_30default_config_static_selectorELNS0_4arch9wavefront6targetE1EEEvT1_: ; @_ZN7rocprim17ROCPRIM_400000_NS6detail17trampoline_kernelINS0_14default_configENS1_25partition_config_selectorILNS1_17partition_subalgoE8EiNS0_10empty_typeEbEEZZNS1_14partition_implILS5_8ELb0ES3_jN6thrust23THRUST_200600_302600_NS6detail15normal_iteratorINSA_10device_ptrIiEEEEPS6_PKS6_NS0_5tupleIJSF_S6_EEENSJ_IJSG_SG_EEENS0_18inequality_wrapperINSA_8equal_toIiEEEEPmJS6_EEE10hipError_tPvRmT3_T4_T5_T6_T7_T9_mT8_P12ihipStream_tbDpT10_ENKUlT_T0_E_clISt17integral_constantIbLb1EES19_IbLb0EEEEDaS15_S16_EUlS15_E_NS1_11comp_targetILNS1_3genE3ELNS1_11target_archE908ELNS1_3gpuE7ELNS1_3repE0EEENS1_30default_config_static_selectorELNS0_4arch9wavefront6targetE1EEEvT1_
; %bb.0:
	.section	.rodata,"a",@progbits
	.p2align	6, 0x0
	.amdhsa_kernel _ZN7rocprim17ROCPRIM_400000_NS6detail17trampoline_kernelINS0_14default_configENS1_25partition_config_selectorILNS1_17partition_subalgoE8EiNS0_10empty_typeEbEEZZNS1_14partition_implILS5_8ELb0ES3_jN6thrust23THRUST_200600_302600_NS6detail15normal_iteratorINSA_10device_ptrIiEEEEPS6_PKS6_NS0_5tupleIJSF_S6_EEENSJ_IJSG_SG_EEENS0_18inequality_wrapperINSA_8equal_toIiEEEEPmJS6_EEE10hipError_tPvRmT3_T4_T5_T6_T7_T9_mT8_P12ihipStream_tbDpT10_ENKUlT_T0_E_clISt17integral_constantIbLb1EES19_IbLb0EEEEDaS15_S16_EUlS15_E_NS1_11comp_targetILNS1_3genE3ELNS1_11target_archE908ELNS1_3gpuE7ELNS1_3repE0EEENS1_30default_config_static_selectorELNS0_4arch9wavefront6targetE1EEEvT1_
		.amdhsa_group_segment_fixed_size 0
		.amdhsa_private_segment_fixed_size 0
		.amdhsa_kernarg_size 112
		.amdhsa_user_sgpr_count 6
		.amdhsa_user_sgpr_private_segment_buffer 1
		.amdhsa_user_sgpr_dispatch_ptr 0
		.amdhsa_user_sgpr_queue_ptr 0
		.amdhsa_user_sgpr_kernarg_segment_ptr 1
		.amdhsa_user_sgpr_dispatch_id 0
		.amdhsa_user_sgpr_flat_scratch_init 0
		.amdhsa_user_sgpr_private_segment_size 0
		.amdhsa_uses_dynamic_stack 0
		.amdhsa_system_sgpr_private_segment_wavefront_offset 0
		.amdhsa_system_sgpr_workgroup_id_x 1
		.amdhsa_system_sgpr_workgroup_id_y 0
		.amdhsa_system_sgpr_workgroup_id_z 0
		.amdhsa_system_sgpr_workgroup_info 0
		.amdhsa_system_vgpr_workitem_id 0
		.amdhsa_next_free_vgpr 1
		.amdhsa_next_free_sgpr 0
		.amdhsa_reserve_vcc 0
		.amdhsa_reserve_flat_scratch 0
		.amdhsa_float_round_mode_32 0
		.amdhsa_float_round_mode_16_64 0
		.amdhsa_float_denorm_mode_32 3
		.amdhsa_float_denorm_mode_16_64 3
		.amdhsa_dx10_clamp 1
		.amdhsa_ieee_mode 1
		.amdhsa_fp16_overflow 0
		.amdhsa_exception_fp_ieee_invalid_op 0
		.amdhsa_exception_fp_denorm_src 0
		.amdhsa_exception_fp_ieee_div_zero 0
		.amdhsa_exception_fp_ieee_overflow 0
		.amdhsa_exception_fp_ieee_underflow 0
		.amdhsa_exception_fp_ieee_inexact 0
		.amdhsa_exception_int_div_zero 0
	.end_amdhsa_kernel
	.section	.text._ZN7rocprim17ROCPRIM_400000_NS6detail17trampoline_kernelINS0_14default_configENS1_25partition_config_selectorILNS1_17partition_subalgoE8EiNS0_10empty_typeEbEEZZNS1_14partition_implILS5_8ELb0ES3_jN6thrust23THRUST_200600_302600_NS6detail15normal_iteratorINSA_10device_ptrIiEEEEPS6_PKS6_NS0_5tupleIJSF_S6_EEENSJ_IJSG_SG_EEENS0_18inequality_wrapperINSA_8equal_toIiEEEEPmJS6_EEE10hipError_tPvRmT3_T4_T5_T6_T7_T9_mT8_P12ihipStream_tbDpT10_ENKUlT_T0_E_clISt17integral_constantIbLb1EES19_IbLb0EEEEDaS15_S16_EUlS15_E_NS1_11comp_targetILNS1_3genE3ELNS1_11target_archE908ELNS1_3gpuE7ELNS1_3repE0EEENS1_30default_config_static_selectorELNS0_4arch9wavefront6targetE1EEEvT1_,"axG",@progbits,_ZN7rocprim17ROCPRIM_400000_NS6detail17trampoline_kernelINS0_14default_configENS1_25partition_config_selectorILNS1_17partition_subalgoE8EiNS0_10empty_typeEbEEZZNS1_14partition_implILS5_8ELb0ES3_jN6thrust23THRUST_200600_302600_NS6detail15normal_iteratorINSA_10device_ptrIiEEEEPS6_PKS6_NS0_5tupleIJSF_S6_EEENSJ_IJSG_SG_EEENS0_18inequality_wrapperINSA_8equal_toIiEEEEPmJS6_EEE10hipError_tPvRmT3_T4_T5_T6_T7_T9_mT8_P12ihipStream_tbDpT10_ENKUlT_T0_E_clISt17integral_constantIbLb1EES19_IbLb0EEEEDaS15_S16_EUlS15_E_NS1_11comp_targetILNS1_3genE3ELNS1_11target_archE908ELNS1_3gpuE7ELNS1_3repE0EEENS1_30default_config_static_selectorELNS0_4arch9wavefront6targetE1EEEvT1_,comdat
.Lfunc_end423:
	.size	_ZN7rocprim17ROCPRIM_400000_NS6detail17trampoline_kernelINS0_14default_configENS1_25partition_config_selectorILNS1_17partition_subalgoE8EiNS0_10empty_typeEbEEZZNS1_14partition_implILS5_8ELb0ES3_jN6thrust23THRUST_200600_302600_NS6detail15normal_iteratorINSA_10device_ptrIiEEEEPS6_PKS6_NS0_5tupleIJSF_S6_EEENSJ_IJSG_SG_EEENS0_18inequality_wrapperINSA_8equal_toIiEEEEPmJS6_EEE10hipError_tPvRmT3_T4_T5_T6_T7_T9_mT8_P12ihipStream_tbDpT10_ENKUlT_T0_E_clISt17integral_constantIbLb1EES19_IbLb0EEEEDaS15_S16_EUlS15_E_NS1_11comp_targetILNS1_3genE3ELNS1_11target_archE908ELNS1_3gpuE7ELNS1_3repE0EEENS1_30default_config_static_selectorELNS0_4arch9wavefront6targetE1EEEvT1_, .Lfunc_end423-_ZN7rocprim17ROCPRIM_400000_NS6detail17trampoline_kernelINS0_14default_configENS1_25partition_config_selectorILNS1_17partition_subalgoE8EiNS0_10empty_typeEbEEZZNS1_14partition_implILS5_8ELb0ES3_jN6thrust23THRUST_200600_302600_NS6detail15normal_iteratorINSA_10device_ptrIiEEEEPS6_PKS6_NS0_5tupleIJSF_S6_EEENSJ_IJSG_SG_EEENS0_18inequality_wrapperINSA_8equal_toIiEEEEPmJS6_EEE10hipError_tPvRmT3_T4_T5_T6_T7_T9_mT8_P12ihipStream_tbDpT10_ENKUlT_T0_E_clISt17integral_constantIbLb1EES19_IbLb0EEEEDaS15_S16_EUlS15_E_NS1_11comp_targetILNS1_3genE3ELNS1_11target_archE908ELNS1_3gpuE7ELNS1_3repE0EEENS1_30default_config_static_selectorELNS0_4arch9wavefront6targetE1EEEvT1_
                                        ; -- End function
	.set _ZN7rocprim17ROCPRIM_400000_NS6detail17trampoline_kernelINS0_14default_configENS1_25partition_config_selectorILNS1_17partition_subalgoE8EiNS0_10empty_typeEbEEZZNS1_14partition_implILS5_8ELb0ES3_jN6thrust23THRUST_200600_302600_NS6detail15normal_iteratorINSA_10device_ptrIiEEEEPS6_PKS6_NS0_5tupleIJSF_S6_EEENSJ_IJSG_SG_EEENS0_18inequality_wrapperINSA_8equal_toIiEEEEPmJS6_EEE10hipError_tPvRmT3_T4_T5_T6_T7_T9_mT8_P12ihipStream_tbDpT10_ENKUlT_T0_E_clISt17integral_constantIbLb1EES19_IbLb0EEEEDaS15_S16_EUlS15_E_NS1_11comp_targetILNS1_3genE3ELNS1_11target_archE908ELNS1_3gpuE7ELNS1_3repE0EEENS1_30default_config_static_selectorELNS0_4arch9wavefront6targetE1EEEvT1_.num_vgpr, 0
	.set _ZN7rocprim17ROCPRIM_400000_NS6detail17trampoline_kernelINS0_14default_configENS1_25partition_config_selectorILNS1_17partition_subalgoE8EiNS0_10empty_typeEbEEZZNS1_14partition_implILS5_8ELb0ES3_jN6thrust23THRUST_200600_302600_NS6detail15normal_iteratorINSA_10device_ptrIiEEEEPS6_PKS6_NS0_5tupleIJSF_S6_EEENSJ_IJSG_SG_EEENS0_18inequality_wrapperINSA_8equal_toIiEEEEPmJS6_EEE10hipError_tPvRmT3_T4_T5_T6_T7_T9_mT8_P12ihipStream_tbDpT10_ENKUlT_T0_E_clISt17integral_constantIbLb1EES19_IbLb0EEEEDaS15_S16_EUlS15_E_NS1_11comp_targetILNS1_3genE3ELNS1_11target_archE908ELNS1_3gpuE7ELNS1_3repE0EEENS1_30default_config_static_selectorELNS0_4arch9wavefront6targetE1EEEvT1_.num_agpr, 0
	.set _ZN7rocprim17ROCPRIM_400000_NS6detail17trampoline_kernelINS0_14default_configENS1_25partition_config_selectorILNS1_17partition_subalgoE8EiNS0_10empty_typeEbEEZZNS1_14partition_implILS5_8ELb0ES3_jN6thrust23THRUST_200600_302600_NS6detail15normal_iteratorINSA_10device_ptrIiEEEEPS6_PKS6_NS0_5tupleIJSF_S6_EEENSJ_IJSG_SG_EEENS0_18inequality_wrapperINSA_8equal_toIiEEEEPmJS6_EEE10hipError_tPvRmT3_T4_T5_T6_T7_T9_mT8_P12ihipStream_tbDpT10_ENKUlT_T0_E_clISt17integral_constantIbLb1EES19_IbLb0EEEEDaS15_S16_EUlS15_E_NS1_11comp_targetILNS1_3genE3ELNS1_11target_archE908ELNS1_3gpuE7ELNS1_3repE0EEENS1_30default_config_static_selectorELNS0_4arch9wavefront6targetE1EEEvT1_.numbered_sgpr, 0
	.set _ZN7rocprim17ROCPRIM_400000_NS6detail17trampoline_kernelINS0_14default_configENS1_25partition_config_selectorILNS1_17partition_subalgoE8EiNS0_10empty_typeEbEEZZNS1_14partition_implILS5_8ELb0ES3_jN6thrust23THRUST_200600_302600_NS6detail15normal_iteratorINSA_10device_ptrIiEEEEPS6_PKS6_NS0_5tupleIJSF_S6_EEENSJ_IJSG_SG_EEENS0_18inequality_wrapperINSA_8equal_toIiEEEEPmJS6_EEE10hipError_tPvRmT3_T4_T5_T6_T7_T9_mT8_P12ihipStream_tbDpT10_ENKUlT_T0_E_clISt17integral_constantIbLb1EES19_IbLb0EEEEDaS15_S16_EUlS15_E_NS1_11comp_targetILNS1_3genE3ELNS1_11target_archE908ELNS1_3gpuE7ELNS1_3repE0EEENS1_30default_config_static_selectorELNS0_4arch9wavefront6targetE1EEEvT1_.num_named_barrier, 0
	.set _ZN7rocprim17ROCPRIM_400000_NS6detail17trampoline_kernelINS0_14default_configENS1_25partition_config_selectorILNS1_17partition_subalgoE8EiNS0_10empty_typeEbEEZZNS1_14partition_implILS5_8ELb0ES3_jN6thrust23THRUST_200600_302600_NS6detail15normal_iteratorINSA_10device_ptrIiEEEEPS6_PKS6_NS0_5tupleIJSF_S6_EEENSJ_IJSG_SG_EEENS0_18inequality_wrapperINSA_8equal_toIiEEEEPmJS6_EEE10hipError_tPvRmT3_T4_T5_T6_T7_T9_mT8_P12ihipStream_tbDpT10_ENKUlT_T0_E_clISt17integral_constantIbLb1EES19_IbLb0EEEEDaS15_S16_EUlS15_E_NS1_11comp_targetILNS1_3genE3ELNS1_11target_archE908ELNS1_3gpuE7ELNS1_3repE0EEENS1_30default_config_static_selectorELNS0_4arch9wavefront6targetE1EEEvT1_.private_seg_size, 0
	.set _ZN7rocprim17ROCPRIM_400000_NS6detail17trampoline_kernelINS0_14default_configENS1_25partition_config_selectorILNS1_17partition_subalgoE8EiNS0_10empty_typeEbEEZZNS1_14partition_implILS5_8ELb0ES3_jN6thrust23THRUST_200600_302600_NS6detail15normal_iteratorINSA_10device_ptrIiEEEEPS6_PKS6_NS0_5tupleIJSF_S6_EEENSJ_IJSG_SG_EEENS0_18inequality_wrapperINSA_8equal_toIiEEEEPmJS6_EEE10hipError_tPvRmT3_T4_T5_T6_T7_T9_mT8_P12ihipStream_tbDpT10_ENKUlT_T0_E_clISt17integral_constantIbLb1EES19_IbLb0EEEEDaS15_S16_EUlS15_E_NS1_11comp_targetILNS1_3genE3ELNS1_11target_archE908ELNS1_3gpuE7ELNS1_3repE0EEENS1_30default_config_static_selectorELNS0_4arch9wavefront6targetE1EEEvT1_.uses_vcc, 0
	.set _ZN7rocprim17ROCPRIM_400000_NS6detail17trampoline_kernelINS0_14default_configENS1_25partition_config_selectorILNS1_17partition_subalgoE8EiNS0_10empty_typeEbEEZZNS1_14partition_implILS5_8ELb0ES3_jN6thrust23THRUST_200600_302600_NS6detail15normal_iteratorINSA_10device_ptrIiEEEEPS6_PKS6_NS0_5tupleIJSF_S6_EEENSJ_IJSG_SG_EEENS0_18inequality_wrapperINSA_8equal_toIiEEEEPmJS6_EEE10hipError_tPvRmT3_T4_T5_T6_T7_T9_mT8_P12ihipStream_tbDpT10_ENKUlT_T0_E_clISt17integral_constantIbLb1EES19_IbLb0EEEEDaS15_S16_EUlS15_E_NS1_11comp_targetILNS1_3genE3ELNS1_11target_archE908ELNS1_3gpuE7ELNS1_3repE0EEENS1_30default_config_static_selectorELNS0_4arch9wavefront6targetE1EEEvT1_.uses_flat_scratch, 0
	.set _ZN7rocprim17ROCPRIM_400000_NS6detail17trampoline_kernelINS0_14default_configENS1_25partition_config_selectorILNS1_17partition_subalgoE8EiNS0_10empty_typeEbEEZZNS1_14partition_implILS5_8ELb0ES3_jN6thrust23THRUST_200600_302600_NS6detail15normal_iteratorINSA_10device_ptrIiEEEEPS6_PKS6_NS0_5tupleIJSF_S6_EEENSJ_IJSG_SG_EEENS0_18inequality_wrapperINSA_8equal_toIiEEEEPmJS6_EEE10hipError_tPvRmT3_T4_T5_T6_T7_T9_mT8_P12ihipStream_tbDpT10_ENKUlT_T0_E_clISt17integral_constantIbLb1EES19_IbLb0EEEEDaS15_S16_EUlS15_E_NS1_11comp_targetILNS1_3genE3ELNS1_11target_archE908ELNS1_3gpuE7ELNS1_3repE0EEENS1_30default_config_static_selectorELNS0_4arch9wavefront6targetE1EEEvT1_.has_dyn_sized_stack, 0
	.set _ZN7rocprim17ROCPRIM_400000_NS6detail17trampoline_kernelINS0_14default_configENS1_25partition_config_selectorILNS1_17partition_subalgoE8EiNS0_10empty_typeEbEEZZNS1_14partition_implILS5_8ELb0ES3_jN6thrust23THRUST_200600_302600_NS6detail15normal_iteratorINSA_10device_ptrIiEEEEPS6_PKS6_NS0_5tupleIJSF_S6_EEENSJ_IJSG_SG_EEENS0_18inequality_wrapperINSA_8equal_toIiEEEEPmJS6_EEE10hipError_tPvRmT3_T4_T5_T6_T7_T9_mT8_P12ihipStream_tbDpT10_ENKUlT_T0_E_clISt17integral_constantIbLb1EES19_IbLb0EEEEDaS15_S16_EUlS15_E_NS1_11comp_targetILNS1_3genE3ELNS1_11target_archE908ELNS1_3gpuE7ELNS1_3repE0EEENS1_30default_config_static_selectorELNS0_4arch9wavefront6targetE1EEEvT1_.has_recursion, 0
	.set _ZN7rocprim17ROCPRIM_400000_NS6detail17trampoline_kernelINS0_14default_configENS1_25partition_config_selectorILNS1_17partition_subalgoE8EiNS0_10empty_typeEbEEZZNS1_14partition_implILS5_8ELb0ES3_jN6thrust23THRUST_200600_302600_NS6detail15normal_iteratorINSA_10device_ptrIiEEEEPS6_PKS6_NS0_5tupleIJSF_S6_EEENSJ_IJSG_SG_EEENS0_18inequality_wrapperINSA_8equal_toIiEEEEPmJS6_EEE10hipError_tPvRmT3_T4_T5_T6_T7_T9_mT8_P12ihipStream_tbDpT10_ENKUlT_T0_E_clISt17integral_constantIbLb1EES19_IbLb0EEEEDaS15_S16_EUlS15_E_NS1_11comp_targetILNS1_3genE3ELNS1_11target_archE908ELNS1_3gpuE7ELNS1_3repE0EEENS1_30default_config_static_selectorELNS0_4arch9wavefront6targetE1EEEvT1_.has_indirect_call, 0
	.section	.AMDGPU.csdata,"",@progbits
; Kernel info:
; codeLenInByte = 0
; TotalNumSgprs: 4
; NumVgprs: 0
; ScratchSize: 0
; MemoryBound: 0
; FloatMode: 240
; IeeeMode: 1
; LDSByteSize: 0 bytes/workgroup (compile time only)
; SGPRBlocks: 0
; VGPRBlocks: 0
; NumSGPRsForWavesPerEU: 4
; NumVGPRsForWavesPerEU: 1
; Occupancy: 10
; WaveLimiterHint : 0
; COMPUTE_PGM_RSRC2:SCRATCH_EN: 0
; COMPUTE_PGM_RSRC2:USER_SGPR: 6
; COMPUTE_PGM_RSRC2:TRAP_HANDLER: 0
; COMPUTE_PGM_RSRC2:TGID_X_EN: 1
; COMPUTE_PGM_RSRC2:TGID_Y_EN: 0
; COMPUTE_PGM_RSRC2:TGID_Z_EN: 0
; COMPUTE_PGM_RSRC2:TIDIG_COMP_CNT: 0
	.section	.text._ZN7rocprim17ROCPRIM_400000_NS6detail17trampoline_kernelINS0_14default_configENS1_25partition_config_selectorILNS1_17partition_subalgoE8EiNS0_10empty_typeEbEEZZNS1_14partition_implILS5_8ELb0ES3_jN6thrust23THRUST_200600_302600_NS6detail15normal_iteratorINSA_10device_ptrIiEEEEPS6_PKS6_NS0_5tupleIJSF_S6_EEENSJ_IJSG_SG_EEENS0_18inequality_wrapperINSA_8equal_toIiEEEEPmJS6_EEE10hipError_tPvRmT3_T4_T5_T6_T7_T9_mT8_P12ihipStream_tbDpT10_ENKUlT_T0_E_clISt17integral_constantIbLb1EES19_IbLb0EEEEDaS15_S16_EUlS15_E_NS1_11comp_targetILNS1_3genE2ELNS1_11target_archE906ELNS1_3gpuE6ELNS1_3repE0EEENS1_30default_config_static_selectorELNS0_4arch9wavefront6targetE1EEEvT1_,"axG",@progbits,_ZN7rocprim17ROCPRIM_400000_NS6detail17trampoline_kernelINS0_14default_configENS1_25partition_config_selectorILNS1_17partition_subalgoE8EiNS0_10empty_typeEbEEZZNS1_14partition_implILS5_8ELb0ES3_jN6thrust23THRUST_200600_302600_NS6detail15normal_iteratorINSA_10device_ptrIiEEEEPS6_PKS6_NS0_5tupleIJSF_S6_EEENSJ_IJSG_SG_EEENS0_18inequality_wrapperINSA_8equal_toIiEEEEPmJS6_EEE10hipError_tPvRmT3_T4_T5_T6_T7_T9_mT8_P12ihipStream_tbDpT10_ENKUlT_T0_E_clISt17integral_constantIbLb1EES19_IbLb0EEEEDaS15_S16_EUlS15_E_NS1_11comp_targetILNS1_3genE2ELNS1_11target_archE906ELNS1_3gpuE6ELNS1_3repE0EEENS1_30default_config_static_selectorELNS0_4arch9wavefront6targetE1EEEvT1_,comdat
	.protected	_ZN7rocprim17ROCPRIM_400000_NS6detail17trampoline_kernelINS0_14default_configENS1_25partition_config_selectorILNS1_17partition_subalgoE8EiNS0_10empty_typeEbEEZZNS1_14partition_implILS5_8ELb0ES3_jN6thrust23THRUST_200600_302600_NS6detail15normal_iteratorINSA_10device_ptrIiEEEEPS6_PKS6_NS0_5tupleIJSF_S6_EEENSJ_IJSG_SG_EEENS0_18inequality_wrapperINSA_8equal_toIiEEEEPmJS6_EEE10hipError_tPvRmT3_T4_T5_T6_T7_T9_mT8_P12ihipStream_tbDpT10_ENKUlT_T0_E_clISt17integral_constantIbLb1EES19_IbLb0EEEEDaS15_S16_EUlS15_E_NS1_11comp_targetILNS1_3genE2ELNS1_11target_archE906ELNS1_3gpuE6ELNS1_3repE0EEENS1_30default_config_static_selectorELNS0_4arch9wavefront6targetE1EEEvT1_ ; -- Begin function _ZN7rocprim17ROCPRIM_400000_NS6detail17trampoline_kernelINS0_14default_configENS1_25partition_config_selectorILNS1_17partition_subalgoE8EiNS0_10empty_typeEbEEZZNS1_14partition_implILS5_8ELb0ES3_jN6thrust23THRUST_200600_302600_NS6detail15normal_iteratorINSA_10device_ptrIiEEEEPS6_PKS6_NS0_5tupleIJSF_S6_EEENSJ_IJSG_SG_EEENS0_18inequality_wrapperINSA_8equal_toIiEEEEPmJS6_EEE10hipError_tPvRmT3_T4_T5_T6_T7_T9_mT8_P12ihipStream_tbDpT10_ENKUlT_T0_E_clISt17integral_constantIbLb1EES19_IbLb0EEEEDaS15_S16_EUlS15_E_NS1_11comp_targetILNS1_3genE2ELNS1_11target_archE906ELNS1_3gpuE6ELNS1_3repE0EEENS1_30default_config_static_selectorELNS0_4arch9wavefront6targetE1EEEvT1_
	.globl	_ZN7rocprim17ROCPRIM_400000_NS6detail17trampoline_kernelINS0_14default_configENS1_25partition_config_selectorILNS1_17partition_subalgoE8EiNS0_10empty_typeEbEEZZNS1_14partition_implILS5_8ELb0ES3_jN6thrust23THRUST_200600_302600_NS6detail15normal_iteratorINSA_10device_ptrIiEEEEPS6_PKS6_NS0_5tupleIJSF_S6_EEENSJ_IJSG_SG_EEENS0_18inequality_wrapperINSA_8equal_toIiEEEEPmJS6_EEE10hipError_tPvRmT3_T4_T5_T6_T7_T9_mT8_P12ihipStream_tbDpT10_ENKUlT_T0_E_clISt17integral_constantIbLb1EES19_IbLb0EEEEDaS15_S16_EUlS15_E_NS1_11comp_targetILNS1_3genE2ELNS1_11target_archE906ELNS1_3gpuE6ELNS1_3repE0EEENS1_30default_config_static_selectorELNS0_4arch9wavefront6targetE1EEEvT1_
	.p2align	8
	.type	_ZN7rocprim17ROCPRIM_400000_NS6detail17trampoline_kernelINS0_14default_configENS1_25partition_config_selectorILNS1_17partition_subalgoE8EiNS0_10empty_typeEbEEZZNS1_14partition_implILS5_8ELb0ES3_jN6thrust23THRUST_200600_302600_NS6detail15normal_iteratorINSA_10device_ptrIiEEEEPS6_PKS6_NS0_5tupleIJSF_S6_EEENSJ_IJSG_SG_EEENS0_18inequality_wrapperINSA_8equal_toIiEEEEPmJS6_EEE10hipError_tPvRmT3_T4_T5_T6_T7_T9_mT8_P12ihipStream_tbDpT10_ENKUlT_T0_E_clISt17integral_constantIbLb1EES19_IbLb0EEEEDaS15_S16_EUlS15_E_NS1_11comp_targetILNS1_3genE2ELNS1_11target_archE906ELNS1_3gpuE6ELNS1_3repE0EEENS1_30default_config_static_selectorELNS0_4arch9wavefront6targetE1EEEvT1_,@function
_ZN7rocprim17ROCPRIM_400000_NS6detail17trampoline_kernelINS0_14default_configENS1_25partition_config_selectorILNS1_17partition_subalgoE8EiNS0_10empty_typeEbEEZZNS1_14partition_implILS5_8ELb0ES3_jN6thrust23THRUST_200600_302600_NS6detail15normal_iteratorINSA_10device_ptrIiEEEEPS6_PKS6_NS0_5tupleIJSF_S6_EEENSJ_IJSG_SG_EEENS0_18inequality_wrapperINSA_8equal_toIiEEEEPmJS6_EEE10hipError_tPvRmT3_T4_T5_T6_T7_T9_mT8_P12ihipStream_tbDpT10_ENKUlT_T0_E_clISt17integral_constantIbLb1EES19_IbLb0EEEEDaS15_S16_EUlS15_E_NS1_11comp_targetILNS1_3genE2ELNS1_11target_archE906ELNS1_3gpuE6ELNS1_3repE0EEENS1_30default_config_static_selectorELNS0_4arch9wavefront6targetE1EEEvT1_: ; @_ZN7rocprim17ROCPRIM_400000_NS6detail17trampoline_kernelINS0_14default_configENS1_25partition_config_selectorILNS1_17partition_subalgoE8EiNS0_10empty_typeEbEEZZNS1_14partition_implILS5_8ELb0ES3_jN6thrust23THRUST_200600_302600_NS6detail15normal_iteratorINSA_10device_ptrIiEEEEPS6_PKS6_NS0_5tupleIJSF_S6_EEENSJ_IJSG_SG_EEENS0_18inequality_wrapperINSA_8equal_toIiEEEEPmJS6_EEE10hipError_tPvRmT3_T4_T5_T6_T7_T9_mT8_P12ihipStream_tbDpT10_ENKUlT_T0_E_clISt17integral_constantIbLb1EES19_IbLb0EEEEDaS15_S16_EUlS15_E_NS1_11comp_targetILNS1_3genE2ELNS1_11target_archE906ELNS1_3gpuE6ELNS1_3repE0EEENS1_30default_config_static_selectorELNS0_4arch9wavefront6targetE1EEEvT1_
; %bb.0:
	s_endpgm
	.section	.rodata,"a",@progbits
	.p2align	6, 0x0
	.amdhsa_kernel _ZN7rocprim17ROCPRIM_400000_NS6detail17trampoline_kernelINS0_14default_configENS1_25partition_config_selectorILNS1_17partition_subalgoE8EiNS0_10empty_typeEbEEZZNS1_14partition_implILS5_8ELb0ES3_jN6thrust23THRUST_200600_302600_NS6detail15normal_iteratorINSA_10device_ptrIiEEEEPS6_PKS6_NS0_5tupleIJSF_S6_EEENSJ_IJSG_SG_EEENS0_18inequality_wrapperINSA_8equal_toIiEEEEPmJS6_EEE10hipError_tPvRmT3_T4_T5_T6_T7_T9_mT8_P12ihipStream_tbDpT10_ENKUlT_T0_E_clISt17integral_constantIbLb1EES19_IbLb0EEEEDaS15_S16_EUlS15_E_NS1_11comp_targetILNS1_3genE2ELNS1_11target_archE906ELNS1_3gpuE6ELNS1_3repE0EEENS1_30default_config_static_selectorELNS0_4arch9wavefront6targetE1EEEvT1_
		.amdhsa_group_segment_fixed_size 0
		.amdhsa_private_segment_fixed_size 0
		.amdhsa_kernarg_size 112
		.amdhsa_user_sgpr_count 6
		.amdhsa_user_sgpr_private_segment_buffer 1
		.amdhsa_user_sgpr_dispatch_ptr 0
		.amdhsa_user_sgpr_queue_ptr 0
		.amdhsa_user_sgpr_kernarg_segment_ptr 1
		.amdhsa_user_sgpr_dispatch_id 0
		.amdhsa_user_sgpr_flat_scratch_init 0
		.amdhsa_user_sgpr_private_segment_size 0
		.amdhsa_uses_dynamic_stack 0
		.amdhsa_system_sgpr_private_segment_wavefront_offset 0
		.amdhsa_system_sgpr_workgroup_id_x 1
		.amdhsa_system_sgpr_workgroup_id_y 0
		.amdhsa_system_sgpr_workgroup_id_z 0
		.amdhsa_system_sgpr_workgroup_info 0
		.amdhsa_system_vgpr_workitem_id 0
		.amdhsa_next_free_vgpr 1
		.amdhsa_next_free_sgpr 0
		.amdhsa_reserve_vcc 0
		.amdhsa_reserve_flat_scratch 0
		.amdhsa_float_round_mode_32 0
		.amdhsa_float_round_mode_16_64 0
		.amdhsa_float_denorm_mode_32 3
		.amdhsa_float_denorm_mode_16_64 3
		.amdhsa_dx10_clamp 1
		.amdhsa_ieee_mode 1
		.amdhsa_fp16_overflow 0
		.amdhsa_exception_fp_ieee_invalid_op 0
		.amdhsa_exception_fp_denorm_src 0
		.amdhsa_exception_fp_ieee_div_zero 0
		.amdhsa_exception_fp_ieee_overflow 0
		.amdhsa_exception_fp_ieee_underflow 0
		.amdhsa_exception_fp_ieee_inexact 0
		.amdhsa_exception_int_div_zero 0
	.end_amdhsa_kernel
	.section	.text._ZN7rocprim17ROCPRIM_400000_NS6detail17trampoline_kernelINS0_14default_configENS1_25partition_config_selectorILNS1_17partition_subalgoE8EiNS0_10empty_typeEbEEZZNS1_14partition_implILS5_8ELb0ES3_jN6thrust23THRUST_200600_302600_NS6detail15normal_iteratorINSA_10device_ptrIiEEEEPS6_PKS6_NS0_5tupleIJSF_S6_EEENSJ_IJSG_SG_EEENS0_18inequality_wrapperINSA_8equal_toIiEEEEPmJS6_EEE10hipError_tPvRmT3_T4_T5_T6_T7_T9_mT8_P12ihipStream_tbDpT10_ENKUlT_T0_E_clISt17integral_constantIbLb1EES19_IbLb0EEEEDaS15_S16_EUlS15_E_NS1_11comp_targetILNS1_3genE2ELNS1_11target_archE906ELNS1_3gpuE6ELNS1_3repE0EEENS1_30default_config_static_selectorELNS0_4arch9wavefront6targetE1EEEvT1_,"axG",@progbits,_ZN7rocprim17ROCPRIM_400000_NS6detail17trampoline_kernelINS0_14default_configENS1_25partition_config_selectorILNS1_17partition_subalgoE8EiNS0_10empty_typeEbEEZZNS1_14partition_implILS5_8ELb0ES3_jN6thrust23THRUST_200600_302600_NS6detail15normal_iteratorINSA_10device_ptrIiEEEEPS6_PKS6_NS0_5tupleIJSF_S6_EEENSJ_IJSG_SG_EEENS0_18inequality_wrapperINSA_8equal_toIiEEEEPmJS6_EEE10hipError_tPvRmT3_T4_T5_T6_T7_T9_mT8_P12ihipStream_tbDpT10_ENKUlT_T0_E_clISt17integral_constantIbLb1EES19_IbLb0EEEEDaS15_S16_EUlS15_E_NS1_11comp_targetILNS1_3genE2ELNS1_11target_archE906ELNS1_3gpuE6ELNS1_3repE0EEENS1_30default_config_static_selectorELNS0_4arch9wavefront6targetE1EEEvT1_,comdat
.Lfunc_end424:
	.size	_ZN7rocprim17ROCPRIM_400000_NS6detail17trampoline_kernelINS0_14default_configENS1_25partition_config_selectorILNS1_17partition_subalgoE8EiNS0_10empty_typeEbEEZZNS1_14partition_implILS5_8ELb0ES3_jN6thrust23THRUST_200600_302600_NS6detail15normal_iteratorINSA_10device_ptrIiEEEEPS6_PKS6_NS0_5tupleIJSF_S6_EEENSJ_IJSG_SG_EEENS0_18inequality_wrapperINSA_8equal_toIiEEEEPmJS6_EEE10hipError_tPvRmT3_T4_T5_T6_T7_T9_mT8_P12ihipStream_tbDpT10_ENKUlT_T0_E_clISt17integral_constantIbLb1EES19_IbLb0EEEEDaS15_S16_EUlS15_E_NS1_11comp_targetILNS1_3genE2ELNS1_11target_archE906ELNS1_3gpuE6ELNS1_3repE0EEENS1_30default_config_static_selectorELNS0_4arch9wavefront6targetE1EEEvT1_, .Lfunc_end424-_ZN7rocprim17ROCPRIM_400000_NS6detail17trampoline_kernelINS0_14default_configENS1_25partition_config_selectorILNS1_17partition_subalgoE8EiNS0_10empty_typeEbEEZZNS1_14partition_implILS5_8ELb0ES3_jN6thrust23THRUST_200600_302600_NS6detail15normal_iteratorINSA_10device_ptrIiEEEEPS6_PKS6_NS0_5tupleIJSF_S6_EEENSJ_IJSG_SG_EEENS0_18inequality_wrapperINSA_8equal_toIiEEEEPmJS6_EEE10hipError_tPvRmT3_T4_T5_T6_T7_T9_mT8_P12ihipStream_tbDpT10_ENKUlT_T0_E_clISt17integral_constantIbLb1EES19_IbLb0EEEEDaS15_S16_EUlS15_E_NS1_11comp_targetILNS1_3genE2ELNS1_11target_archE906ELNS1_3gpuE6ELNS1_3repE0EEENS1_30default_config_static_selectorELNS0_4arch9wavefront6targetE1EEEvT1_
                                        ; -- End function
	.set _ZN7rocprim17ROCPRIM_400000_NS6detail17trampoline_kernelINS0_14default_configENS1_25partition_config_selectorILNS1_17partition_subalgoE8EiNS0_10empty_typeEbEEZZNS1_14partition_implILS5_8ELb0ES3_jN6thrust23THRUST_200600_302600_NS6detail15normal_iteratorINSA_10device_ptrIiEEEEPS6_PKS6_NS0_5tupleIJSF_S6_EEENSJ_IJSG_SG_EEENS0_18inequality_wrapperINSA_8equal_toIiEEEEPmJS6_EEE10hipError_tPvRmT3_T4_T5_T6_T7_T9_mT8_P12ihipStream_tbDpT10_ENKUlT_T0_E_clISt17integral_constantIbLb1EES19_IbLb0EEEEDaS15_S16_EUlS15_E_NS1_11comp_targetILNS1_3genE2ELNS1_11target_archE906ELNS1_3gpuE6ELNS1_3repE0EEENS1_30default_config_static_selectorELNS0_4arch9wavefront6targetE1EEEvT1_.num_vgpr, 0
	.set _ZN7rocprim17ROCPRIM_400000_NS6detail17trampoline_kernelINS0_14default_configENS1_25partition_config_selectorILNS1_17partition_subalgoE8EiNS0_10empty_typeEbEEZZNS1_14partition_implILS5_8ELb0ES3_jN6thrust23THRUST_200600_302600_NS6detail15normal_iteratorINSA_10device_ptrIiEEEEPS6_PKS6_NS0_5tupleIJSF_S6_EEENSJ_IJSG_SG_EEENS0_18inequality_wrapperINSA_8equal_toIiEEEEPmJS6_EEE10hipError_tPvRmT3_T4_T5_T6_T7_T9_mT8_P12ihipStream_tbDpT10_ENKUlT_T0_E_clISt17integral_constantIbLb1EES19_IbLb0EEEEDaS15_S16_EUlS15_E_NS1_11comp_targetILNS1_3genE2ELNS1_11target_archE906ELNS1_3gpuE6ELNS1_3repE0EEENS1_30default_config_static_selectorELNS0_4arch9wavefront6targetE1EEEvT1_.num_agpr, 0
	.set _ZN7rocprim17ROCPRIM_400000_NS6detail17trampoline_kernelINS0_14default_configENS1_25partition_config_selectorILNS1_17partition_subalgoE8EiNS0_10empty_typeEbEEZZNS1_14partition_implILS5_8ELb0ES3_jN6thrust23THRUST_200600_302600_NS6detail15normal_iteratorINSA_10device_ptrIiEEEEPS6_PKS6_NS0_5tupleIJSF_S6_EEENSJ_IJSG_SG_EEENS0_18inequality_wrapperINSA_8equal_toIiEEEEPmJS6_EEE10hipError_tPvRmT3_T4_T5_T6_T7_T9_mT8_P12ihipStream_tbDpT10_ENKUlT_T0_E_clISt17integral_constantIbLb1EES19_IbLb0EEEEDaS15_S16_EUlS15_E_NS1_11comp_targetILNS1_3genE2ELNS1_11target_archE906ELNS1_3gpuE6ELNS1_3repE0EEENS1_30default_config_static_selectorELNS0_4arch9wavefront6targetE1EEEvT1_.numbered_sgpr, 0
	.set _ZN7rocprim17ROCPRIM_400000_NS6detail17trampoline_kernelINS0_14default_configENS1_25partition_config_selectorILNS1_17partition_subalgoE8EiNS0_10empty_typeEbEEZZNS1_14partition_implILS5_8ELb0ES3_jN6thrust23THRUST_200600_302600_NS6detail15normal_iteratorINSA_10device_ptrIiEEEEPS6_PKS6_NS0_5tupleIJSF_S6_EEENSJ_IJSG_SG_EEENS0_18inequality_wrapperINSA_8equal_toIiEEEEPmJS6_EEE10hipError_tPvRmT3_T4_T5_T6_T7_T9_mT8_P12ihipStream_tbDpT10_ENKUlT_T0_E_clISt17integral_constantIbLb1EES19_IbLb0EEEEDaS15_S16_EUlS15_E_NS1_11comp_targetILNS1_3genE2ELNS1_11target_archE906ELNS1_3gpuE6ELNS1_3repE0EEENS1_30default_config_static_selectorELNS0_4arch9wavefront6targetE1EEEvT1_.num_named_barrier, 0
	.set _ZN7rocprim17ROCPRIM_400000_NS6detail17trampoline_kernelINS0_14default_configENS1_25partition_config_selectorILNS1_17partition_subalgoE8EiNS0_10empty_typeEbEEZZNS1_14partition_implILS5_8ELb0ES3_jN6thrust23THRUST_200600_302600_NS6detail15normal_iteratorINSA_10device_ptrIiEEEEPS6_PKS6_NS0_5tupleIJSF_S6_EEENSJ_IJSG_SG_EEENS0_18inequality_wrapperINSA_8equal_toIiEEEEPmJS6_EEE10hipError_tPvRmT3_T4_T5_T6_T7_T9_mT8_P12ihipStream_tbDpT10_ENKUlT_T0_E_clISt17integral_constantIbLb1EES19_IbLb0EEEEDaS15_S16_EUlS15_E_NS1_11comp_targetILNS1_3genE2ELNS1_11target_archE906ELNS1_3gpuE6ELNS1_3repE0EEENS1_30default_config_static_selectorELNS0_4arch9wavefront6targetE1EEEvT1_.private_seg_size, 0
	.set _ZN7rocprim17ROCPRIM_400000_NS6detail17trampoline_kernelINS0_14default_configENS1_25partition_config_selectorILNS1_17partition_subalgoE8EiNS0_10empty_typeEbEEZZNS1_14partition_implILS5_8ELb0ES3_jN6thrust23THRUST_200600_302600_NS6detail15normal_iteratorINSA_10device_ptrIiEEEEPS6_PKS6_NS0_5tupleIJSF_S6_EEENSJ_IJSG_SG_EEENS0_18inequality_wrapperINSA_8equal_toIiEEEEPmJS6_EEE10hipError_tPvRmT3_T4_T5_T6_T7_T9_mT8_P12ihipStream_tbDpT10_ENKUlT_T0_E_clISt17integral_constantIbLb1EES19_IbLb0EEEEDaS15_S16_EUlS15_E_NS1_11comp_targetILNS1_3genE2ELNS1_11target_archE906ELNS1_3gpuE6ELNS1_3repE0EEENS1_30default_config_static_selectorELNS0_4arch9wavefront6targetE1EEEvT1_.uses_vcc, 0
	.set _ZN7rocprim17ROCPRIM_400000_NS6detail17trampoline_kernelINS0_14default_configENS1_25partition_config_selectorILNS1_17partition_subalgoE8EiNS0_10empty_typeEbEEZZNS1_14partition_implILS5_8ELb0ES3_jN6thrust23THRUST_200600_302600_NS6detail15normal_iteratorINSA_10device_ptrIiEEEEPS6_PKS6_NS0_5tupleIJSF_S6_EEENSJ_IJSG_SG_EEENS0_18inequality_wrapperINSA_8equal_toIiEEEEPmJS6_EEE10hipError_tPvRmT3_T4_T5_T6_T7_T9_mT8_P12ihipStream_tbDpT10_ENKUlT_T0_E_clISt17integral_constantIbLb1EES19_IbLb0EEEEDaS15_S16_EUlS15_E_NS1_11comp_targetILNS1_3genE2ELNS1_11target_archE906ELNS1_3gpuE6ELNS1_3repE0EEENS1_30default_config_static_selectorELNS0_4arch9wavefront6targetE1EEEvT1_.uses_flat_scratch, 0
	.set _ZN7rocprim17ROCPRIM_400000_NS6detail17trampoline_kernelINS0_14default_configENS1_25partition_config_selectorILNS1_17partition_subalgoE8EiNS0_10empty_typeEbEEZZNS1_14partition_implILS5_8ELb0ES3_jN6thrust23THRUST_200600_302600_NS6detail15normal_iteratorINSA_10device_ptrIiEEEEPS6_PKS6_NS0_5tupleIJSF_S6_EEENSJ_IJSG_SG_EEENS0_18inequality_wrapperINSA_8equal_toIiEEEEPmJS6_EEE10hipError_tPvRmT3_T4_T5_T6_T7_T9_mT8_P12ihipStream_tbDpT10_ENKUlT_T0_E_clISt17integral_constantIbLb1EES19_IbLb0EEEEDaS15_S16_EUlS15_E_NS1_11comp_targetILNS1_3genE2ELNS1_11target_archE906ELNS1_3gpuE6ELNS1_3repE0EEENS1_30default_config_static_selectorELNS0_4arch9wavefront6targetE1EEEvT1_.has_dyn_sized_stack, 0
	.set _ZN7rocprim17ROCPRIM_400000_NS6detail17trampoline_kernelINS0_14default_configENS1_25partition_config_selectorILNS1_17partition_subalgoE8EiNS0_10empty_typeEbEEZZNS1_14partition_implILS5_8ELb0ES3_jN6thrust23THRUST_200600_302600_NS6detail15normal_iteratorINSA_10device_ptrIiEEEEPS6_PKS6_NS0_5tupleIJSF_S6_EEENSJ_IJSG_SG_EEENS0_18inequality_wrapperINSA_8equal_toIiEEEEPmJS6_EEE10hipError_tPvRmT3_T4_T5_T6_T7_T9_mT8_P12ihipStream_tbDpT10_ENKUlT_T0_E_clISt17integral_constantIbLb1EES19_IbLb0EEEEDaS15_S16_EUlS15_E_NS1_11comp_targetILNS1_3genE2ELNS1_11target_archE906ELNS1_3gpuE6ELNS1_3repE0EEENS1_30default_config_static_selectorELNS0_4arch9wavefront6targetE1EEEvT1_.has_recursion, 0
	.set _ZN7rocprim17ROCPRIM_400000_NS6detail17trampoline_kernelINS0_14default_configENS1_25partition_config_selectorILNS1_17partition_subalgoE8EiNS0_10empty_typeEbEEZZNS1_14partition_implILS5_8ELb0ES3_jN6thrust23THRUST_200600_302600_NS6detail15normal_iteratorINSA_10device_ptrIiEEEEPS6_PKS6_NS0_5tupleIJSF_S6_EEENSJ_IJSG_SG_EEENS0_18inequality_wrapperINSA_8equal_toIiEEEEPmJS6_EEE10hipError_tPvRmT3_T4_T5_T6_T7_T9_mT8_P12ihipStream_tbDpT10_ENKUlT_T0_E_clISt17integral_constantIbLb1EES19_IbLb0EEEEDaS15_S16_EUlS15_E_NS1_11comp_targetILNS1_3genE2ELNS1_11target_archE906ELNS1_3gpuE6ELNS1_3repE0EEENS1_30default_config_static_selectorELNS0_4arch9wavefront6targetE1EEEvT1_.has_indirect_call, 0
	.section	.AMDGPU.csdata,"",@progbits
; Kernel info:
; codeLenInByte = 4
; TotalNumSgprs: 4
; NumVgprs: 0
; ScratchSize: 0
; MemoryBound: 0
; FloatMode: 240
; IeeeMode: 1
; LDSByteSize: 0 bytes/workgroup (compile time only)
; SGPRBlocks: 0
; VGPRBlocks: 0
; NumSGPRsForWavesPerEU: 4
; NumVGPRsForWavesPerEU: 1
; Occupancy: 10
; WaveLimiterHint : 0
; COMPUTE_PGM_RSRC2:SCRATCH_EN: 0
; COMPUTE_PGM_RSRC2:USER_SGPR: 6
; COMPUTE_PGM_RSRC2:TRAP_HANDLER: 0
; COMPUTE_PGM_RSRC2:TGID_X_EN: 1
; COMPUTE_PGM_RSRC2:TGID_Y_EN: 0
; COMPUTE_PGM_RSRC2:TGID_Z_EN: 0
; COMPUTE_PGM_RSRC2:TIDIG_COMP_CNT: 0
	.section	.text._ZN7rocprim17ROCPRIM_400000_NS6detail17trampoline_kernelINS0_14default_configENS1_25partition_config_selectorILNS1_17partition_subalgoE8EiNS0_10empty_typeEbEEZZNS1_14partition_implILS5_8ELb0ES3_jN6thrust23THRUST_200600_302600_NS6detail15normal_iteratorINSA_10device_ptrIiEEEEPS6_PKS6_NS0_5tupleIJSF_S6_EEENSJ_IJSG_SG_EEENS0_18inequality_wrapperINSA_8equal_toIiEEEEPmJS6_EEE10hipError_tPvRmT3_T4_T5_T6_T7_T9_mT8_P12ihipStream_tbDpT10_ENKUlT_T0_E_clISt17integral_constantIbLb1EES19_IbLb0EEEEDaS15_S16_EUlS15_E_NS1_11comp_targetILNS1_3genE10ELNS1_11target_archE1200ELNS1_3gpuE4ELNS1_3repE0EEENS1_30default_config_static_selectorELNS0_4arch9wavefront6targetE1EEEvT1_,"axG",@progbits,_ZN7rocprim17ROCPRIM_400000_NS6detail17trampoline_kernelINS0_14default_configENS1_25partition_config_selectorILNS1_17partition_subalgoE8EiNS0_10empty_typeEbEEZZNS1_14partition_implILS5_8ELb0ES3_jN6thrust23THRUST_200600_302600_NS6detail15normal_iteratorINSA_10device_ptrIiEEEEPS6_PKS6_NS0_5tupleIJSF_S6_EEENSJ_IJSG_SG_EEENS0_18inequality_wrapperINSA_8equal_toIiEEEEPmJS6_EEE10hipError_tPvRmT3_T4_T5_T6_T7_T9_mT8_P12ihipStream_tbDpT10_ENKUlT_T0_E_clISt17integral_constantIbLb1EES19_IbLb0EEEEDaS15_S16_EUlS15_E_NS1_11comp_targetILNS1_3genE10ELNS1_11target_archE1200ELNS1_3gpuE4ELNS1_3repE0EEENS1_30default_config_static_selectorELNS0_4arch9wavefront6targetE1EEEvT1_,comdat
	.protected	_ZN7rocprim17ROCPRIM_400000_NS6detail17trampoline_kernelINS0_14default_configENS1_25partition_config_selectorILNS1_17partition_subalgoE8EiNS0_10empty_typeEbEEZZNS1_14partition_implILS5_8ELb0ES3_jN6thrust23THRUST_200600_302600_NS6detail15normal_iteratorINSA_10device_ptrIiEEEEPS6_PKS6_NS0_5tupleIJSF_S6_EEENSJ_IJSG_SG_EEENS0_18inequality_wrapperINSA_8equal_toIiEEEEPmJS6_EEE10hipError_tPvRmT3_T4_T5_T6_T7_T9_mT8_P12ihipStream_tbDpT10_ENKUlT_T0_E_clISt17integral_constantIbLb1EES19_IbLb0EEEEDaS15_S16_EUlS15_E_NS1_11comp_targetILNS1_3genE10ELNS1_11target_archE1200ELNS1_3gpuE4ELNS1_3repE0EEENS1_30default_config_static_selectorELNS0_4arch9wavefront6targetE1EEEvT1_ ; -- Begin function _ZN7rocprim17ROCPRIM_400000_NS6detail17trampoline_kernelINS0_14default_configENS1_25partition_config_selectorILNS1_17partition_subalgoE8EiNS0_10empty_typeEbEEZZNS1_14partition_implILS5_8ELb0ES3_jN6thrust23THRUST_200600_302600_NS6detail15normal_iteratorINSA_10device_ptrIiEEEEPS6_PKS6_NS0_5tupleIJSF_S6_EEENSJ_IJSG_SG_EEENS0_18inequality_wrapperINSA_8equal_toIiEEEEPmJS6_EEE10hipError_tPvRmT3_T4_T5_T6_T7_T9_mT8_P12ihipStream_tbDpT10_ENKUlT_T0_E_clISt17integral_constantIbLb1EES19_IbLb0EEEEDaS15_S16_EUlS15_E_NS1_11comp_targetILNS1_3genE10ELNS1_11target_archE1200ELNS1_3gpuE4ELNS1_3repE0EEENS1_30default_config_static_selectorELNS0_4arch9wavefront6targetE1EEEvT1_
	.globl	_ZN7rocprim17ROCPRIM_400000_NS6detail17trampoline_kernelINS0_14default_configENS1_25partition_config_selectorILNS1_17partition_subalgoE8EiNS0_10empty_typeEbEEZZNS1_14partition_implILS5_8ELb0ES3_jN6thrust23THRUST_200600_302600_NS6detail15normal_iteratorINSA_10device_ptrIiEEEEPS6_PKS6_NS0_5tupleIJSF_S6_EEENSJ_IJSG_SG_EEENS0_18inequality_wrapperINSA_8equal_toIiEEEEPmJS6_EEE10hipError_tPvRmT3_T4_T5_T6_T7_T9_mT8_P12ihipStream_tbDpT10_ENKUlT_T0_E_clISt17integral_constantIbLb1EES19_IbLb0EEEEDaS15_S16_EUlS15_E_NS1_11comp_targetILNS1_3genE10ELNS1_11target_archE1200ELNS1_3gpuE4ELNS1_3repE0EEENS1_30default_config_static_selectorELNS0_4arch9wavefront6targetE1EEEvT1_
	.p2align	8
	.type	_ZN7rocprim17ROCPRIM_400000_NS6detail17trampoline_kernelINS0_14default_configENS1_25partition_config_selectorILNS1_17partition_subalgoE8EiNS0_10empty_typeEbEEZZNS1_14partition_implILS5_8ELb0ES3_jN6thrust23THRUST_200600_302600_NS6detail15normal_iteratorINSA_10device_ptrIiEEEEPS6_PKS6_NS0_5tupleIJSF_S6_EEENSJ_IJSG_SG_EEENS0_18inequality_wrapperINSA_8equal_toIiEEEEPmJS6_EEE10hipError_tPvRmT3_T4_T5_T6_T7_T9_mT8_P12ihipStream_tbDpT10_ENKUlT_T0_E_clISt17integral_constantIbLb1EES19_IbLb0EEEEDaS15_S16_EUlS15_E_NS1_11comp_targetILNS1_3genE10ELNS1_11target_archE1200ELNS1_3gpuE4ELNS1_3repE0EEENS1_30default_config_static_selectorELNS0_4arch9wavefront6targetE1EEEvT1_,@function
_ZN7rocprim17ROCPRIM_400000_NS6detail17trampoline_kernelINS0_14default_configENS1_25partition_config_selectorILNS1_17partition_subalgoE8EiNS0_10empty_typeEbEEZZNS1_14partition_implILS5_8ELb0ES3_jN6thrust23THRUST_200600_302600_NS6detail15normal_iteratorINSA_10device_ptrIiEEEEPS6_PKS6_NS0_5tupleIJSF_S6_EEENSJ_IJSG_SG_EEENS0_18inequality_wrapperINSA_8equal_toIiEEEEPmJS6_EEE10hipError_tPvRmT3_T4_T5_T6_T7_T9_mT8_P12ihipStream_tbDpT10_ENKUlT_T0_E_clISt17integral_constantIbLb1EES19_IbLb0EEEEDaS15_S16_EUlS15_E_NS1_11comp_targetILNS1_3genE10ELNS1_11target_archE1200ELNS1_3gpuE4ELNS1_3repE0EEENS1_30default_config_static_selectorELNS0_4arch9wavefront6targetE1EEEvT1_: ; @_ZN7rocprim17ROCPRIM_400000_NS6detail17trampoline_kernelINS0_14default_configENS1_25partition_config_selectorILNS1_17partition_subalgoE8EiNS0_10empty_typeEbEEZZNS1_14partition_implILS5_8ELb0ES3_jN6thrust23THRUST_200600_302600_NS6detail15normal_iteratorINSA_10device_ptrIiEEEEPS6_PKS6_NS0_5tupleIJSF_S6_EEENSJ_IJSG_SG_EEENS0_18inequality_wrapperINSA_8equal_toIiEEEEPmJS6_EEE10hipError_tPvRmT3_T4_T5_T6_T7_T9_mT8_P12ihipStream_tbDpT10_ENKUlT_T0_E_clISt17integral_constantIbLb1EES19_IbLb0EEEEDaS15_S16_EUlS15_E_NS1_11comp_targetILNS1_3genE10ELNS1_11target_archE1200ELNS1_3gpuE4ELNS1_3repE0EEENS1_30default_config_static_selectorELNS0_4arch9wavefront6targetE1EEEvT1_
; %bb.0:
	.section	.rodata,"a",@progbits
	.p2align	6, 0x0
	.amdhsa_kernel _ZN7rocprim17ROCPRIM_400000_NS6detail17trampoline_kernelINS0_14default_configENS1_25partition_config_selectorILNS1_17partition_subalgoE8EiNS0_10empty_typeEbEEZZNS1_14partition_implILS5_8ELb0ES3_jN6thrust23THRUST_200600_302600_NS6detail15normal_iteratorINSA_10device_ptrIiEEEEPS6_PKS6_NS0_5tupleIJSF_S6_EEENSJ_IJSG_SG_EEENS0_18inequality_wrapperINSA_8equal_toIiEEEEPmJS6_EEE10hipError_tPvRmT3_T4_T5_T6_T7_T9_mT8_P12ihipStream_tbDpT10_ENKUlT_T0_E_clISt17integral_constantIbLb1EES19_IbLb0EEEEDaS15_S16_EUlS15_E_NS1_11comp_targetILNS1_3genE10ELNS1_11target_archE1200ELNS1_3gpuE4ELNS1_3repE0EEENS1_30default_config_static_selectorELNS0_4arch9wavefront6targetE1EEEvT1_
		.amdhsa_group_segment_fixed_size 0
		.amdhsa_private_segment_fixed_size 0
		.amdhsa_kernarg_size 112
		.amdhsa_user_sgpr_count 6
		.amdhsa_user_sgpr_private_segment_buffer 1
		.amdhsa_user_sgpr_dispatch_ptr 0
		.amdhsa_user_sgpr_queue_ptr 0
		.amdhsa_user_sgpr_kernarg_segment_ptr 1
		.amdhsa_user_sgpr_dispatch_id 0
		.amdhsa_user_sgpr_flat_scratch_init 0
		.amdhsa_user_sgpr_private_segment_size 0
		.amdhsa_uses_dynamic_stack 0
		.amdhsa_system_sgpr_private_segment_wavefront_offset 0
		.amdhsa_system_sgpr_workgroup_id_x 1
		.amdhsa_system_sgpr_workgroup_id_y 0
		.amdhsa_system_sgpr_workgroup_id_z 0
		.amdhsa_system_sgpr_workgroup_info 0
		.amdhsa_system_vgpr_workitem_id 0
		.amdhsa_next_free_vgpr 1
		.amdhsa_next_free_sgpr 0
		.amdhsa_reserve_vcc 0
		.amdhsa_reserve_flat_scratch 0
		.amdhsa_float_round_mode_32 0
		.amdhsa_float_round_mode_16_64 0
		.amdhsa_float_denorm_mode_32 3
		.amdhsa_float_denorm_mode_16_64 3
		.amdhsa_dx10_clamp 1
		.amdhsa_ieee_mode 1
		.amdhsa_fp16_overflow 0
		.amdhsa_exception_fp_ieee_invalid_op 0
		.amdhsa_exception_fp_denorm_src 0
		.amdhsa_exception_fp_ieee_div_zero 0
		.amdhsa_exception_fp_ieee_overflow 0
		.amdhsa_exception_fp_ieee_underflow 0
		.amdhsa_exception_fp_ieee_inexact 0
		.amdhsa_exception_int_div_zero 0
	.end_amdhsa_kernel
	.section	.text._ZN7rocprim17ROCPRIM_400000_NS6detail17trampoline_kernelINS0_14default_configENS1_25partition_config_selectorILNS1_17partition_subalgoE8EiNS0_10empty_typeEbEEZZNS1_14partition_implILS5_8ELb0ES3_jN6thrust23THRUST_200600_302600_NS6detail15normal_iteratorINSA_10device_ptrIiEEEEPS6_PKS6_NS0_5tupleIJSF_S6_EEENSJ_IJSG_SG_EEENS0_18inequality_wrapperINSA_8equal_toIiEEEEPmJS6_EEE10hipError_tPvRmT3_T4_T5_T6_T7_T9_mT8_P12ihipStream_tbDpT10_ENKUlT_T0_E_clISt17integral_constantIbLb1EES19_IbLb0EEEEDaS15_S16_EUlS15_E_NS1_11comp_targetILNS1_3genE10ELNS1_11target_archE1200ELNS1_3gpuE4ELNS1_3repE0EEENS1_30default_config_static_selectorELNS0_4arch9wavefront6targetE1EEEvT1_,"axG",@progbits,_ZN7rocprim17ROCPRIM_400000_NS6detail17trampoline_kernelINS0_14default_configENS1_25partition_config_selectorILNS1_17partition_subalgoE8EiNS0_10empty_typeEbEEZZNS1_14partition_implILS5_8ELb0ES3_jN6thrust23THRUST_200600_302600_NS6detail15normal_iteratorINSA_10device_ptrIiEEEEPS6_PKS6_NS0_5tupleIJSF_S6_EEENSJ_IJSG_SG_EEENS0_18inequality_wrapperINSA_8equal_toIiEEEEPmJS6_EEE10hipError_tPvRmT3_T4_T5_T6_T7_T9_mT8_P12ihipStream_tbDpT10_ENKUlT_T0_E_clISt17integral_constantIbLb1EES19_IbLb0EEEEDaS15_S16_EUlS15_E_NS1_11comp_targetILNS1_3genE10ELNS1_11target_archE1200ELNS1_3gpuE4ELNS1_3repE0EEENS1_30default_config_static_selectorELNS0_4arch9wavefront6targetE1EEEvT1_,comdat
.Lfunc_end425:
	.size	_ZN7rocprim17ROCPRIM_400000_NS6detail17trampoline_kernelINS0_14default_configENS1_25partition_config_selectorILNS1_17partition_subalgoE8EiNS0_10empty_typeEbEEZZNS1_14partition_implILS5_8ELb0ES3_jN6thrust23THRUST_200600_302600_NS6detail15normal_iteratorINSA_10device_ptrIiEEEEPS6_PKS6_NS0_5tupleIJSF_S6_EEENSJ_IJSG_SG_EEENS0_18inequality_wrapperINSA_8equal_toIiEEEEPmJS6_EEE10hipError_tPvRmT3_T4_T5_T6_T7_T9_mT8_P12ihipStream_tbDpT10_ENKUlT_T0_E_clISt17integral_constantIbLb1EES19_IbLb0EEEEDaS15_S16_EUlS15_E_NS1_11comp_targetILNS1_3genE10ELNS1_11target_archE1200ELNS1_3gpuE4ELNS1_3repE0EEENS1_30default_config_static_selectorELNS0_4arch9wavefront6targetE1EEEvT1_, .Lfunc_end425-_ZN7rocprim17ROCPRIM_400000_NS6detail17trampoline_kernelINS0_14default_configENS1_25partition_config_selectorILNS1_17partition_subalgoE8EiNS0_10empty_typeEbEEZZNS1_14partition_implILS5_8ELb0ES3_jN6thrust23THRUST_200600_302600_NS6detail15normal_iteratorINSA_10device_ptrIiEEEEPS6_PKS6_NS0_5tupleIJSF_S6_EEENSJ_IJSG_SG_EEENS0_18inequality_wrapperINSA_8equal_toIiEEEEPmJS6_EEE10hipError_tPvRmT3_T4_T5_T6_T7_T9_mT8_P12ihipStream_tbDpT10_ENKUlT_T0_E_clISt17integral_constantIbLb1EES19_IbLb0EEEEDaS15_S16_EUlS15_E_NS1_11comp_targetILNS1_3genE10ELNS1_11target_archE1200ELNS1_3gpuE4ELNS1_3repE0EEENS1_30default_config_static_selectorELNS0_4arch9wavefront6targetE1EEEvT1_
                                        ; -- End function
	.set _ZN7rocprim17ROCPRIM_400000_NS6detail17trampoline_kernelINS0_14default_configENS1_25partition_config_selectorILNS1_17partition_subalgoE8EiNS0_10empty_typeEbEEZZNS1_14partition_implILS5_8ELb0ES3_jN6thrust23THRUST_200600_302600_NS6detail15normal_iteratorINSA_10device_ptrIiEEEEPS6_PKS6_NS0_5tupleIJSF_S6_EEENSJ_IJSG_SG_EEENS0_18inequality_wrapperINSA_8equal_toIiEEEEPmJS6_EEE10hipError_tPvRmT3_T4_T5_T6_T7_T9_mT8_P12ihipStream_tbDpT10_ENKUlT_T0_E_clISt17integral_constantIbLb1EES19_IbLb0EEEEDaS15_S16_EUlS15_E_NS1_11comp_targetILNS1_3genE10ELNS1_11target_archE1200ELNS1_3gpuE4ELNS1_3repE0EEENS1_30default_config_static_selectorELNS0_4arch9wavefront6targetE1EEEvT1_.num_vgpr, 0
	.set _ZN7rocprim17ROCPRIM_400000_NS6detail17trampoline_kernelINS0_14default_configENS1_25partition_config_selectorILNS1_17partition_subalgoE8EiNS0_10empty_typeEbEEZZNS1_14partition_implILS5_8ELb0ES3_jN6thrust23THRUST_200600_302600_NS6detail15normal_iteratorINSA_10device_ptrIiEEEEPS6_PKS6_NS0_5tupleIJSF_S6_EEENSJ_IJSG_SG_EEENS0_18inequality_wrapperINSA_8equal_toIiEEEEPmJS6_EEE10hipError_tPvRmT3_T4_T5_T6_T7_T9_mT8_P12ihipStream_tbDpT10_ENKUlT_T0_E_clISt17integral_constantIbLb1EES19_IbLb0EEEEDaS15_S16_EUlS15_E_NS1_11comp_targetILNS1_3genE10ELNS1_11target_archE1200ELNS1_3gpuE4ELNS1_3repE0EEENS1_30default_config_static_selectorELNS0_4arch9wavefront6targetE1EEEvT1_.num_agpr, 0
	.set _ZN7rocprim17ROCPRIM_400000_NS6detail17trampoline_kernelINS0_14default_configENS1_25partition_config_selectorILNS1_17partition_subalgoE8EiNS0_10empty_typeEbEEZZNS1_14partition_implILS5_8ELb0ES3_jN6thrust23THRUST_200600_302600_NS6detail15normal_iteratorINSA_10device_ptrIiEEEEPS6_PKS6_NS0_5tupleIJSF_S6_EEENSJ_IJSG_SG_EEENS0_18inequality_wrapperINSA_8equal_toIiEEEEPmJS6_EEE10hipError_tPvRmT3_T4_T5_T6_T7_T9_mT8_P12ihipStream_tbDpT10_ENKUlT_T0_E_clISt17integral_constantIbLb1EES19_IbLb0EEEEDaS15_S16_EUlS15_E_NS1_11comp_targetILNS1_3genE10ELNS1_11target_archE1200ELNS1_3gpuE4ELNS1_3repE0EEENS1_30default_config_static_selectorELNS0_4arch9wavefront6targetE1EEEvT1_.numbered_sgpr, 0
	.set _ZN7rocprim17ROCPRIM_400000_NS6detail17trampoline_kernelINS0_14default_configENS1_25partition_config_selectorILNS1_17partition_subalgoE8EiNS0_10empty_typeEbEEZZNS1_14partition_implILS5_8ELb0ES3_jN6thrust23THRUST_200600_302600_NS6detail15normal_iteratorINSA_10device_ptrIiEEEEPS6_PKS6_NS0_5tupleIJSF_S6_EEENSJ_IJSG_SG_EEENS0_18inequality_wrapperINSA_8equal_toIiEEEEPmJS6_EEE10hipError_tPvRmT3_T4_T5_T6_T7_T9_mT8_P12ihipStream_tbDpT10_ENKUlT_T0_E_clISt17integral_constantIbLb1EES19_IbLb0EEEEDaS15_S16_EUlS15_E_NS1_11comp_targetILNS1_3genE10ELNS1_11target_archE1200ELNS1_3gpuE4ELNS1_3repE0EEENS1_30default_config_static_selectorELNS0_4arch9wavefront6targetE1EEEvT1_.num_named_barrier, 0
	.set _ZN7rocprim17ROCPRIM_400000_NS6detail17trampoline_kernelINS0_14default_configENS1_25partition_config_selectorILNS1_17partition_subalgoE8EiNS0_10empty_typeEbEEZZNS1_14partition_implILS5_8ELb0ES3_jN6thrust23THRUST_200600_302600_NS6detail15normal_iteratorINSA_10device_ptrIiEEEEPS6_PKS6_NS0_5tupleIJSF_S6_EEENSJ_IJSG_SG_EEENS0_18inequality_wrapperINSA_8equal_toIiEEEEPmJS6_EEE10hipError_tPvRmT3_T4_T5_T6_T7_T9_mT8_P12ihipStream_tbDpT10_ENKUlT_T0_E_clISt17integral_constantIbLb1EES19_IbLb0EEEEDaS15_S16_EUlS15_E_NS1_11comp_targetILNS1_3genE10ELNS1_11target_archE1200ELNS1_3gpuE4ELNS1_3repE0EEENS1_30default_config_static_selectorELNS0_4arch9wavefront6targetE1EEEvT1_.private_seg_size, 0
	.set _ZN7rocprim17ROCPRIM_400000_NS6detail17trampoline_kernelINS0_14default_configENS1_25partition_config_selectorILNS1_17partition_subalgoE8EiNS0_10empty_typeEbEEZZNS1_14partition_implILS5_8ELb0ES3_jN6thrust23THRUST_200600_302600_NS6detail15normal_iteratorINSA_10device_ptrIiEEEEPS6_PKS6_NS0_5tupleIJSF_S6_EEENSJ_IJSG_SG_EEENS0_18inequality_wrapperINSA_8equal_toIiEEEEPmJS6_EEE10hipError_tPvRmT3_T4_T5_T6_T7_T9_mT8_P12ihipStream_tbDpT10_ENKUlT_T0_E_clISt17integral_constantIbLb1EES19_IbLb0EEEEDaS15_S16_EUlS15_E_NS1_11comp_targetILNS1_3genE10ELNS1_11target_archE1200ELNS1_3gpuE4ELNS1_3repE0EEENS1_30default_config_static_selectorELNS0_4arch9wavefront6targetE1EEEvT1_.uses_vcc, 0
	.set _ZN7rocprim17ROCPRIM_400000_NS6detail17trampoline_kernelINS0_14default_configENS1_25partition_config_selectorILNS1_17partition_subalgoE8EiNS0_10empty_typeEbEEZZNS1_14partition_implILS5_8ELb0ES3_jN6thrust23THRUST_200600_302600_NS6detail15normal_iteratorINSA_10device_ptrIiEEEEPS6_PKS6_NS0_5tupleIJSF_S6_EEENSJ_IJSG_SG_EEENS0_18inequality_wrapperINSA_8equal_toIiEEEEPmJS6_EEE10hipError_tPvRmT3_T4_T5_T6_T7_T9_mT8_P12ihipStream_tbDpT10_ENKUlT_T0_E_clISt17integral_constantIbLb1EES19_IbLb0EEEEDaS15_S16_EUlS15_E_NS1_11comp_targetILNS1_3genE10ELNS1_11target_archE1200ELNS1_3gpuE4ELNS1_3repE0EEENS1_30default_config_static_selectorELNS0_4arch9wavefront6targetE1EEEvT1_.uses_flat_scratch, 0
	.set _ZN7rocprim17ROCPRIM_400000_NS6detail17trampoline_kernelINS0_14default_configENS1_25partition_config_selectorILNS1_17partition_subalgoE8EiNS0_10empty_typeEbEEZZNS1_14partition_implILS5_8ELb0ES3_jN6thrust23THRUST_200600_302600_NS6detail15normal_iteratorINSA_10device_ptrIiEEEEPS6_PKS6_NS0_5tupleIJSF_S6_EEENSJ_IJSG_SG_EEENS0_18inequality_wrapperINSA_8equal_toIiEEEEPmJS6_EEE10hipError_tPvRmT3_T4_T5_T6_T7_T9_mT8_P12ihipStream_tbDpT10_ENKUlT_T0_E_clISt17integral_constantIbLb1EES19_IbLb0EEEEDaS15_S16_EUlS15_E_NS1_11comp_targetILNS1_3genE10ELNS1_11target_archE1200ELNS1_3gpuE4ELNS1_3repE0EEENS1_30default_config_static_selectorELNS0_4arch9wavefront6targetE1EEEvT1_.has_dyn_sized_stack, 0
	.set _ZN7rocprim17ROCPRIM_400000_NS6detail17trampoline_kernelINS0_14default_configENS1_25partition_config_selectorILNS1_17partition_subalgoE8EiNS0_10empty_typeEbEEZZNS1_14partition_implILS5_8ELb0ES3_jN6thrust23THRUST_200600_302600_NS6detail15normal_iteratorINSA_10device_ptrIiEEEEPS6_PKS6_NS0_5tupleIJSF_S6_EEENSJ_IJSG_SG_EEENS0_18inequality_wrapperINSA_8equal_toIiEEEEPmJS6_EEE10hipError_tPvRmT3_T4_T5_T6_T7_T9_mT8_P12ihipStream_tbDpT10_ENKUlT_T0_E_clISt17integral_constantIbLb1EES19_IbLb0EEEEDaS15_S16_EUlS15_E_NS1_11comp_targetILNS1_3genE10ELNS1_11target_archE1200ELNS1_3gpuE4ELNS1_3repE0EEENS1_30default_config_static_selectorELNS0_4arch9wavefront6targetE1EEEvT1_.has_recursion, 0
	.set _ZN7rocprim17ROCPRIM_400000_NS6detail17trampoline_kernelINS0_14default_configENS1_25partition_config_selectorILNS1_17partition_subalgoE8EiNS0_10empty_typeEbEEZZNS1_14partition_implILS5_8ELb0ES3_jN6thrust23THRUST_200600_302600_NS6detail15normal_iteratorINSA_10device_ptrIiEEEEPS6_PKS6_NS0_5tupleIJSF_S6_EEENSJ_IJSG_SG_EEENS0_18inequality_wrapperINSA_8equal_toIiEEEEPmJS6_EEE10hipError_tPvRmT3_T4_T5_T6_T7_T9_mT8_P12ihipStream_tbDpT10_ENKUlT_T0_E_clISt17integral_constantIbLb1EES19_IbLb0EEEEDaS15_S16_EUlS15_E_NS1_11comp_targetILNS1_3genE10ELNS1_11target_archE1200ELNS1_3gpuE4ELNS1_3repE0EEENS1_30default_config_static_selectorELNS0_4arch9wavefront6targetE1EEEvT1_.has_indirect_call, 0
	.section	.AMDGPU.csdata,"",@progbits
; Kernel info:
; codeLenInByte = 0
; TotalNumSgprs: 4
; NumVgprs: 0
; ScratchSize: 0
; MemoryBound: 0
; FloatMode: 240
; IeeeMode: 1
; LDSByteSize: 0 bytes/workgroup (compile time only)
; SGPRBlocks: 0
; VGPRBlocks: 0
; NumSGPRsForWavesPerEU: 4
; NumVGPRsForWavesPerEU: 1
; Occupancy: 10
; WaveLimiterHint : 0
; COMPUTE_PGM_RSRC2:SCRATCH_EN: 0
; COMPUTE_PGM_RSRC2:USER_SGPR: 6
; COMPUTE_PGM_RSRC2:TRAP_HANDLER: 0
; COMPUTE_PGM_RSRC2:TGID_X_EN: 1
; COMPUTE_PGM_RSRC2:TGID_Y_EN: 0
; COMPUTE_PGM_RSRC2:TGID_Z_EN: 0
; COMPUTE_PGM_RSRC2:TIDIG_COMP_CNT: 0
	.section	.text._ZN7rocprim17ROCPRIM_400000_NS6detail17trampoline_kernelINS0_14default_configENS1_25partition_config_selectorILNS1_17partition_subalgoE8EiNS0_10empty_typeEbEEZZNS1_14partition_implILS5_8ELb0ES3_jN6thrust23THRUST_200600_302600_NS6detail15normal_iteratorINSA_10device_ptrIiEEEEPS6_PKS6_NS0_5tupleIJSF_S6_EEENSJ_IJSG_SG_EEENS0_18inequality_wrapperINSA_8equal_toIiEEEEPmJS6_EEE10hipError_tPvRmT3_T4_T5_T6_T7_T9_mT8_P12ihipStream_tbDpT10_ENKUlT_T0_E_clISt17integral_constantIbLb1EES19_IbLb0EEEEDaS15_S16_EUlS15_E_NS1_11comp_targetILNS1_3genE9ELNS1_11target_archE1100ELNS1_3gpuE3ELNS1_3repE0EEENS1_30default_config_static_selectorELNS0_4arch9wavefront6targetE1EEEvT1_,"axG",@progbits,_ZN7rocprim17ROCPRIM_400000_NS6detail17trampoline_kernelINS0_14default_configENS1_25partition_config_selectorILNS1_17partition_subalgoE8EiNS0_10empty_typeEbEEZZNS1_14partition_implILS5_8ELb0ES3_jN6thrust23THRUST_200600_302600_NS6detail15normal_iteratorINSA_10device_ptrIiEEEEPS6_PKS6_NS0_5tupleIJSF_S6_EEENSJ_IJSG_SG_EEENS0_18inequality_wrapperINSA_8equal_toIiEEEEPmJS6_EEE10hipError_tPvRmT3_T4_T5_T6_T7_T9_mT8_P12ihipStream_tbDpT10_ENKUlT_T0_E_clISt17integral_constantIbLb1EES19_IbLb0EEEEDaS15_S16_EUlS15_E_NS1_11comp_targetILNS1_3genE9ELNS1_11target_archE1100ELNS1_3gpuE3ELNS1_3repE0EEENS1_30default_config_static_selectorELNS0_4arch9wavefront6targetE1EEEvT1_,comdat
	.protected	_ZN7rocprim17ROCPRIM_400000_NS6detail17trampoline_kernelINS0_14default_configENS1_25partition_config_selectorILNS1_17partition_subalgoE8EiNS0_10empty_typeEbEEZZNS1_14partition_implILS5_8ELb0ES3_jN6thrust23THRUST_200600_302600_NS6detail15normal_iteratorINSA_10device_ptrIiEEEEPS6_PKS6_NS0_5tupleIJSF_S6_EEENSJ_IJSG_SG_EEENS0_18inequality_wrapperINSA_8equal_toIiEEEEPmJS6_EEE10hipError_tPvRmT3_T4_T5_T6_T7_T9_mT8_P12ihipStream_tbDpT10_ENKUlT_T0_E_clISt17integral_constantIbLb1EES19_IbLb0EEEEDaS15_S16_EUlS15_E_NS1_11comp_targetILNS1_3genE9ELNS1_11target_archE1100ELNS1_3gpuE3ELNS1_3repE0EEENS1_30default_config_static_selectorELNS0_4arch9wavefront6targetE1EEEvT1_ ; -- Begin function _ZN7rocprim17ROCPRIM_400000_NS6detail17trampoline_kernelINS0_14default_configENS1_25partition_config_selectorILNS1_17partition_subalgoE8EiNS0_10empty_typeEbEEZZNS1_14partition_implILS5_8ELb0ES3_jN6thrust23THRUST_200600_302600_NS6detail15normal_iteratorINSA_10device_ptrIiEEEEPS6_PKS6_NS0_5tupleIJSF_S6_EEENSJ_IJSG_SG_EEENS0_18inequality_wrapperINSA_8equal_toIiEEEEPmJS6_EEE10hipError_tPvRmT3_T4_T5_T6_T7_T9_mT8_P12ihipStream_tbDpT10_ENKUlT_T0_E_clISt17integral_constantIbLb1EES19_IbLb0EEEEDaS15_S16_EUlS15_E_NS1_11comp_targetILNS1_3genE9ELNS1_11target_archE1100ELNS1_3gpuE3ELNS1_3repE0EEENS1_30default_config_static_selectorELNS0_4arch9wavefront6targetE1EEEvT1_
	.globl	_ZN7rocprim17ROCPRIM_400000_NS6detail17trampoline_kernelINS0_14default_configENS1_25partition_config_selectorILNS1_17partition_subalgoE8EiNS0_10empty_typeEbEEZZNS1_14partition_implILS5_8ELb0ES3_jN6thrust23THRUST_200600_302600_NS6detail15normal_iteratorINSA_10device_ptrIiEEEEPS6_PKS6_NS0_5tupleIJSF_S6_EEENSJ_IJSG_SG_EEENS0_18inequality_wrapperINSA_8equal_toIiEEEEPmJS6_EEE10hipError_tPvRmT3_T4_T5_T6_T7_T9_mT8_P12ihipStream_tbDpT10_ENKUlT_T0_E_clISt17integral_constantIbLb1EES19_IbLb0EEEEDaS15_S16_EUlS15_E_NS1_11comp_targetILNS1_3genE9ELNS1_11target_archE1100ELNS1_3gpuE3ELNS1_3repE0EEENS1_30default_config_static_selectorELNS0_4arch9wavefront6targetE1EEEvT1_
	.p2align	8
	.type	_ZN7rocprim17ROCPRIM_400000_NS6detail17trampoline_kernelINS0_14default_configENS1_25partition_config_selectorILNS1_17partition_subalgoE8EiNS0_10empty_typeEbEEZZNS1_14partition_implILS5_8ELb0ES3_jN6thrust23THRUST_200600_302600_NS6detail15normal_iteratorINSA_10device_ptrIiEEEEPS6_PKS6_NS0_5tupleIJSF_S6_EEENSJ_IJSG_SG_EEENS0_18inequality_wrapperINSA_8equal_toIiEEEEPmJS6_EEE10hipError_tPvRmT3_T4_T5_T6_T7_T9_mT8_P12ihipStream_tbDpT10_ENKUlT_T0_E_clISt17integral_constantIbLb1EES19_IbLb0EEEEDaS15_S16_EUlS15_E_NS1_11comp_targetILNS1_3genE9ELNS1_11target_archE1100ELNS1_3gpuE3ELNS1_3repE0EEENS1_30default_config_static_selectorELNS0_4arch9wavefront6targetE1EEEvT1_,@function
_ZN7rocprim17ROCPRIM_400000_NS6detail17trampoline_kernelINS0_14default_configENS1_25partition_config_selectorILNS1_17partition_subalgoE8EiNS0_10empty_typeEbEEZZNS1_14partition_implILS5_8ELb0ES3_jN6thrust23THRUST_200600_302600_NS6detail15normal_iteratorINSA_10device_ptrIiEEEEPS6_PKS6_NS0_5tupleIJSF_S6_EEENSJ_IJSG_SG_EEENS0_18inequality_wrapperINSA_8equal_toIiEEEEPmJS6_EEE10hipError_tPvRmT3_T4_T5_T6_T7_T9_mT8_P12ihipStream_tbDpT10_ENKUlT_T0_E_clISt17integral_constantIbLb1EES19_IbLb0EEEEDaS15_S16_EUlS15_E_NS1_11comp_targetILNS1_3genE9ELNS1_11target_archE1100ELNS1_3gpuE3ELNS1_3repE0EEENS1_30default_config_static_selectorELNS0_4arch9wavefront6targetE1EEEvT1_: ; @_ZN7rocprim17ROCPRIM_400000_NS6detail17trampoline_kernelINS0_14default_configENS1_25partition_config_selectorILNS1_17partition_subalgoE8EiNS0_10empty_typeEbEEZZNS1_14partition_implILS5_8ELb0ES3_jN6thrust23THRUST_200600_302600_NS6detail15normal_iteratorINSA_10device_ptrIiEEEEPS6_PKS6_NS0_5tupleIJSF_S6_EEENSJ_IJSG_SG_EEENS0_18inequality_wrapperINSA_8equal_toIiEEEEPmJS6_EEE10hipError_tPvRmT3_T4_T5_T6_T7_T9_mT8_P12ihipStream_tbDpT10_ENKUlT_T0_E_clISt17integral_constantIbLb1EES19_IbLb0EEEEDaS15_S16_EUlS15_E_NS1_11comp_targetILNS1_3genE9ELNS1_11target_archE1100ELNS1_3gpuE3ELNS1_3repE0EEENS1_30default_config_static_selectorELNS0_4arch9wavefront6targetE1EEEvT1_
; %bb.0:
	.section	.rodata,"a",@progbits
	.p2align	6, 0x0
	.amdhsa_kernel _ZN7rocprim17ROCPRIM_400000_NS6detail17trampoline_kernelINS0_14default_configENS1_25partition_config_selectorILNS1_17partition_subalgoE8EiNS0_10empty_typeEbEEZZNS1_14partition_implILS5_8ELb0ES3_jN6thrust23THRUST_200600_302600_NS6detail15normal_iteratorINSA_10device_ptrIiEEEEPS6_PKS6_NS0_5tupleIJSF_S6_EEENSJ_IJSG_SG_EEENS0_18inequality_wrapperINSA_8equal_toIiEEEEPmJS6_EEE10hipError_tPvRmT3_T4_T5_T6_T7_T9_mT8_P12ihipStream_tbDpT10_ENKUlT_T0_E_clISt17integral_constantIbLb1EES19_IbLb0EEEEDaS15_S16_EUlS15_E_NS1_11comp_targetILNS1_3genE9ELNS1_11target_archE1100ELNS1_3gpuE3ELNS1_3repE0EEENS1_30default_config_static_selectorELNS0_4arch9wavefront6targetE1EEEvT1_
		.amdhsa_group_segment_fixed_size 0
		.amdhsa_private_segment_fixed_size 0
		.amdhsa_kernarg_size 112
		.amdhsa_user_sgpr_count 6
		.amdhsa_user_sgpr_private_segment_buffer 1
		.amdhsa_user_sgpr_dispatch_ptr 0
		.amdhsa_user_sgpr_queue_ptr 0
		.amdhsa_user_sgpr_kernarg_segment_ptr 1
		.amdhsa_user_sgpr_dispatch_id 0
		.amdhsa_user_sgpr_flat_scratch_init 0
		.amdhsa_user_sgpr_private_segment_size 0
		.amdhsa_uses_dynamic_stack 0
		.amdhsa_system_sgpr_private_segment_wavefront_offset 0
		.amdhsa_system_sgpr_workgroup_id_x 1
		.amdhsa_system_sgpr_workgroup_id_y 0
		.amdhsa_system_sgpr_workgroup_id_z 0
		.amdhsa_system_sgpr_workgroup_info 0
		.amdhsa_system_vgpr_workitem_id 0
		.amdhsa_next_free_vgpr 1
		.amdhsa_next_free_sgpr 0
		.amdhsa_reserve_vcc 0
		.amdhsa_reserve_flat_scratch 0
		.amdhsa_float_round_mode_32 0
		.amdhsa_float_round_mode_16_64 0
		.amdhsa_float_denorm_mode_32 3
		.amdhsa_float_denorm_mode_16_64 3
		.amdhsa_dx10_clamp 1
		.amdhsa_ieee_mode 1
		.amdhsa_fp16_overflow 0
		.amdhsa_exception_fp_ieee_invalid_op 0
		.amdhsa_exception_fp_denorm_src 0
		.amdhsa_exception_fp_ieee_div_zero 0
		.amdhsa_exception_fp_ieee_overflow 0
		.amdhsa_exception_fp_ieee_underflow 0
		.amdhsa_exception_fp_ieee_inexact 0
		.amdhsa_exception_int_div_zero 0
	.end_amdhsa_kernel
	.section	.text._ZN7rocprim17ROCPRIM_400000_NS6detail17trampoline_kernelINS0_14default_configENS1_25partition_config_selectorILNS1_17partition_subalgoE8EiNS0_10empty_typeEbEEZZNS1_14partition_implILS5_8ELb0ES3_jN6thrust23THRUST_200600_302600_NS6detail15normal_iteratorINSA_10device_ptrIiEEEEPS6_PKS6_NS0_5tupleIJSF_S6_EEENSJ_IJSG_SG_EEENS0_18inequality_wrapperINSA_8equal_toIiEEEEPmJS6_EEE10hipError_tPvRmT3_T4_T5_T6_T7_T9_mT8_P12ihipStream_tbDpT10_ENKUlT_T0_E_clISt17integral_constantIbLb1EES19_IbLb0EEEEDaS15_S16_EUlS15_E_NS1_11comp_targetILNS1_3genE9ELNS1_11target_archE1100ELNS1_3gpuE3ELNS1_3repE0EEENS1_30default_config_static_selectorELNS0_4arch9wavefront6targetE1EEEvT1_,"axG",@progbits,_ZN7rocprim17ROCPRIM_400000_NS6detail17trampoline_kernelINS0_14default_configENS1_25partition_config_selectorILNS1_17partition_subalgoE8EiNS0_10empty_typeEbEEZZNS1_14partition_implILS5_8ELb0ES3_jN6thrust23THRUST_200600_302600_NS6detail15normal_iteratorINSA_10device_ptrIiEEEEPS6_PKS6_NS0_5tupleIJSF_S6_EEENSJ_IJSG_SG_EEENS0_18inequality_wrapperINSA_8equal_toIiEEEEPmJS6_EEE10hipError_tPvRmT3_T4_T5_T6_T7_T9_mT8_P12ihipStream_tbDpT10_ENKUlT_T0_E_clISt17integral_constantIbLb1EES19_IbLb0EEEEDaS15_S16_EUlS15_E_NS1_11comp_targetILNS1_3genE9ELNS1_11target_archE1100ELNS1_3gpuE3ELNS1_3repE0EEENS1_30default_config_static_selectorELNS0_4arch9wavefront6targetE1EEEvT1_,comdat
.Lfunc_end426:
	.size	_ZN7rocprim17ROCPRIM_400000_NS6detail17trampoline_kernelINS0_14default_configENS1_25partition_config_selectorILNS1_17partition_subalgoE8EiNS0_10empty_typeEbEEZZNS1_14partition_implILS5_8ELb0ES3_jN6thrust23THRUST_200600_302600_NS6detail15normal_iteratorINSA_10device_ptrIiEEEEPS6_PKS6_NS0_5tupleIJSF_S6_EEENSJ_IJSG_SG_EEENS0_18inequality_wrapperINSA_8equal_toIiEEEEPmJS6_EEE10hipError_tPvRmT3_T4_T5_T6_T7_T9_mT8_P12ihipStream_tbDpT10_ENKUlT_T0_E_clISt17integral_constantIbLb1EES19_IbLb0EEEEDaS15_S16_EUlS15_E_NS1_11comp_targetILNS1_3genE9ELNS1_11target_archE1100ELNS1_3gpuE3ELNS1_3repE0EEENS1_30default_config_static_selectorELNS0_4arch9wavefront6targetE1EEEvT1_, .Lfunc_end426-_ZN7rocprim17ROCPRIM_400000_NS6detail17trampoline_kernelINS0_14default_configENS1_25partition_config_selectorILNS1_17partition_subalgoE8EiNS0_10empty_typeEbEEZZNS1_14partition_implILS5_8ELb0ES3_jN6thrust23THRUST_200600_302600_NS6detail15normal_iteratorINSA_10device_ptrIiEEEEPS6_PKS6_NS0_5tupleIJSF_S6_EEENSJ_IJSG_SG_EEENS0_18inequality_wrapperINSA_8equal_toIiEEEEPmJS6_EEE10hipError_tPvRmT3_T4_T5_T6_T7_T9_mT8_P12ihipStream_tbDpT10_ENKUlT_T0_E_clISt17integral_constantIbLb1EES19_IbLb0EEEEDaS15_S16_EUlS15_E_NS1_11comp_targetILNS1_3genE9ELNS1_11target_archE1100ELNS1_3gpuE3ELNS1_3repE0EEENS1_30default_config_static_selectorELNS0_4arch9wavefront6targetE1EEEvT1_
                                        ; -- End function
	.set _ZN7rocprim17ROCPRIM_400000_NS6detail17trampoline_kernelINS0_14default_configENS1_25partition_config_selectorILNS1_17partition_subalgoE8EiNS0_10empty_typeEbEEZZNS1_14partition_implILS5_8ELb0ES3_jN6thrust23THRUST_200600_302600_NS6detail15normal_iteratorINSA_10device_ptrIiEEEEPS6_PKS6_NS0_5tupleIJSF_S6_EEENSJ_IJSG_SG_EEENS0_18inequality_wrapperINSA_8equal_toIiEEEEPmJS6_EEE10hipError_tPvRmT3_T4_T5_T6_T7_T9_mT8_P12ihipStream_tbDpT10_ENKUlT_T0_E_clISt17integral_constantIbLb1EES19_IbLb0EEEEDaS15_S16_EUlS15_E_NS1_11comp_targetILNS1_3genE9ELNS1_11target_archE1100ELNS1_3gpuE3ELNS1_3repE0EEENS1_30default_config_static_selectorELNS0_4arch9wavefront6targetE1EEEvT1_.num_vgpr, 0
	.set _ZN7rocprim17ROCPRIM_400000_NS6detail17trampoline_kernelINS0_14default_configENS1_25partition_config_selectorILNS1_17partition_subalgoE8EiNS0_10empty_typeEbEEZZNS1_14partition_implILS5_8ELb0ES3_jN6thrust23THRUST_200600_302600_NS6detail15normal_iteratorINSA_10device_ptrIiEEEEPS6_PKS6_NS0_5tupleIJSF_S6_EEENSJ_IJSG_SG_EEENS0_18inequality_wrapperINSA_8equal_toIiEEEEPmJS6_EEE10hipError_tPvRmT3_T4_T5_T6_T7_T9_mT8_P12ihipStream_tbDpT10_ENKUlT_T0_E_clISt17integral_constantIbLb1EES19_IbLb0EEEEDaS15_S16_EUlS15_E_NS1_11comp_targetILNS1_3genE9ELNS1_11target_archE1100ELNS1_3gpuE3ELNS1_3repE0EEENS1_30default_config_static_selectorELNS0_4arch9wavefront6targetE1EEEvT1_.num_agpr, 0
	.set _ZN7rocprim17ROCPRIM_400000_NS6detail17trampoline_kernelINS0_14default_configENS1_25partition_config_selectorILNS1_17partition_subalgoE8EiNS0_10empty_typeEbEEZZNS1_14partition_implILS5_8ELb0ES3_jN6thrust23THRUST_200600_302600_NS6detail15normal_iteratorINSA_10device_ptrIiEEEEPS6_PKS6_NS0_5tupleIJSF_S6_EEENSJ_IJSG_SG_EEENS0_18inequality_wrapperINSA_8equal_toIiEEEEPmJS6_EEE10hipError_tPvRmT3_T4_T5_T6_T7_T9_mT8_P12ihipStream_tbDpT10_ENKUlT_T0_E_clISt17integral_constantIbLb1EES19_IbLb0EEEEDaS15_S16_EUlS15_E_NS1_11comp_targetILNS1_3genE9ELNS1_11target_archE1100ELNS1_3gpuE3ELNS1_3repE0EEENS1_30default_config_static_selectorELNS0_4arch9wavefront6targetE1EEEvT1_.numbered_sgpr, 0
	.set _ZN7rocprim17ROCPRIM_400000_NS6detail17trampoline_kernelINS0_14default_configENS1_25partition_config_selectorILNS1_17partition_subalgoE8EiNS0_10empty_typeEbEEZZNS1_14partition_implILS5_8ELb0ES3_jN6thrust23THRUST_200600_302600_NS6detail15normal_iteratorINSA_10device_ptrIiEEEEPS6_PKS6_NS0_5tupleIJSF_S6_EEENSJ_IJSG_SG_EEENS0_18inequality_wrapperINSA_8equal_toIiEEEEPmJS6_EEE10hipError_tPvRmT3_T4_T5_T6_T7_T9_mT8_P12ihipStream_tbDpT10_ENKUlT_T0_E_clISt17integral_constantIbLb1EES19_IbLb0EEEEDaS15_S16_EUlS15_E_NS1_11comp_targetILNS1_3genE9ELNS1_11target_archE1100ELNS1_3gpuE3ELNS1_3repE0EEENS1_30default_config_static_selectorELNS0_4arch9wavefront6targetE1EEEvT1_.num_named_barrier, 0
	.set _ZN7rocprim17ROCPRIM_400000_NS6detail17trampoline_kernelINS0_14default_configENS1_25partition_config_selectorILNS1_17partition_subalgoE8EiNS0_10empty_typeEbEEZZNS1_14partition_implILS5_8ELb0ES3_jN6thrust23THRUST_200600_302600_NS6detail15normal_iteratorINSA_10device_ptrIiEEEEPS6_PKS6_NS0_5tupleIJSF_S6_EEENSJ_IJSG_SG_EEENS0_18inequality_wrapperINSA_8equal_toIiEEEEPmJS6_EEE10hipError_tPvRmT3_T4_T5_T6_T7_T9_mT8_P12ihipStream_tbDpT10_ENKUlT_T0_E_clISt17integral_constantIbLb1EES19_IbLb0EEEEDaS15_S16_EUlS15_E_NS1_11comp_targetILNS1_3genE9ELNS1_11target_archE1100ELNS1_3gpuE3ELNS1_3repE0EEENS1_30default_config_static_selectorELNS0_4arch9wavefront6targetE1EEEvT1_.private_seg_size, 0
	.set _ZN7rocprim17ROCPRIM_400000_NS6detail17trampoline_kernelINS0_14default_configENS1_25partition_config_selectorILNS1_17partition_subalgoE8EiNS0_10empty_typeEbEEZZNS1_14partition_implILS5_8ELb0ES3_jN6thrust23THRUST_200600_302600_NS6detail15normal_iteratorINSA_10device_ptrIiEEEEPS6_PKS6_NS0_5tupleIJSF_S6_EEENSJ_IJSG_SG_EEENS0_18inequality_wrapperINSA_8equal_toIiEEEEPmJS6_EEE10hipError_tPvRmT3_T4_T5_T6_T7_T9_mT8_P12ihipStream_tbDpT10_ENKUlT_T0_E_clISt17integral_constantIbLb1EES19_IbLb0EEEEDaS15_S16_EUlS15_E_NS1_11comp_targetILNS1_3genE9ELNS1_11target_archE1100ELNS1_3gpuE3ELNS1_3repE0EEENS1_30default_config_static_selectorELNS0_4arch9wavefront6targetE1EEEvT1_.uses_vcc, 0
	.set _ZN7rocprim17ROCPRIM_400000_NS6detail17trampoline_kernelINS0_14default_configENS1_25partition_config_selectorILNS1_17partition_subalgoE8EiNS0_10empty_typeEbEEZZNS1_14partition_implILS5_8ELb0ES3_jN6thrust23THRUST_200600_302600_NS6detail15normal_iteratorINSA_10device_ptrIiEEEEPS6_PKS6_NS0_5tupleIJSF_S6_EEENSJ_IJSG_SG_EEENS0_18inequality_wrapperINSA_8equal_toIiEEEEPmJS6_EEE10hipError_tPvRmT3_T4_T5_T6_T7_T9_mT8_P12ihipStream_tbDpT10_ENKUlT_T0_E_clISt17integral_constantIbLb1EES19_IbLb0EEEEDaS15_S16_EUlS15_E_NS1_11comp_targetILNS1_3genE9ELNS1_11target_archE1100ELNS1_3gpuE3ELNS1_3repE0EEENS1_30default_config_static_selectorELNS0_4arch9wavefront6targetE1EEEvT1_.uses_flat_scratch, 0
	.set _ZN7rocprim17ROCPRIM_400000_NS6detail17trampoline_kernelINS0_14default_configENS1_25partition_config_selectorILNS1_17partition_subalgoE8EiNS0_10empty_typeEbEEZZNS1_14partition_implILS5_8ELb0ES3_jN6thrust23THRUST_200600_302600_NS6detail15normal_iteratorINSA_10device_ptrIiEEEEPS6_PKS6_NS0_5tupleIJSF_S6_EEENSJ_IJSG_SG_EEENS0_18inequality_wrapperINSA_8equal_toIiEEEEPmJS6_EEE10hipError_tPvRmT3_T4_T5_T6_T7_T9_mT8_P12ihipStream_tbDpT10_ENKUlT_T0_E_clISt17integral_constantIbLb1EES19_IbLb0EEEEDaS15_S16_EUlS15_E_NS1_11comp_targetILNS1_3genE9ELNS1_11target_archE1100ELNS1_3gpuE3ELNS1_3repE0EEENS1_30default_config_static_selectorELNS0_4arch9wavefront6targetE1EEEvT1_.has_dyn_sized_stack, 0
	.set _ZN7rocprim17ROCPRIM_400000_NS6detail17trampoline_kernelINS0_14default_configENS1_25partition_config_selectorILNS1_17partition_subalgoE8EiNS0_10empty_typeEbEEZZNS1_14partition_implILS5_8ELb0ES3_jN6thrust23THRUST_200600_302600_NS6detail15normal_iteratorINSA_10device_ptrIiEEEEPS6_PKS6_NS0_5tupleIJSF_S6_EEENSJ_IJSG_SG_EEENS0_18inequality_wrapperINSA_8equal_toIiEEEEPmJS6_EEE10hipError_tPvRmT3_T4_T5_T6_T7_T9_mT8_P12ihipStream_tbDpT10_ENKUlT_T0_E_clISt17integral_constantIbLb1EES19_IbLb0EEEEDaS15_S16_EUlS15_E_NS1_11comp_targetILNS1_3genE9ELNS1_11target_archE1100ELNS1_3gpuE3ELNS1_3repE0EEENS1_30default_config_static_selectorELNS0_4arch9wavefront6targetE1EEEvT1_.has_recursion, 0
	.set _ZN7rocprim17ROCPRIM_400000_NS6detail17trampoline_kernelINS0_14default_configENS1_25partition_config_selectorILNS1_17partition_subalgoE8EiNS0_10empty_typeEbEEZZNS1_14partition_implILS5_8ELb0ES3_jN6thrust23THRUST_200600_302600_NS6detail15normal_iteratorINSA_10device_ptrIiEEEEPS6_PKS6_NS0_5tupleIJSF_S6_EEENSJ_IJSG_SG_EEENS0_18inequality_wrapperINSA_8equal_toIiEEEEPmJS6_EEE10hipError_tPvRmT3_T4_T5_T6_T7_T9_mT8_P12ihipStream_tbDpT10_ENKUlT_T0_E_clISt17integral_constantIbLb1EES19_IbLb0EEEEDaS15_S16_EUlS15_E_NS1_11comp_targetILNS1_3genE9ELNS1_11target_archE1100ELNS1_3gpuE3ELNS1_3repE0EEENS1_30default_config_static_selectorELNS0_4arch9wavefront6targetE1EEEvT1_.has_indirect_call, 0
	.section	.AMDGPU.csdata,"",@progbits
; Kernel info:
; codeLenInByte = 0
; TotalNumSgprs: 4
; NumVgprs: 0
; ScratchSize: 0
; MemoryBound: 0
; FloatMode: 240
; IeeeMode: 1
; LDSByteSize: 0 bytes/workgroup (compile time only)
; SGPRBlocks: 0
; VGPRBlocks: 0
; NumSGPRsForWavesPerEU: 4
; NumVGPRsForWavesPerEU: 1
; Occupancy: 10
; WaveLimiterHint : 0
; COMPUTE_PGM_RSRC2:SCRATCH_EN: 0
; COMPUTE_PGM_RSRC2:USER_SGPR: 6
; COMPUTE_PGM_RSRC2:TRAP_HANDLER: 0
; COMPUTE_PGM_RSRC2:TGID_X_EN: 1
; COMPUTE_PGM_RSRC2:TGID_Y_EN: 0
; COMPUTE_PGM_RSRC2:TGID_Z_EN: 0
; COMPUTE_PGM_RSRC2:TIDIG_COMP_CNT: 0
	.section	.text._ZN7rocprim17ROCPRIM_400000_NS6detail17trampoline_kernelINS0_14default_configENS1_25partition_config_selectorILNS1_17partition_subalgoE8EiNS0_10empty_typeEbEEZZNS1_14partition_implILS5_8ELb0ES3_jN6thrust23THRUST_200600_302600_NS6detail15normal_iteratorINSA_10device_ptrIiEEEEPS6_PKS6_NS0_5tupleIJSF_S6_EEENSJ_IJSG_SG_EEENS0_18inequality_wrapperINSA_8equal_toIiEEEEPmJS6_EEE10hipError_tPvRmT3_T4_T5_T6_T7_T9_mT8_P12ihipStream_tbDpT10_ENKUlT_T0_E_clISt17integral_constantIbLb1EES19_IbLb0EEEEDaS15_S16_EUlS15_E_NS1_11comp_targetILNS1_3genE8ELNS1_11target_archE1030ELNS1_3gpuE2ELNS1_3repE0EEENS1_30default_config_static_selectorELNS0_4arch9wavefront6targetE1EEEvT1_,"axG",@progbits,_ZN7rocprim17ROCPRIM_400000_NS6detail17trampoline_kernelINS0_14default_configENS1_25partition_config_selectorILNS1_17partition_subalgoE8EiNS0_10empty_typeEbEEZZNS1_14partition_implILS5_8ELb0ES3_jN6thrust23THRUST_200600_302600_NS6detail15normal_iteratorINSA_10device_ptrIiEEEEPS6_PKS6_NS0_5tupleIJSF_S6_EEENSJ_IJSG_SG_EEENS0_18inequality_wrapperINSA_8equal_toIiEEEEPmJS6_EEE10hipError_tPvRmT3_T4_T5_T6_T7_T9_mT8_P12ihipStream_tbDpT10_ENKUlT_T0_E_clISt17integral_constantIbLb1EES19_IbLb0EEEEDaS15_S16_EUlS15_E_NS1_11comp_targetILNS1_3genE8ELNS1_11target_archE1030ELNS1_3gpuE2ELNS1_3repE0EEENS1_30default_config_static_selectorELNS0_4arch9wavefront6targetE1EEEvT1_,comdat
	.protected	_ZN7rocprim17ROCPRIM_400000_NS6detail17trampoline_kernelINS0_14default_configENS1_25partition_config_selectorILNS1_17partition_subalgoE8EiNS0_10empty_typeEbEEZZNS1_14partition_implILS5_8ELb0ES3_jN6thrust23THRUST_200600_302600_NS6detail15normal_iteratorINSA_10device_ptrIiEEEEPS6_PKS6_NS0_5tupleIJSF_S6_EEENSJ_IJSG_SG_EEENS0_18inequality_wrapperINSA_8equal_toIiEEEEPmJS6_EEE10hipError_tPvRmT3_T4_T5_T6_T7_T9_mT8_P12ihipStream_tbDpT10_ENKUlT_T0_E_clISt17integral_constantIbLb1EES19_IbLb0EEEEDaS15_S16_EUlS15_E_NS1_11comp_targetILNS1_3genE8ELNS1_11target_archE1030ELNS1_3gpuE2ELNS1_3repE0EEENS1_30default_config_static_selectorELNS0_4arch9wavefront6targetE1EEEvT1_ ; -- Begin function _ZN7rocprim17ROCPRIM_400000_NS6detail17trampoline_kernelINS0_14default_configENS1_25partition_config_selectorILNS1_17partition_subalgoE8EiNS0_10empty_typeEbEEZZNS1_14partition_implILS5_8ELb0ES3_jN6thrust23THRUST_200600_302600_NS6detail15normal_iteratorINSA_10device_ptrIiEEEEPS6_PKS6_NS0_5tupleIJSF_S6_EEENSJ_IJSG_SG_EEENS0_18inequality_wrapperINSA_8equal_toIiEEEEPmJS6_EEE10hipError_tPvRmT3_T4_T5_T6_T7_T9_mT8_P12ihipStream_tbDpT10_ENKUlT_T0_E_clISt17integral_constantIbLb1EES19_IbLb0EEEEDaS15_S16_EUlS15_E_NS1_11comp_targetILNS1_3genE8ELNS1_11target_archE1030ELNS1_3gpuE2ELNS1_3repE0EEENS1_30default_config_static_selectorELNS0_4arch9wavefront6targetE1EEEvT1_
	.globl	_ZN7rocprim17ROCPRIM_400000_NS6detail17trampoline_kernelINS0_14default_configENS1_25partition_config_selectorILNS1_17partition_subalgoE8EiNS0_10empty_typeEbEEZZNS1_14partition_implILS5_8ELb0ES3_jN6thrust23THRUST_200600_302600_NS6detail15normal_iteratorINSA_10device_ptrIiEEEEPS6_PKS6_NS0_5tupleIJSF_S6_EEENSJ_IJSG_SG_EEENS0_18inequality_wrapperINSA_8equal_toIiEEEEPmJS6_EEE10hipError_tPvRmT3_T4_T5_T6_T7_T9_mT8_P12ihipStream_tbDpT10_ENKUlT_T0_E_clISt17integral_constantIbLb1EES19_IbLb0EEEEDaS15_S16_EUlS15_E_NS1_11comp_targetILNS1_3genE8ELNS1_11target_archE1030ELNS1_3gpuE2ELNS1_3repE0EEENS1_30default_config_static_selectorELNS0_4arch9wavefront6targetE1EEEvT1_
	.p2align	8
	.type	_ZN7rocprim17ROCPRIM_400000_NS6detail17trampoline_kernelINS0_14default_configENS1_25partition_config_selectorILNS1_17partition_subalgoE8EiNS0_10empty_typeEbEEZZNS1_14partition_implILS5_8ELb0ES3_jN6thrust23THRUST_200600_302600_NS6detail15normal_iteratorINSA_10device_ptrIiEEEEPS6_PKS6_NS0_5tupleIJSF_S6_EEENSJ_IJSG_SG_EEENS0_18inequality_wrapperINSA_8equal_toIiEEEEPmJS6_EEE10hipError_tPvRmT3_T4_T5_T6_T7_T9_mT8_P12ihipStream_tbDpT10_ENKUlT_T0_E_clISt17integral_constantIbLb1EES19_IbLb0EEEEDaS15_S16_EUlS15_E_NS1_11comp_targetILNS1_3genE8ELNS1_11target_archE1030ELNS1_3gpuE2ELNS1_3repE0EEENS1_30default_config_static_selectorELNS0_4arch9wavefront6targetE1EEEvT1_,@function
_ZN7rocprim17ROCPRIM_400000_NS6detail17trampoline_kernelINS0_14default_configENS1_25partition_config_selectorILNS1_17partition_subalgoE8EiNS0_10empty_typeEbEEZZNS1_14partition_implILS5_8ELb0ES3_jN6thrust23THRUST_200600_302600_NS6detail15normal_iteratorINSA_10device_ptrIiEEEEPS6_PKS6_NS0_5tupleIJSF_S6_EEENSJ_IJSG_SG_EEENS0_18inequality_wrapperINSA_8equal_toIiEEEEPmJS6_EEE10hipError_tPvRmT3_T4_T5_T6_T7_T9_mT8_P12ihipStream_tbDpT10_ENKUlT_T0_E_clISt17integral_constantIbLb1EES19_IbLb0EEEEDaS15_S16_EUlS15_E_NS1_11comp_targetILNS1_3genE8ELNS1_11target_archE1030ELNS1_3gpuE2ELNS1_3repE0EEENS1_30default_config_static_selectorELNS0_4arch9wavefront6targetE1EEEvT1_: ; @_ZN7rocprim17ROCPRIM_400000_NS6detail17trampoline_kernelINS0_14default_configENS1_25partition_config_selectorILNS1_17partition_subalgoE8EiNS0_10empty_typeEbEEZZNS1_14partition_implILS5_8ELb0ES3_jN6thrust23THRUST_200600_302600_NS6detail15normal_iteratorINSA_10device_ptrIiEEEEPS6_PKS6_NS0_5tupleIJSF_S6_EEENSJ_IJSG_SG_EEENS0_18inequality_wrapperINSA_8equal_toIiEEEEPmJS6_EEE10hipError_tPvRmT3_T4_T5_T6_T7_T9_mT8_P12ihipStream_tbDpT10_ENKUlT_T0_E_clISt17integral_constantIbLb1EES19_IbLb0EEEEDaS15_S16_EUlS15_E_NS1_11comp_targetILNS1_3genE8ELNS1_11target_archE1030ELNS1_3gpuE2ELNS1_3repE0EEENS1_30default_config_static_selectorELNS0_4arch9wavefront6targetE1EEEvT1_
; %bb.0:
	.section	.rodata,"a",@progbits
	.p2align	6, 0x0
	.amdhsa_kernel _ZN7rocprim17ROCPRIM_400000_NS6detail17trampoline_kernelINS0_14default_configENS1_25partition_config_selectorILNS1_17partition_subalgoE8EiNS0_10empty_typeEbEEZZNS1_14partition_implILS5_8ELb0ES3_jN6thrust23THRUST_200600_302600_NS6detail15normal_iteratorINSA_10device_ptrIiEEEEPS6_PKS6_NS0_5tupleIJSF_S6_EEENSJ_IJSG_SG_EEENS0_18inequality_wrapperINSA_8equal_toIiEEEEPmJS6_EEE10hipError_tPvRmT3_T4_T5_T6_T7_T9_mT8_P12ihipStream_tbDpT10_ENKUlT_T0_E_clISt17integral_constantIbLb1EES19_IbLb0EEEEDaS15_S16_EUlS15_E_NS1_11comp_targetILNS1_3genE8ELNS1_11target_archE1030ELNS1_3gpuE2ELNS1_3repE0EEENS1_30default_config_static_selectorELNS0_4arch9wavefront6targetE1EEEvT1_
		.amdhsa_group_segment_fixed_size 0
		.amdhsa_private_segment_fixed_size 0
		.amdhsa_kernarg_size 112
		.amdhsa_user_sgpr_count 6
		.amdhsa_user_sgpr_private_segment_buffer 1
		.amdhsa_user_sgpr_dispatch_ptr 0
		.amdhsa_user_sgpr_queue_ptr 0
		.amdhsa_user_sgpr_kernarg_segment_ptr 1
		.amdhsa_user_sgpr_dispatch_id 0
		.amdhsa_user_sgpr_flat_scratch_init 0
		.amdhsa_user_sgpr_private_segment_size 0
		.amdhsa_uses_dynamic_stack 0
		.amdhsa_system_sgpr_private_segment_wavefront_offset 0
		.amdhsa_system_sgpr_workgroup_id_x 1
		.amdhsa_system_sgpr_workgroup_id_y 0
		.amdhsa_system_sgpr_workgroup_id_z 0
		.amdhsa_system_sgpr_workgroup_info 0
		.amdhsa_system_vgpr_workitem_id 0
		.amdhsa_next_free_vgpr 1
		.amdhsa_next_free_sgpr 0
		.amdhsa_reserve_vcc 0
		.amdhsa_reserve_flat_scratch 0
		.amdhsa_float_round_mode_32 0
		.amdhsa_float_round_mode_16_64 0
		.amdhsa_float_denorm_mode_32 3
		.amdhsa_float_denorm_mode_16_64 3
		.amdhsa_dx10_clamp 1
		.amdhsa_ieee_mode 1
		.amdhsa_fp16_overflow 0
		.amdhsa_exception_fp_ieee_invalid_op 0
		.amdhsa_exception_fp_denorm_src 0
		.amdhsa_exception_fp_ieee_div_zero 0
		.amdhsa_exception_fp_ieee_overflow 0
		.amdhsa_exception_fp_ieee_underflow 0
		.amdhsa_exception_fp_ieee_inexact 0
		.amdhsa_exception_int_div_zero 0
	.end_amdhsa_kernel
	.section	.text._ZN7rocprim17ROCPRIM_400000_NS6detail17trampoline_kernelINS0_14default_configENS1_25partition_config_selectorILNS1_17partition_subalgoE8EiNS0_10empty_typeEbEEZZNS1_14partition_implILS5_8ELb0ES3_jN6thrust23THRUST_200600_302600_NS6detail15normal_iteratorINSA_10device_ptrIiEEEEPS6_PKS6_NS0_5tupleIJSF_S6_EEENSJ_IJSG_SG_EEENS0_18inequality_wrapperINSA_8equal_toIiEEEEPmJS6_EEE10hipError_tPvRmT3_T4_T5_T6_T7_T9_mT8_P12ihipStream_tbDpT10_ENKUlT_T0_E_clISt17integral_constantIbLb1EES19_IbLb0EEEEDaS15_S16_EUlS15_E_NS1_11comp_targetILNS1_3genE8ELNS1_11target_archE1030ELNS1_3gpuE2ELNS1_3repE0EEENS1_30default_config_static_selectorELNS0_4arch9wavefront6targetE1EEEvT1_,"axG",@progbits,_ZN7rocprim17ROCPRIM_400000_NS6detail17trampoline_kernelINS0_14default_configENS1_25partition_config_selectorILNS1_17partition_subalgoE8EiNS0_10empty_typeEbEEZZNS1_14partition_implILS5_8ELb0ES3_jN6thrust23THRUST_200600_302600_NS6detail15normal_iteratorINSA_10device_ptrIiEEEEPS6_PKS6_NS0_5tupleIJSF_S6_EEENSJ_IJSG_SG_EEENS0_18inequality_wrapperINSA_8equal_toIiEEEEPmJS6_EEE10hipError_tPvRmT3_T4_T5_T6_T7_T9_mT8_P12ihipStream_tbDpT10_ENKUlT_T0_E_clISt17integral_constantIbLb1EES19_IbLb0EEEEDaS15_S16_EUlS15_E_NS1_11comp_targetILNS1_3genE8ELNS1_11target_archE1030ELNS1_3gpuE2ELNS1_3repE0EEENS1_30default_config_static_selectorELNS0_4arch9wavefront6targetE1EEEvT1_,comdat
.Lfunc_end427:
	.size	_ZN7rocprim17ROCPRIM_400000_NS6detail17trampoline_kernelINS0_14default_configENS1_25partition_config_selectorILNS1_17partition_subalgoE8EiNS0_10empty_typeEbEEZZNS1_14partition_implILS5_8ELb0ES3_jN6thrust23THRUST_200600_302600_NS6detail15normal_iteratorINSA_10device_ptrIiEEEEPS6_PKS6_NS0_5tupleIJSF_S6_EEENSJ_IJSG_SG_EEENS0_18inequality_wrapperINSA_8equal_toIiEEEEPmJS6_EEE10hipError_tPvRmT3_T4_T5_T6_T7_T9_mT8_P12ihipStream_tbDpT10_ENKUlT_T0_E_clISt17integral_constantIbLb1EES19_IbLb0EEEEDaS15_S16_EUlS15_E_NS1_11comp_targetILNS1_3genE8ELNS1_11target_archE1030ELNS1_3gpuE2ELNS1_3repE0EEENS1_30default_config_static_selectorELNS0_4arch9wavefront6targetE1EEEvT1_, .Lfunc_end427-_ZN7rocprim17ROCPRIM_400000_NS6detail17trampoline_kernelINS0_14default_configENS1_25partition_config_selectorILNS1_17partition_subalgoE8EiNS0_10empty_typeEbEEZZNS1_14partition_implILS5_8ELb0ES3_jN6thrust23THRUST_200600_302600_NS6detail15normal_iteratorINSA_10device_ptrIiEEEEPS6_PKS6_NS0_5tupleIJSF_S6_EEENSJ_IJSG_SG_EEENS0_18inequality_wrapperINSA_8equal_toIiEEEEPmJS6_EEE10hipError_tPvRmT3_T4_T5_T6_T7_T9_mT8_P12ihipStream_tbDpT10_ENKUlT_T0_E_clISt17integral_constantIbLb1EES19_IbLb0EEEEDaS15_S16_EUlS15_E_NS1_11comp_targetILNS1_3genE8ELNS1_11target_archE1030ELNS1_3gpuE2ELNS1_3repE0EEENS1_30default_config_static_selectorELNS0_4arch9wavefront6targetE1EEEvT1_
                                        ; -- End function
	.set _ZN7rocprim17ROCPRIM_400000_NS6detail17trampoline_kernelINS0_14default_configENS1_25partition_config_selectorILNS1_17partition_subalgoE8EiNS0_10empty_typeEbEEZZNS1_14partition_implILS5_8ELb0ES3_jN6thrust23THRUST_200600_302600_NS6detail15normal_iteratorINSA_10device_ptrIiEEEEPS6_PKS6_NS0_5tupleIJSF_S6_EEENSJ_IJSG_SG_EEENS0_18inequality_wrapperINSA_8equal_toIiEEEEPmJS6_EEE10hipError_tPvRmT3_T4_T5_T6_T7_T9_mT8_P12ihipStream_tbDpT10_ENKUlT_T0_E_clISt17integral_constantIbLb1EES19_IbLb0EEEEDaS15_S16_EUlS15_E_NS1_11comp_targetILNS1_3genE8ELNS1_11target_archE1030ELNS1_3gpuE2ELNS1_3repE0EEENS1_30default_config_static_selectorELNS0_4arch9wavefront6targetE1EEEvT1_.num_vgpr, 0
	.set _ZN7rocprim17ROCPRIM_400000_NS6detail17trampoline_kernelINS0_14default_configENS1_25partition_config_selectorILNS1_17partition_subalgoE8EiNS0_10empty_typeEbEEZZNS1_14partition_implILS5_8ELb0ES3_jN6thrust23THRUST_200600_302600_NS6detail15normal_iteratorINSA_10device_ptrIiEEEEPS6_PKS6_NS0_5tupleIJSF_S6_EEENSJ_IJSG_SG_EEENS0_18inequality_wrapperINSA_8equal_toIiEEEEPmJS6_EEE10hipError_tPvRmT3_T4_T5_T6_T7_T9_mT8_P12ihipStream_tbDpT10_ENKUlT_T0_E_clISt17integral_constantIbLb1EES19_IbLb0EEEEDaS15_S16_EUlS15_E_NS1_11comp_targetILNS1_3genE8ELNS1_11target_archE1030ELNS1_3gpuE2ELNS1_3repE0EEENS1_30default_config_static_selectorELNS0_4arch9wavefront6targetE1EEEvT1_.num_agpr, 0
	.set _ZN7rocprim17ROCPRIM_400000_NS6detail17trampoline_kernelINS0_14default_configENS1_25partition_config_selectorILNS1_17partition_subalgoE8EiNS0_10empty_typeEbEEZZNS1_14partition_implILS5_8ELb0ES3_jN6thrust23THRUST_200600_302600_NS6detail15normal_iteratorINSA_10device_ptrIiEEEEPS6_PKS6_NS0_5tupleIJSF_S6_EEENSJ_IJSG_SG_EEENS0_18inequality_wrapperINSA_8equal_toIiEEEEPmJS6_EEE10hipError_tPvRmT3_T4_T5_T6_T7_T9_mT8_P12ihipStream_tbDpT10_ENKUlT_T0_E_clISt17integral_constantIbLb1EES19_IbLb0EEEEDaS15_S16_EUlS15_E_NS1_11comp_targetILNS1_3genE8ELNS1_11target_archE1030ELNS1_3gpuE2ELNS1_3repE0EEENS1_30default_config_static_selectorELNS0_4arch9wavefront6targetE1EEEvT1_.numbered_sgpr, 0
	.set _ZN7rocprim17ROCPRIM_400000_NS6detail17trampoline_kernelINS0_14default_configENS1_25partition_config_selectorILNS1_17partition_subalgoE8EiNS0_10empty_typeEbEEZZNS1_14partition_implILS5_8ELb0ES3_jN6thrust23THRUST_200600_302600_NS6detail15normal_iteratorINSA_10device_ptrIiEEEEPS6_PKS6_NS0_5tupleIJSF_S6_EEENSJ_IJSG_SG_EEENS0_18inequality_wrapperINSA_8equal_toIiEEEEPmJS6_EEE10hipError_tPvRmT3_T4_T5_T6_T7_T9_mT8_P12ihipStream_tbDpT10_ENKUlT_T0_E_clISt17integral_constantIbLb1EES19_IbLb0EEEEDaS15_S16_EUlS15_E_NS1_11comp_targetILNS1_3genE8ELNS1_11target_archE1030ELNS1_3gpuE2ELNS1_3repE0EEENS1_30default_config_static_selectorELNS0_4arch9wavefront6targetE1EEEvT1_.num_named_barrier, 0
	.set _ZN7rocprim17ROCPRIM_400000_NS6detail17trampoline_kernelINS0_14default_configENS1_25partition_config_selectorILNS1_17partition_subalgoE8EiNS0_10empty_typeEbEEZZNS1_14partition_implILS5_8ELb0ES3_jN6thrust23THRUST_200600_302600_NS6detail15normal_iteratorINSA_10device_ptrIiEEEEPS6_PKS6_NS0_5tupleIJSF_S6_EEENSJ_IJSG_SG_EEENS0_18inequality_wrapperINSA_8equal_toIiEEEEPmJS6_EEE10hipError_tPvRmT3_T4_T5_T6_T7_T9_mT8_P12ihipStream_tbDpT10_ENKUlT_T0_E_clISt17integral_constantIbLb1EES19_IbLb0EEEEDaS15_S16_EUlS15_E_NS1_11comp_targetILNS1_3genE8ELNS1_11target_archE1030ELNS1_3gpuE2ELNS1_3repE0EEENS1_30default_config_static_selectorELNS0_4arch9wavefront6targetE1EEEvT1_.private_seg_size, 0
	.set _ZN7rocprim17ROCPRIM_400000_NS6detail17trampoline_kernelINS0_14default_configENS1_25partition_config_selectorILNS1_17partition_subalgoE8EiNS0_10empty_typeEbEEZZNS1_14partition_implILS5_8ELb0ES3_jN6thrust23THRUST_200600_302600_NS6detail15normal_iteratorINSA_10device_ptrIiEEEEPS6_PKS6_NS0_5tupleIJSF_S6_EEENSJ_IJSG_SG_EEENS0_18inequality_wrapperINSA_8equal_toIiEEEEPmJS6_EEE10hipError_tPvRmT3_T4_T5_T6_T7_T9_mT8_P12ihipStream_tbDpT10_ENKUlT_T0_E_clISt17integral_constantIbLb1EES19_IbLb0EEEEDaS15_S16_EUlS15_E_NS1_11comp_targetILNS1_3genE8ELNS1_11target_archE1030ELNS1_3gpuE2ELNS1_3repE0EEENS1_30default_config_static_selectorELNS0_4arch9wavefront6targetE1EEEvT1_.uses_vcc, 0
	.set _ZN7rocprim17ROCPRIM_400000_NS6detail17trampoline_kernelINS0_14default_configENS1_25partition_config_selectorILNS1_17partition_subalgoE8EiNS0_10empty_typeEbEEZZNS1_14partition_implILS5_8ELb0ES3_jN6thrust23THRUST_200600_302600_NS6detail15normal_iteratorINSA_10device_ptrIiEEEEPS6_PKS6_NS0_5tupleIJSF_S6_EEENSJ_IJSG_SG_EEENS0_18inequality_wrapperINSA_8equal_toIiEEEEPmJS6_EEE10hipError_tPvRmT3_T4_T5_T6_T7_T9_mT8_P12ihipStream_tbDpT10_ENKUlT_T0_E_clISt17integral_constantIbLb1EES19_IbLb0EEEEDaS15_S16_EUlS15_E_NS1_11comp_targetILNS1_3genE8ELNS1_11target_archE1030ELNS1_3gpuE2ELNS1_3repE0EEENS1_30default_config_static_selectorELNS0_4arch9wavefront6targetE1EEEvT1_.uses_flat_scratch, 0
	.set _ZN7rocprim17ROCPRIM_400000_NS6detail17trampoline_kernelINS0_14default_configENS1_25partition_config_selectorILNS1_17partition_subalgoE8EiNS0_10empty_typeEbEEZZNS1_14partition_implILS5_8ELb0ES3_jN6thrust23THRUST_200600_302600_NS6detail15normal_iteratorINSA_10device_ptrIiEEEEPS6_PKS6_NS0_5tupleIJSF_S6_EEENSJ_IJSG_SG_EEENS0_18inequality_wrapperINSA_8equal_toIiEEEEPmJS6_EEE10hipError_tPvRmT3_T4_T5_T6_T7_T9_mT8_P12ihipStream_tbDpT10_ENKUlT_T0_E_clISt17integral_constantIbLb1EES19_IbLb0EEEEDaS15_S16_EUlS15_E_NS1_11comp_targetILNS1_3genE8ELNS1_11target_archE1030ELNS1_3gpuE2ELNS1_3repE0EEENS1_30default_config_static_selectorELNS0_4arch9wavefront6targetE1EEEvT1_.has_dyn_sized_stack, 0
	.set _ZN7rocprim17ROCPRIM_400000_NS6detail17trampoline_kernelINS0_14default_configENS1_25partition_config_selectorILNS1_17partition_subalgoE8EiNS0_10empty_typeEbEEZZNS1_14partition_implILS5_8ELb0ES3_jN6thrust23THRUST_200600_302600_NS6detail15normal_iteratorINSA_10device_ptrIiEEEEPS6_PKS6_NS0_5tupleIJSF_S6_EEENSJ_IJSG_SG_EEENS0_18inequality_wrapperINSA_8equal_toIiEEEEPmJS6_EEE10hipError_tPvRmT3_T4_T5_T6_T7_T9_mT8_P12ihipStream_tbDpT10_ENKUlT_T0_E_clISt17integral_constantIbLb1EES19_IbLb0EEEEDaS15_S16_EUlS15_E_NS1_11comp_targetILNS1_3genE8ELNS1_11target_archE1030ELNS1_3gpuE2ELNS1_3repE0EEENS1_30default_config_static_selectorELNS0_4arch9wavefront6targetE1EEEvT1_.has_recursion, 0
	.set _ZN7rocprim17ROCPRIM_400000_NS6detail17trampoline_kernelINS0_14default_configENS1_25partition_config_selectorILNS1_17partition_subalgoE8EiNS0_10empty_typeEbEEZZNS1_14partition_implILS5_8ELb0ES3_jN6thrust23THRUST_200600_302600_NS6detail15normal_iteratorINSA_10device_ptrIiEEEEPS6_PKS6_NS0_5tupleIJSF_S6_EEENSJ_IJSG_SG_EEENS0_18inequality_wrapperINSA_8equal_toIiEEEEPmJS6_EEE10hipError_tPvRmT3_T4_T5_T6_T7_T9_mT8_P12ihipStream_tbDpT10_ENKUlT_T0_E_clISt17integral_constantIbLb1EES19_IbLb0EEEEDaS15_S16_EUlS15_E_NS1_11comp_targetILNS1_3genE8ELNS1_11target_archE1030ELNS1_3gpuE2ELNS1_3repE0EEENS1_30default_config_static_selectorELNS0_4arch9wavefront6targetE1EEEvT1_.has_indirect_call, 0
	.section	.AMDGPU.csdata,"",@progbits
; Kernel info:
; codeLenInByte = 0
; TotalNumSgprs: 4
; NumVgprs: 0
; ScratchSize: 0
; MemoryBound: 0
; FloatMode: 240
; IeeeMode: 1
; LDSByteSize: 0 bytes/workgroup (compile time only)
; SGPRBlocks: 0
; VGPRBlocks: 0
; NumSGPRsForWavesPerEU: 4
; NumVGPRsForWavesPerEU: 1
; Occupancy: 10
; WaveLimiterHint : 0
; COMPUTE_PGM_RSRC2:SCRATCH_EN: 0
; COMPUTE_PGM_RSRC2:USER_SGPR: 6
; COMPUTE_PGM_RSRC2:TRAP_HANDLER: 0
; COMPUTE_PGM_RSRC2:TGID_X_EN: 1
; COMPUTE_PGM_RSRC2:TGID_Y_EN: 0
; COMPUTE_PGM_RSRC2:TGID_Z_EN: 0
; COMPUTE_PGM_RSRC2:TIDIG_COMP_CNT: 0
	.section	.text._ZN7rocprim17ROCPRIM_400000_NS6detail17trampoline_kernelINS0_14default_configENS1_25partition_config_selectorILNS1_17partition_subalgoE8EiNS0_10empty_typeEbEEZZNS1_14partition_implILS5_8ELb0ES3_jN6thrust23THRUST_200600_302600_NS6detail15normal_iteratorINSA_10device_ptrIiEEEEPS6_PKS6_NS0_5tupleIJSF_S6_EEENSJ_IJSG_SG_EEENS0_18inequality_wrapperINSA_8equal_toIiEEEEPmJS6_EEE10hipError_tPvRmT3_T4_T5_T6_T7_T9_mT8_P12ihipStream_tbDpT10_ENKUlT_T0_E_clISt17integral_constantIbLb0EES19_IbLb1EEEEDaS15_S16_EUlS15_E_NS1_11comp_targetILNS1_3genE0ELNS1_11target_archE4294967295ELNS1_3gpuE0ELNS1_3repE0EEENS1_30default_config_static_selectorELNS0_4arch9wavefront6targetE1EEEvT1_,"axG",@progbits,_ZN7rocprim17ROCPRIM_400000_NS6detail17trampoline_kernelINS0_14default_configENS1_25partition_config_selectorILNS1_17partition_subalgoE8EiNS0_10empty_typeEbEEZZNS1_14partition_implILS5_8ELb0ES3_jN6thrust23THRUST_200600_302600_NS6detail15normal_iteratorINSA_10device_ptrIiEEEEPS6_PKS6_NS0_5tupleIJSF_S6_EEENSJ_IJSG_SG_EEENS0_18inequality_wrapperINSA_8equal_toIiEEEEPmJS6_EEE10hipError_tPvRmT3_T4_T5_T6_T7_T9_mT8_P12ihipStream_tbDpT10_ENKUlT_T0_E_clISt17integral_constantIbLb0EES19_IbLb1EEEEDaS15_S16_EUlS15_E_NS1_11comp_targetILNS1_3genE0ELNS1_11target_archE4294967295ELNS1_3gpuE0ELNS1_3repE0EEENS1_30default_config_static_selectorELNS0_4arch9wavefront6targetE1EEEvT1_,comdat
	.protected	_ZN7rocprim17ROCPRIM_400000_NS6detail17trampoline_kernelINS0_14default_configENS1_25partition_config_selectorILNS1_17partition_subalgoE8EiNS0_10empty_typeEbEEZZNS1_14partition_implILS5_8ELb0ES3_jN6thrust23THRUST_200600_302600_NS6detail15normal_iteratorINSA_10device_ptrIiEEEEPS6_PKS6_NS0_5tupleIJSF_S6_EEENSJ_IJSG_SG_EEENS0_18inequality_wrapperINSA_8equal_toIiEEEEPmJS6_EEE10hipError_tPvRmT3_T4_T5_T6_T7_T9_mT8_P12ihipStream_tbDpT10_ENKUlT_T0_E_clISt17integral_constantIbLb0EES19_IbLb1EEEEDaS15_S16_EUlS15_E_NS1_11comp_targetILNS1_3genE0ELNS1_11target_archE4294967295ELNS1_3gpuE0ELNS1_3repE0EEENS1_30default_config_static_selectorELNS0_4arch9wavefront6targetE1EEEvT1_ ; -- Begin function _ZN7rocprim17ROCPRIM_400000_NS6detail17trampoline_kernelINS0_14default_configENS1_25partition_config_selectorILNS1_17partition_subalgoE8EiNS0_10empty_typeEbEEZZNS1_14partition_implILS5_8ELb0ES3_jN6thrust23THRUST_200600_302600_NS6detail15normal_iteratorINSA_10device_ptrIiEEEEPS6_PKS6_NS0_5tupleIJSF_S6_EEENSJ_IJSG_SG_EEENS0_18inequality_wrapperINSA_8equal_toIiEEEEPmJS6_EEE10hipError_tPvRmT3_T4_T5_T6_T7_T9_mT8_P12ihipStream_tbDpT10_ENKUlT_T0_E_clISt17integral_constantIbLb0EES19_IbLb1EEEEDaS15_S16_EUlS15_E_NS1_11comp_targetILNS1_3genE0ELNS1_11target_archE4294967295ELNS1_3gpuE0ELNS1_3repE0EEENS1_30default_config_static_selectorELNS0_4arch9wavefront6targetE1EEEvT1_
	.globl	_ZN7rocprim17ROCPRIM_400000_NS6detail17trampoline_kernelINS0_14default_configENS1_25partition_config_selectorILNS1_17partition_subalgoE8EiNS0_10empty_typeEbEEZZNS1_14partition_implILS5_8ELb0ES3_jN6thrust23THRUST_200600_302600_NS6detail15normal_iteratorINSA_10device_ptrIiEEEEPS6_PKS6_NS0_5tupleIJSF_S6_EEENSJ_IJSG_SG_EEENS0_18inequality_wrapperINSA_8equal_toIiEEEEPmJS6_EEE10hipError_tPvRmT3_T4_T5_T6_T7_T9_mT8_P12ihipStream_tbDpT10_ENKUlT_T0_E_clISt17integral_constantIbLb0EES19_IbLb1EEEEDaS15_S16_EUlS15_E_NS1_11comp_targetILNS1_3genE0ELNS1_11target_archE4294967295ELNS1_3gpuE0ELNS1_3repE0EEENS1_30default_config_static_selectorELNS0_4arch9wavefront6targetE1EEEvT1_
	.p2align	8
	.type	_ZN7rocprim17ROCPRIM_400000_NS6detail17trampoline_kernelINS0_14default_configENS1_25partition_config_selectorILNS1_17partition_subalgoE8EiNS0_10empty_typeEbEEZZNS1_14partition_implILS5_8ELb0ES3_jN6thrust23THRUST_200600_302600_NS6detail15normal_iteratorINSA_10device_ptrIiEEEEPS6_PKS6_NS0_5tupleIJSF_S6_EEENSJ_IJSG_SG_EEENS0_18inequality_wrapperINSA_8equal_toIiEEEEPmJS6_EEE10hipError_tPvRmT3_T4_T5_T6_T7_T9_mT8_P12ihipStream_tbDpT10_ENKUlT_T0_E_clISt17integral_constantIbLb0EES19_IbLb1EEEEDaS15_S16_EUlS15_E_NS1_11comp_targetILNS1_3genE0ELNS1_11target_archE4294967295ELNS1_3gpuE0ELNS1_3repE0EEENS1_30default_config_static_selectorELNS0_4arch9wavefront6targetE1EEEvT1_,@function
_ZN7rocprim17ROCPRIM_400000_NS6detail17trampoline_kernelINS0_14default_configENS1_25partition_config_selectorILNS1_17partition_subalgoE8EiNS0_10empty_typeEbEEZZNS1_14partition_implILS5_8ELb0ES3_jN6thrust23THRUST_200600_302600_NS6detail15normal_iteratorINSA_10device_ptrIiEEEEPS6_PKS6_NS0_5tupleIJSF_S6_EEENSJ_IJSG_SG_EEENS0_18inequality_wrapperINSA_8equal_toIiEEEEPmJS6_EEE10hipError_tPvRmT3_T4_T5_T6_T7_T9_mT8_P12ihipStream_tbDpT10_ENKUlT_T0_E_clISt17integral_constantIbLb0EES19_IbLb1EEEEDaS15_S16_EUlS15_E_NS1_11comp_targetILNS1_3genE0ELNS1_11target_archE4294967295ELNS1_3gpuE0ELNS1_3repE0EEENS1_30default_config_static_selectorELNS0_4arch9wavefront6targetE1EEEvT1_: ; @_ZN7rocprim17ROCPRIM_400000_NS6detail17trampoline_kernelINS0_14default_configENS1_25partition_config_selectorILNS1_17partition_subalgoE8EiNS0_10empty_typeEbEEZZNS1_14partition_implILS5_8ELb0ES3_jN6thrust23THRUST_200600_302600_NS6detail15normal_iteratorINSA_10device_ptrIiEEEEPS6_PKS6_NS0_5tupleIJSF_S6_EEENSJ_IJSG_SG_EEENS0_18inequality_wrapperINSA_8equal_toIiEEEEPmJS6_EEE10hipError_tPvRmT3_T4_T5_T6_T7_T9_mT8_P12ihipStream_tbDpT10_ENKUlT_T0_E_clISt17integral_constantIbLb0EES19_IbLb1EEEEDaS15_S16_EUlS15_E_NS1_11comp_targetILNS1_3genE0ELNS1_11target_archE4294967295ELNS1_3gpuE0ELNS1_3repE0EEENS1_30default_config_static_selectorELNS0_4arch9wavefront6targetE1EEEvT1_
; %bb.0:
	.section	.rodata,"a",@progbits
	.p2align	6, 0x0
	.amdhsa_kernel _ZN7rocprim17ROCPRIM_400000_NS6detail17trampoline_kernelINS0_14default_configENS1_25partition_config_selectorILNS1_17partition_subalgoE8EiNS0_10empty_typeEbEEZZNS1_14partition_implILS5_8ELb0ES3_jN6thrust23THRUST_200600_302600_NS6detail15normal_iteratorINSA_10device_ptrIiEEEEPS6_PKS6_NS0_5tupleIJSF_S6_EEENSJ_IJSG_SG_EEENS0_18inequality_wrapperINSA_8equal_toIiEEEEPmJS6_EEE10hipError_tPvRmT3_T4_T5_T6_T7_T9_mT8_P12ihipStream_tbDpT10_ENKUlT_T0_E_clISt17integral_constantIbLb0EES19_IbLb1EEEEDaS15_S16_EUlS15_E_NS1_11comp_targetILNS1_3genE0ELNS1_11target_archE4294967295ELNS1_3gpuE0ELNS1_3repE0EEENS1_30default_config_static_selectorELNS0_4arch9wavefront6targetE1EEEvT1_
		.amdhsa_group_segment_fixed_size 0
		.amdhsa_private_segment_fixed_size 0
		.amdhsa_kernarg_size 128
		.amdhsa_user_sgpr_count 6
		.amdhsa_user_sgpr_private_segment_buffer 1
		.amdhsa_user_sgpr_dispatch_ptr 0
		.amdhsa_user_sgpr_queue_ptr 0
		.amdhsa_user_sgpr_kernarg_segment_ptr 1
		.amdhsa_user_sgpr_dispatch_id 0
		.amdhsa_user_sgpr_flat_scratch_init 0
		.amdhsa_user_sgpr_private_segment_size 0
		.amdhsa_uses_dynamic_stack 0
		.amdhsa_system_sgpr_private_segment_wavefront_offset 0
		.amdhsa_system_sgpr_workgroup_id_x 1
		.amdhsa_system_sgpr_workgroup_id_y 0
		.amdhsa_system_sgpr_workgroup_id_z 0
		.amdhsa_system_sgpr_workgroup_info 0
		.amdhsa_system_vgpr_workitem_id 0
		.amdhsa_next_free_vgpr 1
		.amdhsa_next_free_sgpr 0
		.amdhsa_reserve_vcc 0
		.amdhsa_reserve_flat_scratch 0
		.amdhsa_float_round_mode_32 0
		.amdhsa_float_round_mode_16_64 0
		.amdhsa_float_denorm_mode_32 3
		.amdhsa_float_denorm_mode_16_64 3
		.amdhsa_dx10_clamp 1
		.amdhsa_ieee_mode 1
		.amdhsa_fp16_overflow 0
		.amdhsa_exception_fp_ieee_invalid_op 0
		.amdhsa_exception_fp_denorm_src 0
		.amdhsa_exception_fp_ieee_div_zero 0
		.amdhsa_exception_fp_ieee_overflow 0
		.amdhsa_exception_fp_ieee_underflow 0
		.amdhsa_exception_fp_ieee_inexact 0
		.amdhsa_exception_int_div_zero 0
	.end_amdhsa_kernel
	.section	.text._ZN7rocprim17ROCPRIM_400000_NS6detail17trampoline_kernelINS0_14default_configENS1_25partition_config_selectorILNS1_17partition_subalgoE8EiNS0_10empty_typeEbEEZZNS1_14partition_implILS5_8ELb0ES3_jN6thrust23THRUST_200600_302600_NS6detail15normal_iteratorINSA_10device_ptrIiEEEEPS6_PKS6_NS0_5tupleIJSF_S6_EEENSJ_IJSG_SG_EEENS0_18inequality_wrapperINSA_8equal_toIiEEEEPmJS6_EEE10hipError_tPvRmT3_T4_T5_T6_T7_T9_mT8_P12ihipStream_tbDpT10_ENKUlT_T0_E_clISt17integral_constantIbLb0EES19_IbLb1EEEEDaS15_S16_EUlS15_E_NS1_11comp_targetILNS1_3genE0ELNS1_11target_archE4294967295ELNS1_3gpuE0ELNS1_3repE0EEENS1_30default_config_static_selectorELNS0_4arch9wavefront6targetE1EEEvT1_,"axG",@progbits,_ZN7rocprim17ROCPRIM_400000_NS6detail17trampoline_kernelINS0_14default_configENS1_25partition_config_selectorILNS1_17partition_subalgoE8EiNS0_10empty_typeEbEEZZNS1_14partition_implILS5_8ELb0ES3_jN6thrust23THRUST_200600_302600_NS6detail15normal_iteratorINSA_10device_ptrIiEEEEPS6_PKS6_NS0_5tupleIJSF_S6_EEENSJ_IJSG_SG_EEENS0_18inequality_wrapperINSA_8equal_toIiEEEEPmJS6_EEE10hipError_tPvRmT3_T4_T5_T6_T7_T9_mT8_P12ihipStream_tbDpT10_ENKUlT_T0_E_clISt17integral_constantIbLb0EES19_IbLb1EEEEDaS15_S16_EUlS15_E_NS1_11comp_targetILNS1_3genE0ELNS1_11target_archE4294967295ELNS1_3gpuE0ELNS1_3repE0EEENS1_30default_config_static_selectorELNS0_4arch9wavefront6targetE1EEEvT1_,comdat
.Lfunc_end428:
	.size	_ZN7rocprim17ROCPRIM_400000_NS6detail17trampoline_kernelINS0_14default_configENS1_25partition_config_selectorILNS1_17partition_subalgoE8EiNS0_10empty_typeEbEEZZNS1_14partition_implILS5_8ELb0ES3_jN6thrust23THRUST_200600_302600_NS6detail15normal_iteratorINSA_10device_ptrIiEEEEPS6_PKS6_NS0_5tupleIJSF_S6_EEENSJ_IJSG_SG_EEENS0_18inequality_wrapperINSA_8equal_toIiEEEEPmJS6_EEE10hipError_tPvRmT3_T4_T5_T6_T7_T9_mT8_P12ihipStream_tbDpT10_ENKUlT_T0_E_clISt17integral_constantIbLb0EES19_IbLb1EEEEDaS15_S16_EUlS15_E_NS1_11comp_targetILNS1_3genE0ELNS1_11target_archE4294967295ELNS1_3gpuE0ELNS1_3repE0EEENS1_30default_config_static_selectorELNS0_4arch9wavefront6targetE1EEEvT1_, .Lfunc_end428-_ZN7rocprim17ROCPRIM_400000_NS6detail17trampoline_kernelINS0_14default_configENS1_25partition_config_selectorILNS1_17partition_subalgoE8EiNS0_10empty_typeEbEEZZNS1_14partition_implILS5_8ELb0ES3_jN6thrust23THRUST_200600_302600_NS6detail15normal_iteratorINSA_10device_ptrIiEEEEPS6_PKS6_NS0_5tupleIJSF_S6_EEENSJ_IJSG_SG_EEENS0_18inequality_wrapperINSA_8equal_toIiEEEEPmJS6_EEE10hipError_tPvRmT3_T4_T5_T6_T7_T9_mT8_P12ihipStream_tbDpT10_ENKUlT_T0_E_clISt17integral_constantIbLb0EES19_IbLb1EEEEDaS15_S16_EUlS15_E_NS1_11comp_targetILNS1_3genE0ELNS1_11target_archE4294967295ELNS1_3gpuE0ELNS1_3repE0EEENS1_30default_config_static_selectorELNS0_4arch9wavefront6targetE1EEEvT1_
                                        ; -- End function
	.set _ZN7rocprim17ROCPRIM_400000_NS6detail17trampoline_kernelINS0_14default_configENS1_25partition_config_selectorILNS1_17partition_subalgoE8EiNS0_10empty_typeEbEEZZNS1_14partition_implILS5_8ELb0ES3_jN6thrust23THRUST_200600_302600_NS6detail15normal_iteratorINSA_10device_ptrIiEEEEPS6_PKS6_NS0_5tupleIJSF_S6_EEENSJ_IJSG_SG_EEENS0_18inequality_wrapperINSA_8equal_toIiEEEEPmJS6_EEE10hipError_tPvRmT3_T4_T5_T6_T7_T9_mT8_P12ihipStream_tbDpT10_ENKUlT_T0_E_clISt17integral_constantIbLb0EES19_IbLb1EEEEDaS15_S16_EUlS15_E_NS1_11comp_targetILNS1_3genE0ELNS1_11target_archE4294967295ELNS1_3gpuE0ELNS1_3repE0EEENS1_30default_config_static_selectorELNS0_4arch9wavefront6targetE1EEEvT1_.num_vgpr, 0
	.set _ZN7rocprim17ROCPRIM_400000_NS6detail17trampoline_kernelINS0_14default_configENS1_25partition_config_selectorILNS1_17partition_subalgoE8EiNS0_10empty_typeEbEEZZNS1_14partition_implILS5_8ELb0ES3_jN6thrust23THRUST_200600_302600_NS6detail15normal_iteratorINSA_10device_ptrIiEEEEPS6_PKS6_NS0_5tupleIJSF_S6_EEENSJ_IJSG_SG_EEENS0_18inequality_wrapperINSA_8equal_toIiEEEEPmJS6_EEE10hipError_tPvRmT3_T4_T5_T6_T7_T9_mT8_P12ihipStream_tbDpT10_ENKUlT_T0_E_clISt17integral_constantIbLb0EES19_IbLb1EEEEDaS15_S16_EUlS15_E_NS1_11comp_targetILNS1_3genE0ELNS1_11target_archE4294967295ELNS1_3gpuE0ELNS1_3repE0EEENS1_30default_config_static_selectorELNS0_4arch9wavefront6targetE1EEEvT1_.num_agpr, 0
	.set _ZN7rocprim17ROCPRIM_400000_NS6detail17trampoline_kernelINS0_14default_configENS1_25partition_config_selectorILNS1_17partition_subalgoE8EiNS0_10empty_typeEbEEZZNS1_14partition_implILS5_8ELb0ES3_jN6thrust23THRUST_200600_302600_NS6detail15normal_iteratorINSA_10device_ptrIiEEEEPS6_PKS6_NS0_5tupleIJSF_S6_EEENSJ_IJSG_SG_EEENS0_18inequality_wrapperINSA_8equal_toIiEEEEPmJS6_EEE10hipError_tPvRmT3_T4_T5_T6_T7_T9_mT8_P12ihipStream_tbDpT10_ENKUlT_T0_E_clISt17integral_constantIbLb0EES19_IbLb1EEEEDaS15_S16_EUlS15_E_NS1_11comp_targetILNS1_3genE0ELNS1_11target_archE4294967295ELNS1_3gpuE0ELNS1_3repE0EEENS1_30default_config_static_selectorELNS0_4arch9wavefront6targetE1EEEvT1_.numbered_sgpr, 0
	.set _ZN7rocprim17ROCPRIM_400000_NS6detail17trampoline_kernelINS0_14default_configENS1_25partition_config_selectorILNS1_17partition_subalgoE8EiNS0_10empty_typeEbEEZZNS1_14partition_implILS5_8ELb0ES3_jN6thrust23THRUST_200600_302600_NS6detail15normal_iteratorINSA_10device_ptrIiEEEEPS6_PKS6_NS0_5tupleIJSF_S6_EEENSJ_IJSG_SG_EEENS0_18inequality_wrapperINSA_8equal_toIiEEEEPmJS6_EEE10hipError_tPvRmT3_T4_T5_T6_T7_T9_mT8_P12ihipStream_tbDpT10_ENKUlT_T0_E_clISt17integral_constantIbLb0EES19_IbLb1EEEEDaS15_S16_EUlS15_E_NS1_11comp_targetILNS1_3genE0ELNS1_11target_archE4294967295ELNS1_3gpuE0ELNS1_3repE0EEENS1_30default_config_static_selectorELNS0_4arch9wavefront6targetE1EEEvT1_.num_named_barrier, 0
	.set _ZN7rocprim17ROCPRIM_400000_NS6detail17trampoline_kernelINS0_14default_configENS1_25partition_config_selectorILNS1_17partition_subalgoE8EiNS0_10empty_typeEbEEZZNS1_14partition_implILS5_8ELb0ES3_jN6thrust23THRUST_200600_302600_NS6detail15normal_iteratorINSA_10device_ptrIiEEEEPS6_PKS6_NS0_5tupleIJSF_S6_EEENSJ_IJSG_SG_EEENS0_18inequality_wrapperINSA_8equal_toIiEEEEPmJS6_EEE10hipError_tPvRmT3_T4_T5_T6_T7_T9_mT8_P12ihipStream_tbDpT10_ENKUlT_T0_E_clISt17integral_constantIbLb0EES19_IbLb1EEEEDaS15_S16_EUlS15_E_NS1_11comp_targetILNS1_3genE0ELNS1_11target_archE4294967295ELNS1_3gpuE0ELNS1_3repE0EEENS1_30default_config_static_selectorELNS0_4arch9wavefront6targetE1EEEvT1_.private_seg_size, 0
	.set _ZN7rocprim17ROCPRIM_400000_NS6detail17trampoline_kernelINS0_14default_configENS1_25partition_config_selectorILNS1_17partition_subalgoE8EiNS0_10empty_typeEbEEZZNS1_14partition_implILS5_8ELb0ES3_jN6thrust23THRUST_200600_302600_NS6detail15normal_iteratorINSA_10device_ptrIiEEEEPS6_PKS6_NS0_5tupleIJSF_S6_EEENSJ_IJSG_SG_EEENS0_18inequality_wrapperINSA_8equal_toIiEEEEPmJS6_EEE10hipError_tPvRmT3_T4_T5_T6_T7_T9_mT8_P12ihipStream_tbDpT10_ENKUlT_T0_E_clISt17integral_constantIbLb0EES19_IbLb1EEEEDaS15_S16_EUlS15_E_NS1_11comp_targetILNS1_3genE0ELNS1_11target_archE4294967295ELNS1_3gpuE0ELNS1_3repE0EEENS1_30default_config_static_selectorELNS0_4arch9wavefront6targetE1EEEvT1_.uses_vcc, 0
	.set _ZN7rocprim17ROCPRIM_400000_NS6detail17trampoline_kernelINS0_14default_configENS1_25partition_config_selectorILNS1_17partition_subalgoE8EiNS0_10empty_typeEbEEZZNS1_14partition_implILS5_8ELb0ES3_jN6thrust23THRUST_200600_302600_NS6detail15normal_iteratorINSA_10device_ptrIiEEEEPS6_PKS6_NS0_5tupleIJSF_S6_EEENSJ_IJSG_SG_EEENS0_18inequality_wrapperINSA_8equal_toIiEEEEPmJS6_EEE10hipError_tPvRmT3_T4_T5_T6_T7_T9_mT8_P12ihipStream_tbDpT10_ENKUlT_T0_E_clISt17integral_constantIbLb0EES19_IbLb1EEEEDaS15_S16_EUlS15_E_NS1_11comp_targetILNS1_3genE0ELNS1_11target_archE4294967295ELNS1_3gpuE0ELNS1_3repE0EEENS1_30default_config_static_selectorELNS0_4arch9wavefront6targetE1EEEvT1_.uses_flat_scratch, 0
	.set _ZN7rocprim17ROCPRIM_400000_NS6detail17trampoline_kernelINS0_14default_configENS1_25partition_config_selectorILNS1_17partition_subalgoE8EiNS0_10empty_typeEbEEZZNS1_14partition_implILS5_8ELb0ES3_jN6thrust23THRUST_200600_302600_NS6detail15normal_iteratorINSA_10device_ptrIiEEEEPS6_PKS6_NS0_5tupleIJSF_S6_EEENSJ_IJSG_SG_EEENS0_18inequality_wrapperINSA_8equal_toIiEEEEPmJS6_EEE10hipError_tPvRmT3_T4_T5_T6_T7_T9_mT8_P12ihipStream_tbDpT10_ENKUlT_T0_E_clISt17integral_constantIbLb0EES19_IbLb1EEEEDaS15_S16_EUlS15_E_NS1_11comp_targetILNS1_3genE0ELNS1_11target_archE4294967295ELNS1_3gpuE0ELNS1_3repE0EEENS1_30default_config_static_selectorELNS0_4arch9wavefront6targetE1EEEvT1_.has_dyn_sized_stack, 0
	.set _ZN7rocprim17ROCPRIM_400000_NS6detail17trampoline_kernelINS0_14default_configENS1_25partition_config_selectorILNS1_17partition_subalgoE8EiNS0_10empty_typeEbEEZZNS1_14partition_implILS5_8ELb0ES3_jN6thrust23THRUST_200600_302600_NS6detail15normal_iteratorINSA_10device_ptrIiEEEEPS6_PKS6_NS0_5tupleIJSF_S6_EEENSJ_IJSG_SG_EEENS0_18inequality_wrapperINSA_8equal_toIiEEEEPmJS6_EEE10hipError_tPvRmT3_T4_T5_T6_T7_T9_mT8_P12ihipStream_tbDpT10_ENKUlT_T0_E_clISt17integral_constantIbLb0EES19_IbLb1EEEEDaS15_S16_EUlS15_E_NS1_11comp_targetILNS1_3genE0ELNS1_11target_archE4294967295ELNS1_3gpuE0ELNS1_3repE0EEENS1_30default_config_static_selectorELNS0_4arch9wavefront6targetE1EEEvT1_.has_recursion, 0
	.set _ZN7rocprim17ROCPRIM_400000_NS6detail17trampoline_kernelINS0_14default_configENS1_25partition_config_selectorILNS1_17partition_subalgoE8EiNS0_10empty_typeEbEEZZNS1_14partition_implILS5_8ELb0ES3_jN6thrust23THRUST_200600_302600_NS6detail15normal_iteratorINSA_10device_ptrIiEEEEPS6_PKS6_NS0_5tupleIJSF_S6_EEENSJ_IJSG_SG_EEENS0_18inequality_wrapperINSA_8equal_toIiEEEEPmJS6_EEE10hipError_tPvRmT3_T4_T5_T6_T7_T9_mT8_P12ihipStream_tbDpT10_ENKUlT_T0_E_clISt17integral_constantIbLb0EES19_IbLb1EEEEDaS15_S16_EUlS15_E_NS1_11comp_targetILNS1_3genE0ELNS1_11target_archE4294967295ELNS1_3gpuE0ELNS1_3repE0EEENS1_30default_config_static_selectorELNS0_4arch9wavefront6targetE1EEEvT1_.has_indirect_call, 0
	.section	.AMDGPU.csdata,"",@progbits
; Kernel info:
; codeLenInByte = 0
; TotalNumSgprs: 4
; NumVgprs: 0
; ScratchSize: 0
; MemoryBound: 0
; FloatMode: 240
; IeeeMode: 1
; LDSByteSize: 0 bytes/workgroup (compile time only)
; SGPRBlocks: 0
; VGPRBlocks: 0
; NumSGPRsForWavesPerEU: 4
; NumVGPRsForWavesPerEU: 1
; Occupancy: 10
; WaveLimiterHint : 0
; COMPUTE_PGM_RSRC2:SCRATCH_EN: 0
; COMPUTE_PGM_RSRC2:USER_SGPR: 6
; COMPUTE_PGM_RSRC2:TRAP_HANDLER: 0
; COMPUTE_PGM_RSRC2:TGID_X_EN: 1
; COMPUTE_PGM_RSRC2:TGID_Y_EN: 0
; COMPUTE_PGM_RSRC2:TGID_Z_EN: 0
; COMPUTE_PGM_RSRC2:TIDIG_COMP_CNT: 0
	.section	.text._ZN7rocprim17ROCPRIM_400000_NS6detail17trampoline_kernelINS0_14default_configENS1_25partition_config_selectorILNS1_17partition_subalgoE8EiNS0_10empty_typeEbEEZZNS1_14partition_implILS5_8ELb0ES3_jN6thrust23THRUST_200600_302600_NS6detail15normal_iteratorINSA_10device_ptrIiEEEEPS6_PKS6_NS0_5tupleIJSF_S6_EEENSJ_IJSG_SG_EEENS0_18inequality_wrapperINSA_8equal_toIiEEEEPmJS6_EEE10hipError_tPvRmT3_T4_T5_T6_T7_T9_mT8_P12ihipStream_tbDpT10_ENKUlT_T0_E_clISt17integral_constantIbLb0EES19_IbLb1EEEEDaS15_S16_EUlS15_E_NS1_11comp_targetILNS1_3genE5ELNS1_11target_archE942ELNS1_3gpuE9ELNS1_3repE0EEENS1_30default_config_static_selectorELNS0_4arch9wavefront6targetE1EEEvT1_,"axG",@progbits,_ZN7rocprim17ROCPRIM_400000_NS6detail17trampoline_kernelINS0_14default_configENS1_25partition_config_selectorILNS1_17partition_subalgoE8EiNS0_10empty_typeEbEEZZNS1_14partition_implILS5_8ELb0ES3_jN6thrust23THRUST_200600_302600_NS6detail15normal_iteratorINSA_10device_ptrIiEEEEPS6_PKS6_NS0_5tupleIJSF_S6_EEENSJ_IJSG_SG_EEENS0_18inequality_wrapperINSA_8equal_toIiEEEEPmJS6_EEE10hipError_tPvRmT3_T4_T5_T6_T7_T9_mT8_P12ihipStream_tbDpT10_ENKUlT_T0_E_clISt17integral_constantIbLb0EES19_IbLb1EEEEDaS15_S16_EUlS15_E_NS1_11comp_targetILNS1_3genE5ELNS1_11target_archE942ELNS1_3gpuE9ELNS1_3repE0EEENS1_30default_config_static_selectorELNS0_4arch9wavefront6targetE1EEEvT1_,comdat
	.protected	_ZN7rocprim17ROCPRIM_400000_NS6detail17trampoline_kernelINS0_14default_configENS1_25partition_config_selectorILNS1_17partition_subalgoE8EiNS0_10empty_typeEbEEZZNS1_14partition_implILS5_8ELb0ES3_jN6thrust23THRUST_200600_302600_NS6detail15normal_iteratorINSA_10device_ptrIiEEEEPS6_PKS6_NS0_5tupleIJSF_S6_EEENSJ_IJSG_SG_EEENS0_18inequality_wrapperINSA_8equal_toIiEEEEPmJS6_EEE10hipError_tPvRmT3_T4_T5_T6_T7_T9_mT8_P12ihipStream_tbDpT10_ENKUlT_T0_E_clISt17integral_constantIbLb0EES19_IbLb1EEEEDaS15_S16_EUlS15_E_NS1_11comp_targetILNS1_3genE5ELNS1_11target_archE942ELNS1_3gpuE9ELNS1_3repE0EEENS1_30default_config_static_selectorELNS0_4arch9wavefront6targetE1EEEvT1_ ; -- Begin function _ZN7rocprim17ROCPRIM_400000_NS6detail17trampoline_kernelINS0_14default_configENS1_25partition_config_selectorILNS1_17partition_subalgoE8EiNS0_10empty_typeEbEEZZNS1_14partition_implILS5_8ELb0ES3_jN6thrust23THRUST_200600_302600_NS6detail15normal_iteratorINSA_10device_ptrIiEEEEPS6_PKS6_NS0_5tupleIJSF_S6_EEENSJ_IJSG_SG_EEENS0_18inequality_wrapperINSA_8equal_toIiEEEEPmJS6_EEE10hipError_tPvRmT3_T4_T5_T6_T7_T9_mT8_P12ihipStream_tbDpT10_ENKUlT_T0_E_clISt17integral_constantIbLb0EES19_IbLb1EEEEDaS15_S16_EUlS15_E_NS1_11comp_targetILNS1_3genE5ELNS1_11target_archE942ELNS1_3gpuE9ELNS1_3repE0EEENS1_30default_config_static_selectorELNS0_4arch9wavefront6targetE1EEEvT1_
	.globl	_ZN7rocprim17ROCPRIM_400000_NS6detail17trampoline_kernelINS0_14default_configENS1_25partition_config_selectorILNS1_17partition_subalgoE8EiNS0_10empty_typeEbEEZZNS1_14partition_implILS5_8ELb0ES3_jN6thrust23THRUST_200600_302600_NS6detail15normal_iteratorINSA_10device_ptrIiEEEEPS6_PKS6_NS0_5tupleIJSF_S6_EEENSJ_IJSG_SG_EEENS0_18inequality_wrapperINSA_8equal_toIiEEEEPmJS6_EEE10hipError_tPvRmT3_T4_T5_T6_T7_T9_mT8_P12ihipStream_tbDpT10_ENKUlT_T0_E_clISt17integral_constantIbLb0EES19_IbLb1EEEEDaS15_S16_EUlS15_E_NS1_11comp_targetILNS1_3genE5ELNS1_11target_archE942ELNS1_3gpuE9ELNS1_3repE0EEENS1_30default_config_static_selectorELNS0_4arch9wavefront6targetE1EEEvT1_
	.p2align	8
	.type	_ZN7rocprim17ROCPRIM_400000_NS6detail17trampoline_kernelINS0_14default_configENS1_25partition_config_selectorILNS1_17partition_subalgoE8EiNS0_10empty_typeEbEEZZNS1_14partition_implILS5_8ELb0ES3_jN6thrust23THRUST_200600_302600_NS6detail15normal_iteratorINSA_10device_ptrIiEEEEPS6_PKS6_NS0_5tupleIJSF_S6_EEENSJ_IJSG_SG_EEENS0_18inequality_wrapperINSA_8equal_toIiEEEEPmJS6_EEE10hipError_tPvRmT3_T4_T5_T6_T7_T9_mT8_P12ihipStream_tbDpT10_ENKUlT_T0_E_clISt17integral_constantIbLb0EES19_IbLb1EEEEDaS15_S16_EUlS15_E_NS1_11comp_targetILNS1_3genE5ELNS1_11target_archE942ELNS1_3gpuE9ELNS1_3repE0EEENS1_30default_config_static_selectorELNS0_4arch9wavefront6targetE1EEEvT1_,@function
_ZN7rocprim17ROCPRIM_400000_NS6detail17trampoline_kernelINS0_14default_configENS1_25partition_config_selectorILNS1_17partition_subalgoE8EiNS0_10empty_typeEbEEZZNS1_14partition_implILS5_8ELb0ES3_jN6thrust23THRUST_200600_302600_NS6detail15normal_iteratorINSA_10device_ptrIiEEEEPS6_PKS6_NS0_5tupleIJSF_S6_EEENSJ_IJSG_SG_EEENS0_18inequality_wrapperINSA_8equal_toIiEEEEPmJS6_EEE10hipError_tPvRmT3_T4_T5_T6_T7_T9_mT8_P12ihipStream_tbDpT10_ENKUlT_T0_E_clISt17integral_constantIbLb0EES19_IbLb1EEEEDaS15_S16_EUlS15_E_NS1_11comp_targetILNS1_3genE5ELNS1_11target_archE942ELNS1_3gpuE9ELNS1_3repE0EEENS1_30default_config_static_selectorELNS0_4arch9wavefront6targetE1EEEvT1_: ; @_ZN7rocprim17ROCPRIM_400000_NS6detail17trampoline_kernelINS0_14default_configENS1_25partition_config_selectorILNS1_17partition_subalgoE8EiNS0_10empty_typeEbEEZZNS1_14partition_implILS5_8ELb0ES3_jN6thrust23THRUST_200600_302600_NS6detail15normal_iteratorINSA_10device_ptrIiEEEEPS6_PKS6_NS0_5tupleIJSF_S6_EEENSJ_IJSG_SG_EEENS0_18inequality_wrapperINSA_8equal_toIiEEEEPmJS6_EEE10hipError_tPvRmT3_T4_T5_T6_T7_T9_mT8_P12ihipStream_tbDpT10_ENKUlT_T0_E_clISt17integral_constantIbLb0EES19_IbLb1EEEEDaS15_S16_EUlS15_E_NS1_11comp_targetILNS1_3genE5ELNS1_11target_archE942ELNS1_3gpuE9ELNS1_3repE0EEENS1_30default_config_static_selectorELNS0_4arch9wavefront6targetE1EEEvT1_
; %bb.0:
	.section	.rodata,"a",@progbits
	.p2align	6, 0x0
	.amdhsa_kernel _ZN7rocprim17ROCPRIM_400000_NS6detail17trampoline_kernelINS0_14default_configENS1_25partition_config_selectorILNS1_17partition_subalgoE8EiNS0_10empty_typeEbEEZZNS1_14partition_implILS5_8ELb0ES3_jN6thrust23THRUST_200600_302600_NS6detail15normal_iteratorINSA_10device_ptrIiEEEEPS6_PKS6_NS0_5tupleIJSF_S6_EEENSJ_IJSG_SG_EEENS0_18inequality_wrapperINSA_8equal_toIiEEEEPmJS6_EEE10hipError_tPvRmT3_T4_T5_T6_T7_T9_mT8_P12ihipStream_tbDpT10_ENKUlT_T0_E_clISt17integral_constantIbLb0EES19_IbLb1EEEEDaS15_S16_EUlS15_E_NS1_11comp_targetILNS1_3genE5ELNS1_11target_archE942ELNS1_3gpuE9ELNS1_3repE0EEENS1_30default_config_static_selectorELNS0_4arch9wavefront6targetE1EEEvT1_
		.amdhsa_group_segment_fixed_size 0
		.amdhsa_private_segment_fixed_size 0
		.amdhsa_kernarg_size 128
		.amdhsa_user_sgpr_count 6
		.amdhsa_user_sgpr_private_segment_buffer 1
		.amdhsa_user_sgpr_dispatch_ptr 0
		.amdhsa_user_sgpr_queue_ptr 0
		.amdhsa_user_sgpr_kernarg_segment_ptr 1
		.amdhsa_user_sgpr_dispatch_id 0
		.amdhsa_user_sgpr_flat_scratch_init 0
		.amdhsa_user_sgpr_private_segment_size 0
		.amdhsa_uses_dynamic_stack 0
		.amdhsa_system_sgpr_private_segment_wavefront_offset 0
		.amdhsa_system_sgpr_workgroup_id_x 1
		.amdhsa_system_sgpr_workgroup_id_y 0
		.amdhsa_system_sgpr_workgroup_id_z 0
		.amdhsa_system_sgpr_workgroup_info 0
		.amdhsa_system_vgpr_workitem_id 0
		.amdhsa_next_free_vgpr 1
		.amdhsa_next_free_sgpr 0
		.amdhsa_reserve_vcc 0
		.amdhsa_reserve_flat_scratch 0
		.amdhsa_float_round_mode_32 0
		.amdhsa_float_round_mode_16_64 0
		.amdhsa_float_denorm_mode_32 3
		.amdhsa_float_denorm_mode_16_64 3
		.amdhsa_dx10_clamp 1
		.amdhsa_ieee_mode 1
		.amdhsa_fp16_overflow 0
		.amdhsa_exception_fp_ieee_invalid_op 0
		.amdhsa_exception_fp_denorm_src 0
		.amdhsa_exception_fp_ieee_div_zero 0
		.amdhsa_exception_fp_ieee_overflow 0
		.amdhsa_exception_fp_ieee_underflow 0
		.amdhsa_exception_fp_ieee_inexact 0
		.amdhsa_exception_int_div_zero 0
	.end_amdhsa_kernel
	.section	.text._ZN7rocprim17ROCPRIM_400000_NS6detail17trampoline_kernelINS0_14default_configENS1_25partition_config_selectorILNS1_17partition_subalgoE8EiNS0_10empty_typeEbEEZZNS1_14partition_implILS5_8ELb0ES3_jN6thrust23THRUST_200600_302600_NS6detail15normal_iteratorINSA_10device_ptrIiEEEEPS6_PKS6_NS0_5tupleIJSF_S6_EEENSJ_IJSG_SG_EEENS0_18inequality_wrapperINSA_8equal_toIiEEEEPmJS6_EEE10hipError_tPvRmT3_T4_T5_T6_T7_T9_mT8_P12ihipStream_tbDpT10_ENKUlT_T0_E_clISt17integral_constantIbLb0EES19_IbLb1EEEEDaS15_S16_EUlS15_E_NS1_11comp_targetILNS1_3genE5ELNS1_11target_archE942ELNS1_3gpuE9ELNS1_3repE0EEENS1_30default_config_static_selectorELNS0_4arch9wavefront6targetE1EEEvT1_,"axG",@progbits,_ZN7rocprim17ROCPRIM_400000_NS6detail17trampoline_kernelINS0_14default_configENS1_25partition_config_selectorILNS1_17partition_subalgoE8EiNS0_10empty_typeEbEEZZNS1_14partition_implILS5_8ELb0ES3_jN6thrust23THRUST_200600_302600_NS6detail15normal_iteratorINSA_10device_ptrIiEEEEPS6_PKS6_NS0_5tupleIJSF_S6_EEENSJ_IJSG_SG_EEENS0_18inequality_wrapperINSA_8equal_toIiEEEEPmJS6_EEE10hipError_tPvRmT3_T4_T5_T6_T7_T9_mT8_P12ihipStream_tbDpT10_ENKUlT_T0_E_clISt17integral_constantIbLb0EES19_IbLb1EEEEDaS15_S16_EUlS15_E_NS1_11comp_targetILNS1_3genE5ELNS1_11target_archE942ELNS1_3gpuE9ELNS1_3repE0EEENS1_30default_config_static_selectorELNS0_4arch9wavefront6targetE1EEEvT1_,comdat
.Lfunc_end429:
	.size	_ZN7rocprim17ROCPRIM_400000_NS6detail17trampoline_kernelINS0_14default_configENS1_25partition_config_selectorILNS1_17partition_subalgoE8EiNS0_10empty_typeEbEEZZNS1_14partition_implILS5_8ELb0ES3_jN6thrust23THRUST_200600_302600_NS6detail15normal_iteratorINSA_10device_ptrIiEEEEPS6_PKS6_NS0_5tupleIJSF_S6_EEENSJ_IJSG_SG_EEENS0_18inequality_wrapperINSA_8equal_toIiEEEEPmJS6_EEE10hipError_tPvRmT3_T4_T5_T6_T7_T9_mT8_P12ihipStream_tbDpT10_ENKUlT_T0_E_clISt17integral_constantIbLb0EES19_IbLb1EEEEDaS15_S16_EUlS15_E_NS1_11comp_targetILNS1_3genE5ELNS1_11target_archE942ELNS1_3gpuE9ELNS1_3repE0EEENS1_30default_config_static_selectorELNS0_4arch9wavefront6targetE1EEEvT1_, .Lfunc_end429-_ZN7rocprim17ROCPRIM_400000_NS6detail17trampoline_kernelINS0_14default_configENS1_25partition_config_selectorILNS1_17partition_subalgoE8EiNS0_10empty_typeEbEEZZNS1_14partition_implILS5_8ELb0ES3_jN6thrust23THRUST_200600_302600_NS6detail15normal_iteratorINSA_10device_ptrIiEEEEPS6_PKS6_NS0_5tupleIJSF_S6_EEENSJ_IJSG_SG_EEENS0_18inequality_wrapperINSA_8equal_toIiEEEEPmJS6_EEE10hipError_tPvRmT3_T4_T5_T6_T7_T9_mT8_P12ihipStream_tbDpT10_ENKUlT_T0_E_clISt17integral_constantIbLb0EES19_IbLb1EEEEDaS15_S16_EUlS15_E_NS1_11comp_targetILNS1_3genE5ELNS1_11target_archE942ELNS1_3gpuE9ELNS1_3repE0EEENS1_30default_config_static_selectorELNS0_4arch9wavefront6targetE1EEEvT1_
                                        ; -- End function
	.set _ZN7rocprim17ROCPRIM_400000_NS6detail17trampoline_kernelINS0_14default_configENS1_25partition_config_selectorILNS1_17partition_subalgoE8EiNS0_10empty_typeEbEEZZNS1_14partition_implILS5_8ELb0ES3_jN6thrust23THRUST_200600_302600_NS6detail15normal_iteratorINSA_10device_ptrIiEEEEPS6_PKS6_NS0_5tupleIJSF_S6_EEENSJ_IJSG_SG_EEENS0_18inequality_wrapperINSA_8equal_toIiEEEEPmJS6_EEE10hipError_tPvRmT3_T4_T5_T6_T7_T9_mT8_P12ihipStream_tbDpT10_ENKUlT_T0_E_clISt17integral_constantIbLb0EES19_IbLb1EEEEDaS15_S16_EUlS15_E_NS1_11comp_targetILNS1_3genE5ELNS1_11target_archE942ELNS1_3gpuE9ELNS1_3repE0EEENS1_30default_config_static_selectorELNS0_4arch9wavefront6targetE1EEEvT1_.num_vgpr, 0
	.set _ZN7rocprim17ROCPRIM_400000_NS6detail17trampoline_kernelINS0_14default_configENS1_25partition_config_selectorILNS1_17partition_subalgoE8EiNS0_10empty_typeEbEEZZNS1_14partition_implILS5_8ELb0ES3_jN6thrust23THRUST_200600_302600_NS6detail15normal_iteratorINSA_10device_ptrIiEEEEPS6_PKS6_NS0_5tupleIJSF_S6_EEENSJ_IJSG_SG_EEENS0_18inequality_wrapperINSA_8equal_toIiEEEEPmJS6_EEE10hipError_tPvRmT3_T4_T5_T6_T7_T9_mT8_P12ihipStream_tbDpT10_ENKUlT_T0_E_clISt17integral_constantIbLb0EES19_IbLb1EEEEDaS15_S16_EUlS15_E_NS1_11comp_targetILNS1_3genE5ELNS1_11target_archE942ELNS1_3gpuE9ELNS1_3repE0EEENS1_30default_config_static_selectorELNS0_4arch9wavefront6targetE1EEEvT1_.num_agpr, 0
	.set _ZN7rocprim17ROCPRIM_400000_NS6detail17trampoline_kernelINS0_14default_configENS1_25partition_config_selectorILNS1_17partition_subalgoE8EiNS0_10empty_typeEbEEZZNS1_14partition_implILS5_8ELb0ES3_jN6thrust23THRUST_200600_302600_NS6detail15normal_iteratorINSA_10device_ptrIiEEEEPS6_PKS6_NS0_5tupleIJSF_S6_EEENSJ_IJSG_SG_EEENS0_18inequality_wrapperINSA_8equal_toIiEEEEPmJS6_EEE10hipError_tPvRmT3_T4_T5_T6_T7_T9_mT8_P12ihipStream_tbDpT10_ENKUlT_T0_E_clISt17integral_constantIbLb0EES19_IbLb1EEEEDaS15_S16_EUlS15_E_NS1_11comp_targetILNS1_3genE5ELNS1_11target_archE942ELNS1_3gpuE9ELNS1_3repE0EEENS1_30default_config_static_selectorELNS0_4arch9wavefront6targetE1EEEvT1_.numbered_sgpr, 0
	.set _ZN7rocprim17ROCPRIM_400000_NS6detail17trampoline_kernelINS0_14default_configENS1_25partition_config_selectorILNS1_17partition_subalgoE8EiNS0_10empty_typeEbEEZZNS1_14partition_implILS5_8ELb0ES3_jN6thrust23THRUST_200600_302600_NS6detail15normal_iteratorINSA_10device_ptrIiEEEEPS6_PKS6_NS0_5tupleIJSF_S6_EEENSJ_IJSG_SG_EEENS0_18inequality_wrapperINSA_8equal_toIiEEEEPmJS6_EEE10hipError_tPvRmT3_T4_T5_T6_T7_T9_mT8_P12ihipStream_tbDpT10_ENKUlT_T0_E_clISt17integral_constantIbLb0EES19_IbLb1EEEEDaS15_S16_EUlS15_E_NS1_11comp_targetILNS1_3genE5ELNS1_11target_archE942ELNS1_3gpuE9ELNS1_3repE0EEENS1_30default_config_static_selectorELNS0_4arch9wavefront6targetE1EEEvT1_.num_named_barrier, 0
	.set _ZN7rocprim17ROCPRIM_400000_NS6detail17trampoline_kernelINS0_14default_configENS1_25partition_config_selectorILNS1_17partition_subalgoE8EiNS0_10empty_typeEbEEZZNS1_14partition_implILS5_8ELb0ES3_jN6thrust23THRUST_200600_302600_NS6detail15normal_iteratorINSA_10device_ptrIiEEEEPS6_PKS6_NS0_5tupleIJSF_S6_EEENSJ_IJSG_SG_EEENS0_18inequality_wrapperINSA_8equal_toIiEEEEPmJS6_EEE10hipError_tPvRmT3_T4_T5_T6_T7_T9_mT8_P12ihipStream_tbDpT10_ENKUlT_T0_E_clISt17integral_constantIbLb0EES19_IbLb1EEEEDaS15_S16_EUlS15_E_NS1_11comp_targetILNS1_3genE5ELNS1_11target_archE942ELNS1_3gpuE9ELNS1_3repE0EEENS1_30default_config_static_selectorELNS0_4arch9wavefront6targetE1EEEvT1_.private_seg_size, 0
	.set _ZN7rocprim17ROCPRIM_400000_NS6detail17trampoline_kernelINS0_14default_configENS1_25partition_config_selectorILNS1_17partition_subalgoE8EiNS0_10empty_typeEbEEZZNS1_14partition_implILS5_8ELb0ES3_jN6thrust23THRUST_200600_302600_NS6detail15normal_iteratorINSA_10device_ptrIiEEEEPS6_PKS6_NS0_5tupleIJSF_S6_EEENSJ_IJSG_SG_EEENS0_18inequality_wrapperINSA_8equal_toIiEEEEPmJS6_EEE10hipError_tPvRmT3_T4_T5_T6_T7_T9_mT8_P12ihipStream_tbDpT10_ENKUlT_T0_E_clISt17integral_constantIbLb0EES19_IbLb1EEEEDaS15_S16_EUlS15_E_NS1_11comp_targetILNS1_3genE5ELNS1_11target_archE942ELNS1_3gpuE9ELNS1_3repE0EEENS1_30default_config_static_selectorELNS0_4arch9wavefront6targetE1EEEvT1_.uses_vcc, 0
	.set _ZN7rocprim17ROCPRIM_400000_NS6detail17trampoline_kernelINS0_14default_configENS1_25partition_config_selectorILNS1_17partition_subalgoE8EiNS0_10empty_typeEbEEZZNS1_14partition_implILS5_8ELb0ES3_jN6thrust23THRUST_200600_302600_NS6detail15normal_iteratorINSA_10device_ptrIiEEEEPS6_PKS6_NS0_5tupleIJSF_S6_EEENSJ_IJSG_SG_EEENS0_18inequality_wrapperINSA_8equal_toIiEEEEPmJS6_EEE10hipError_tPvRmT3_T4_T5_T6_T7_T9_mT8_P12ihipStream_tbDpT10_ENKUlT_T0_E_clISt17integral_constantIbLb0EES19_IbLb1EEEEDaS15_S16_EUlS15_E_NS1_11comp_targetILNS1_3genE5ELNS1_11target_archE942ELNS1_3gpuE9ELNS1_3repE0EEENS1_30default_config_static_selectorELNS0_4arch9wavefront6targetE1EEEvT1_.uses_flat_scratch, 0
	.set _ZN7rocprim17ROCPRIM_400000_NS6detail17trampoline_kernelINS0_14default_configENS1_25partition_config_selectorILNS1_17partition_subalgoE8EiNS0_10empty_typeEbEEZZNS1_14partition_implILS5_8ELb0ES3_jN6thrust23THRUST_200600_302600_NS6detail15normal_iteratorINSA_10device_ptrIiEEEEPS6_PKS6_NS0_5tupleIJSF_S6_EEENSJ_IJSG_SG_EEENS0_18inequality_wrapperINSA_8equal_toIiEEEEPmJS6_EEE10hipError_tPvRmT3_T4_T5_T6_T7_T9_mT8_P12ihipStream_tbDpT10_ENKUlT_T0_E_clISt17integral_constantIbLb0EES19_IbLb1EEEEDaS15_S16_EUlS15_E_NS1_11comp_targetILNS1_3genE5ELNS1_11target_archE942ELNS1_3gpuE9ELNS1_3repE0EEENS1_30default_config_static_selectorELNS0_4arch9wavefront6targetE1EEEvT1_.has_dyn_sized_stack, 0
	.set _ZN7rocprim17ROCPRIM_400000_NS6detail17trampoline_kernelINS0_14default_configENS1_25partition_config_selectorILNS1_17partition_subalgoE8EiNS0_10empty_typeEbEEZZNS1_14partition_implILS5_8ELb0ES3_jN6thrust23THRUST_200600_302600_NS6detail15normal_iteratorINSA_10device_ptrIiEEEEPS6_PKS6_NS0_5tupleIJSF_S6_EEENSJ_IJSG_SG_EEENS0_18inequality_wrapperINSA_8equal_toIiEEEEPmJS6_EEE10hipError_tPvRmT3_T4_T5_T6_T7_T9_mT8_P12ihipStream_tbDpT10_ENKUlT_T0_E_clISt17integral_constantIbLb0EES19_IbLb1EEEEDaS15_S16_EUlS15_E_NS1_11comp_targetILNS1_3genE5ELNS1_11target_archE942ELNS1_3gpuE9ELNS1_3repE0EEENS1_30default_config_static_selectorELNS0_4arch9wavefront6targetE1EEEvT1_.has_recursion, 0
	.set _ZN7rocprim17ROCPRIM_400000_NS6detail17trampoline_kernelINS0_14default_configENS1_25partition_config_selectorILNS1_17partition_subalgoE8EiNS0_10empty_typeEbEEZZNS1_14partition_implILS5_8ELb0ES3_jN6thrust23THRUST_200600_302600_NS6detail15normal_iteratorINSA_10device_ptrIiEEEEPS6_PKS6_NS0_5tupleIJSF_S6_EEENSJ_IJSG_SG_EEENS0_18inequality_wrapperINSA_8equal_toIiEEEEPmJS6_EEE10hipError_tPvRmT3_T4_T5_T6_T7_T9_mT8_P12ihipStream_tbDpT10_ENKUlT_T0_E_clISt17integral_constantIbLb0EES19_IbLb1EEEEDaS15_S16_EUlS15_E_NS1_11comp_targetILNS1_3genE5ELNS1_11target_archE942ELNS1_3gpuE9ELNS1_3repE0EEENS1_30default_config_static_selectorELNS0_4arch9wavefront6targetE1EEEvT1_.has_indirect_call, 0
	.section	.AMDGPU.csdata,"",@progbits
; Kernel info:
; codeLenInByte = 0
; TotalNumSgprs: 4
; NumVgprs: 0
; ScratchSize: 0
; MemoryBound: 0
; FloatMode: 240
; IeeeMode: 1
; LDSByteSize: 0 bytes/workgroup (compile time only)
; SGPRBlocks: 0
; VGPRBlocks: 0
; NumSGPRsForWavesPerEU: 4
; NumVGPRsForWavesPerEU: 1
; Occupancy: 10
; WaveLimiterHint : 0
; COMPUTE_PGM_RSRC2:SCRATCH_EN: 0
; COMPUTE_PGM_RSRC2:USER_SGPR: 6
; COMPUTE_PGM_RSRC2:TRAP_HANDLER: 0
; COMPUTE_PGM_RSRC2:TGID_X_EN: 1
; COMPUTE_PGM_RSRC2:TGID_Y_EN: 0
; COMPUTE_PGM_RSRC2:TGID_Z_EN: 0
; COMPUTE_PGM_RSRC2:TIDIG_COMP_CNT: 0
	.section	.text._ZN7rocprim17ROCPRIM_400000_NS6detail17trampoline_kernelINS0_14default_configENS1_25partition_config_selectorILNS1_17partition_subalgoE8EiNS0_10empty_typeEbEEZZNS1_14partition_implILS5_8ELb0ES3_jN6thrust23THRUST_200600_302600_NS6detail15normal_iteratorINSA_10device_ptrIiEEEEPS6_PKS6_NS0_5tupleIJSF_S6_EEENSJ_IJSG_SG_EEENS0_18inequality_wrapperINSA_8equal_toIiEEEEPmJS6_EEE10hipError_tPvRmT3_T4_T5_T6_T7_T9_mT8_P12ihipStream_tbDpT10_ENKUlT_T0_E_clISt17integral_constantIbLb0EES19_IbLb1EEEEDaS15_S16_EUlS15_E_NS1_11comp_targetILNS1_3genE4ELNS1_11target_archE910ELNS1_3gpuE8ELNS1_3repE0EEENS1_30default_config_static_selectorELNS0_4arch9wavefront6targetE1EEEvT1_,"axG",@progbits,_ZN7rocprim17ROCPRIM_400000_NS6detail17trampoline_kernelINS0_14default_configENS1_25partition_config_selectorILNS1_17partition_subalgoE8EiNS0_10empty_typeEbEEZZNS1_14partition_implILS5_8ELb0ES3_jN6thrust23THRUST_200600_302600_NS6detail15normal_iteratorINSA_10device_ptrIiEEEEPS6_PKS6_NS0_5tupleIJSF_S6_EEENSJ_IJSG_SG_EEENS0_18inequality_wrapperINSA_8equal_toIiEEEEPmJS6_EEE10hipError_tPvRmT3_T4_T5_T6_T7_T9_mT8_P12ihipStream_tbDpT10_ENKUlT_T0_E_clISt17integral_constantIbLb0EES19_IbLb1EEEEDaS15_S16_EUlS15_E_NS1_11comp_targetILNS1_3genE4ELNS1_11target_archE910ELNS1_3gpuE8ELNS1_3repE0EEENS1_30default_config_static_selectorELNS0_4arch9wavefront6targetE1EEEvT1_,comdat
	.protected	_ZN7rocprim17ROCPRIM_400000_NS6detail17trampoline_kernelINS0_14default_configENS1_25partition_config_selectorILNS1_17partition_subalgoE8EiNS0_10empty_typeEbEEZZNS1_14partition_implILS5_8ELb0ES3_jN6thrust23THRUST_200600_302600_NS6detail15normal_iteratorINSA_10device_ptrIiEEEEPS6_PKS6_NS0_5tupleIJSF_S6_EEENSJ_IJSG_SG_EEENS0_18inequality_wrapperINSA_8equal_toIiEEEEPmJS6_EEE10hipError_tPvRmT3_T4_T5_T6_T7_T9_mT8_P12ihipStream_tbDpT10_ENKUlT_T0_E_clISt17integral_constantIbLb0EES19_IbLb1EEEEDaS15_S16_EUlS15_E_NS1_11comp_targetILNS1_3genE4ELNS1_11target_archE910ELNS1_3gpuE8ELNS1_3repE0EEENS1_30default_config_static_selectorELNS0_4arch9wavefront6targetE1EEEvT1_ ; -- Begin function _ZN7rocprim17ROCPRIM_400000_NS6detail17trampoline_kernelINS0_14default_configENS1_25partition_config_selectorILNS1_17partition_subalgoE8EiNS0_10empty_typeEbEEZZNS1_14partition_implILS5_8ELb0ES3_jN6thrust23THRUST_200600_302600_NS6detail15normal_iteratorINSA_10device_ptrIiEEEEPS6_PKS6_NS0_5tupleIJSF_S6_EEENSJ_IJSG_SG_EEENS0_18inequality_wrapperINSA_8equal_toIiEEEEPmJS6_EEE10hipError_tPvRmT3_T4_T5_T6_T7_T9_mT8_P12ihipStream_tbDpT10_ENKUlT_T0_E_clISt17integral_constantIbLb0EES19_IbLb1EEEEDaS15_S16_EUlS15_E_NS1_11comp_targetILNS1_3genE4ELNS1_11target_archE910ELNS1_3gpuE8ELNS1_3repE0EEENS1_30default_config_static_selectorELNS0_4arch9wavefront6targetE1EEEvT1_
	.globl	_ZN7rocprim17ROCPRIM_400000_NS6detail17trampoline_kernelINS0_14default_configENS1_25partition_config_selectorILNS1_17partition_subalgoE8EiNS0_10empty_typeEbEEZZNS1_14partition_implILS5_8ELb0ES3_jN6thrust23THRUST_200600_302600_NS6detail15normal_iteratorINSA_10device_ptrIiEEEEPS6_PKS6_NS0_5tupleIJSF_S6_EEENSJ_IJSG_SG_EEENS0_18inequality_wrapperINSA_8equal_toIiEEEEPmJS6_EEE10hipError_tPvRmT3_T4_T5_T6_T7_T9_mT8_P12ihipStream_tbDpT10_ENKUlT_T0_E_clISt17integral_constantIbLb0EES19_IbLb1EEEEDaS15_S16_EUlS15_E_NS1_11comp_targetILNS1_3genE4ELNS1_11target_archE910ELNS1_3gpuE8ELNS1_3repE0EEENS1_30default_config_static_selectorELNS0_4arch9wavefront6targetE1EEEvT1_
	.p2align	8
	.type	_ZN7rocprim17ROCPRIM_400000_NS6detail17trampoline_kernelINS0_14default_configENS1_25partition_config_selectorILNS1_17partition_subalgoE8EiNS0_10empty_typeEbEEZZNS1_14partition_implILS5_8ELb0ES3_jN6thrust23THRUST_200600_302600_NS6detail15normal_iteratorINSA_10device_ptrIiEEEEPS6_PKS6_NS0_5tupleIJSF_S6_EEENSJ_IJSG_SG_EEENS0_18inequality_wrapperINSA_8equal_toIiEEEEPmJS6_EEE10hipError_tPvRmT3_T4_T5_T6_T7_T9_mT8_P12ihipStream_tbDpT10_ENKUlT_T0_E_clISt17integral_constantIbLb0EES19_IbLb1EEEEDaS15_S16_EUlS15_E_NS1_11comp_targetILNS1_3genE4ELNS1_11target_archE910ELNS1_3gpuE8ELNS1_3repE0EEENS1_30default_config_static_selectorELNS0_4arch9wavefront6targetE1EEEvT1_,@function
_ZN7rocprim17ROCPRIM_400000_NS6detail17trampoline_kernelINS0_14default_configENS1_25partition_config_selectorILNS1_17partition_subalgoE8EiNS0_10empty_typeEbEEZZNS1_14partition_implILS5_8ELb0ES3_jN6thrust23THRUST_200600_302600_NS6detail15normal_iteratorINSA_10device_ptrIiEEEEPS6_PKS6_NS0_5tupleIJSF_S6_EEENSJ_IJSG_SG_EEENS0_18inequality_wrapperINSA_8equal_toIiEEEEPmJS6_EEE10hipError_tPvRmT3_T4_T5_T6_T7_T9_mT8_P12ihipStream_tbDpT10_ENKUlT_T0_E_clISt17integral_constantIbLb0EES19_IbLb1EEEEDaS15_S16_EUlS15_E_NS1_11comp_targetILNS1_3genE4ELNS1_11target_archE910ELNS1_3gpuE8ELNS1_3repE0EEENS1_30default_config_static_selectorELNS0_4arch9wavefront6targetE1EEEvT1_: ; @_ZN7rocprim17ROCPRIM_400000_NS6detail17trampoline_kernelINS0_14default_configENS1_25partition_config_selectorILNS1_17partition_subalgoE8EiNS0_10empty_typeEbEEZZNS1_14partition_implILS5_8ELb0ES3_jN6thrust23THRUST_200600_302600_NS6detail15normal_iteratorINSA_10device_ptrIiEEEEPS6_PKS6_NS0_5tupleIJSF_S6_EEENSJ_IJSG_SG_EEENS0_18inequality_wrapperINSA_8equal_toIiEEEEPmJS6_EEE10hipError_tPvRmT3_T4_T5_T6_T7_T9_mT8_P12ihipStream_tbDpT10_ENKUlT_T0_E_clISt17integral_constantIbLb0EES19_IbLb1EEEEDaS15_S16_EUlS15_E_NS1_11comp_targetILNS1_3genE4ELNS1_11target_archE910ELNS1_3gpuE8ELNS1_3repE0EEENS1_30default_config_static_selectorELNS0_4arch9wavefront6targetE1EEEvT1_
; %bb.0:
	.section	.rodata,"a",@progbits
	.p2align	6, 0x0
	.amdhsa_kernel _ZN7rocprim17ROCPRIM_400000_NS6detail17trampoline_kernelINS0_14default_configENS1_25partition_config_selectorILNS1_17partition_subalgoE8EiNS0_10empty_typeEbEEZZNS1_14partition_implILS5_8ELb0ES3_jN6thrust23THRUST_200600_302600_NS6detail15normal_iteratorINSA_10device_ptrIiEEEEPS6_PKS6_NS0_5tupleIJSF_S6_EEENSJ_IJSG_SG_EEENS0_18inequality_wrapperINSA_8equal_toIiEEEEPmJS6_EEE10hipError_tPvRmT3_T4_T5_T6_T7_T9_mT8_P12ihipStream_tbDpT10_ENKUlT_T0_E_clISt17integral_constantIbLb0EES19_IbLb1EEEEDaS15_S16_EUlS15_E_NS1_11comp_targetILNS1_3genE4ELNS1_11target_archE910ELNS1_3gpuE8ELNS1_3repE0EEENS1_30default_config_static_selectorELNS0_4arch9wavefront6targetE1EEEvT1_
		.amdhsa_group_segment_fixed_size 0
		.amdhsa_private_segment_fixed_size 0
		.amdhsa_kernarg_size 128
		.amdhsa_user_sgpr_count 6
		.amdhsa_user_sgpr_private_segment_buffer 1
		.amdhsa_user_sgpr_dispatch_ptr 0
		.amdhsa_user_sgpr_queue_ptr 0
		.amdhsa_user_sgpr_kernarg_segment_ptr 1
		.amdhsa_user_sgpr_dispatch_id 0
		.amdhsa_user_sgpr_flat_scratch_init 0
		.amdhsa_user_sgpr_private_segment_size 0
		.amdhsa_uses_dynamic_stack 0
		.amdhsa_system_sgpr_private_segment_wavefront_offset 0
		.amdhsa_system_sgpr_workgroup_id_x 1
		.amdhsa_system_sgpr_workgroup_id_y 0
		.amdhsa_system_sgpr_workgroup_id_z 0
		.amdhsa_system_sgpr_workgroup_info 0
		.amdhsa_system_vgpr_workitem_id 0
		.amdhsa_next_free_vgpr 1
		.amdhsa_next_free_sgpr 0
		.amdhsa_reserve_vcc 0
		.amdhsa_reserve_flat_scratch 0
		.amdhsa_float_round_mode_32 0
		.amdhsa_float_round_mode_16_64 0
		.amdhsa_float_denorm_mode_32 3
		.amdhsa_float_denorm_mode_16_64 3
		.amdhsa_dx10_clamp 1
		.amdhsa_ieee_mode 1
		.amdhsa_fp16_overflow 0
		.amdhsa_exception_fp_ieee_invalid_op 0
		.amdhsa_exception_fp_denorm_src 0
		.amdhsa_exception_fp_ieee_div_zero 0
		.amdhsa_exception_fp_ieee_overflow 0
		.amdhsa_exception_fp_ieee_underflow 0
		.amdhsa_exception_fp_ieee_inexact 0
		.amdhsa_exception_int_div_zero 0
	.end_amdhsa_kernel
	.section	.text._ZN7rocprim17ROCPRIM_400000_NS6detail17trampoline_kernelINS0_14default_configENS1_25partition_config_selectorILNS1_17partition_subalgoE8EiNS0_10empty_typeEbEEZZNS1_14partition_implILS5_8ELb0ES3_jN6thrust23THRUST_200600_302600_NS6detail15normal_iteratorINSA_10device_ptrIiEEEEPS6_PKS6_NS0_5tupleIJSF_S6_EEENSJ_IJSG_SG_EEENS0_18inequality_wrapperINSA_8equal_toIiEEEEPmJS6_EEE10hipError_tPvRmT3_T4_T5_T6_T7_T9_mT8_P12ihipStream_tbDpT10_ENKUlT_T0_E_clISt17integral_constantIbLb0EES19_IbLb1EEEEDaS15_S16_EUlS15_E_NS1_11comp_targetILNS1_3genE4ELNS1_11target_archE910ELNS1_3gpuE8ELNS1_3repE0EEENS1_30default_config_static_selectorELNS0_4arch9wavefront6targetE1EEEvT1_,"axG",@progbits,_ZN7rocprim17ROCPRIM_400000_NS6detail17trampoline_kernelINS0_14default_configENS1_25partition_config_selectorILNS1_17partition_subalgoE8EiNS0_10empty_typeEbEEZZNS1_14partition_implILS5_8ELb0ES3_jN6thrust23THRUST_200600_302600_NS6detail15normal_iteratorINSA_10device_ptrIiEEEEPS6_PKS6_NS0_5tupleIJSF_S6_EEENSJ_IJSG_SG_EEENS0_18inequality_wrapperINSA_8equal_toIiEEEEPmJS6_EEE10hipError_tPvRmT3_T4_T5_T6_T7_T9_mT8_P12ihipStream_tbDpT10_ENKUlT_T0_E_clISt17integral_constantIbLb0EES19_IbLb1EEEEDaS15_S16_EUlS15_E_NS1_11comp_targetILNS1_3genE4ELNS1_11target_archE910ELNS1_3gpuE8ELNS1_3repE0EEENS1_30default_config_static_selectorELNS0_4arch9wavefront6targetE1EEEvT1_,comdat
.Lfunc_end430:
	.size	_ZN7rocprim17ROCPRIM_400000_NS6detail17trampoline_kernelINS0_14default_configENS1_25partition_config_selectorILNS1_17partition_subalgoE8EiNS0_10empty_typeEbEEZZNS1_14partition_implILS5_8ELb0ES3_jN6thrust23THRUST_200600_302600_NS6detail15normal_iteratorINSA_10device_ptrIiEEEEPS6_PKS6_NS0_5tupleIJSF_S6_EEENSJ_IJSG_SG_EEENS0_18inequality_wrapperINSA_8equal_toIiEEEEPmJS6_EEE10hipError_tPvRmT3_T4_T5_T6_T7_T9_mT8_P12ihipStream_tbDpT10_ENKUlT_T0_E_clISt17integral_constantIbLb0EES19_IbLb1EEEEDaS15_S16_EUlS15_E_NS1_11comp_targetILNS1_3genE4ELNS1_11target_archE910ELNS1_3gpuE8ELNS1_3repE0EEENS1_30default_config_static_selectorELNS0_4arch9wavefront6targetE1EEEvT1_, .Lfunc_end430-_ZN7rocprim17ROCPRIM_400000_NS6detail17trampoline_kernelINS0_14default_configENS1_25partition_config_selectorILNS1_17partition_subalgoE8EiNS0_10empty_typeEbEEZZNS1_14partition_implILS5_8ELb0ES3_jN6thrust23THRUST_200600_302600_NS6detail15normal_iteratorINSA_10device_ptrIiEEEEPS6_PKS6_NS0_5tupleIJSF_S6_EEENSJ_IJSG_SG_EEENS0_18inequality_wrapperINSA_8equal_toIiEEEEPmJS6_EEE10hipError_tPvRmT3_T4_T5_T6_T7_T9_mT8_P12ihipStream_tbDpT10_ENKUlT_T0_E_clISt17integral_constantIbLb0EES19_IbLb1EEEEDaS15_S16_EUlS15_E_NS1_11comp_targetILNS1_3genE4ELNS1_11target_archE910ELNS1_3gpuE8ELNS1_3repE0EEENS1_30default_config_static_selectorELNS0_4arch9wavefront6targetE1EEEvT1_
                                        ; -- End function
	.set _ZN7rocprim17ROCPRIM_400000_NS6detail17trampoline_kernelINS0_14default_configENS1_25partition_config_selectorILNS1_17partition_subalgoE8EiNS0_10empty_typeEbEEZZNS1_14partition_implILS5_8ELb0ES3_jN6thrust23THRUST_200600_302600_NS6detail15normal_iteratorINSA_10device_ptrIiEEEEPS6_PKS6_NS0_5tupleIJSF_S6_EEENSJ_IJSG_SG_EEENS0_18inequality_wrapperINSA_8equal_toIiEEEEPmJS6_EEE10hipError_tPvRmT3_T4_T5_T6_T7_T9_mT8_P12ihipStream_tbDpT10_ENKUlT_T0_E_clISt17integral_constantIbLb0EES19_IbLb1EEEEDaS15_S16_EUlS15_E_NS1_11comp_targetILNS1_3genE4ELNS1_11target_archE910ELNS1_3gpuE8ELNS1_3repE0EEENS1_30default_config_static_selectorELNS0_4arch9wavefront6targetE1EEEvT1_.num_vgpr, 0
	.set _ZN7rocprim17ROCPRIM_400000_NS6detail17trampoline_kernelINS0_14default_configENS1_25partition_config_selectorILNS1_17partition_subalgoE8EiNS0_10empty_typeEbEEZZNS1_14partition_implILS5_8ELb0ES3_jN6thrust23THRUST_200600_302600_NS6detail15normal_iteratorINSA_10device_ptrIiEEEEPS6_PKS6_NS0_5tupleIJSF_S6_EEENSJ_IJSG_SG_EEENS0_18inequality_wrapperINSA_8equal_toIiEEEEPmJS6_EEE10hipError_tPvRmT3_T4_T5_T6_T7_T9_mT8_P12ihipStream_tbDpT10_ENKUlT_T0_E_clISt17integral_constantIbLb0EES19_IbLb1EEEEDaS15_S16_EUlS15_E_NS1_11comp_targetILNS1_3genE4ELNS1_11target_archE910ELNS1_3gpuE8ELNS1_3repE0EEENS1_30default_config_static_selectorELNS0_4arch9wavefront6targetE1EEEvT1_.num_agpr, 0
	.set _ZN7rocprim17ROCPRIM_400000_NS6detail17trampoline_kernelINS0_14default_configENS1_25partition_config_selectorILNS1_17partition_subalgoE8EiNS0_10empty_typeEbEEZZNS1_14partition_implILS5_8ELb0ES3_jN6thrust23THRUST_200600_302600_NS6detail15normal_iteratorINSA_10device_ptrIiEEEEPS6_PKS6_NS0_5tupleIJSF_S6_EEENSJ_IJSG_SG_EEENS0_18inequality_wrapperINSA_8equal_toIiEEEEPmJS6_EEE10hipError_tPvRmT3_T4_T5_T6_T7_T9_mT8_P12ihipStream_tbDpT10_ENKUlT_T0_E_clISt17integral_constantIbLb0EES19_IbLb1EEEEDaS15_S16_EUlS15_E_NS1_11comp_targetILNS1_3genE4ELNS1_11target_archE910ELNS1_3gpuE8ELNS1_3repE0EEENS1_30default_config_static_selectorELNS0_4arch9wavefront6targetE1EEEvT1_.numbered_sgpr, 0
	.set _ZN7rocprim17ROCPRIM_400000_NS6detail17trampoline_kernelINS0_14default_configENS1_25partition_config_selectorILNS1_17partition_subalgoE8EiNS0_10empty_typeEbEEZZNS1_14partition_implILS5_8ELb0ES3_jN6thrust23THRUST_200600_302600_NS6detail15normal_iteratorINSA_10device_ptrIiEEEEPS6_PKS6_NS0_5tupleIJSF_S6_EEENSJ_IJSG_SG_EEENS0_18inequality_wrapperINSA_8equal_toIiEEEEPmJS6_EEE10hipError_tPvRmT3_T4_T5_T6_T7_T9_mT8_P12ihipStream_tbDpT10_ENKUlT_T0_E_clISt17integral_constantIbLb0EES19_IbLb1EEEEDaS15_S16_EUlS15_E_NS1_11comp_targetILNS1_3genE4ELNS1_11target_archE910ELNS1_3gpuE8ELNS1_3repE0EEENS1_30default_config_static_selectorELNS0_4arch9wavefront6targetE1EEEvT1_.num_named_barrier, 0
	.set _ZN7rocprim17ROCPRIM_400000_NS6detail17trampoline_kernelINS0_14default_configENS1_25partition_config_selectorILNS1_17partition_subalgoE8EiNS0_10empty_typeEbEEZZNS1_14partition_implILS5_8ELb0ES3_jN6thrust23THRUST_200600_302600_NS6detail15normal_iteratorINSA_10device_ptrIiEEEEPS6_PKS6_NS0_5tupleIJSF_S6_EEENSJ_IJSG_SG_EEENS0_18inequality_wrapperINSA_8equal_toIiEEEEPmJS6_EEE10hipError_tPvRmT3_T4_T5_T6_T7_T9_mT8_P12ihipStream_tbDpT10_ENKUlT_T0_E_clISt17integral_constantIbLb0EES19_IbLb1EEEEDaS15_S16_EUlS15_E_NS1_11comp_targetILNS1_3genE4ELNS1_11target_archE910ELNS1_3gpuE8ELNS1_3repE0EEENS1_30default_config_static_selectorELNS0_4arch9wavefront6targetE1EEEvT1_.private_seg_size, 0
	.set _ZN7rocprim17ROCPRIM_400000_NS6detail17trampoline_kernelINS0_14default_configENS1_25partition_config_selectorILNS1_17partition_subalgoE8EiNS0_10empty_typeEbEEZZNS1_14partition_implILS5_8ELb0ES3_jN6thrust23THRUST_200600_302600_NS6detail15normal_iteratorINSA_10device_ptrIiEEEEPS6_PKS6_NS0_5tupleIJSF_S6_EEENSJ_IJSG_SG_EEENS0_18inequality_wrapperINSA_8equal_toIiEEEEPmJS6_EEE10hipError_tPvRmT3_T4_T5_T6_T7_T9_mT8_P12ihipStream_tbDpT10_ENKUlT_T0_E_clISt17integral_constantIbLb0EES19_IbLb1EEEEDaS15_S16_EUlS15_E_NS1_11comp_targetILNS1_3genE4ELNS1_11target_archE910ELNS1_3gpuE8ELNS1_3repE0EEENS1_30default_config_static_selectorELNS0_4arch9wavefront6targetE1EEEvT1_.uses_vcc, 0
	.set _ZN7rocprim17ROCPRIM_400000_NS6detail17trampoline_kernelINS0_14default_configENS1_25partition_config_selectorILNS1_17partition_subalgoE8EiNS0_10empty_typeEbEEZZNS1_14partition_implILS5_8ELb0ES3_jN6thrust23THRUST_200600_302600_NS6detail15normal_iteratorINSA_10device_ptrIiEEEEPS6_PKS6_NS0_5tupleIJSF_S6_EEENSJ_IJSG_SG_EEENS0_18inequality_wrapperINSA_8equal_toIiEEEEPmJS6_EEE10hipError_tPvRmT3_T4_T5_T6_T7_T9_mT8_P12ihipStream_tbDpT10_ENKUlT_T0_E_clISt17integral_constantIbLb0EES19_IbLb1EEEEDaS15_S16_EUlS15_E_NS1_11comp_targetILNS1_3genE4ELNS1_11target_archE910ELNS1_3gpuE8ELNS1_3repE0EEENS1_30default_config_static_selectorELNS0_4arch9wavefront6targetE1EEEvT1_.uses_flat_scratch, 0
	.set _ZN7rocprim17ROCPRIM_400000_NS6detail17trampoline_kernelINS0_14default_configENS1_25partition_config_selectorILNS1_17partition_subalgoE8EiNS0_10empty_typeEbEEZZNS1_14partition_implILS5_8ELb0ES3_jN6thrust23THRUST_200600_302600_NS6detail15normal_iteratorINSA_10device_ptrIiEEEEPS6_PKS6_NS0_5tupleIJSF_S6_EEENSJ_IJSG_SG_EEENS0_18inequality_wrapperINSA_8equal_toIiEEEEPmJS6_EEE10hipError_tPvRmT3_T4_T5_T6_T7_T9_mT8_P12ihipStream_tbDpT10_ENKUlT_T0_E_clISt17integral_constantIbLb0EES19_IbLb1EEEEDaS15_S16_EUlS15_E_NS1_11comp_targetILNS1_3genE4ELNS1_11target_archE910ELNS1_3gpuE8ELNS1_3repE0EEENS1_30default_config_static_selectorELNS0_4arch9wavefront6targetE1EEEvT1_.has_dyn_sized_stack, 0
	.set _ZN7rocprim17ROCPRIM_400000_NS6detail17trampoline_kernelINS0_14default_configENS1_25partition_config_selectorILNS1_17partition_subalgoE8EiNS0_10empty_typeEbEEZZNS1_14partition_implILS5_8ELb0ES3_jN6thrust23THRUST_200600_302600_NS6detail15normal_iteratorINSA_10device_ptrIiEEEEPS6_PKS6_NS0_5tupleIJSF_S6_EEENSJ_IJSG_SG_EEENS0_18inequality_wrapperINSA_8equal_toIiEEEEPmJS6_EEE10hipError_tPvRmT3_T4_T5_T6_T7_T9_mT8_P12ihipStream_tbDpT10_ENKUlT_T0_E_clISt17integral_constantIbLb0EES19_IbLb1EEEEDaS15_S16_EUlS15_E_NS1_11comp_targetILNS1_3genE4ELNS1_11target_archE910ELNS1_3gpuE8ELNS1_3repE0EEENS1_30default_config_static_selectorELNS0_4arch9wavefront6targetE1EEEvT1_.has_recursion, 0
	.set _ZN7rocprim17ROCPRIM_400000_NS6detail17trampoline_kernelINS0_14default_configENS1_25partition_config_selectorILNS1_17partition_subalgoE8EiNS0_10empty_typeEbEEZZNS1_14partition_implILS5_8ELb0ES3_jN6thrust23THRUST_200600_302600_NS6detail15normal_iteratorINSA_10device_ptrIiEEEEPS6_PKS6_NS0_5tupleIJSF_S6_EEENSJ_IJSG_SG_EEENS0_18inequality_wrapperINSA_8equal_toIiEEEEPmJS6_EEE10hipError_tPvRmT3_T4_T5_T6_T7_T9_mT8_P12ihipStream_tbDpT10_ENKUlT_T0_E_clISt17integral_constantIbLb0EES19_IbLb1EEEEDaS15_S16_EUlS15_E_NS1_11comp_targetILNS1_3genE4ELNS1_11target_archE910ELNS1_3gpuE8ELNS1_3repE0EEENS1_30default_config_static_selectorELNS0_4arch9wavefront6targetE1EEEvT1_.has_indirect_call, 0
	.section	.AMDGPU.csdata,"",@progbits
; Kernel info:
; codeLenInByte = 0
; TotalNumSgprs: 4
; NumVgprs: 0
; ScratchSize: 0
; MemoryBound: 0
; FloatMode: 240
; IeeeMode: 1
; LDSByteSize: 0 bytes/workgroup (compile time only)
; SGPRBlocks: 0
; VGPRBlocks: 0
; NumSGPRsForWavesPerEU: 4
; NumVGPRsForWavesPerEU: 1
; Occupancy: 10
; WaveLimiterHint : 0
; COMPUTE_PGM_RSRC2:SCRATCH_EN: 0
; COMPUTE_PGM_RSRC2:USER_SGPR: 6
; COMPUTE_PGM_RSRC2:TRAP_HANDLER: 0
; COMPUTE_PGM_RSRC2:TGID_X_EN: 1
; COMPUTE_PGM_RSRC2:TGID_Y_EN: 0
; COMPUTE_PGM_RSRC2:TGID_Z_EN: 0
; COMPUTE_PGM_RSRC2:TIDIG_COMP_CNT: 0
	.section	.text._ZN7rocprim17ROCPRIM_400000_NS6detail17trampoline_kernelINS0_14default_configENS1_25partition_config_selectorILNS1_17partition_subalgoE8EiNS0_10empty_typeEbEEZZNS1_14partition_implILS5_8ELb0ES3_jN6thrust23THRUST_200600_302600_NS6detail15normal_iteratorINSA_10device_ptrIiEEEEPS6_PKS6_NS0_5tupleIJSF_S6_EEENSJ_IJSG_SG_EEENS0_18inequality_wrapperINSA_8equal_toIiEEEEPmJS6_EEE10hipError_tPvRmT3_T4_T5_T6_T7_T9_mT8_P12ihipStream_tbDpT10_ENKUlT_T0_E_clISt17integral_constantIbLb0EES19_IbLb1EEEEDaS15_S16_EUlS15_E_NS1_11comp_targetILNS1_3genE3ELNS1_11target_archE908ELNS1_3gpuE7ELNS1_3repE0EEENS1_30default_config_static_selectorELNS0_4arch9wavefront6targetE1EEEvT1_,"axG",@progbits,_ZN7rocprim17ROCPRIM_400000_NS6detail17trampoline_kernelINS0_14default_configENS1_25partition_config_selectorILNS1_17partition_subalgoE8EiNS0_10empty_typeEbEEZZNS1_14partition_implILS5_8ELb0ES3_jN6thrust23THRUST_200600_302600_NS6detail15normal_iteratorINSA_10device_ptrIiEEEEPS6_PKS6_NS0_5tupleIJSF_S6_EEENSJ_IJSG_SG_EEENS0_18inequality_wrapperINSA_8equal_toIiEEEEPmJS6_EEE10hipError_tPvRmT3_T4_T5_T6_T7_T9_mT8_P12ihipStream_tbDpT10_ENKUlT_T0_E_clISt17integral_constantIbLb0EES19_IbLb1EEEEDaS15_S16_EUlS15_E_NS1_11comp_targetILNS1_3genE3ELNS1_11target_archE908ELNS1_3gpuE7ELNS1_3repE0EEENS1_30default_config_static_selectorELNS0_4arch9wavefront6targetE1EEEvT1_,comdat
	.protected	_ZN7rocprim17ROCPRIM_400000_NS6detail17trampoline_kernelINS0_14default_configENS1_25partition_config_selectorILNS1_17partition_subalgoE8EiNS0_10empty_typeEbEEZZNS1_14partition_implILS5_8ELb0ES3_jN6thrust23THRUST_200600_302600_NS6detail15normal_iteratorINSA_10device_ptrIiEEEEPS6_PKS6_NS0_5tupleIJSF_S6_EEENSJ_IJSG_SG_EEENS0_18inequality_wrapperINSA_8equal_toIiEEEEPmJS6_EEE10hipError_tPvRmT3_T4_T5_T6_T7_T9_mT8_P12ihipStream_tbDpT10_ENKUlT_T0_E_clISt17integral_constantIbLb0EES19_IbLb1EEEEDaS15_S16_EUlS15_E_NS1_11comp_targetILNS1_3genE3ELNS1_11target_archE908ELNS1_3gpuE7ELNS1_3repE0EEENS1_30default_config_static_selectorELNS0_4arch9wavefront6targetE1EEEvT1_ ; -- Begin function _ZN7rocprim17ROCPRIM_400000_NS6detail17trampoline_kernelINS0_14default_configENS1_25partition_config_selectorILNS1_17partition_subalgoE8EiNS0_10empty_typeEbEEZZNS1_14partition_implILS5_8ELb0ES3_jN6thrust23THRUST_200600_302600_NS6detail15normal_iteratorINSA_10device_ptrIiEEEEPS6_PKS6_NS0_5tupleIJSF_S6_EEENSJ_IJSG_SG_EEENS0_18inequality_wrapperINSA_8equal_toIiEEEEPmJS6_EEE10hipError_tPvRmT3_T4_T5_T6_T7_T9_mT8_P12ihipStream_tbDpT10_ENKUlT_T0_E_clISt17integral_constantIbLb0EES19_IbLb1EEEEDaS15_S16_EUlS15_E_NS1_11comp_targetILNS1_3genE3ELNS1_11target_archE908ELNS1_3gpuE7ELNS1_3repE0EEENS1_30default_config_static_selectorELNS0_4arch9wavefront6targetE1EEEvT1_
	.globl	_ZN7rocprim17ROCPRIM_400000_NS6detail17trampoline_kernelINS0_14default_configENS1_25partition_config_selectorILNS1_17partition_subalgoE8EiNS0_10empty_typeEbEEZZNS1_14partition_implILS5_8ELb0ES3_jN6thrust23THRUST_200600_302600_NS6detail15normal_iteratorINSA_10device_ptrIiEEEEPS6_PKS6_NS0_5tupleIJSF_S6_EEENSJ_IJSG_SG_EEENS0_18inequality_wrapperINSA_8equal_toIiEEEEPmJS6_EEE10hipError_tPvRmT3_T4_T5_T6_T7_T9_mT8_P12ihipStream_tbDpT10_ENKUlT_T0_E_clISt17integral_constantIbLb0EES19_IbLb1EEEEDaS15_S16_EUlS15_E_NS1_11comp_targetILNS1_3genE3ELNS1_11target_archE908ELNS1_3gpuE7ELNS1_3repE0EEENS1_30default_config_static_selectorELNS0_4arch9wavefront6targetE1EEEvT1_
	.p2align	8
	.type	_ZN7rocprim17ROCPRIM_400000_NS6detail17trampoline_kernelINS0_14default_configENS1_25partition_config_selectorILNS1_17partition_subalgoE8EiNS0_10empty_typeEbEEZZNS1_14partition_implILS5_8ELb0ES3_jN6thrust23THRUST_200600_302600_NS6detail15normal_iteratorINSA_10device_ptrIiEEEEPS6_PKS6_NS0_5tupleIJSF_S6_EEENSJ_IJSG_SG_EEENS0_18inequality_wrapperINSA_8equal_toIiEEEEPmJS6_EEE10hipError_tPvRmT3_T4_T5_T6_T7_T9_mT8_P12ihipStream_tbDpT10_ENKUlT_T0_E_clISt17integral_constantIbLb0EES19_IbLb1EEEEDaS15_S16_EUlS15_E_NS1_11comp_targetILNS1_3genE3ELNS1_11target_archE908ELNS1_3gpuE7ELNS1_3repE0EEENS1_30default_config_static_selectorELNS0_4arch9wavefront6targetE1EEEvT1_,@function
_ZN7rocprim17ROCPRIM_400000_NS6detail17trampoline_kernelINS0_14default_configENS1_25partition_config_selectorILNS1_17partition_subalgoE8EiNS0_10empty_typeEbEEZZNS1_14partition_implILS5_8ELb0ES3_jN6thrust23THRUST_200600_302600_NS6detail15normal_iteratorINSA_10device_ptrIiEEEEPS6_PKS6_NS0_5tupleIJSF_S6_EEENSJ_IJSG_SG_EEENS0_18inequality_wrapperINSA_8equal_toIiEEEEPmJS6_EEE10hipError_tPvRmT3_T4_T5_T6_T7_T9_mT8_P12ihipStream_tbDpT10_ENKUlT_T0_E_clISt17integral_constantIbLb0EES19_IbLb1EEEEDaS15_S16_EUlS15_E_NS1_11comp_targetILNS1_3genE3ELNS1_11target_archE908ELNS1_3gpuE7ELNS1_3repE0EEENS1_30default_config_static_selectorELNS0_4arch9wavefront6targetE1EEEvT1_: ; @_ZN7rocprim17ROCPRIM_400000_NS6detail17trampoline_kernelINS0_14default_configENS1_25partition_config_selectorILNS1_17partition_subalgoE8EiNS0_10empty_typeEbEEZZNS1_14partition_implILS5_8ELb0ES3_jN6thrust23THRUST_200600_302600_NS6detail15normal_iteratorINSA_10device_ptrIiEEEEPS6_PKS6_NS0_5tupleIJSF_S6_EEENSJ_IJSG_SG_EEENS0_18inequality_wrapperINSA_8equal_toIiEEEEPmJS6_EEE10hipError_tPvRmT3_T4_T5_T6_T7_T9_mT8_P12ihipStream_tbDpT10_ENKUlT_T0_E_clISt17integral_constantIbLb0EES19_IbLb1EEEEDaS15_S16_EUlS15_E_NS1_11comp_targetILNS1_3genE3ELNS1_11target_archE908ELNS1_3gpuE7ELNS1_3repE0EEENS1_30default_config_static_selectorELNS0_4arch9wavefront6targetE1EEEvT1_
; %bb.0:
	.section	.rodata,"a",@progbits
	.p2align	6, 0x0
	.amdhsa_kernel _ZN7rocprim17ROCPRIM_400000_NS6detail17trampoline_kernelINS0_14default_configENS1_25partition_config_selectorILNS1_17partition_subalgoE8EiNS0_10empty_typeEbEEZZNS1_14partition_implILS5_8ELb0ES3_jN6thrust23THRUST_200600_302600_NS6detail15normal_iteratorINSA_10device_ptrIiEEEEPS6_PKS6_NS0_5tupleIJSF_S6_EEENSJ_IJSG_SG_EEENS0_18inequality_wrapperINSA_8equal_toIiEEEEPmJS6_EEE10hipError_tPvRmT3_T4_T5_T6_T7_T9_mT8_P12ihipStream_tbDpT10_ENKUlT_T0_E_clISt17integral_constantIbLb0EES19_IbLb1EEEEDaS15_S16_EUlS15_E_NS1_11comp_targetILNS1_3genE3ELNS1_11target_archE908ELNS1_3gpuE7ELNS1_3repE0EEENS1_30default_config_static_selectorELNS0_4arch9wavefront6targetE1EEEvT1_
		.amdhsa_group_segment_fixed_size 0
		.amdhsa_private_segment_fixed_size 0
		.amdhsa_kernarg_size 128
		.amdhsa_user_sgpr_count 6
		.amdhsa_user_sgpr_private_segment_buffer 1
		.amdhsa_user_sgpr_dispatch_ptr 0
		.amdhsa_user_sgpr_queue_ptr 0
		.amdhsa_user_sgpr_kernarg_segment_ptr 1
		.amdhsa_user_sgpr_dispatch_id 0
		.amdhsa_user_sgpr_flat_scratch_init 0
		.amdhsa_user_sgpr_private_segment_size 0
		.amdhsa_uses_dynamic_stack 0
		.amdhsa_system_sgpr_private_segment_wavefront_offset 0
		.amdhsa_system_sgpr_workgroup_id_x 1
		.amdhsa_system_sgpr_workgroup_id_y 0
		.amdhsa_system_sgpr_workgroup_id_z 0
		.amdhsa_system_sgpr_workgroup_info 0
		.amdhsa_system_vgpr_workitem_id 0
		.amdhsa_next_free_vgpr 1
		.amdhsa_next_free_sgpr 0
		.amdhsa_reserve_vcc 0
		.amdhsa_reserve_flat_scratch 0
		.amdhsa_float_round_mode_32 0
		.amdhsa_float_round_mode_16_64 0
		.amdhsa_float_denorm_mode_32 3
		.amdhsa_float_denorm_mode_16_64 3
		.amdhsa_dx10_clamp 1
		.amdhsa_ieee_mode 1
		.amdhsa_fp16_overflow 0
		.amdhsa_exception_fp_ieee_invalid_op 0
		.amdhsa_exception_fp_denorm_src 0
		.amdhsa_exception_fp_ieee_div_zero 0
		.amdhsa_exception_fp_ieee_overflow 0
		.amdhsa_exception_fp_ieee_underflow 0
		.amdhsa_exception_fp_ieee_inexact 0
		.amdhsa_exception_int_div_zero 0
	.end_amdhsa_kernel
	.section	.text._ZN7rocprim17ROCPRIM_400000_NS6detail17trampoline_kernelINS0_14default_configENS1_25partition_config_selectorILNS1_17partition_subalgoE8EiNS0_10empty_typeEbEEZZNS1_14partition_implILS5_8ELb0ES3_jN6thrust23THRUST_200600_302600_NS6detail15normal_iteratorINSA_10device_ptrIiEEEEPS6_PKS6_NS0_5tupleIJSF_S6_EEENSJ_IJSG_SG_EEENS0_18inequality_wrapperINSA_8equal_toIiEEEEPmJS6_EEE10hipError_tPvRmT3_T4_T5_T6_T7_T9_mT8_P12ihipStream_tbDpT10_ENKUlT_T0_E_clISt17integral_constantIbLb0EES19_IbLb1EEEEDaS15_S16_EUlS15_E_NS1_11comp_targetILNS1_3genE3ELNS1_11target_archE908ELNS1_3gpuE7ELNS1_3repE0EEENS1_30default_config_static_selectorELNS0_4arch9wavefront6targetE1EEEvT1_,"axG",@progbits,_ZN7rocprim17ROCPRIM_400000_NS6detail17trampoline_kernelINS0_14default_configENS1_25partition_config_selectorILNS1_17partition_subalgoE8EiNS0_10empty_typeEbEEZZNS1_14partition_implILS5_8ELb0ES3_jN6thrust23THRUST_200600_302600_NS6detail15normal_iteratorINSA_10device_ptrIiEEEEPS6_PKS6_NS0_5tupleIJSF_S6_EEENSJ_IJSG_SG_EEENS0_18inequality_wrapperINSA_8equal_toIiEEEEPmJS6_EEE10hipError_tPvRmT3_T4_T5_T6_T7_T9_mT8_P12ihipStream_tbDpT10_ENKUlT_T0_E_clISt17integral_constantIbLb0EES19_IbLb1EEEEDaS15_S16_EUlS15_E_NS1_11comp_targetILNS1_3genE3ELNS1_11target_archE908ELNS1_3gpuE7ELNS1_3repE0EEENS1_30default_config_static_selectorELNS0_4arch9wavefront6targetE1EEEvT1_,comdat
.Lfunc_end431:
	.size	_ZN7rocprim17ROCPRIM_400000_NS6detail17trampoline_kernelINS0_14default_configENS1_25partition_config_selectorILNS1_17partition_subalgoE8EiNS0_10empty_typeEbEEZZNS1_14partition_implILS5_8ELb0ES3_jN6thrust23THRUST_200600_302600_NS6detail15normal_iteratorINSA_10device_ptrIiEEEEPS6_PKS6_NS0_5tupleIJSF_S6_EEENSJ_IJSG_SG_EEENS0_18inequality_wrapperINSA_8equal_toIiEEEEPmJS6_EEE10hipError_tPvRmT3_T4_T5_T6_T7_T9_mT8_P12ihipStream_tbDpT10_ENKUlT_T0_E_clISt17integral_constantIbLb0EES19_IbLb1EEEEDaS15_S16_EUlS15_E_NS1_11comp_targetILNS1_3genE3ELNS1_11target_archE908ELNS1_3gpuE7ELNS1_3repE0EEENS1_30default_config_static_selectorELNS0_4arch9wavefront6targetE1EEEvT1_, .Lfunc_end431-_ZN7rocprim17ROCPRIM_400000_NS6detail17trampoline_kernelINS0_14default_configENS1_25partition_config_selectorILNS1_17partition_subalgoE8EiNS0_10empty_typeEbEEZZNS1_14partition_implILS5_8ELb0ES3_jN6thrust23THRUST_200600_302600_NS6detail15normal_iteratorINSA_10device_ptrIiEEEEPS6_PKS6_NS0_5tupleIJSF_S6_EEENSJ_IJSG_SG_EEENS0_18inequality_wrapperINSA_8equal_toIiEEEEPmJS6_EEE10hipError_tPvRmT3_T4_T5_T6_T7_T9_mT8_P12ihipStream_tbDpT10_ENKUlT_T0_E_clISt17integral_constantIbLb0EES19_IbLb1EEEEDaS15_S16_EUlS15_E_NS1_11comp_targetILNS1_3genE3ELNS1_11target_archE908ELNS1_3gpuE7ELNS1_3repE0EEENS1_30default_config_static_selectorELNS0_4arch9wavefront6targetE1EEEvT1_
                                        ; -- End function
	.set _ZN7rocprim17ROCPRIM_400000_NS6detail17trampoline_kernelINS0_14default_configENS1_25partition_config_selectorILNS1_17partition_subalgoE8EiNS0_10empty_typeEbEEZZNS1_14partition_implILS5_8ELb0ES3_jN6thrust23THRUST_200600_302600_NS6detail15normal_iteratorINSA_10device_ptrIiEEEEPS6_PKS6_NS0_5tupleIJSF_S6_EEENSJ_IJSG_SG_EEENS0_18inequality_wrapperINSA_8equal_toIiEEEEPmJS6_EEE10hipError_tPvRmT3_T4_T5_T6_T7_T9_mT8_P12ihipStream_tbDpT10_ENKUlT_T0_E_clISt17integral_constantIbLb0EES19_IbLb1EEEEDaS15_S16_EUlS15_E_NS1_11comp_targetILNS1_3genE3ELNS1_11target_archE908ELNS1_3gpuE7ELNS1_3repE0EEENS1_30default_config_static_selectorELNS0_4arch9wavefront6targetE1EEEvT1_.num_vgpr, 0
	.set _ZN7rocprim17ROCPRIM_400000_NS6detail17trampoline_kernelINS0_14default_configENS1_25partition_config_selectorILNS1_17partition_subalgoE8EiNS0_10empty_typeEbEEZZNS1_14partition_implILS5_8ELb0ES3_jN6thrust23THRUST_200600_302600_NS6detail15normal_iteratorINSA_10device_ptrIiEEEEPS6_PKS6_NS0_5tupleIJSF_S6_EEENSJ_IJSG_SG_EEENS0_18inequality_wrapperINSA_8equal_toIiEEEEPmJS6_EEE10hipError_tPvRmT3_T4_T5_T6_T7_T9_mT8_P12ihipStream_tbDpT10_ENKUlT_T0_E_clISt17integral_constantIbLb0EES19_IbLb1EEEEDaS15_S16_EUlS15_E_NS1_11comp_targetILNS1_3genE3ELNS1_11target_archE908ELNS1_3gpuE7ELNS1_3repE0EEENS1_30default_config_static_selectorELNS0_4arch9wavefront6targetE1EEEvT1_.num_agpr, 0
	.set _ZN7rocprim17ROCPRIM_400000_NS6detail17trampoline_kernelINS0_14default_configENS1_25partition_config_selectorILNS1_17partition_subalgoE8EiNS0_10empty_typeEbEEZZNS1_14partition_implILS5_8ELb0ES3_jN6thrust23THRUST_200600_302600_NS6detail15normal_iteratorINSA_10device_ptrIiEEEEPS6_PKS6_NS0_5tupleIJSF_S6_EEENSJ_IJSG_SG_EEENS0_18inequality_wrapperINSA_8equal_toIiEEEEPmJS6_EEE10hipError_tPvRmT3_T4_T5_T6_T7_T9_mT8_P12ihipStream_tbDpT10_ENKUlT_T0_E_clISt17integral_constantIbLb0EES19_IbLb1EEEEDaS15_S16_EUlS15_E_NS1_11comp_targetILNS1_3genE3ELNS1_11target_archE908ELNS1_3gpuE7ELNS1_3repE0EEENS1_30default_config_static_selectorELNS0_4arch9wavefront6targetE1EEEvT1_.numbered_sgpr, 0
	.set _ZN7rocprim17ROCPRIM_400000_NS6detail17trampoline_kernelINS0_14default_configENS1_25partition_config_selectorILNS1_17partition_subalgoE8EiNS0_10empty_typeEbEEZZNS1_14partition_implILS5_8ELb0ES3_jN6thrust23THRUST_200600_302600_NS6detail15normal_iteratorINSA_10device_ptrIiEEEEPS6_PKS6_NS0_5tupleIJSF_S6_EEENSJ_IJSG_SG_EEENS0_18inequality_wrapperINSA_8equal_toIiEEEEPmJS6_EEE10hipError_tPvRmT3_T4_T5_T6_T7_T9_mT8_P12ihipStream_tbDpT10_ENKUlT_T0_E_clISt17integral_constantIbLb0EES19_IbLb1EEEEDaS15_S16_EUlS15_E_NS1_11comp_targetILNS1_3genE3ELNS1_11target_archE908ELNS1_3gpuE7ELNS1_3repE0EEENS1_30default_config_static_selectorELNS0_4arch9wavefront6targetE1EEEvT1_.num_named_barrier, 0
	.set _ZN7rocprim17ROCPRIM_400000_NS6detail17trampoline_kernelINS0_14default_configENS1_25partition_config_selectorILNS1_17partition_subalgoE8EiNS0_10empty_typeEbEEZZNS1_14partition_implILS5_8ELb0ES3_jN6thrust23THRUST_200600_302600_NS6detail15normal_iteratorINSA_10device_ptrIiEEEEPS6_PKS6_NS0_5tupleIJSF_S6_EEENSJ_IJSG_SG_EEENS0_18inequality_wrapperINSA_8equal_toIiEEEEPmJS6_EEE10hipError_tPvRmT3_T4_T5_T6_T7_T9_mT8_P12ihipStream_tbDpT10_ENKUlT_T0_E_clISt17integral_constantIbLb0EES19_IbLb1EEEEDaS15_S16_EUlS15_E_NS1_11comp_targetILNS1_3genE3ELNS1_11target_archE908ELNS1_3gpuE7ELNS1_3repE0EEENS1_30default_config_static_selectorELNS0_4arch9wavefront6targetE1EEEvT1_.private_seg_size, 0
	.set _ZN7rocprim17ROCPRIM_400000_NS6detail17trampoline_kernelINS0_14default_configENS1_25partition_config_selectorILNS1_17partition_subalgoE8EiNS0_10empty_typeEbEEZZNS1_14partition_implILS5_8ELb0ES3_jN6thrust23THRUST_200600_302600_NS6detail15normal_iteratorINSA_10device_ptrIiEEEEPS6_PKS6_NS0_5tupleIJSF_S6_EEENSJ_IJSG_SG_EEENS0_18inequality_wrapperINSA_8equal_toIiEEEEPmJS6_EEE10hipError_tPvRmT3_T4_T5_T6_T7_T9_mT8_P12ihipStream_tbDpT10_ENKUlT_T0_E_clISt17integral_constantIbLb0EES19_IbLb1EEEEDaS15_S16_EUlS15_E_NS1_11comp_targetILNS1_3genE3ELNS1_11target_archE908ELNS1_3gpuE7ELNS1_3repE0EEENS1_30default_config_static_selectorELNS0_4arch9wavefront6targetE1EEEvT1_.uses_vcc, 0
	.set _ZN7rocprim17ROCPRIM_400000_NS6detail17trampoline_kernelINS0_14default_configENS1_25partition_config_selectorILNS1_17partition_subalgoE8EiNS0_10empty_typeEbEEZZNS1_14partition_implILS5_8ELb0ES3_jN6thrust23THRUST_200600_302600_NS6detail15normal_iteratorINSA_10device_ptrIiEEEEPS6_PKS6_NS0_5tupleIJSF_S6_EEENSJ_IJSG_SG_EEENS0_18inequality_wrapperINSA_8equal_toIiEEEEPmJS6_EEE10hipError_tPvRmT3_T4_T5_T6_T7_T9_mT8_P12ihipStream_tbDpT10_ENKUlT_T0_E_clISt17integral_constantIbLb0EES19_IbLb1EEEEDaS15_S16_EUlS15_E_NS1_11comp_targetILNS1_3genE3ELNS1_11target_archE908ELNS1_3gpuE7ELNS1_3repE0EEENS1_30default_config_static_selectorELNS0_4arch9wavefront6targetE1EEEvT1_.uses_flat_scratch, 0
	.set _ZN7rocprim17ROCPRIM_400000_NS6detail17trampoline_kernelINS0_14default_configENS1_25partition_config_selectorILNS1_17partition_subalgoE8EiNS0_10empty_typeEbEEZZNS1_14partition_implILS5_8ELb0ES3_jN6thrust23THRUST_200600_302600_NS6detail15normal_iteratorINSA_10device_ptrIiEEEEPS6_PKS6_NS0_5tupleIJSF_S6_EEENSJ_IJSG_SG_EEENS0_18inequality_wrapperINSA_8equal_toIiEEEEPmJS6_EEE10hipError_tPvRmT3_T4_T5_T6_T7_T9_mT8_P12ihipStream_tbDpT10_ENKUlT_T0_E_clISt17integral_constantIbLb0EES19_IbLb1EEEEDaS15_S16_EUlS15_E_NS1_11comp_targetILNS1_3genE3ELNS1_11target_archE908ELNS1_3gpuE7ELNS1_3repE0EEENS1_30default_config_static_selectorELNS0_4arch9wavefront6targetE1EEEvT1_.has_dyn_sized_stack, 0
	.set _ZN7rocprim17ROCPRIM_400000_NS6detail17trampoline_kernelINS0_14default_configENS1_25partition_config_selectorILNS1_17partition_subalgoE8EiNS0_10empty_typeEbEEZZNS1_14partition_implILS5_8ELb0ES3_jN6thrust23THRUST_200600_302600_NS6detail15normal_iteratorINSA_10device_ptrIiEEEEPS6_PKS6_NS0_5tupleIJSF_S6_EEENSJ_IJSG_SG_EEENS0_18inequality_wrapperINSA_8equal_toIiEEEEPmJS6_EEE10hipError_tPvRmT3_T4_T5_T6_T7_T9_mT8_P12ihipStream_tbDpT10_ENKUlT_T0_E_clISt17integral_constantIbLb0EES19_IbLb1EEEEDaS15_S16_EUlS15_E_NS1_11comp_targetILNS1_3genE3ELNS1_11target_archE908ELNS1_3gpuE7ELNS1_3repE0EEENS1_30default_config_static_selectorELNS0_4arch9wavefront6targetE1EEEvT1_.has_recursion, 0
	.set _ZN7rocprim17ROCPRIM_400000_NS6detail17trampoline_kernelINS0_14default_configENS1_25partition_config_selectorILNS1_17partition_subalgoE8EiNS0_10empty_typeEbEEZZNS1_14partition_implILS5_8ELb0ES3_jN6thrust23THRUST_200600_302600_NS6detail15normal_iteratorINSA_10device_ptrIiEEEEPS6_PKS6_NS0_5tupleIJSF_S6_EEENSJ_IJSG_SG_EEENS0_18inequality_wrapperINSA_8equal_toIiEEEEPmJS6_EEE10hipError_tPvRmT3_T4_T5_T6_T7_T9_mT8_P12ihipStream_tbDpT10_ENKUlT_T0_E_clISt17integral_constantIbLb0EES19_IbLb1EEEEDaS15_S16_EUlS15_E_NS1_11comp_targetILNS1_3genE3ELNS1_11target_archE908ELNS1_3gpuE7ELNS1_3repE0EEENS1_30default_config_static_selectorELNS0_4arch9wavefront6targetE1EEEvT1_.has_indirect_call, 0
	.section	.AMDGPU.csdata,"",@progbits
; Kernel info:
; codeLenInByte = 0
; TotalNumSgprs: 4
; NumVgprs: 0
; ScratchSize: 0
; MemoryBound: 0
; FloatMode: 240
; IeeeMode: 1
; LDSByteSize: 0 bytes/workgroup (compile time only)
; SGPRBlocks: 0
; VGPRBlocks: 0
; NumSGPRsForWavesPerEU: 4
; NumVGPRsForWavesPerEU: 1
; Occupancy: 10
; WaveLimiterHint : 0
; COMPUTE_PGM_RSRC2:SCRATCH_EN: 0
; COMPUTE_PGM_RSRC2:USER_SGPR: 6
; COMPUTE_PGM_RSRC2:TRAP_HANDLER: 0
; COMPUTE_PGM_RSRC2:TGID_X_EN: 1
; COMPUTE_PGM_RSRC2:TGID_Y_EN: 0
; COMPUTE_PGM_RSRC2:TGID_Z_EN: 0
; COMPUTE_PGM_RSRC2:TIDIG_COMP_CNT: 0
	.section	.text._ZN7rocprim17ROCPRIM_400000_NS6detail17trampoline_kernelINS0_14default_configENS1_25partition_config_selectorILNS1_17partition_subalgoE8EiNS0_10empty_typeEbEEZZNS1_14partition_implILS5_8ELb0ES3_jN6thrust23THRUST_200600_302600_NS6detail15normal_iteratorINSA_10device_ptrIiEEEEPS6_PKS6_NS0_5tupleIJSF_S6_EEENSJ_IJSG_SG_EEENS0_18inequality_wrapperINSA_8equal_toIiEEEEPmJS6_EEE10hipError_tPvRmT3_T4_T5_T6_T7_T9_mT8_P12ihipStream_tbDpT10_ENKUlT_T0_E_clISt17integral_constantIbLb0EES19_IbLb1EEEEDaS15_S16_EUlS15_E_NS1_11comp_targetILNS1_3genE2ELNS1_11target_archE906ELNS1_3gpuE6ELNS1_3repE0EEENS1_30default_config_static_selectorELNS0_4arch9wavefront6targetE1EEEvT1_,"axG",@progbits,_ZN7rocprim17ROCPRIM_400000_NS6detail17trampoline_kernelINS0_14default_configENS1_25partition_config_selectorILNS1_17partition_subalgoE8EiNS0_10empty_typeEbEEZZNS1_14partition_implILS5_8ELb0ES3_jN6thrust23THRUST_200600_302600_NS6detail15normal_iteratorINSA_10device_ptrIiEEEEPS6_PKS6_NS0_5tupleIJSF_S6_EEENSJ_IJSG_SG_EEENS0_18inequality_wrapperINSA_8equal_toIiEEEEPmJS6_EEE10hipError_tPvRmT3_T4_T5_T6_T7_T9_mT8_P12ihipStream_tbDpT10_ENKUlT_T0_E_clISt17integral_constantIbLb0EES19_IbLb1EEEEDaS15_S16_EUlS15_E_NS1_11comp_targetILNS1_3genE2ELNS1_11target_archE906ELNS1_3gpuE6ELNS1_3repE0EEENS1_30default_config_static_selectorELNS0_4arch9wavefront6targetE1EEEvT1_,comdat
	.protected	_ZN7rocprim17ROCPRIM_400000_NS6detail17trampoline_kernelINS0_14default_configENS1_25partition_config_selectorILNS1_17partition_subalgoE8EiNS0_10empty_typeEbEEZZNS1_14partition_implILS5_8ELb0ES3_jN6thrust23THRUST_200600_302600_NS6detail15normal_iteratorINSA_10device_ptrIiEEEEPS6_PKS6_NS0_5tupleIJSF_S6_EEENSJ_IJSG_SG_EEENS0_18inequality_wrapperINSA_8equal_toIiEEEEPmJS6_EEE10hipError_tPvRmT3_T4_T5_T6_T7_T9_mT8_P12ihipStream_tbDpT10_ENKUlT_T0_E_clISt17integral_constantIbLb0EES19_IbLb1EEEEDaS15_S16_EUlS15_E_NS1_11comp_targetILNS1_3genE2ELNS1_11target_archE906ELNS1_3gpuE6ELNS1_3repE0EEENS1_30default_config_static_selectorELNS0_4arch9wavefront6targetE1EEEvT1_ ; -- Begin function _ZN7rocprim17ROCPRIM_400000_NS6detail17trampoline_kernelINS0_14default_configENS1_25partition_config_selectorILNS1_17partition_subalgoE8EiNS0_10empty_typeEbEEZZNS1_14partition_implILS5_8ELb0ES3_jN6thrust23THRUST_200600_302600_NS6detail15normal_iteratorINSA_10device_ptrIiEEEEPS6_PKS6_NS0_5tupleIJSF_S6_EEENSJ_IJSG_SG_EEENS0_18inequality_wrapperINSA_8equal_toIiEEEEPmJS6_EEE10hipError_tPvRmT3_T4_T5_T6_T7_T9_mT8_P12ihipStream_tbDpT10_ENKUlT_T0_E_clISt17integral_constantIbLb0EES19_IbLb1EEEEDaS15_S16_EUlS15_E_NS1_11comp_targetILNS1_3genE2ELNS1_11target_archE906ELNS1_3gpuE6ELNS1_3repE0EEENS1_30default_config_static_selectorELNS0_4arch9wavefront6targetE1EEEvT1_
	.globl	_ZN7rocprim17ROCPRIM_400000_NS6detail17trampoline_kernelINS0_14default_configENS1_25partition_config_selectorILNS1_17partition_subalgoE8EiNS0_10empty_typeEbEEZZNS1_14partition_implILS5_8ELb0ES3_jN6thrust23THRUST_200600_302600_NS6detail15normal_iteratorINSA_10device_ptrIiEEEEPS6_PKS6_NS0_5tupleIJSF_S6_EEENSJ_IJSG_SG_EEENS0_18inequality_wrapperINSA_8equal_toIiEEEEPmJS6_EEE10hipError_tPvRmT3_T4_T5_T6_T7_T9_mT8_P12ihipStream_tbDpT10_ENKUlT_T0_E_clISt17integral_constantIbLb0EES19_IbLb1EEEEDaS15_S16_EUlS15_E_NS1_11comp_targetILNS1_3genE2ELNS1_11target_archE906ELNS1_3gpuE6ELNS1_3repE0EEENS1_30default_config_static_selectorELNS0_4arch9wavefront6targetE1EEEvT1_
	.p2align	8
	.type	_ZN7rocprim17ROCPRIM_400000_NS6detail17trampoline_kernelINS0_14default_configENS1_25partition_config_selectorILNS1_17partition_subalgoE8EiNS0_10empty_typeEbEEZZNS1_14partition_implILS5_8ELb0ES3_jN6thrust23THRUST_200600_302600_NS6detail15normal_iteratorINSA_10device_ptrIiEEEEPS6_PKS6_NS0_5tupleIJSF_S6_EEENSJ_IJSG_SG_EEENS0_18inequality_wrapperINSA_8equal_toIiEEEEPmJS6_EEE10hipError_tPvRmT3_T4_T5_T6_T7_T9_mT8_P12ihipStream_tbDpT10_ENKUlT_T0_E_clISt17integral_constantIbLb0EES19_IbLb1EEEEDaS15_S16_EUlS15_E_NS1_11comp_targetILNS1_3genE2ELNS1_11target_archE906ELNS1_3gpuE6ELNS1_3repE0EEENS1_30default_config_static_selectorELNS0_4arch9wavefront6targetE1EEEvT1_,@function
_ZN7rocprim17ROCPRIM_400000_NS6detail17trampoline_kernelINS0_14default_configENS1_25partition_config_selectorILNS1_17partition_subalgoE8EiNS0_10empty_typeEbEEZZNS1_14partition_implILS5_8ELb0ES3_jN6thrust23THRUST_200600_302600_NS6detail15normal_iteratorINSA_10device_ptrIiEEEEPS6_PKS6_NS0_5tupleIJSF_S6_EEENSJ_IJSG_SG_EEENS0_18inequality_wrapperINSA_8equal_toIiEEEEPmJS6_EEE10hipError_tPvRmT3_T4_T5_T6_T7_T9_mT8_P12ihipStream_tbDpT10_ENKUlT_T0_E_clISt17integral_constantIbLb0EES19_IbLb1EEEEDaS15_S16_EUlS15_E_NS1_11comp_targetILNS1_3genE2ELNS1_11target_archE906ELNS1_3gpuE6ELNS1_3repE0EEENS1_30default_config_static_selectorELNS0_4arch9wavefront6targetE1EEEvT1_: ; @_ZN7rocprim17ROCPRIM_400000_NS6detail17trampoline_kernelINS0_14default_configENS1_25partition_config_selectorILNS1_17partition_subalgoE8EiNS0_10empty_typeEbEEZZNS1_14partition_implILS5_8ELb0ES3_jN6thrust23THRUST_200600_302600_NS6detail15normal_iteratorINSA_10device_ptrIiEEEEPS6_PKS6_NS0_5tupleIJSF_S6_EEENSJ_IJSG_SG_EEENS0_18inequality_wrapperINSA_8equal_toIiEEEEPmJS6_EEE10hipError_tPvRmT3_T4_T5_T6_T7_T9_mT8_P12ihipStream_tbDpT10_ENKUlT_T0_E_clISt17integral_constantIbLb0EES19_IbLb1EEEEDaS15_S16_EUlS15_E_NS1_11comp_targetILNS1_3genE2ELNS1_11target_archE906ELNS1_3gpuE6ELNS1_3repE0EEENS1_30default_config_static_selectorELNS0_4arch9wavefront6targetE1EEEvT1_
; %bb.0:
	s_load_dwordx2 s[40:41], s[4:5], 0x28
	s_load_dwordx4 s[36:39], s[4:5], 0x40
	s_load_dwordx2 s[6:7], s[4:5], 0x50
	s_load_dwordx2 s[44:45], s[4:5], 0x60
	v_cmp_ne_u32_e64 s[2:3], 0, v0
	v_cmp_eq_u32_e64 s[0:1], 0, v0
	s_and_saveexec_b64 s[8:9], s[0:1]
	s_cbranch_execz .LBB432_4
; %bb.1:
	s_mov_b64 s[12:13], exec
	v_mbcnt_lo_u32_b32 v1, s12, 0
	v_mbcnt_hi_u32_b32 v1, s13, v1
	v_cmp_eq_u32_e32 vcc, 0, v1
                                        ; implicit-def: $vgpr2
	s_and_saveexec_b64 s[10:11], vcc
	s_cbranch_execz .LBB432_3
; %bb.2:
	s_load_dwordx2 s[14:15], s[4:5], 0x70
	s_bcnt1_i32_b64 s12, s[12:13]
	v_mov_b32_e32 v2, 0
	v_mov_b32_e32 v3, s12
	s_waitcnt lgkmcnt(0)
	global_atomic_add v2, v2, v3, s[14:15] glc
.LBB432_3:
	s_or_b64 exec, exec, s[10:11]
	s_waitcnt vmcnt(0)
	v_readfirstlane_b32 s10, v2
	v_add_u32_e32 v1, s10, v1
	v_mov_b32_e32 v2, 0
	ds_write_b32 v2, v1
.LBB432_4:
	s_or_b64 exec, exec, s[8:9]
	v_mov_b32_e32 v2, 0
	s_load_dwordx4 s[8:11], s[4:5], 0x8
	s_load_dword s12, s[4:5], 0x68
	s_waitcnt lgkmcnt(0)
	s_barrier
	ds_read_b32 v1, v2
	s_waitcnt lgkmcnt(0)
	s_barrier
	global_load_dwordx2 v[18:19], v2, s[38:39]
	s_lshl_b64 s[4:5], s[10:11], 2
	s_add_u32 s13, s8, s4
	s_addc_u32 s9, s9, s5
	s_add_i32 s14, s12, -1
	s_lshl_b32 s4, s14, 12
	s_add_i32 s8, s10, s4
	s_lshl_b32 s4, s12, 12
	s_add_u32 s4, s10, s4
	s_addc_u32 s5, s11, 0
	v_mov_b32_e32 v3, s4
	v_readfirstlane_b32 s33, v1
	v_lshlrev_b32_e32 v1, 12, v1
	v_mov_b32_e32 v4, s5
	v_cmp_le_u64_e32 vcc, s[6:7], v[3:4]
	s_cmp_eq_u32 s33, s14
	v_lshlrev_b64 v[1:2], 2, v[1:2]
	s_cselect_b64 s[38:39], -1, 0
	s_and_b64 s[46:47], vcc, s[38:39]
	v_mov_b32_e32 v3, s9
	v_add_co_u32_e32 v21, vcc, s13, v1
	s_xor_b64 s[42:43], s[46:47], -1
	v_addc_co_u32_e32 v22, vcc, v3, v2, vcc
	s_mov_b64 s[4:5], -1
	s_and_b64 vcc, exec, s[42:43]
	v_lshrrev_b32_e32 v20, 3, v0
	s_cbranch_vccz .LBB432_6
; %bb.5:
	v_lshlrev_b32_e32 v5, 2, v0
	v_add_co_u32_e32 v1, vcc, v21, v5
	v_addc_co_u32_e32 v2, vcc, 0, v22, vcc
	v_add_co_u32_e32 v3, vcc, 0x1000, v1
	v_addc_co_u32_e32 v4, vcc, 0, v2, vcc
	flat_load_dword v6, v[1:2]
	flat_load_dword v7, v[1:2] offset:1024
	flat_load_dword v8, v[1:2] offset:2048
	;; [unrolled: 1-line block ×3, first 2 shown]
	flat_load_dword v10, v[3:4]
	flat_load_dword v11, v[3:4] offset:1024
	flat_load_dword v12, v[3:4] offset:2048
	;; [unrolled: 1-line block ×3, first 2 shown]
	v_add_co_u32_e32 v3, vcc, 0x2000, v1
	v_addc_co_u32_e32 v4, vcc, 0, v2, vcc
	flat_load_dword v14, v[3:4]
	flat_load_dword v15, v[3:4] offset:1024
	flat_load_dword v16, v[3:4] offset:2048
	flat_load_dword v17, v[3:4] offset:3072
	v_add_co_u32_e32 v1, vcc, 0x3000, v1
	v_addc_co_u32_e32 v2, vcc, 0, v2, vcc
	flat_load_dword v3, v[1:2]
	flat_load_dword v4, v[1:2] offset:1024
	flat_load_dword v23, v[1:2] offset:2048
	;; [unrolled: 1-line block ×3, first 2 shown]
	v_or_b32_e32 v2, 0x100, v0
	v_or_b32_e32 v25, 0x200, v0
	;; [unrolled: 1-line block ×9, first 2 shown]
	v_and_b32_e32 v1, 28, v20
	v_or_b32_e32 v33, 0xa00, v0
	v_lshrrev_b32_e32 v2, 3, v2
	v_lshrrev_b32_e32 v25, 3, v25
	;; [unrolled: 1-line block ×9, first 2 shown]
	v_add_u32_e32 v1, v1, v5
	v_lshrrev_b32_e32 v33, 3, v33
	v_and_b32_e32 v2, 60, v2
	v_and_b32_e32 v25, 0x5c, v25
	;; [unrolled: 1-line block ×9, first 2 shown]
	v_add_u32_e32 v2, v2, v5
	v_add_u32_e32 v25, v25, v5
	;; [unrolled: 1-line block ×9, first 2 shown]
	s_mov_b64 s[4:5], 0
	s_waitcnt vmcnt(0) lgkmcnt(0)
	ds_write_b32 v1, v6
	ds_write_b32 v2, v7 offset:1024
	ds_write_b32 v25, v8 offset:2048
	;; [unrolled: 1-line block ×9, first 2 shown]
	v_and_b32_e32 v1, 0x15c, v33
	v_add_u32_e32 v1, v1, v5
	ds_write_b32 v1, v16 offset:10240
	v_or_b32_e32 v1, 0xb00, v0
	v_lshrrev_b32_e32 v1, 3, v1
	v_and_b32_e32 v1, 0x17c, v1
	v_add_u32_e32 v1, v1, v5
	ds_write_b32 v1, v17 offset:11264
	v_or_b32_e32 v1, 0xc00, v0
	v_lshrrev_b32_e32 v1, 3, v1
	;; [unrolled: 5-line block ×5, first 2 shown]
	v_and_b32_e32 v1, 0x1fc, v1
	v_add_u32_e32 v1, v1, v5
	ds_write_b32 v1, v24 offset:15360
	s_waitcnt lgkmcnt(0)
	s_barrier
.LBB432_6:
	s_andn2_b64 vcc, exec, s[4:5]
	s_sub_i32 s56, s6, s8
	s_cbranch_vccnz .LBB432_40
; %bb.7:
	v_mov_b32_e32 v1, 0
	v_cmp_gt_u32_e32 vcc, s56, v0
	v_mov_b32_e32 v2, v1
	v_mov_b32_e32 v3, v1
	;; [unrolled: 1-line block ×15, first 2 shown]
	s_and_saveexec_b64 s[4:5], vcc
	s_cbranch_execz .LBB432_9
; %bb.8:
	v_lshlrev_b32_e32 v2, 2, v0
	v_add_co_u32_e32 v2, vcc, v21, v2
	v_addc_co_u32_e32 v3, vcc, 0, v22, vcc
	flat_load_dword v2, v[2:3]
	v_mov_b32_e32 v3, v1
	v_mov_b32_e32 v4, v1
	;; [unrolled: 1-line block ×15, first 2 shown]
	s_waitcnt vmcnt(0) lgkmcnt(0)
	v_mov_b32_e32 v1, v2
	v_mov_b32_e32 v2, v3
	;; [unrolled: 1-line block ×16, first 2 shown]
.LBB432_9:
	s_or_b64 exec, exec, s[4:5]
	v_or_b32_e32 v17, 0x100, v0
	v_cmp_gt_u32_e32 vcc, s56, v17
	s_and_saveexec_b64 s[4:5], vcc
	s_cbranch_execz .LBB432_11
; %bb.10:
	v_lshlrev_b32_e32 v2, 2, v0
	v_add_co_u32_e32 v23, vcc, v21, v2
	v_addc_co_u32_e32 v24, vcc, 0, v22, vcc
	flat_load_dword v2, v[23:24] offset:1024
.LBB432_11:
	s_or_b64 exec, exec, s[4:5]
	v_or_b32_e32 v23, 0x200, v0
	v_cmp_gt_u32_e32 vcc, s56, v23
	s_and_saveexec_b64 s[4:5], vcc
	s_cbranch_execz .LBB432_13
; %bb.12:
	v_lshlrev_b32_e32 v3, 2, v0
	v_add_co_u32_e32 v24, vcc, v21, v3
	v_addc_co_u32_e32 v25, vcc, 0, v22, vcc
	flat_load_dword v3, v[24:25] offset:2048
.LBB432_13:
	;; [unrolled: 11-line block ×3, first 2 shown]
	s_or_b64 exec, exec, s[4:5]
	v_or_b32_e32 v25, 0x400, v0
	v_cmp_gt_u32_e32 vcc, s56, v25
	s_and_saveexec_b64 s[4:5], vcc
	s_cbranch_execz .LBB432_17
; %bb.16:
	v_lshlrev_b32_e32 v5, 2, v25
	v_add_co_u32_e32 v26, vcc, v21, v5
	v_addc_co_u32_e32 v27, vcc, 0, v22, vcc
	flat_load_dword v5, v[26:27]
.LBB432_17:
	s_or_b64 exec, exec, s[4:5]
	v_or_b32_e32 v26, 0x500, v0
	v_cmp_gt_u32_e32 vcc, s56, v26
	s_and_saveexec_b64 s[4:5], vcc
	s_cbranch_execz .LBB432_19
; %bb.18:
	v_lshlrev_b32_e32 v6, 2, v26
	v_add_co_u32_e32 v27, vcc, v21, v6
	v_addc_co_u32_e32 v28, vcc, 0, v22, vcc
	flat_load_dword v6, v[27:28]
.LBB432_19:
	;; [unrolled: 11-line block ×12, first 2 shown]
	s_or_b64 exec, exec, s[4:5]
	v_and_b32_e32 v20, 28, v20
	v_lshlrev_b32_e32 v37, 2, v0
	v_add_u32_e32 v20, v20, v37
	ds_write_b32 v20, v1
	v_lshrrev_b32_e32 v1, 3, v17
	v_and_b32_e32 v1, 60, v1
	v_add_u32_e32 v1, v1, v37
	s_waitcnt vmcnt(0) lgkmcnt(0)
	ds_write_b32 v1, v2 offset:1024
	v_lshrrev_b32_e32 v1, 3, v23
	v_and_b32_e32 v1, 0x7c, v1
	v_add_u32_e32 v1, v1, v37
	ds_write_b32 v1, v3 offset:2048
	v_lshrrev_b32_e32 v1, 3, v24
	v_and_b32_e32 v1, 0x7c, v1
	v_add_u32_e32 v1, v1, v37
	;; [unrolled: 4-line block ×14, first 2 shown]
	ds_write_b32 v1, v16 offset:15360
	s_waitcnt lgkmcnt(0)
	s_barrier
.LBB432_40:
	v_lshlrev_b32_e32 v1, 1, v0
	v_and_b32_e32 v1, 0x1fc, v1
	v_lshl_add_u32 v1, v0, 6, v1
	ds_read2_b32 v[15:16], v1 offset1:1
	ds_read2_b32 v[13:14], v1 offset0:2 offset1:3
	ds_read2_b32 v[11:12], v1 offset0:4 offset1:5
	;; [unrolled: 1-line block ×7, first 2 shown]
	s_cmp_lg_u32 s33, 0
	s_cselect_b64 s[48:49], -1, 0
	s_cmp_lg_u64 s[10:11], 0
	s_cselect_b64 s[4:5], -1, 0
	s_or_b64 s[4:5], s[4:5], s[48:49]
	v_lshlrev_b32_e32 v20, 4, v0
	s_mov_b64 s[52:53], 0
	s_and_b64 vcc, exec, s[4:5]
	s_waitcnt vmcnt(0) lgkmcnt(0)
	s_barrier
	s_cbranch_vccz .LBB432_45
; %bb.41:
	v_add_co_u32_e32 v21, vcc, -4, v21
	v_addc_co_u32_e32 v22, vcc, -1, v22, vcc
	flat_load_dword v21, v[21:22]
	v_lshlrev_b32_e32 v22, 2, v0
	s_and_b64 vcc, exec, s[42:43]
	ds_write_b32 v22, v2
	s_cbranch_vccz .LBB432_46
; %bb.42:
	s_waitcnt vmcnt(0) lgkmcnt(0)
	v_mov_b32_e32 v23, v21
	s_barrier
	s_and_saveexec_b64 s[4:5], s[2:3]
; %bb.43:
	v_add_u32_e32 v17, -4, v22
	ds_read_b32 v23, v17
; %bb.44:
	s_or_b64 exec, exec, s[4:5]
	v_cmp_ne_u32_e32 vcc, v1, v2
	v_cndmask_b32_e64 v17, 0, 1, vcc
	v_cmp_ne_u32_e32 vcc, v4, v1
	v_cndmask_b32_e64 v54, 0, 1, vcc
	;; [unrolled: 2-line block ×15, first 2 shown]
	s_waitcnt lgkmcnt(0)
	v_cmp_ne_u32_e64 s[50:51], v23, v15
	s_branch .LBB432_50
.LBB432_45:
                                        ; implicit-def: $sgpr50_sgpr51
                                        ; implicit-def: $vgpr17
                                        ; implicit-def: $vgpr54
                                        ; implicit-def: $vgpr55
                                        ; implicit-def: $vgpr56
                                        ; implicit-def: $vgpr57
                                        ; implicit-def: $vgpr58
                                        ; implicit-def: $vgpr59
                                        ; implicit-def: $vgpr60
                                        ; implicit-def: $vgpr61
                                        ; implicit-def: $vgpr67
                                        ; implicit-def: $vgpr66
                                        ; implicit-def: $vgpr65
                                        ; implicit-def: $vgpr64
                                        ; implicit-def: $vgpr63
                                        ; implicit-def: $vgpr62
	s_branch .LBB432_51
.LBB432_46:
                                        ; implicit-def: $sgpr50_sgpr51
                                        ; implicit-def: $vgpr17
                                        ; implicit-def: $vgpr54
                                        ; implicit-def: $vgpr55
                                        ; implicit-def: $vgpr56
                                        ; implicit-def: $vgpr57
                                        ; implicit-def: $vgpr58
                                        ; implicit-def: $vgpr59
                                        ; implicit-def: $vgpr60
                                        ; implicit-def: $vgpr61
                                        ; implicit-def: $vgpr67
                                        ; implicit-def: $vgpr66
                                        ; implicit-def: $vgpr65
                                        ; implicit-def: $vgpr64
                                        ; implicit-def: $vgpr63
                                        ; implicit-def: $vgpr62
	s_cbranch_execz .LBB432_50
; %bb.47:
	s_waitcnt vmcnt(0) lgkmcnt(0)
	s_barrier
	s_and_saveexec_b64 s[4:5], s[2:3]
; %bb.48:
	v_add_u32_e32 v17, -4, v22
	ds_read_b32 v21, v17
; %bb.49:
	s_or_b64 exec, exec, s[4:5]
	v_or_b32_e32 v17, 15, v20
	v_cmp_gt_u32_e32 vcc, s56, v17
	v_cmp_ne_u32_e64 s[4:5], v1, v2
	s_and_b64 s[4:5], vcc, s[4:5]
	v_or_b32_e32 v22, 14, v20
	v_cndmask_b32_e64 v17, 0, 1, s[4:5]
	v_cmp_gt_u32_e32 vcc, s56, v22
	v_cmp_ne_u32_e64 s[4:5], v4, v1
	s_and_b64 s[4:5], vcc, s[4:5]
	v_or_b32_e32 v22, 13, v20
	v_cndmask_b32_e64 v54, 0, 1, s[4:5]
	;; [unrolled: 5-line block ×14, first 2 shown]
	v_cmp_gt_u32_e32 vcc, s56, v22
	v_cmp_ne_u32_e64 s[4:5], v15, v16
	s_and_b64 s[4:5], vcc, s[4:5]
	v_cndmask_b32_e64 v67, 0, 1, s[4:5]
	v_cmp_gt_u32_e32 vcc, s56, v20
	s_waitcnt lgkmcnt(0)
	v_cmp_ne_u32_e64 s[4:5], v21, v15
	s_and_b64 s[50:51], vcc, s[4:5]
.LBB432_50:
	s_mov_b64 s[52:53], -1
	s_cbranch_execnz .LBB432_59
.LBB432_51:
	s_waitcnt vmcnt(0) lgkmcnt(0)
	v_lshlrev_b32_e32 v21, 2, v0
	s_and_b64 vcc, exec, s[42:43]
	v_cmp_ne_u32_e64 s[4:5], v1, v2
	v_cmp_ne_u32_e64 s[6:7], v4, v1
	;; [unrolled: 1-line block ×15, first 2 shown]
	ds_write_b32 v21, v2
	s_cbranch_vccz .LBB432_55
; %bb.52:
	s_waitcnt lgkmcnt(0)
	s_barrier
                                        ; implicit-def: $sgpr50_sgpr51
	s_and_saveexec_b64 s[54:55], s[2:3]
	s_xor_b64 s[54:55], exec, s[54:55]
	s_cbranch_execz .LBB432_54
; %bb.53:
	v_add_u32_e32 v17, -4, v21
	ds_read_b32 v17, v17
	s_or_b64 s[52:53], s[52:53], exec
	s_waitcnt lgkmcnt(0)
	v_cmp_ne_u32_e64 s[50:51], v17, v15
.LBB432_54:
	s_or_b64 exec, exec, s[54:55]
	v_cndmask_b32_e64 v17, 0, 1, s[4:5]
	v_cndmask_b32_e64 v54, 0, 1, s[6:7]
	;; [unrolled: 1-line block ×15, first 2 shown]
	s_branch .LBB432_59
.LBB432_55:
                                        ; implicit-def: $sgpr50_sgpr51
                                        ; implicit-def: $vgpr17
                                        ; implicit-def: $vgpr54
                                        ; implicit-def: $vgpr55
                                        ; implicit-def: $vgpr56
                                        ; implicit-def: $vgpr57
                                        ; implicit-def: $vgpr58
                                        ; implicit-def: $vgpr59
                                        ; implicit-def: $vgpr60
                                        ; implicit-def: $vgpr61
                                        ; implicit-def: $vgpr67
                                        ; implicit-def: $vgpr66
                                        ; implicit-def: $vgpr65
                                        ; implicit-def: $vgpr64
                                        ; implicit-def: $vgpr63
                                        ; implicit-def: $vgpr62
	s_cbranch_execz .LBB432_59
; %bb.56:
	v_or_b32_e32 v17, 15, v20
	v_cmp_gt_u32_e32 vcc, s56, v17
	v_cmp_ne_u32_e64 s[4:5], v1, v2
	v_or_b32_e32 v17, 14, v20
	s_and_b64 s[6:7], vcc, s[4:5]
	v_cmp_gt_u32_e32 vcc, s56, v17
	v_cmp_ne_u32_e64 s[4:5], v4, v1
	v_or_b32_e32 v17, 13, v20
	s_and_b64 s[8:9], vcc, s[4:5]
	;; [unrolled: 4-line block ×14, first 2 shown]
	v_cmp_gt_u32_e32 vcc, s56, v17
	v_cmp_ne_u32_e64 s[4:5], v15, v16
	s_and_b64 s[4:5], vcc, s[4:5]
	s_waitcnt lgkmcnt(0)
	s_barrier
                                        ; implicit-def: $sgpr50_sgpr51
	s_and_saveexec_b64 s[54:55], s[2:3]
	s_cbranch_execz .LBB432_58
; %bb.57:
	v_add_u32_e32 v17, -4, v21
	ds_read_b32 v17, v17
	v_cmp_gt_u32_e32 vcc, s56, v20
	s_or_b64 s[52:53], s[52:53], exec
	s_waitcnt lgkmcnt(0)
	v_cmp_ne_u32_e64 s[2:3], v17, v15
	s_and_b64 s[50:51], vcc, s[2:3]
.LBB432_58:
	s_or_b64 exec, exec, s[54:55]
	v_cndmask_b32_e64 v17, 0, 1, s[6:7]
	v_cndmask_b32_e64 v54, 0, 1, s[8:9]
	;; [unrolled: 1-line block ×15, first 2 shown]
.LBB432_59:
	v_mov_b32_e32 v31, 1
	s_and_saveexec_b64 s[2:3], s[52:53]
; %bb.60:
	v_cndmask_b32_e64 v31, 0, 1, s[50:51]
; %bb.61:
	s_or_b64 exec, exec, s[2:3]
	s_andn2_b64 vcc, exec, s[46:47]
	s_cbranch_vccnz .LBB432_63
; %bb.62:
	v_cmp_gt_u32_e32 vcc, s56, v20
	s_waitcnt vmcnt(0) lgkmcnt(0)
	v_or_b32_e32 v21, 1, v20
	v_cndmask_b32_e32 v31, 0, v31, vcc
	v_cmp_gt_u32_e32 vcc, s56, v21
	v_or_b32_e32 v21, 2, v20
	v_cndmask_b32_e32 v67, 0, v67, vcc
	v_cmp_gt_u32_e32 vcc, s56, v21
	;; [unrolled: 3-line block ×15, first 2 shown]
	v_cndmask_b32_e32 v17, 0, v17, vcc
.LBB432_63:
	v_and_b32_e32 v40, 0xff, v65
	v_and_b32_e32 v42, 0xff, v64
	s_waitcnt vmcnt(0) lgkmcnt(0)
	v_add_u32_sdwa v21, v63, v62 dst_sel:DWORD dst_unused:UNUSED_PAD src0_sel:BYTE_0 src1_sel:BYTE_0
	v_and_b32_e32 v36, 0xff, v67
	v_and_b32_e32 v38, 0xff, v66
	v_add3_u32 v21, v21, v42, v40
	v_and_b32_e32 v34, 0xffff, v31
	v_and_b32_e32 v30, 0xff, v61
	v_add3_u32 v21, v21, v38, v36
	;; [unrolled: 3-line block ×6, first 2 shown]
	v_add3_u32 v47, v21, v43, v20
	v_mbcnt_lo_u32_b32 v20, -1, 0
	v_mbcnt_hi_u32_b32 v44, -1, v20
	v_and_b32_e32 v20, 15, v44
	v_cmp_eq_u32_e64 s[14:15], 0, v20
	v_cmp_lt_u32_e64 s[12:13], 1, v20
	v_cmp_lt_u32_e64 s[10:11], 3, v20
	;; [unrolled: 1-line block ×3, first 2 shown]
	v_and_b32_e32 v20, 16, v44
	v_cmp_eq_u32_e64 s[6:7], 0, v20
	v_or_b32_e32 v20, 63, v0
	v_cmp_lt_u32_e64 s[2:3], 31, v44
	v_lshrrev_b32_e32 v45, 6, v0
	v_cmp_eq_u32_e64 s[4:5], v0, v20
	s_and_b64 vcc, exec, s[48:49]
	s_barrier
	s_cbranch_vccz .LBB432_85
; %bb.64:
	v_mov_b32_dpp v20, v47 row_shr:1 row_mask:0xf bank_mask:0xf
	v_cndmask_b32_e64 v20, v20, 0, s[14:15]
	v_add_u32_e32 v20, v20, v47
	s_nop 1
	v_mov_b32_dpp v21, v20 row_shr:2 row_mask:0xf bank_mask:0xf
	v_cndmask_b32_e64 v21, 0, v21, s[12:13]
	v_add_u32_e32 v20, v20, v21
	s_nop 1
	v_mov_b32_dpp v21, v20 row_shr:4 row_mask:0xf bank_mask:0xf
	v_cndmask_b32_e64 v21, 0, v21, s[10:11]
	v_add_u32_e32 v20, v20, v21
	s_nop 1
	v_mov_b32_dpp v21, v20 row_shr:8 row_mask:0xf bank_mask:0xf
	v_cndmask_b32_e64 v21, 0, v21, s[8:9]
	v_add_u32_e32 v20, v20, v21
	s_nop 1
	v_mov_b32_dpp v21, v20 row_bcast:15 row_mask:0xf bank_mask:0xf
	v_cndmask_b32_e64 v21, v21, 0, s[6:7]
	v_add_u32_e32 v20, v20, v21
	s_nop 1
	v_mov_b32_dpp v21, v20 row_bcast:31 row_mask:0xf bank_mask:0xf
	v_cndmask_b32_e64 v21, 0, v21, s[2:3]
	v_add_u32_e32 v20, v20, v21
	s_and_saveexec_b64 s[16:17], s[4:5]
; %bb.65:
	v_lshlrev_b32_e32 v21, 2, v45
	ds_write_b32 v21, v20
; %bb.66:
	s_or_b64 exec, exec, s[16:17]
	v_cmp_gt_u32_e32 vcc, 4, v0
	s_waitcnt lgkmcnt(0)
	s_barrier
	s_and_saveexec_b64 s[16:17], vcc
	s_cbranch_execz .LBB432_68
; %bb.67:
	v_lshlrev_b32_e32 v21, 2, v0
	ds_read_b32 v22, v21
	v_and_b32_e32 v23, 3, v44
	v_cmp_ne_u32_e32 vcc, 0, v23
	s_waitcnt lgkmcnt(0)
	v_mov_b32_dpp v24, v22 row_shr:1 row_mask:0xf bank_mask:0xf
	v_cndmask_b32_e32 v24, 0, v24, vcc
	v_add_u32_e32 v22, v24, v22
	v_cmp_lt_u32_e32 vcc, 1, v23
	s_nop 0
	v_mov_b32_dpp v24, v22 row_shr:2 row_mask:0xf bank_mask:0xf
	v_cndmask_b32_e32 v23, 0, v24, vcc
	v_add_u32_e32 v22, v22, v23
	ds_write_b32 v21, v22
.LBB432_68:
	s_or_b64 exec, exec, s[16:17]
	v_cmp_gt_u32_e32 vcc, 64, v0
	v_cmp_lt_u32_e64 s[16:17], 63, v0
	s_waitcnt lgkmcnt(0)
	s_barrier
                                        ; implicit-def: $vgpr46
	s_and_saveexec_b64 s[18:19], s[16:17]
	s_cbranch_execz .LBB432_70
; %bb.69:
	v_lshl_add_u32 v21, v45, 2, -4
	ds_read_b32 v46, v21
	s_waitcnt lgkmcnt(0)
	v_add_u32_e32 v20, v46, v20
.LBB432_70:
	s_or_b64 exec, exec, s[18:19]
	v_subrev_co_u32_e64 v21, s[16:17], 1, v44
	v_and_b32_e32 v22, 64, v44
	v_cmp_lt_i32_e64 s[18:19], v21, v22
	v_cndmask_b32_e64 v21, v21, v44, s[18:19]
	v_lshlrev_b32_e32 v21, 2, v21
	ds_bpermute_b32 v48, v21, v20
	s_and_saveexec_b64 s[18:19], vcc
	s_cbranch_execz .LBB432_90
; %bb.71:
	v_mov_b32_e32 v26, 0
	ds_read_b32 v20, v26 offset:12
	s_and_saveexec_b64 s[20:21], s[16:17]
	s_cbranch_execz .LBB432_73
; %bb.72:
	s_add_i32 s22, s33, 64
	s_mov_b32 s23, 0
	s_lshl_b64 s[22:23], s[22:23], 3
	s_add_u32 s22, s44, s22
	v_mov_b32_e32 v21, 1
	s_addc_u32 s23, s45, s23
	s_waitcnt lgkmcnt(0)
	global_store_dwordx2 v26, v[20:21], s[22:23]
.LBB432_73:
	s_or_b64 exec, exec, s[20:21]
	v_xad_u32 v22, v44, -1, s33
	v_add_u32_e32 v25, 64, v22
	v_lshlrev_b64 v[23:24], 3, v[25:26]
	v_mov_b32_e32 v21, s45
	v_add_co_u32_e32 v27, vcc, s44, v23
	v_addc_co_u32_e32 v28, vcc, v21, v24, vcc
	global_load_dwordx2 v[24:25], v[27:28], off glc
	s_waitcnt vmcnt(0)
	v_cmp_eq_u16_sdwa s[22:23], v25, v26 src0_sel:BYTE_0 src1_sel:DWORD
	s_and_saveexec_b64 s[20:21], s[22:23]
	s_cbranch_execz .LBB432_77
; %bb.74:
	s_mov_b64 s[22:23], 0
	v_mov_b32_e32 v21, 0
.LBB432_75:                             ; =>This Inner Loop Header: Depth=1
	global_load_dwordx2 v[24:25], v[27:28], off glc
	s_waitcnt vmcnt(0)
	v_cmp_ne_u16_sdwa s[24:25], v25, v21 src0_sel:BYTE_0 src1_sel:DWORD
	s_or_b64 s[22:23], s[24:25], s[22:23]
	s_andn2_b64 exec, exec, s[22:23]
	s_cbranch_execnz .LBB432_75
; %bb.76:
	s_or_b64 exec, exec, s[22:23]
.LBB432_77:
	s_or_b64 exec, exec, s[20:21]
	v_and_b32_e32 v50, 63, v44
	v_mov_b32_e32 v49, 2
	v_lshlrev_b64 v[26:27], v44, -1
	v_cmp_ne_u32_e32 vcc, 63, v50
	v_cmp_eq_u16_sdwa s[20:21], v25, v49 src0_sel:BYTE_0 src1_sel:DWORD
	v_addc_co_u32_e32 v28, vcc, 0, v44, vcc
	v_and_b32_e32 v21, s21, v27
	v_lshlrev_b32_e32 v51, 2, v28
	v_or_b32_e32 v21, 0x80000000, v21
	ds_bpermute_b32 v28, v51, v24
	v_and_b32_e32 v23, s20, v26
	v_ffbl_b32_e32 v21, v21
	v_add_u32_e32 v21, 32, v21
	v_ffbl_b32_e32 v23, v23
	v_min_u32_e32 v21, v23, v21
	v_cmp_lt_u32_e32 vcc, v50, v21
	s_waitcnt lgkmcnt(0)
	v_cndmask_b32_e32 v23, 0, v28, vcc
	v_cmp_gt_u32_e32 vcc, 62, v50
	v_add_u32_e32 v23, v23, v24
	v_cndmask_b32_e64 v24, 0, 2, vcc
	v_add_lshl_u32 v52, v24, v44, 2
	ds_bpermute_b32 v24, v52, v23
	v_add_u32_e32 v53, 2, v50
	v_cmp_le_u32_e32 vcc, v53, v21
	v_add_u32_e32 v69, 4, v50
	v_add_u32_e32 v71, 8, v50
	s_waitcnt lgkmcnt(0)
	v_cndmask_b32_e32 v24, 0, v24, vcc
	v_cmp_gt_u32_e32 vcc, 60, v50
	v_add_u32_e32 v23, v23, v24
	v_cndmask_b32_e64 v24, 0, 4, vcc
	v_add_lshl_u32 v68, v24, v44, 2
	ds_bpermute_b32 v24, v68, v23
	v_cmp_le_u32_e32 vcc, v69, v21
	v_add_u32_e32 v73, 16, v50
	v_add_u32_e32 v75, 32, v50
	s_waitcnt lgkmcnt(0)
	v_cndmask_b32_e32 v24, 0, v24, vcc
	v_cmp_gt_u32_e32 vcc, 56, v50
	v_add_u32_e32 v23, v23, v24
	v_cndmask_b32_e64 v24, 0, 8, vcc
	v_add_lshl_u32 v70, v24, v44, 2
	ds_bpermute_b32 v24, v70, v23
	v_cmp_le_u32_e32 vcc, v71, v21
	s_waitcnt lgkmcnt(0)
	v_cndmask_b32_e32 v24, 0, v24, vcc
	v_cmp_gt_u32_e32 vcc, 48, v50
	v_add_u32_e32 v23, v23, v24
	v_cndmask_b32_e64 v24, 0, 16, vcc
	v_add_lshl_u32 v72, v24, v44, 2
	ds_bpermute_b32 v24, v72, v23
	v_cmp_le_u32_e32 vcc, v73, v21
	s_waitcnt lgkmcnt(0)
	v_cndmask_b32_e32 v24, 0, v24, vcc
	v_add_u32_e32 v23, v23, v24
	v_mov_b32_e32 v24, 0x80
	v_lshl_or_b32 v74, v44, 2, v24
	ds_bpermute_b32 v24, v74, v23
	v_cmp_le_u32_e32 vcc, v75, v21
	s_waitcnt lgkmcnt(0)
	v_cndmask_b32_e32 v21, 0, v24, vcc
	v_add_u32_e32 v24, v23, v21
	v_mov_b32_e32 v23, 0
	s_branch .LBB432_80
.LBB432_78:                             ;   in Loop: Header=BB432_80 Depth=1
	s_or_b64 exec, exec, s[20:21]
	v_cmp_eq_u16_sdwa s[20:21], v25, v49 src0_sel:BYTE_0 src1_sel:DWORD
	v_and_b32_e32 v28, s21, v27
	v_or_b32_e32 v28, 0x80000000, v28
	ds_bpermute_b32 v76, v51, v24
	v_and_b32_e32 v29, s20, v26
	v_ffbl_b32_e32 v28, v28
	v_add_u32_e32 v28, 32, v28
	v_ffbl_b32_e32 v29, v29
	v_min_u32_e32 v28, v29, v28
	v_cmp_lt_u32_e32 vcc, v50, v28
	s_waitcnt lgkmcnt(0)
	v_cndmask_b32_e32 v29, 0, v76, vcc
	v_add_u32_e32 v24, v29, v24
	ds_bpermute_b32 v29, v52, v24
	v_cmp_le_u32_e32 vcc, v53, v28
	v_subrev_u32_e32 v22, 64, v22
	s_mov_b64 s[20:21], 0
	s_waitcnt lgkmcnt(0)
	v_cndmask_b32_e32 v29, 0, v29, vcc
	v_add_u32_e32 v24, v24, v29
	ds_bpermute_b32 v29, v68, v24
	v_cmp_le_u32_e32 vcc, v69, v28
	s_waitcnt lgkmcnt(0)
	v_cndmask_b32_e32 v29, 0, v29, vcc
	v_add_u32_e32 v24, v24, v29
	ds_bpermute_b32 v29, v70, v24
	v_cmp_le_u32_e32 vcc, v71, v28
	;; [unrolled: 5-line block ×4, first 2 shown]
	s_waitcnt lgkmcnt(0)
	v_cndmask_b32_e32 v28, 0, v29, vcc
	v_add3_u32 v24, v28, v21, v24
.LBB432_79:                             ;   in Loop: Header=BB432_80 Depth=1
	s_and_b64 vcc, exec, s[20:21]
	s_cbranch_vccnz .LBB432_86
.LBB432_80:                             ; =>This Loop Header: Depth=1
                                        ;     Child Loop BB432_83 Depth 2
	v_cmp_ne_u16_sdwa s[20:21], v25, v49 src0_sel:BYTE_0 src1_sel:DWORD
	v_mov_b32_e32 v21, v24
	s_cmp_lg_u64 s[20:21], exec
	s_mov_b64 s[20:21], -1
                                        ; implicit-def: $vgpr24
                                        ; implicit-def: $vgpr25
	s_cbranch_scc1 .LBB432_79
; %bb.81:                               ;   in Loop: Header=BB432_80 Depth=1
	v_lshlrev_b64 v[24:25], 3, v[22:23]
	v_mov_b32_e32 v29, s45
	v_add_co_u32_e32 v28, vcc, s44, v24
	v_addc_co_u32_e32 v29, vcc, v29, v25, vcc
	global_load_dwordx2 v[24:25], v[28:29], off glc
	s_waitcnt vmcnt(0)
	v_cmp_eq_u16_sdwa s[22:23], v25, v23 src0_sel:BYTE_0 src1_sel:DWORD
	s_and_saveexec_b64 s[20:21], s[22:23]
	s_cbranch_execz .LBB432_78
; %bb.82:                               ;   in Loop: Header=BB432_80 Depth=1
	s_mov_b64 s[22:23], 0
.LBB432_83:                             ;   Parent Loop BB432_80 Depth=1
                                        ; =>  This Inner Loop Header: Depth=2
	global_load_dwordx2 v[24:25], v[28:29], off glc
	s_waitcnt vmcnt(0)
	v_cmp_ne_u16_sdwa s[24:25], v25, v23 src0_sel:BYTE_0 src1_sel:DWORD
	s_or_b64 s[22:23], s[24:25], s[22:23]
	s_andn2_b64 exec, exec, s[22:23]
	s_cbranch_execnz .LBB432_83
; %bb.84:                               ;   in Loop: Header=BB432_80 Depth=1
	s_or_b64 exec, exec, s[22:23]
	s_branch .LBB432_78
.LBB432_85:
                                        ; implicit-def: $vgpr21
                                        ; implicit-def: $vgpr46
	s_cbranch_execnz .LBB432_91
	s_branch .LBB432_100
.LBB432_86:
	s_and_saveexec_b64 s[20:21], s[16:17]
	s_cbranch_execz .LBB432_88
; %bb.87:
	s_add_i32 s22, s33, 64
	s_mov_b32 s23, 0
	s_lshl_b64 s[22:23], s[22:23], 3
	s_add_u32 s22, s44, s22
	v_add_u32_e32 v22, v21, v20
	v_mov_b32_e32 v23, 2
	s_addc_u32 s23, s45, s23
	v_mov_b32_e32 v24, 0
	global_store_dwordx2 v24, v[22:23], s[22:23]
	ds_write_b64 v24, v[20:21] offset:16896
.LBB432_88:
	s_or_b64 exec, exec, s[20:21]
	s_and_b64 exec, exec, s[0:1]
; %bb.89:
	v_mov_b32_e32 v20, 0
	ds_write_b32 v20, v21 offset:12
.LBB432_90:
	s_or_b64 exec, exec, s[18:19]
	v_mov_b32_e32 v20, 0
	s_waitcnt vmcnt(0) lgkmcnt(0)
	s_barrier
	ds_read_b32 v22, v20 offset:12
	s_waitcnt lgkmcnt(0)
	s_barrier
	ds_read_b64 v[20:21], v20 offset:16896
	v_cndmask_b32_e64 v23, v48, v46, s[16:17]
	v_cndmask_b32_e64 v23, v23, 0, s[0:1]
	v_add_u32_e32 v46, v22, v23
	s_branch .LBB432_100
.LBB432_91:
	s_waitcnt lgkmcnt(0)
	v_mov_b32_dpp v20, v47 row_shr:1 row_mask:0xf bank_mask:0xf
	v_cndmask_b32_e64 v20, v20, 0, s[14:15]
	v_add_u32_e32 v20, v20, v47
	s_nop 1
	v_mov_b32_dpp v21, v20 row_shr:2 row_mask:0xf bank_mask:0xf
	v_cndmask_b32_e64 v21, 0, v21, s[12:13]
	v_add_u32_e32 v20, v20, v21
	s_nop 1
	;; [unrolled: 4-line block ×4, first 2 shown]
	v_mov_b32_dpp v21, v20 row_bcast:15 row_mask:0xf bank_mask:0xf
	v_cndmask_b32_e64 v21, v21, 0, s[6:7]
	v_add_u32_e32 v20, v20, v21
	s_nop 1
	v_mov_b32_dpp v21, v20 row_bcast:31 row_mask:0xf bank_mask:0xf
	v_cndmask_b32_e64 v21, 0, v21, s[2:3]
	v_add_u32_e32 v20, v20, v21
	s_and_saveexec_b64 s[2:3], s[4:5]
; %bb.92:
	v_lshlrev_b32_e32 v21, 2, v45
	ds_write_b32 v21, v20
; %bb.93:
	s_or_b64 exec, exec, s[2:3]
	v_cmp_gt_u32_e32 vcc, 4, v0
	s_waitcnt lgkmcnt(0)
	s_barrier
	s_and_saveexec_b64 s[2:3], vcc
	s_cbranch_execz .LBB432_95
; %bb.94:
	v_lshlrev_b32_e32 v21, 2, v0
	ds_read_b32 v22, v21
	v_and_b32_e32 v23, 3, v44
	v_cmp_ne_u32_e32 vcc, 0, v23
	s_waitcnt lgkmcnt(0)
	v_mov_b32_dpp v24, v22 row_shr:1 row_mask:0xf bank_mask:0xf
	v_cndmask_b32_e32 v24, 0, v24, vcc
	v_add_u32_e32 v22, v24, v22
	v_cmp_lt_u32_e32 vcc, 1, v23
	s_nop 0
	v_mov_b32_dpp v24, v22 row_shr:2 row_mask:0xf bank_mask:0xf
	v_cndmask_b32_e32 v23, 0, v24, vcc
	v_add_u32_e32 v22, v22, v23
	ds_write_b32 v21, v22
.LBB432_95:
	s_or_b64 exec, exec, s[2:3]
	v_cmp_lt_u32_e32 vcc, 63, v0
	v_mov_b32_e32 v21, 0
	v_mov_b32_e32 v22, 0
	s_waitcnt lgkmcnt(0)
	s_barrier
	s_and_saveexec_b64 s[2:3], vcc
; %bb.96:
	v_lshl_add_u32 v22, v45, 2, -4
	ds_read_b32 v22, v22
; %bb.97:
	s_or_b64 exec, exec, s[2:3]
	v_subrev_co_u32_e32 v23, vcc, 1, v44
	v_and_b32_e32 v24, 64, v44
	v_cmp_lt_i32_e64 s[2:3], v23, v24
	v_cndmask_b32_e64 v23, v23, v44, s[2:3]
	s_waitcnt lgkmcnt(0)
	v_add_u32_e32 v20, v22, v20
	v_lshlrev_b32_e32 v23, 2, v23
	ds_bpermute_b32 v23, v23, v20
	ds_read_b32 v20, v21 offset:12
	s_and_saveexec_b64 s[2:3], s[0:1]
	s_cbranch_execz .LBB432_99
; %bb.98:
	v_mov_b32_e32 v24, 0
	v_mov_b32_e32 v21, 2
	s_waitcnt lgkmcnt(0)
	global_store_dwordx2 v24, v[20:21], s[44:45] offset:512
.LBB432_99:
	s_or_b64 exec, exec, s[2:3]
	s_waitcnt lgkmcnt(1)
	v_cndmask_b32_e32 v21, v23, v22, vcc
	v_cndmask_b32_e64 v46, v21, 0, s[0:1]
	s_waitcnt vmcnt(0) lgkmcnt(0)
	s_barrier
	v_mov_b32_e32 v21, 0
.LBB432_100:
	v_add_u32_e32 v52, v46, v34
	v_add_u32_e32 v50, v52, v36
	;; [unrolled: 1-line block ×5, first 2 shown]
	v_add_u32_sdwa v40, v42, v63 dst_sel:DWORD dst_unused:UNUSED_PAD src0_sel:DWORD src1_sel:BYTE_0
	v_add_u32_sdwa v38, v40, v62 dst_sel:DWORD dst_unused:UNUSED_PAD src0_sel:DWORD src1_sel:BYTE_0
	v_add_u32_e32 v36, v38, v30
	v_add_u32_e32 v34, v36, v32
	;; [unrolled: 1-line block ×6, first 2 shown]
	s_movk_i32 s4, 0x101
	v_add_u32_e32 v24, v26, v41
	s_waitcnt lgkmcnt(0)
	v_cmp_gt_u32_e32 vcc, s4, v20
	v_add_u32_e32 v22, v24, v43
	s_mov_b64 s[2:3], -1
	v_and_b32_e32 v68, 1, v31
	s_cbranch_vccnz .LBB432_104
; %bb.101:
	s_and_b64 vcc, exec, s[2:3]
	s_cbranch_vccnz .LBB432_137
.LBB432_102:
	s_and_b64 s[0:1], s[0:1], s[38:39]
	s_and_saveexec_b64 s[2:3], s[0:1]
	s_cbranch_execnz .LBB432_173
.LBB432_103:
	s_endpgm
.LBB432_104:
	v_lshlrev_b64 v[69:70], 2, v[18:19]
	v_mov_b32_e32 v25, s41
	v_add_co_u32_e32 v69, vcc, s40, v69
	v_add_u32_e32 v23, v21, v20
	v_addc_co_u32_e32 v70, vcc, v25, v70, vcc
	v_cmp_lt_u32_e32 vcc, v46, v23
	s_or_b64 s[2:3], s[42:43], vcc
	v_cmp_eq_u32_e32 vcc, 1, v68
	s_and_b64 s[4:5], s[2:3], vcc
	s_and_saveexec_b64 s[2:3], s[4:5]
	s_cbranch_execz .LBB432_106
; %bb.105:
	v_mov_b32_e32 v47, 0
	v_lshlrev_b64 v[71:72], 2, v[46:47]
	v_add_co_u32_e32 v71, vcc, v69, v71
	v_addc_co_u32_e32 v72, vcc, v70, v72, vcc
	global_store_dword v[71:72], v15, off
.LBB432_106:
	s_or_b64 exec, exec, s[2:3]
	v_cmp_lt_u32_e32 vcc, v52, v23
	v_and_b32_e32 v25, 1, v67
	s_or_b64 s[2:3], s[42:43], vcc
	v_cmp_eq_u32_e32 vcc, 1, v25
	s_and_b64 s[4:5], s[2:3], vcc
	s_and_saveexec_b64 s[2:3], s[4:5]
	s_cbranch_execz .LBB432_108
; %bb.107:
	v_mov_b32_e32 v53, 0
	v_lshlrev_b64 v[71:72], 2, v[52:53]
	v_add_co_u32_e32 v71, vcc, v69, v71
	v_addc_co_u32_e32 v72, vcc, v70, v72, vcc
	global_store_dword v[71:72], v16, off
.LBB432_108:
	s_or_b64 exec, exec, s[2:3]
	v_cmp_lt_u32_e32 vcc, v50, v23
	v_and_b32_e32 v25, 1, v66
	;; [unrolled: 15-line block ×15, first 2 shown]
	s_or_b64 s[2:3], s[42:43], vcc
	v_cmp_eq_u32_e32 vcc, 1, v23
	s_and_b64 s[4:5], s[2:3], vcc
	s_and_saveexec_b64 s[2:3], s[4:5]
	s_cbranch_execz .LBB432_136
; %bb.135:
	v_mov_b32_e32 v23, 0
	v_lshlrev_b64 v[71:72], 2, v[22:23]
	v_add_co_u32_e32 v69, vcc, v69, v71
	v_addc_co_u32_e32 v70, vcc, v70, v72, vcc
	global_store_dword v[69:70], v2, off
.LBB432_136:
	s_or_b64 exec, exec, s[2:3]
	s_branch .LBB432_102
.LBB432_137:
	v_cmp_eq_u32_e32 vcc, 1, v68
	s_and_saveexec_b64 s[2:3], vcc
; %bb.138:
	v_sub_u32_e32 v23, v46, v21
	v_lshlrev_b32_e32 v23, 2, v23
	ds_write_b32 v23, v15
; %bb.139:
	s_or_b64 exec, exec, s[2:3]
	v_and_b32_e32 v15, 1, v67
	v_cmp_eq_u32_e32 vcc, 1, v15
	s_and_saveexec_b64 s[2:3], vcc
; %bb.140:
	v_sub_u32_e32 v15, v52, v21
	v_lshlrev_b32_e32 v15, 2, v15
	ds_write_b32 v15, v16
; %bb.141:
	s_or_b64 exec, exec, s[2:3]
	v_and_b32_e32 v15, 1, v66
	;; [unrolled: 9-line block ×15, first 2 shown]
	v_cmp_eq_u32_e32 vcc, 1, v1
	s_and_saveexec_b64 s[2:3], vcc
; %bb.168:
	v_sub_u32_e32 v1, v22, v21
	v_lshlrev_b32_e32 v1, 2, v1
	ds_write_b32 v1, v2
; %bb.169:
	s_or_b64 exec, exec, s[2:3]
	v_cmp_lt_u32_e32 vcc, v0, v20
	s_waitcnt vmcnt(0) lgkmcnt(0)
	s_barrier
	s_and_saveexec_b64 s[4:5], vcc
	s_cbranch_execz .LBB432_172
; %bb.170:
	v_mov_b32_e32 v1, 0
	v_lshlrev_b64 v[4:5], 2, v[18:19]
	v_mov_b32_e32 v2, v21
	v_mov_b32_e32 v3, v1
	;; [unrolled: 1-line block ×3, first 2 shown]
	v_add_co_u32_e32 v4, vcc, s40, v4
	v_lshlrev_b64 v[2:3], 2, v[2:3]
	v_addc_co_u32_e32 v5, vcc, v6, v5, vcc
	v_add_co_u32_e32 v2, vcc, v4, v2
	v_addc_co_u32_e32 v3, vcc, v5, v3, vcc
	v_lshlrev_b32_e32 v4, 2, v0
	s_mov_b64 s[6:7], 0
.LBB432_171:                            ; =>This Inner Loop Header: Depth=1
	ds_read_b32 v7, v4
	v_lshlrev_b64 v[5:6], 2, v[0:1]
	v_add_u32_e32 v0, 0x100, v0
	v_cmp_ge_u32_e32 vcc, v0, v20
	v_add_co_u32_e64 v5, s[2:3], v2, v5
	v_add_u32_e32 v4, 0x400, v4
	v_addc_co_u32_e64 v6, s[2:3], v3, v6, s[2:3]
	s_or_b64 s[6:7], vcc, s[6:7]
	s_waitcnt lgkmcnt(0)
	global_store_dword v[5:6], v7, off
	s_andn2_b64 exec, exec, s[6:7]
	s_cbranch_execnz .LBB432_171
.LBB432_172:
	s_or_b64 exec, exec, s[4:5]
	s_and_b64 s[0:1], s[0:1], s[38:39]
	s_and_saveexec_b64 s[2:3], s[0:1]
	s_cbranch_execz .LBB432_103
.LBB432_173:
	v_add_co_u32_e32 v0, vcc, v18, v20
	v_addc_co_u32_e32 v1, vcc, 0, v19, vcc
	v_add_co_u32_e32 v0, vcc, v0, v21
	v_mov_b32_e32 v2, 0
	v_addc_co_u32_e32 v1, vcc, 0, v1, vcc
	global_store_dwordx2 v2, v[0:1], s[36:37]
	s_endpgm
	.section	.rodata,"a",@progbits
	.p2align	6, 0x0
	.amdhsa_kernel _ZN7rocprim17ROCPRIM_400000_NS6detail17trampoline_kernelINS0_14default_configENS1_25partition_config_selectorILNS1_17partition_subalgoE8EiNS0_10empty_typeEbEEZZNS1_14partition_implILS5_8ELb0ES3_jN6thrust23THRUST_200600_302600_NS6detail15normal_iteratorINSA_10device_ptrIiEEEEPS6_PKS6_NS0_5tupleIJSF_S6_EEENSJ_IJSG_SG_EEENS0_18inequality_wrapperINSA_8equal_toIiEEEEPmJS6_EEE10hipError_tPvRmT3_T4_T5_T6_T7_T9_mT8_P12ihipStream_tbDpT10_ENKUlT_T0_E_clISt17integral_constantIbLb0EES19_IbLb1EEEEDaS15_S16_EUlS15_E_NS1_11comp_targetILNS1_3genE2ELNS1_11target_archE906ELNS1_3gpuE6ELNS1_3repE0EEENS1_30default_config_static_selectorELNS0_4arch9wavefront6targetE1EEEvT1_
		.amdhsa_group_segment_fixed_size 16904
		.amdhsa_private_segment_fixed_size 0
		.amdhsa_kernarg_size 128
		.amdhsa_user_sgpr_count 6
		.amdhsa_user_sgpr_private_segment_buffer 1
		.amdhsa_user_sgpr_dispatch_ptr 0
		.amdhsa_user_sgpr_queue_ptr 0
		.amdhsa_user_sgpr_kernarg_segment_ptr 1
		.amdhsa_user_sgpr_dispatch_id 0
		.amdhsa_user_sgpr_flat_scratch_init 0
		.amdhsa_user_sgpr_private_segment_size 0
		.amdhsa_uses_dynamic_stack 0
		.amdhsa_system_sgpr_private_segment_wavefront_offset 0
		.amdhsa_system_sgpr_workgroup_id_x 1
		.amdhsa_system_sgpr_workgroup_id_y 0
		.amdhsa_system_sgpr_workgroup_id_z 0
		.amdhsa_system_sgpr_workgroup_info 0
		.amdhsa_system_vgpr_workitem_id 0
		.amdhsa_next_free_vgpr 77
		.amdhsa_next_free_sgpr 98
		.amdhsa_reserve_vcc 1
		.amdhsa_reserve_flat_scratch 0
		.amdhsa_float_round_mode_32 0
		.amdhsa_float_round_mode_16_64 0
		.amdhsa_float_denorm_mode_32 3
		.amdhsa_float_denorm_mode_16_64 3
		.amdhsa_dx10_clamp 1
		.amdhsa_ieee_mode 1
		.amdhsa_fp16_overflow 0
		.amdhsa_exception_fp_ieee_invalid_op 0
		.amdhsa_exception_fp_denorm_src 0
		.amdhsa_exception_fp_ieee_div_zero 0
		.amdhsa_exception_fp_ieee_overflow 0
		.amdhsa_exception_fp_ieee_underflow 0
		.amdhsa_exception_fp_ieee_inexact 0
		.amdhsa_exception_int_div_zero 0
	.end_amdhsa_kernel
	.section	.text._ZN7rocprim17ROCPRIM_400000_NS6detail17trampoline_kernelINS0_14default_configENS1_25partition_config_selectorILNS1_17partition_subalgoE8EiNS0_10empty_typeEbEEZZNS1_14partition_implILS5_8ELb0ES3_jN6thrust23THRUST_200600_302600_NS6detail15normal_iteratorINSA_10device_ptrIiEEEEPS6_PKS6_NS0_5tupleIJSF_S6_EEENSJ_IJSG_SG_EEENS0_18inequality_wrapperINSA_8equal_toIiEEEEPmJS6_EEE10hipError_tPvRmT3_T4_T5_T6_T7_T9_mT8_P12ihipStream_tbDpT10_ENKUlT_T0_E_clISt17integral_constantIbLb0EES19_IbLb1EEEEDaS15_S16_EUlS15_E_NS1_11comp_targetILNS1_3genE2ELNS1_11target_archE906ELNS1_3gpuE6ELNS1_3repE0EEENS1_30default_config_static_selectorELNS0_4arch9wavefront6targetE1EEEvT1_,"axG",@progbits,_ZN7rocprim17ROCPRIM_400000_NS6detail17trampoline_kernelINS0_14default_configENS1_25partition_config_selectorILNS1_17partition_subalgoE8EiNS0_10empty_typeEbEEZZNS1_14partition_implILS5_8ELb0ES3_jN6thrust23THRUST_200600_302600_NS6detail15normal_iteratorINSA_10device_ptrIiEEEEPS6_PKS6_NS0_5tupleIJSF_S6_EEENSJ_IJSG_SG_EEENS0_18inequality_wrapperINSA_8equal_toIiEEEEPmJS6_EEE10hipError_tPvRmT3_T4_T5_T6_T7_T9_mT8_P12ihipStream_tbDpT10_ENKUlT_T0_E_clISt17integral_constantIbLb0EES19_IbLb1EEEEDaS15_S16_EUlS15_E_NS1_11comp_targetILNS1_3genE2ELNS1_11target_archE906ELNS1_3gpuE6ELNS1_3repE0EEENS1_30default_config_static_selectorELNS0_4arch9wavefront6targetE1EEEvT1_,comdat
.Lfunc_end432:
	.size	_ZN7rocprim17ROCPRIM_400000_NS6detail17trampoline_kernelINS0_14default_configENS1_25partition_config_selectorILNS1_17partition_subalgoE8EiNS0_10empty_typeEbEEZZNS1_14partition_implILS5_8ELb0ES3_jN6thrust23THRUST_200600_302600_NS6detail15normal_iteratorINSA_10device_ptrIiEEEEPS6_PKS6_NS0_5tupleIJSF_S6_EEENSJ_IJSG_SG_EEENS0_18inequality_wrapperINSA_8equal_toIiEEEEPmJS6_EEE10hipError_tPvRmT3_T4_T5_T6_T7_T9_mT8_P12ihipStream_tbDpT10_ENKUlT_T0_E_clISt17integral_constantIbLb0EES19_IbLb1EEEEDaS15_S16_EUlS15_E_NS1_11comp_targetILNS1_3genE2ELNS1_11target_archE906ELNS1_3gpuE6ELNS1_3repE0EEENS1_30default_config_static_selectorELNS0_4arch9wavefront6targetE1EEEvT1_, .Lfunc_end432-_ZN7rocprim17ROCPRIM_400000_NS6detail17trampoline_kernelINS0_14default_configENS1_25partition_config_selectorILNS1_17partition_subalgoE8EiNS0_10empty_typeEbEEZZNS1_14partition_implILS5_8ELb0ES3_jN6thrust23THRUST_200600_302600_NS6detail15normal_iteratorINSA_10device_ptrIiEEEEPS6_PKS6_NS0_5tupleIJSF_S6_EEENSJ_IJSG_SG_EEENS0_18inequality_wrapperINSA_8equal_toIiEEEEPmJS6_EEE10hipError_tPvRmT3_T4_T5_T6_T7_T9_mT8_P12ihipStream_tbDpT10_ENKUlT_T0_E_clISt17integral_constantIbLb0EES19_IbLb1EEEEDaS15_S16_EUlS15_E_NS1_11comp_targetILNS1_3genE2ELNS1_11target_archE906ELNS1_3gpuE6ELNS1_3repE0EEENS1_30default_config_static_selectorELNS0_4arch9wavefront6targetE1EEEvT1_
                                        ; -- End function
	.set _ZN7rocprim17ROCPRIM_400000_NS6detail17trampoline_kernelINS0_14default_configENS1_25partition_config_selectorILNS1_17partition_subalgoE8EiNS0_10empty_typeEbEEZZNS1_14partition_implILS5_8ELb0ES3_jN6thrust23THRUST_200600_302600_NS6detail15normal_iteratorINSA_10device_ptrIiEEEEPS6_PKS6_NS0_5tupleIJSF_S6_EEENSJ_IJSG_SG_EEENS0_18inequality_wrapperINSA_8equal_toIiEEEEPmJS6_EEE10hipError_tPvRmT3_T4_T5_T6_T7_T9_mT8_P12ihipStream_tbDpT10_ENKUlT_T0_E_clISt17integral_constantIbLb0EES19_IbLb1EEEEDaS15_S16_EUlS15_E_NS1_11comp_targetILNS1_3genE2ELNS1_11target_archE906ELNS1_3gpuE6ELNS1_3repE0EEENS1_30default_config_static_selectorELNS0_4arch9wavefront6targetE1EEEvT1_.num_vgpr, 77
	.set _ZN7rocprim17ROCPRIM_400000_NS6detail17trampoline_kernelINS0_14default_configENS1_25partition_config_selectorILNS1_17partition_subalgoE8EiNS0_10empty_typeEbEEZZNS1_14partition_implILS5_8ELb0ES3_jN6thrust23THRUST_200600_302600_NS6detail15normal_iteratorINSA_10device_ptrIiEEEEPS6_PKS6_NS0_5tupleIJSF_S6_EEENSJ_IJSG_SG_EEENS0_18inequality_wrapperINSA_8equal_toIiEEEEPmJS6_EEE10hipError_tPvRmT3_T4_T5_T6_T7_T9_mT8_P12ihipStream_tbDpT10_ENKUlT_T0_E_clISt17integral_constantIbLb0EES19_IbLb1EEEEDaS15_S16_EUlS15_E_NS1_11comp_targetILNS1_3genE2ELNS1_11target_archE906ELNS1_3gpuE6ELNS1_3repE0EEENS1_30default_config_static_selectorELNS0_4arch9wavefront6targetE1EEEvT1_.num_agpr, 0
	.set _ZN7rocprim17ROCPRIM_400000_NS6detail17trampoline_kernelINS0_14default_configENS1_25partition_config_selectorILNS1_17partition_subalgoE8EiNS0_10empty_typeEbEEZZNS1_14partition_implILS5_8ELb0ES3_jN6thrust23THRUST_200600_302600_NS6detail15normal_iteratorINSA_10device_ptrIiEEEEPS6_PKS6_NS0_5tupleIJSF_S6_EEENSJ_IJSG_SG_EEENS0_18inequality_wrapperINSA_8equal_toIiEEEEPmJS6_EEE10hipError_tPvRmT3_T4_T5_T6_T7_T9_mT8_P12ihipStream_tbDpT10_ENKUlT_T0_E_clISt17integral_constantIbLb0EES19_IbLb1EEEEDaS15_S16_EUlS15_E_NS1_11comp_targetILNS1_3genE2ELNS1_11target_archE906ELNS1_3gpuE6ELNS1_3repE0EEENS1_30default_config_static_selectorELNS0_4arch9wavefront6targetE1EEEvT1_.numbered_sgpr, 57
	.set _ZN7rocprim17ROCPRIM_400000_NS6detail17trampoline_kernelINS0_14default_configENS1_25partition_config_selectorILNS1_17partition_subalgoE8EiNS0_10empty_typeEbEEZZNS1_14partition_implILS5_8ELb0ES3_jN6thrust23THRUST_200600_302600_NS6detail15normal_iteratorINSA_10device_ptrIiEEEEPS6_PKS6_NS0_5tupleIJSF_S6_EEENSJ_IJSG_SG_EEENS0_18inequality_wrapperINSA_8equal_toIiEEEEPmJS6_EEE10hipError_tPvRmT3_T4_T5_T6_T7_T9_mT8_P12ihipStream_tbDpT10_ENKUlT_T0_E_clISt17integral_constantIbLb0EES19_IbLb1EEEEDaS15_S16_EUlS15_E_NS1_11comp_targetILNS1_3genE2ELNS1_11target_archE906ELNS1_3gpuE6ELNS1_3repE0EEENS1_30default_config_static_selectorELNS0_4arch9wavefront6targetE1EEEvT1_.num_named_barrier, 0
	.set _ZN7rocprim17ROCPRIM_400000_NS6detail17trampoline_kernelINS0_14default_configENS1_25partition_config_selectorILNS1_17partition_subalgoE8EiNS0_10empty_typeEbEEZZNS1_14partition_implILS5_8ELb0ES3_jN6thrust23THRUST_200600_302600_NS6detail15normal_iteratorINSA_10device_ptrIiEEEEPS6_PKS6_NS0_5tupleIJSF_S6_EEENSJ_IJSG_SG_EEENS0_18inequality_wrapperINSA_8equal_toIiEEEEPmJS6_EEE10hipError_tPvRmT3_T4_T5_T6_T7_T9_mT8_P12ihipStream_tbDpT10_ENKUlT_T0_E_clISt17integral_constantIbLb0EES19_IbLb1EEEEDaS15_S16_EUlS15_E_NS1_11comp_targetILNS1_3genE2ELNS1_11target_archE906ELNS1_3gpuE6ELNS1_3repE0EEENS1_30default_config_static_selectorELNS0_4arch9wavefront6targetE1EEEvT1_.private_seg_size, 0
	.set _ZN7rocprim17ROCPRIM_400000_NS6detail17trampoline_kernelINS0_14default_configENS1_25partition_config_selectorILNS1_17partition_subalgoE8EiNS0_10empty_typeEbEEZZNS1_14partition_implILS5_8ELb0ES3_jN6thrust23THRUST_200600_302600_NS6detail15normal_iteratorINSA_10device_ptrIiEEEEPS6_PKS6_NS0_5tupleIJSF_S6_EEENSJ_IJSG_SG_EEENS0_18inequality_wrapperINSA_8equal_toIiEEEEPmJS6_EEE10hipError_tPvRmT3_T4_T5_T6_T7_T9_mT8_P12ihipStream_tbDpT10_ENKUlT_T0_E_clISt17integral_constantIbLb0EES19_IbLb1EEEEDaS15_S16_EUlS15_E_NS1_11comp_targetILNS1_3genE2ELNS1_11target_archE906ELNS1_3gpuE6ELNS1_3repE0EEENS1_30default_config_static_selectorELNS0_4arch9wavefront6targetE1EEEvT1_.uses_vcc, 1
	.set _ZN7rocprim17ROCPRIM_400000_NS6detail17trampoline_kernelINS0_14default_configENS1_25partition_config_selectorILNS1_17partition_subalgoE8EiNS0_10empty_typeEbEEZZNS1_14partition_implILS5_8ELb0ES3_jN6thrust23THRUST_200600_302600_NS6detail15normal_iteratorINSA_10device_ptrIiEEEEPS6_PKS6_NS0_5tupleIJSF_S6_EEENSJ_IJSG_SG_EEENS0_18inequality_wrapperINSA_8equal_toIiEEEEPmJS6_EEE10hipError_tPvRmT3_T4_T5_T6_T7_T9_mT8_P12ihipStream_tbDpT10_ENKUlT_T0_E_clISt17integral_constantIbLb0EES19_IbLb1EEEEDaS15_S16_EUlS15_E_NS1_11comp_targetILNS1_3genE2ELNS1_11target_archE906ELNS1_3gpuE6ELNS1_3repE0EEENS1_30default_config_static_selectorELNS0_4arch9wavefront6targetE1EEEvT1_.uses_flat_scratch, 0
	.set _ZN7rocprim17ROCPRIM_400000_NS6detail17trampoline_kernelINS0_14default_configENS1_25partition_config_selectorILNS1_17partition_subalgoE8EiNS0_10empty_typeEbEEZZNS1_14partition_implILS5_8ELb0ES3_jN6thrust23THRUST_200600_302600_NS6detail15normal_iteratorINSA_10device_ptrIiEEEEPS6_PKS6_NS0_5tupleIJSF_S6_EEENSJ_IJSG_SG_EEENS0_18inequality_wrapperINSA_8equal_toIiEEEEPmJS6_EEE10hipError_tPvRmT3_T4_T5_T6_T7_T9_mT8_P12ihipStream_tbDpT10_ENKUlT_T0_E_clISt17integral_constantIbLb0EES19_IbLb1EEEEDaS15_S16_EUlS15_E_NS1_11comp_targetILNS1_3genE2ELNS1_11target_archE906ELNS1_3gpuE6ELNS1_3repE0EEENS1_30default_config_static_selectorELNS0_4arch9wavefront6targetE1EEEvT1_.has_dyn_sized_stack, 0
	.set _ZN7rocprim17ROCPRIM_400000_NS6detail17trampoline_kernelINS0_14default_configENS1_25partition_config_selectorILNS1_17partition_subalgoE8EiNS0_10empty_typeEbEEZZNS1_14partition_implILS5_8ELb0ES3_jN6thrust23THRUST_200600_302600_NS6detail15normal_iteratorINSA_10device_ptrIiEEEEPS6_PKS6_NS0_5tupleIJSF_S6_EEENSJ_IJSG_SG_EEENS0_18inequality_wrapperINSA_8equal_toIiEEEEPmJS6_EEE10hipError_tPvRmT3_T4_T5_T6_T7_T9_mT8_P12ihipStream_tbDpT10_ENKUlT_T0_E_clISt17integral_constantIbLb0EES19_IbLb1EEEEDaS15_S16_EUlS15_E_NS1_11comp_targetILNS1_3genE2ELNS1_11target_archE906ELNS1_3gpuE6ELNS1_3repE0EEENS1_30default_config_static_selectorELNS0_4arch9wavefront6targetE1EEEvT1_.has_recursion, 0
	.set _ZN7rocprim17ROCPRIM_400000_NS6detail17trampoline_kernelINS0_14default_configENS1_25partition_config_selectorILNS1_17partition_subalgoE8EiNS0_10empty_typeEbEEZZNS1_14partition_implILS5_8ELb0ES3_jN6thrust23THRUST_200600_302600_NS6detail15normal_iteratorINSA_10device_ptrIiEEEEPS6_PKS6_NS0_5tupleIJSF_S6_EEENSJ_IJSG_SG_EEENS0_18inequality_wrapperINSA_8equal_toIiEEEEPmJS6_EEE10hipError_tPvRmT3_T4_T5_T6_T7_T9_mT8_P12ihipStream_tbDpT10_ENKUlT_T0_E_clISt17integral_constantIbLb0EES19_IbLb1EEEEDaS15_S16_EUlS15_E_NS1_11comp_targetILNS1_3genE2ELNS1_11target_archE906ELNS1_3gpuE6ELNS1_3repE0EEENS1_30default_config_static_selectorELNS0_4arch9wavefront6targetE1EEEvT1_.has_indirect_call, 0
	.section	.AMDGPU.csdata,"",@progbits
; Kernel info:
; codeLenInByte = 8020
; TotalNumSgprs: 61
; NumVgprs: 77
; ScratchSize: 0
; MemoryBound: 0
; FloatMode: 240
; IeeeMode: 1
; LDSByteSize: 16904 bytes/workgroup (compile time only)
; SGPRBlocks: 12
; VGPRBlocks: 19
; NumSGPRsForWavesPerEU: 102
; NumVGPRsForWavesPerEU: 77
; Occupancy: 3
; WaveLimiterHint : 1
; COMPUTE_PGM_RSRC2:SCRATCH_EN: 0
; COMPUTE_PGM_RSRC2:USER_SGPR: 6
; COMPUTE_PGM_RSRC2:TRAP_HANDLER: 0
; COMPUTE_PGM_RSRC2:TGID_X_EN: 1
; COMPUTE_PGM_RSRC2:TGID_Y_EN: 0
; COMPUTE_PGM_RSRC2:TGID_Z_EN: 0
; COMPUTE_PGM_RSRC2:TIDIG_COMP_CNT: 0
	.section	.text._ZN7rocprim17ROCPRIM_400000_NS6detail17trampoline_kernelINS0_14default_configENS1_25partition_config_selectorILNS1_17partition_subalgoE8EiNS0_10empty_typeEbEEZZNS1_14partition_implILS5_8ELb0ES3_jN6thrust23THRUST_200600_302600_NS6detail15normal_iteratorINSA_10device_ptrIiEEEEPS6_PKS6_NS0_5tupleIJSF_S6_EEENSJ_IJSG_SG_EEENS0_18inequality_wrapperINSA_8equal_toIiEEEEPmJS6_EEE10hipError_tPvRmT3_T4_T5_T6_T7_T9_mT8_P12ihipStream_tbDpT10_ENKUlT_T0_E_clISt17integral_constantIbLb0EES19_IbLb1EEEEDaS15_S16_EUlS15_E_NS1_11comp_targetILNS1_3genE10ELNS1_11target_archE1200ELNS1_3gpuE4ELNS1_3repE0EEENS1_30default_config_static_selectorELNS0_4arch9wavefront6targetE1EEEvT1_,"axG",@progbits,_ZN7rocprim17ROCPRIM_400000_NS6detail17trampoline_kernelINS0_14default_configENS1_25partition_config_selectorILNS1_17partition_subalgoE8EiNS0_10empty_typeEbEEZZNS1_14partition_implILS5_8ELb0ES3_jN6thrust23THRUST_200600_302600_NS6detail15normal_iteratorINSA_10device_ptrIiEEEEPS6_PKS6_NS0_5tupleIJSF_S6_EEENSJ_IJSG_SG_EEENS0_18inequality_wrapperINSA_8equal_toIiEEEEPmJS6_EEE10hipError_tPvRmT3_T4_T5_T6_T7_T9_mT8_P12ihipStream_tbDpT10_ENKUlT_T0_E_clISt17integral_constantIbLb0EES19_IbLb1EEEEDaS15_S16_EUlS15_E_NS1_11comp_targetILNS1_3genE10ELNS1_11target_archE1200ELNS1_3gpuE4ELNS1_3repE0EEENS1_30default_config_static_selectorELNS0_4arch9wavefront6targetE1EEEvT1_,comdat
	.protected	_ZN7rocprim17ROCPRIM_400000_NS6detail17trampoline_kernelINS0_14default_configENS1_25partition_config_selectorILNS1_17partition_subalgoE8EiNS0_10empty_typeEbEEZZNS1_14partition_implILS5_8ELb0ES3_jN6thrust23THRUST_200600_302600_NS6detail15normal_iteratorINSA_10device_ptrIiEEEEPS6_PKS6_NS0_5tupleIJSF_S6_EEENSJ_IJSG_SG_EEENS0_18inequality_wrapperINSA_8equal_toIiEEEEPmJS6_EEE10hipError_tPvRmT3_T4_T5_T6_T7_T9_mT8_P12ihipStream_tbDpT10_ENKUlT_T0_E_clISt17integral_constantIbLb0EES19_IbLb1EEEEDaS15_S16_EUlS15_E_NS1_11comp_targetILNS1_3genE10ELNS1_11target_archE1200ELNS1_3gpuE4ELNS1_3repE0EEENS1_30default_config_static_selectorELNS0_4arch9wavefront6targetE1EEEvT1_ ; -- Begin function _ZN7rocprim17ROCPRIM_400000_NS6detail17trampoline_kernelINS0_14default_configENS1_25partition_config_selectorILNS1_17partition_subalgoE8EiNS0_10empty_typeEbEEZZNS1_14partition_implILS5_8ELb0ES3_jN6thrust23THRUST_200600_302600_NS6detail15normal_iteratorINSA_10device_ptrIiEEEEPS6_PKS6_NS0_5tupleIJSF_S6_EEENSJ_IJSG_SG_EEENS0_18inequality_wrapperINSA_8equal_toIiEEEEPmJS6_EEE10hipError_tPvRmT3_T4_T5_T6_T7_T9_mT8_P12ihipStream_tbDpT10_ENKUlT_T0_E_clISt17integral_constantIbLb0EES19_IbLb1EEEEDaS15_S16_EUlS15_E_NS1_11comp_targetILNS1_3genE10ELNS1_11target_archE1200ELNS1_3gpuE4ELNS1_3repE0EEENS1_30default_config_static_selectorELNS0_4arch9wavefront6targetE1EEEvT1_
	.globl	_ZN7rocprim17ROCPRIM_400000_NS6detail17trampoline_kernelINS0_14default_configENS1_25partition_config_selectorILNS1_17partition_subalgoE8EiNS0_10empty_typeEbEEZZNS1_14partition_implILS5_8ELb0ES3_jN6thrust23THRUST_200600_302600_NS6detail15normal_iteratorINSA_10device_ptrIiEEEEPS6_PKS6_NS0_5tupleIJSF_S6_EEENSJ_IJSG_SG_EEENS0_18inequality_wrapperINSA_8equal_toIiEEEEPmJS6_EEE10hipError_tPvRmT3_T4_T5_T6_T7_T9_mT8_P12ihipStream_tbDpT10_ENKUlT_T0_E_clISt17integral_constantIbLb0EES19_IbLb1EEEEDaS15_S16_EUlS15_E_NS1_11comp_targetILNS1_3genE10ELNS1_11target_archE1200ELNS1_3gpuE4ELNS1_3repE0EEENS1_30default_config_static_selectorELNS0_4arch9wavefront6targetE1EEEvT1_
	.p2align	8
	.type	_ZN7rocprim17ROCPRIM_400000_NS6detail17trampoline_kernelINS0_14default_configENS1_25partition_config_selectorILNS1_17partition_subalgoE8EiNS0_10empty_typeEbEEZZNS1_14partition_implILS5_8ELb0ES3_jN6thrust23THRUST_200600_302600_NS6detail15normal_iteratorINSA_10device_ptrIiEEEEPS6_PKS6_NS0_5tupleIJSF_S6_EEENSJ_IJSG_SG_EEENS0_18inequality_wrapperINSA_8equal_toIiEEEEPmJS6_EEE10hipError_tPvRmT3_T4_T5_T6_T7_T9_mT8_P12ihipStream_tbDpT10_ENKUlT_T0_E_clISt17integral_constantIbLb0EES19_IbLb1EEEEDaS15_S16_EUlS15_E_NS1_11comp_targetILNS1_3genE10ELNS1_11target_archE1200ELNS1_3gpuE4ELNS1_3repE0EEENS1_30default_config_static_selectorELNS0_4arch9wavefront6targetE1EEEvT1_,@function
_ZN7rocprim17ROCPRIM_400000_NS6detail17trampoline_kernelINS0_14default_configENS1_25partition_config_selectorILNS1_17partition_subalgoE8EiNS0_10empty_typeEbEEZZNS1_14partition_implILS5_8ELb0ES3_jN6thrust23THRUST_200600_302600_NS6detail15normal_iteratorINSA_10device_ptrIiEEEEPS6_PKS6_NS0_5tupleIJSF_S6_EEENSJ_IJSG_SG_EEENS0_18inequality_wrapperINSA_8equal_toIiEEEEPmJS6_EEE10hipError_tPvRmT3_T4_T5_T6_T7_T9_mT8_P12ihipStream_tbDpT10_ENKUlT_T0_E_clISt17integral_constantIbLb0EES19_IbLb1EEEEDaS15_S16_EUlS15_E_NS1_11comp_targetILNS1_3genE10ELNS1_11target_archE1200ELNS1_3gpuE4ELNS1_3repE0EEENS1_30default_config_static_selectorELNS0_4arch9wavefront6targetE1EEEvT1_: ; @_ZN7rocprim17ROCPRIM_400000_NS6detail17trampoline_kernelINS0_14default_configENS1_25partition_config_selectorILNS1_17partition_subalgoE8EiNS0_10empty_typeEbEEZZNS1_14partition_implILS5_8ELb0ES3_jN6thrust23THRUST_200600_302600_NS6detail15normal_iteratorINSA_10device_ptrIiEEEEPS6_PKS6_NS0_5tupleIJSF_S6_EEENSJ_IJSG_SG_EEENS0_18inequality_wrapperINSA_8equal_toIiEEEEPmJS6_EEE10hipError_tPvRmT3_T4_T5_T6_T7_T9_mT8_P12ihipStream_tbDpT10_ENKUlT_T0_E_clISt17integral_constantIbLb0EES19_IbLb1EEEEDaS15_S16_EUlS15_E_NS1_11comp_targetILNS1_3genE10ELNS1_11target_archE1200ELNS1_3gpuE4ELNS1_3repE0EEENS1_30default_config_static_selectorELNS0_4arch9wavefront6targetE1EEEvT1_
; %bb.0:
	.section	.rodata,"a",@progbits
	.p2align	6, 0x0
	.amdhsa_kernel _ZN7rocprim17ROCPRIM_400000_NS6detail17trampoline_kernelINS0_14default_configENS1_25partition_config_selectorILNS1_17partition_subalgoE8EiNS0_10empty_typeEbEEZZNS1_14partition_implILS5_8ELb0ES3_jN6thrust23THRUST_200600_302600_NS6detail15normal_iteratorINSA_10device_ptrIiEEEEPS6_PKS6_NS0_5tupleIJSF_S6_EEENSJ_IJSG_SG_EEENS0_18inequality_wrapperINSA_8equal_toIiEEEEPmJS6_EEE10hipError_tPvRmT3_T4_T5_T6_T7_T9_mT8_P12ihipStream_tbDpT10_ENKUlT_T0_E_clISt17integral_constantIbLb0EES19_IbLb1EEEEDaS15_S16_EUlS15_E_NS1_11comp_targetILNS1_3genE10ELNS1_11target_archE1200ELNS1_3gpuE4ELNS1_3repE0EEENS1_30default_config_static_selectorELNS0_4arch9wavefront6targetE1EEEvT1_
		.amdhsa_group_segment_fixed_size 0
		.amdhsa_private_segment_fixed_size 0
		.amdhsa_kernarg_size 128
		.amdhsa_user_sgpr_count 6
		.amdhsa_user_sgpr_private_segment_buffer 1
		.amdhsa_user_sgpr_dispatch_ptr 0
		.amdhsa_user_sgpr_queue_ptr 0
		.amdhsa_user_sgpr_kernarg_segment_ptr 1
		.amdhsa_user_sgpr_dispatch_id 0
		.amdhsa_user_sgpr_flat_scratch_init 0
		.amdhsa_user_sgpr_private_segment_size 0
		.amdhsa_uses_dynamic_stack 0
		.amdhsa_system_sgpr_private_segment_wavefront_offset 0
		.amdhsa_system_sgpr_workgroup_id_x 1
		.amdhsa_system_sgpr_workgroup_id_y 0
		.amdhsa_system_sgpr_workgroup_id_z 0
		.amdhsa_system_sgpr_workgroup_info 0
		.amdhsa_system_vgpr_workitem_id 0
		.amdhsa_next_free_vgpr 1
		.amdhsa_next_free_sgpr 0
		.amdhsa_reserve_vcc 0
		.amdhsa_reserve_flat_scratch 0
		.amdhsa_float_round_mode_32 0
		.amdhsa_float_round_mode_16_64 0
		.amdhsa_float_denorm_mode_32 3
		.amdhsa_float_denorm_mode_16_64 3
		.amdhsa_dx10_clamp 1
		.amdhsa_ieee_mode 1
		.amdhsa_fp16_overflow 0
		.amdhsa_exception_fp_ieee_invalid_op 0
		.amdhsa_exception_fp_denorm_src 0
		.amdhsa_exception_fp_ieee_div_zero 0
		.amdhsa_exception_fp_ieee_overflow 0
		.amdhsa_exception_fp_ieee_underflow 0
		.amdhsa_exception_fp_ieee_inexact 0
		.amdhsa_exception_int_div_zero 0
	.end_amdhsa_kernel
	.section	.text._ZN7rocprim17ROCPRIM_400000_NS6detail17trampoline_kernelINS0_14default_configENS1_25partition_config_selectorILNS1_17partition_subalgoE8EiNS0_10empty_typeEbEEZZNS1_14partition_implILS5_8ELb0ES3_jN6thrust23THRUST_200600_302600_NS6detail15normal_iteratorINSA_10device_ptrIiEEEEPS6_PKS6_NS0_5tupleIJSF_S6_EEENSJ_IJSG_SG_EEENS0_18inequality_wrapperINSA_8equal_toIiEEEEPmJS6_EEE10hipError_tPvRmT3_T4_T5_T6_T7_T9_mT8_P12ihipStream_tbDpT10_ENKUlT_T0_E_clISt17integral_constantIbLb0EES19_IbLb1EEEEDaS15_S16_EUlS15_E_NS1_11comp_targetILNS1_3genE10ELNS1_11target_archE1200ELNS1_3gpuE4ELNS1_3repE0EEENS1_30default_config_static_selectorELNS0_4arch9wavefront6targetE1EEEvT1_,"axG",@progbits,_ZN7rocprim17ROCPRIM_400000_NS6detail17trampoline_kernelINS0_14default_configENS1_25partition_config_selectorILNS1_17partition_subalgoE8EiNS0_10empty_typeEbEEZZNS1_14partition_implILS5_8ELb0ES3_jN6thrust23THRUST_200600_302600_NS6detail15normal_iteratorINSA_10device_ptrIiEEEEPS6_PKS6_NS0_5tupleIJSF_S6_EEENSJ_IJSG_SG_EEENS0_18inequality_wrapperINSA_8equal_toIiEEEEPmJS6_EEE10hipError_tPvRmT3_T4_T5_T6_T7_T9_mT8_P12ihipStream_tbDpT10_ENKUlT_T0_E_clISt17integral_constantIbLb0EES19_IbLb1EEEEDaS15_S16_EUlS15_E_NS1_11comp_targetILNS1_3genE10ELNS1_11target_archE1200ELNS1_3gpuE4ELNS1_3repE0EEENS1_30default_config_static_selectorELNS0_4arch9wavefront6targetE1EEEvT1_,comdat
.Lfunc_end433:
	.size	_ZN7rocprim17ROCPRIM_400000_NS6detail17trampoline_kernelINS0_14default_configENS1_25partition_config_selectorILNS1_17partition_subalgoE8EiNS0_10empty_typeEbEEZZNS1_14partition_implILS5_8ELb0ES3_jN6thrust23THRUST_200600_302600_NS6detail15normal_iteratorINSA_10device_ptrIiEEEEPS6_PKS6_NS0_5tupleIJSF_S6_EEENSJ_IJSG_SG_EEENS0_18inequality_wrapperINSA_8equal_toIiEEEEPmJS6_EEE10hipError_tPvRmT3_T4_T5_T6_T7_T9_mT8_P12ihipStream_tbDpT10_ENKUlT_T0_E_clISt17integral_constantIbLb0EES19_IbLb1EEEEDaS15_S16_EUlS15_E_NS1_11comp_targetILNS1_3genE10ELNS1_11target_archE1200ELNS1_3gpuE4ELNS1_3repE0EEENS1_30default_config_static_selectorELNS0_4arch9wavefront6targetE1EEEvT1_, .Lfunc_end433-_ZN7rocprim17ROCPRIM_400000_NS6detail17trampoline_kernelINS0_14default_configENS1_25partition_config_selectorILNS1_17partition_subalgoE8EiNS0_10empty_typeEbEEZZNS1_14partition_implILS5_8ELb0ES3_jN6thrust23THRUST_200600_302600_NS6detail15normal_iteratorINSA_10device_ptrIiEEEEPS6_PKS6_NS0_5tupleIJSF_S6_EEENSJ_IJSG_SG_EEENS0_18inequality_wrapperINSA_8equal_toIiEEEEPmJS6_EEE10hipError_tPvRmT3_T4_T5_T6_T7_T9_mT8_P12ihipStream_tbDpT10_ENKUlT_T0_E_clISt17integral_constantIbLb0EES19_IbLb1EEEEDaS15_S16_EUlS15_E_NS1_11comp_targetILNS1_3genE10ELNS1_11target_archE1200ELNS1_3gpuE4ELNS1_3repE0EEENS1_30default_config_static_selectorELNS0_4arch9wavefront6targetE1EEEvT1_
                                        ; -- End function
	.set _ZN7rocprim17ROCPRIM_400000_NS6detail17trampoline_kernelINS0_14default_configENS1_25partition_config_selectorILNS1_17partition_subalgoE8EiNS0_10empty_typeEbEEZZNS1_14partition_implILS5_8ELb0ES3_jN6thrust23THRUST_200600_302600_NS6detail15normal_iteratorINSA_10device_ptrIiEEEEPS6_PKS6_NS0_5tupleIJSF_S6_EEENSJ_IJSG_SG_EEENS0_18inequality_wrapperINSA_8equal_toIiEEEEPmJS6_EEE10hipError_tPvRmT3_T4_T5_T6_T7_T9_mT8_P12ihipStream_tbDpT10_ENKUlT_T0_E_clISt17integral_constantIbLb0EES19_IbLb1EEEEDaS15_S16_EUlS15_E_NS1_11comp_targetILNS1_3genE10ELNS1_11target_archE1200ELNS1_3gpuE4ELNS1_3repE0EEENS1_30default_config_static_selectorELNS0_4arch9wavefront6targetE1EEEvT1_.num_vgpr, 0
	.set _ZN7rocprim17ROCPRIM_400000_NS6detail17trampoline_kernelINS0_14default_configENS1_25partition_config_selectorILNS1_17partition_subalgoE8EiNS0_10empty_typeEbEEZZNS1_14partition_implILS5_8ELb0ES3_jN6thrust23THRUST_200600_302600_NS6detail15normal_iteratorINSA_10device_ptrIiEEEEPS6_PKS6_NS0_5tupleIJSF_S6_EEENSJ_IJSG_SG_EEENS0_18inequality_wrapperINSA_8equal_toIiEEEEPmJS6_EEE10hipError_tPvRmT3_T4_T5_T6_T7_T9_mT8_P12ihipStream_tbDpT10_ENKUlT_T0_E_clISt17integral_constantIbLb0EES19_IbLb1EEEEDaS15_S16_EUlS15_E_NS1_11comp_targetILNS1_3genE10ELNS1_11target_archE1200ELNS1_3gpuE4ELNS1_3repE0EEENS1_30default_config_static_selectorELNS0_4arch9wavefront6targetE1EEEvT1_.num_agpr, 0
	.set _ZN7rocprim17ROCPRIM_400000_NS6detail17trampoline_kernelINS0_14default_configENS1_25partition_config_selectorILNS1_17partition_subalgoE8EiNS0_10empty_typeEbEEZZNS1_14partition_implILS5_8ELb0ES3_jN6thrust23THRUST_200600_302600_NS6detail15normal_iteratorINSA_10device_ptrIiEEEEPS6_PKS6_NS0_5tupleIJSF_S6_EEENSJ_IJSG_SG_EEENS0_18inequality_wrapperINSA_8equal_toIiEEEEPmJS6_EEE10hipError_tPvRmT3_T4_T5_T6_T7_T9_mT8_P12ihipStream_tbDpT10_ENKUlT_T0_E_clISt17integral_constantIbLb0EES19_IbLb1EEEEDaS15_S16_EUlS15_E_NS1_11comp_targetILNS1_3genE10ELNS1_11target_archE1200ELNS1_3gpuE4ELNS1_3repE0EEENS1_30default_config_static_selectorELNS0_4arch9wavefront6targetE1EEEvT1_.numbered_sgpr, 0
	.set _ZN7rocprim17ROCPRIM_400000_NS6detail17trampoline_kernelINS0_14default_configENS1_25partition_config_selectorILNS1_17partition_subalgoE8EiNS0_10empty_typeEbEEZZNS1_14partition_implILS5_8ELb0ES3_jN6thrust23THRUST_200600_302600_NS6detail15normal_iteratorINSA_10device_ptrIiEEEEPS6_PKS6_NS0_5tupleIJSF_S6_EEENSJ_IJSG_SG_EEENS0_18inequality_wrapperINSA_8equal_toIiEEEEPmJS6_EEE10hipError_tPvRmT3_T4_T5_T6_T7_T9_mT8_P12ihipStream_tbDpT10_ENKUlT_T0_E_clISt17integral_constantIbLb0EES19_IbLb1EEEEDaS15_S16_EUlS15_E_NS1_11comp_targetILNS1_3genE10ELNS1_11target_archE1200ELNS1_3gpuE4ELNS1_3repE0EEENS1_30default_config_static_selectorELNS0_4arch9wavefront6targetE1EEEvT1_.num_named_barrier, 0
	.set _ZN7rocprim17ROCPRIM_400000_NS6detail17trampoline_kernelINS0_14default_configENS1_25partition_config_selectorILNS1_17partition_subalgoE8EiNS0_10empty_typeEbEEZZNS1_14partition_implILS5_8ELb0ES3_jN6thrust23THRUST_200600_302600_NS6detail15normal_iteratorINSA_10device_ptrIiEEEEPS6_PKS6_NS0_5tupleIJSF_S6_EEENSJ_IJSG_SG_EEENS0_18inequality_wrapperINSA_8equal_toIiEEEEPmJS6_EEE10hipError_tPvRmT3_T4_T5_T6_T7_T9_mT8_P12ihipStream_tbDpT10_ENKUlT_T0_E_clISt17integral_constantIbLb0EES19_IbLb1EEEEDaS15_S16_EUlS15_E_NS1_11comp_targetILNS1_3genE10ELNS1_11target_archE1200ELNS1_3gpuE4ELNS1_3repE0EEENS1_30default_config_static_selectorELNS0_4arch9wavefront6targetE1EEEvT1_.private_seg_size, 0
	.set _ZN7rocprim17ROCPRIM_400000_NS6detail17trampoline_kernelINS0_14default_configENS1_25partition_config_selectorILNS1_17partition_subalgoE8EiNS0_10empty_typeEbEEZZNS1_14partition_implILS5_8ELb0ES3_jN6thrust23THRUST_200600_302600_NS6detail15normal_iteratorINSA_10device_ptrIiEEEEPS6_PKS6_NS0_5tupleIJSF_S6_EEENSJ_IJSG_SG_EEENS0_18inequality_wrapperINSA_8equal_toIiEEEEPmJS6_EEE10hipError_tPvRmT3_T4_T5_T6_T7_T9_mT8_P12ihipStream_tbDpT10_ENKUlT_T0_E_clISt17integral_constantIbLb0EES19_IbLb1EEEEDaS15_S16_EUlS15_E_NS1_11comp_targetILNS1_3genE10ELNS1_11target_archE1200ELNS1_3gpuE4ELNS1_3repE0EEENS1_30default_config_static_selectorELNS0_4arch9wavefront6targetE1EEEvT1_.uses_vcc, 0
	.set _ZN7rocprim17ROCPRIM_400000_NS6detail17trampoline_kernelINS0_14default_configENS1_25partition_config_selectorILNS1_17partition_subalgoE8EiNS0_10empty_typeEbEEZZNS1_14partition_implILS5_8ELb0ES3_jN6thrust23THRUST_200600_302600_NS6detail15normal_iteratorINSA_10device_ptrIiEEEEPS6_PKS6_NS0_5tupleIJSF_S6_EEENSJ_IJSG_SG_EEENS0_18inequality_wrapperINSA_8equal_toIiEEEEPmJS6_EEE10hipError_tPvRmT3_T4_T5_T6_T7_T9_mT8_P12ihipStream_tbDpT10_ENKUlT_T0_E_clISt17integral_constantIbLb0EES19_IbLb1EEEEDaS15_S16_EUlS15_E_NS1_11comp_targetILNS1_3genE10ELNS1_11target_archE1200ELNS1_3gpuE4ELNS1_3repE0EEENS1_30default_config_static_selectorELNS0_4arch9wavefront6targetE1EEEvT1_.uses_flat_scratch, 0
	.set _ZN7rocprim17ROCPRIM_400000_NS6detail17trampoline_kernelINS0_14default_configENS1_25partition_config_selectorILNS1_17partition_subalgoE8EiNS0_10empty_typeEbEEZZNS1_14partition_implILS5_8ELb0ES3_jN6thrust23THRUST_200600_302600_NS6detail15normal_iteratorINSA_10device_ptrIiEEEEPS6_PKS6_NS0_5tupleIJSF_S6_EEENSJ_IJSG_SG_EEENS0_18inequality_wrapperINSA_8equal_toIiEEEEPmJS6_EEE10hipError_tPvRmT3_T4_T5_T6_T7_T9_mT8_P12ihipStream_tbDpT10_ENKUlT_T0_E_clISt17integral_constantIbLb0EES19_IbLb1EEEEDaS15_S16_EUlS15_E_NS1_11comp_targetILNS1_3genE10ELNS1_11target_archE1200ELNS1_3gpuE4ELNS1_3repE0EEENS1_30default_config_static_selectorELNS0_4arch9wavefront6targetE1EEEvT1_.has_dyn_sized_stack, 0
	.set _ZN7rocprim17ROCPRIM_400000_NS6detail17trampoline_kernelINS0_14default_configENS1_25partition_config_selectorILNS1_17partition_subalgoE8EiNS0_10empty_typeEbEEZZNS1_14partition_implILS5_8ELb0ES3_jN6thrust23THRUST_200600_302600_NS6detail15normal_iteratorINSA_10device_ptrIiEEEEPS6_PKS6_NS0_5tupleIJSF_S6_EEENSJ_IJSG_SG_EEENS0_18inequality_wrapperINSA_8equal_toIiEEEEPmJS6_EEE10hipError_tPvRmT3_T4_T5_T6_T7_T9_mT8_P12ihipStream_tbDpT10_ENKUlT_T0_E_clISt17integral_constantIbLb0EES19_IbLb1EEEEDaS15_S16_EUlS15_E_NS1_11comp_targetILNS1_3genE10ELNS1_11target_archE1200ELNS1_3gpuE4ELNS1_3repE0EEENS1_30default_config_static_selectorELNS0_4arch9wavefront6targetE1EEEvT1_.has_recursion, 0
	.set _ZN7rocprim17ROCPRIM_400000_NS6detail17trampoline_kernelINS0_14default_configENS1_25partition_config_selectorILNS1_17partition_subalgoE8EiNS0_10empty_typeEbEEZZNS1_14partition_implILS5_8ELb0ES3_jN6thrust23THRUST_200600_302600_NS6detail15normal_iteratorINSA_10device_ptrIiEEEEPS6_PKS6_NS0_5tupleIJSF_S6_EEENSJ_IJSG_SG_EEENS0_18inequality_wrapperINSA_8equal_toIiEEEEPmJS6_EEE10hipError_tPvRmT3_T4_T5_T6_T7_T9_mT8_P12ihipStream_tbDpT10_ENKUlT_T0_E_clISt17integral_constantIbLb0EES19_IbLb1EEEEDaS15_S16_EUlS15_E_NS1_11comp_targetILNS1_3genE10ELNS1_11target_archE1200ELNS1_3gpuE4ELNS1_3repE0EEENS1_30default_config_static_selectorELNS0_4arch9wavefront6targetE1EEEvT1_.has_indirect_call, 0
	.section	.AMDGPU.csdata,"",@progbits
; Kernel info:
; codeLenInByte = 0
; TotalNumSgprs: 4
; NumVgprs: 0
; ScratchSize: 0
; MemoryBound: 0
; FloatMode: 240
; IeeeMode: 1
; LDSByteSize: 0 bytes/workgroup (compile time only)
; SGPRBlocks: 0
; VGPRBlocks: 0
; NumSGPRsForWavesPerEU: 4
; NumVGPRsForWavesPerEU: 1
; Occupancy: 10
; WaveLimiterHint : 0
; COMPUTE_PGM_RSRC2:SCRATCH_EN: 0
; COMPUTE_PGM_RSRC2:USER_SGPR: 6
; COMPUTE_PGM_RSRC2:TRAP_HANDLER: 0
; COMPUTE_PGM_RSRC2:TGID_X_EN: 1
; COMPUTE_PGM_RSRC2:TGID_Y_EN: 0
; COMPUTE_PGM_RSRC2:TGID_Z_EN: 0
; COMPUTE_PGM_RSRC2:TIDIG_COMP_CNT: 0
	.section	.text._ZN7rocprim17ROCPRIM_400000_NS6detail17trampoline_kernelINS0_14default_configENS1_25partition_config_selectorILNS1_17partition_subalgoE8EiNS0_10empty_typeEbEEZZNS1_14partition_implILS5_8ELb0ES3_jN6thrust23THRUST_200600_302600_NS6detail15normal_iteratorINSA_10device_ptrIiEEEEPS6_PKS6_NS0_5tupleIJSF_S6_EEENSJ_IJSG_SG_EEENS0_18inequality_wrapperINSA_8equal_toIiEEEEPmJS6_EEE10hipError_tPvRmT3_T4_T5_T6_T7_T9_mT8_P12ihipStream_tbDpT10_ENKUlT_T0_E_clISt17integral_constantIbLb0EES19_IbLb1EEEEDaS15_S16_EUlS15_E_NS1_11comp_targetILNS1_3genE9ELNS1_11target_archE1100ELNS1_3gpuE3ELNS1_3repE0EEENS1_30default_config_static_selectorELNS0_4arch9wavefront6targetE1EEEvT1_,"axG",@progbits,_ZN7rocprim17ROCPRIM_400000_NS6detail17trampoline_kernelINS0_14default_configENS1_25partition_config_selectorILNS1_17partition_subalgoE8EiNS0_10empty_typeEbEEZZNS1_14partition_implILS5_8ELb0ES3_jN6thrust23THRUST_200600_302600_NS6detail15normal_iteratorINSA_10device_ptrIiEEEEPS6_PKS6_NS0_5tupleIJSF_S6_EEENSJ_IJSG_SG_EEENS0_18inequality_wrapperINSA_8equal_toIiEEEEPmJS6_EEE10hipError_tPvRmT3_T4_T5_T6_T7_T9_mT8_P12ihipStream_tbDpT10_ENKUlT_T0_E_clISt17integral_constantIbLb0EES19_IbLb1EEEEDaS15_S16_EUlS15_E_NS1_11comp_targetILNS1_3genE9ELNS1_11target_archE1100ELNS1_3gpuE3ELNS1_3repE0EEENS1_30default_config_static_selectorELNS0_4arch9wavefront6targetE1EEEvT1_,comdat
	.protected	_ZN7rocprim17ROCPRIM_400000_NS6detail17trampoline_kernelINS0_14default_configENS1_25partition_config_selectorILNS1_17partition_subalgoE8EiNS0_10empty_typeEbEEZZNS1_14partition_implILS5_8ELb0ES3_jN6thrust23THRUST_200600_302600_NS6detail15normal_iteratorINSA_10device_ptrIiEEEEPS6_PKS6_NS0_5tupleIJSF_S6_EEENSJ_IJSG_SG_EEENS0_18inequality_wrapperINSA_8equal_toIiEEEEPmJS6_EEE10hipError_tPvRmT3_T4_T5_T6_T7_T9_mT8_P12ihipStream_tbDpT10_ENKUlT_T0_E_clISt17integral_constantIbLb0EES19_IbLb1EEEEDaS15_S16_EUlS15_E_NS1_11comp_targetILNS1_3genE9ELNS1_11target_archE1100ELNS1_3gpuE3ELNS1_3repE0EEENS1_30default_config_static_selectorELNS0_4arch9wavefront6targetE1EEEvT1_ ; -- Begin function _ZN7rocprim17ROCPRIM_400000_NS6detail17trampoline_kernelINS0_14default_configENS1_25partition_config_selectorILNS1_17partition_subalgoE8EiNS0_10empty_typeEbEEZZNS1_14partition_implILS5_8ELb0ES3_jN6thrust23THRUST_200600_302600_NS6detail15normal_iteratorINSA_10device_ptrIiEEEEPS6_PKS6_NS0_5tupleIJSF_S6_EEENSJ_IJSG_SG_EEENS0_18inequality_wrapperINSA_8equal_toIiEEEEPmJS6_EEE10hipError_tPvRmT3_T4_T5_T6_T7_T9_mT8_P12ihipStream_tbDpT10_ENKUlT_T0_E_clISt17integral_constantIbLb0EES19_IbLb1EEEEDaS15_S16_EUlS15_E_NS1_11comp_targetILNS1_3genE9ELNS1_11target_archE1100ELNS1_3gpuE3ELNS1_3repE0EEENS1_30default_config_static_selectorELNS0_4arch9wavefront6targetE1EEEvT1_
	.globl	_ZN7rocprim17ROCPRIM_400000_NS6detail17trampoline_kernelINS0_14default_configENS1_25partition_config_selectorILNS1_17partition_subalgoE8EiNS0_10empty_typeEbEEZZNS1_14partition_implILS5_8ELb0ES3_jN6thrust23THRUST_200600_302600_NS6detail15normal_iteratorINSA_10device_ptrIiEEEEPS6_PKS6_NS0_5tupleIJSF_S6_EEENSJ_IJSG_SG_EEENS0_18inequality_wrapperINSA_8equal_toIiEEEEPmJS6_EEE10hipError_tPvRmT3_T4_T5_T6_T7_T9_mT8_P12ihipStream_tbDpT10_ENKUlT_T0_E_clISt17integral_constantIbLb0EES19_IbLb1EEEEDaS15_S16_EUlS15_E_NS1_11comp_targetILNS1_3genE9ELNS1_11target_archE1100ELNS1_3gpuE3ELNS1_3repE0EEENS1_30default_config_static_selectorELNS0_4arch9wavefront6targetE1EEEvT1_
	.p2align	8
	.type	_ZN7rocprim17ROCPRIM_400000_NS6detail17trampoline_kernelINS0_14default_configENS1_25partition_config_selectorILNS1_17partition_subalgoE8EiNS0_10empty_typeEbEEZZNS1_14partition_implILS5_8ELb0ES3_jN6thrust23THRUST_200600_302600_NS6detail15normal_iteratorINSA_10device_ptrIiEEEEPS6_PKS6_NS0_5tupleIJSF_S6_EEENSJ_IJSG_SG_EEENS0_18inequality_wrapperINSA_8equal_toIiEEEEPmJS6_EEE10hipError_tPvRmT3_T4_T5_T6_T7_T9_mT8_P12ihipStream_tbDpT10_ENKUlT_T0_E_clISt17integral_constantIbLb0EES19_IbLb1EEEEDaS15_S16_EUlS15_E_NS1_11comp_targetILNS1_3genE9ELNS1_11target_archE1100ELNS1_3gpuE3ELNS1_3repE0EEENS1_30default_config_static_selectorELNS0_4arch9wavefront6targetE1EEEvT1_,@function
_ZN7rocprim17ROCPRIM_400000_NS6detail17trampoline_kernelINS0_14default_configENS1_25partition_config_selectorILNS1_17partition_subalgoE8EiNS0_10empty_typeEbEEZZNS1_14partition_implILS5_8ELb0ES3_jN6thrust23THRUST_200600_302600_NS6detail15normal_iteratorINSA_10device_ptrIiEEEEPS6_PKS6_NS0_5tupleIJSF_S6_EEENSJ_IJSG_SG_EEENS0_18inequality_wrapperINSA_8equal_toIiEEEEPmJS6_EEE10hipError_tPvRmT3_T4_T5_T6_T7_T9_mT8_P12ihipStream_tbDpT10_ENKUlT_T0_E_clISt17integral_constantIbLb0EES19_IbLb1EEEEDaS15_S16_EUlS15_E_NS1_11comp_targetILNS1_3genE9ELNS1_11target_archE1100ELNS1_3gpuE3ELNS1_3repE0EEENS1_30default_config_static_selectorELNS0_4arch9wavefront6targetE1EEEvT1_: ; @_ZN7rocprim17ROCPRIM_400000_NS6detail17trampoline_kernelINS0_14default_configENS1_25partition_config_selectorILNS1_17partition_subalgoE8EiNS0_10empty_typeEbEEZZNS1_14partition_implILS5_8ELb0ES3_jN6thrust23THRUST_200600_302600_NS6detail15normal_iteratorINSA_10device_ptrIiEEEEPS6_PKS6_NS0_5tupleIJSF_S6_EEENSJ_IJSG_SG_EEENS0_18inequality_wrapperINSA_8equal_toIiEEEEPmJS6_EEE10hipError_tPvRmT3_T4_T5_T6_T7_T9_mT8_P12ihipStream_tbDpT10_ENKUlT_T0_E_clISt17integral_constantIbLb0EES19_IbLb1EEEEDaS15_S16_EUlS15_E_NS1_11comp_targetILNS1_3genE9ELNS1_11target_archE1100ELNS1_3gpuE3ELNS1_3repE0EEENS1_30default_config_static_selectorELNS0_4arch9wavefront6targetE1EEEvT1_
; %bb.0:
	.section	.rodata,"a",@progbits
	.p2align	6, 0x0
	.amdhsa_kernel _ZN7rocprim17ROCPRIM_400000_NS6detail17trampoline_kernelINS0_14default_configENS1_25partition_config_selectorILNS1_17partition_subalgoE8EiNS0_10empty_typeEbEEZZNS1_14partition_implILS5_8ELb0ES3_jN6thrust23THRUST_200600_302600_NS6detail15normal_iteratorINSA_10device_ptrIiEEEEPS6_PKS6_NS0_5tupleIJSF_S6_EEENSJ_IJSG_SG_EEENS0_18inequality_wrapperINSA_8equal_toIiEEEEPmJS6_EEE10hipError_tPvRmT3_T4_T5_T6_T7_T9_mT8_P12ihipStream_tbDpT10_ENKUlT_T0_E_clISt17integral_constantIbLb0EES19_IbLb1EEEEDaS15_S16_EUlS15_E_NS1_11comp_targetILNS1_3genE9ELNS1_11target_archE1100ELNS1_3gpuE3ELNS1_3repE0EEENS1_30default_config_static_selectorELNS0_4arch9wavefront6targetE1EEEvT1_
		.amdhsa_group_segment_fixed_size 0
		.amdhsa_private_segment_fixed_size 0
		.amdhsa_kernarg_size 128
		.amdhsa_user_sgpr_count 6
		.amdhsa_user_sgpr_private_segment_buffer 1
		.amdhsa_user_sgpr_dispatch_ptr 0
		.amdhsa_user_sgpr_queue_ptr 0
		.amdhsa_user_sgpr_kernarg_segment_ptr 1
		.amdhsa_user_sgpr_dispatch_id 0
		.amdhsa_user_sgpr_flat_scratch_init 0
		.amdhsa_user_sgpr_private_segment_size 0
		.amdhsa_uses_dynamic_stack 0
		.amdhsa_system_sgpr_private_segment_wavefront_offset 0
		.amdhsa_system_sgpr_workgroup_id_x 1
		.amdhsa_system_sgpr_workgroup_id_y 0
		.amdhsa_system_sgpr_workgroup_id_z 0
		.amdhsa_system_sgpr_workgroup_info 0
		.amdhsa_system_vgpr_workitem_id 0
		.amdhsa_next_free_vgpr 1
		.amdhsa_next_free_sgpr 0
		.amdhsa_reserve_vcc 0
		.amdhsa_reserve_flat_scratch 0
		.amdhsa_float_round_mode_32 0
		.amdhsa_float_round_mode_16_64 0
		.amdhsa_float_denorm_mode_32 3
		.amdhsa_float_denorm_mode_16_64 3
		.amdhsa_dx10_clamp 1
		.amdhsa_ieee_mode 1
		.amdhsa_fp16_overflow 0
		.amdhsa_exception_fp_ieee_invalid_op 0
		.amdhsa_exception_fp_denorm_src 0
		.amdhsa_exception_fp_ieee_div_zero 0
		.amdhsa_exception_fp_ieee_overflow 0
		.amdhsa_exception_fp_ieee_underflow 0
		.amdhsa_exception_fp_ieee_inexact 0
		.amdhsa_exception_int_div_zero 0
	.end_amdhsa_kernel
	.section	.text._ZN7rocprim17ROCPRIM_400000_NS6detail17trampoline_kernelINS0_14default_configENS1_25partition_config_selectorILNS1_17partition_subalgoE8EiNS0_10empty_typeEbEEZZNS1_14partition_implILS5_8ELb0ES3_jN6thrust23THRUST_200600_302600_NS6detail15normal_iteratorINSA_10device_ptrIiEEEEPS6_PKS6_NS0_5tupleIJSF_S6_EEENSJ_IJSG_SG_EEENS0_18inequality_wrapperINSA_8equal_toIiEEEEPmJS6_EEE10hipError_tPvRmT3_T4_T5_T6_T7_T9_mT8_P12ihipStream_tbDpT10_ENKUlT_T0_E_clISt17integral_constantIbLb0EES19_IbLb1EEEEDaS15_S16_EUlS15_E_NS1_11comp_targetILNS1_3genE9ELNS1_11target_archE1100ELNS1_3gpuE3ELNS1_3repE0EEENS1_30default_config_static_selectorELNS0_4arch9wavefront6targetE1EEEvT1_,"axG",@progbits,_ZN7rocprim17ROCPRIM_400000_NS6detail17trampoline_kernelINS0_14default_configENS1_25partition_config_selectorILNS1_17partition_subalgoE8EiNS0_10empty_typeEbEEZZNS1_14partition_implILS5_8ELb0ES3_jN6thrust23THRUST_200600_302600_NS6detail15normal_iteratorINSA_10device_ptrIiEEEEPS6_PKS6_NS0_5tupleIJSF_S6_EEENSJ_IJSG_SG_EEENS0_18inequality_wrapperINSA_8equal_toIiEEEEPmJS6_EEE10hipError_tPvRmT3_T4_T5_T6_T7_T9_mT8_P12ihipStream_tbDpT10_ENKUlT_T0_E_clISt17integral_constantIbLb0EES19_IbLb1EEEEDaS15_S16_EUlS15_E_NS1_11comp_targetILNS1_3genE9ELNS1_11target_archE1100ELNS1_3gpuE3ELNS1_3repE0EEENS1_30default_config_static_selectorELNS0_4arch9wavefront6targetE1EEEvT1_,comdat
.Lfunc_end434:
	.size	_ZN7rocprim17ROCPRIM_400000_NS6detail17trampoline_kernelINS0_14default_configENS1_25partition_config_selectorILNS1_17partition_subalgoE8EiNS0_10empty_typeEbEEZZNS1_14partition_implILS5_8ELb0ES3_jN6thrust23THRUST_200600_302600_NS6detail15normal_iteratorINSA_10device_ptrIiEEEEPS6_PKS6_NS0_5tupleIJSF_S6_EEENSJ_IJSG_SG_EEENS0_18inequality_wrapperINSA_8equal_toIiEEEEPmJS6_EEE10hipError_tPvRmT3_T4_T5_T6_T7_T9_mT8_P12ihipStream_tbDpT10_ENKUlT_T0_E_clISt17integral_constantIbLb0EES19_IbLb1EEEEDaS15_S16_EUlS15_E_NS1_11comp_targetILNS1_3genE9ELNS1_11target_archE1100ELNS1_3gpuE3ELNS1_3repE0EEENS1_30default_config_static_selectorELNS0_4arch9wavefront6targetE1EEEvT1_, .Lfunc_end434-_ZN7rocprim17ROCPRIM_400000_NS6detail17trampoline_kernelINS0_14default_configENS1_25partition_config_selectorILNS1_17partition_subalgoE8EiNS0_10empty_typeEbEEZZNS1_14partition_implILS5_8ELb0ES3_jN6thrust23THRUST_200600_302600_NS6detail15normal_iteratorINSA_10device_ptrIiEEEEPS6_PKS6_NS0_5tupleIJSF_S6_EEENSJ_IJSG_SG_EEENS0_18inequality_wrapperINSA_8equal_toIiEEEEPmJS6_EEE10hipError_tPvRmT3_T4_T5_T6_T7_T9_mT8_P12ihipStream_tbDpT10_ENKUlT_T0_E_clISt17integral_constantIbLb0EES19_IbLb1EEEEDaS15_S16_EUlS15_E_NS1_11comp_targetILNS1_3genE9ELNS1_11target_archE1100ELNS1_3gpuE3ELNS1_3repE0EEENS1_30default_config_static_selectorELNS0_4arch9wavefront6targetE1EEEvT1_
                                        ; -- End function
	.set _ZN7rocprim17ROCPRIM_400000_NS6detail17trampoline_kernelINS0_14default_configENS1_25partition_config_selectorILNS1_17partition_subalgoE8EiNS0_10empty_typeEbEEZZNS1_14partition_implILS5_8ELb0ES3_jN6thrust23THRUST_200600_302600_NS6detail15normal_iteratorINSA_10device_ptrIiEEEEPS6_PKS6_NS0_5tupleIJSF_S6_EEENSJ_IJSG_SG_EEENS0_18inequality_wrapperINSA_8equal_toIiEEEEPmJS6_EEE10hipError_tPvRmT3_T4_T5_T6_T7_T9_mT8_P12ihipStream_tbDpT10_ENKUlT_T0_E_clISt17integral_constantIbLb0EES19_IbLb1EEEEDaS15_S16_EUlS15_E_NS1_11comp_targetILNS1_3genE9ELNS1_11target_archE1100ELNS1_3gpuE3ELNS1_3repE0EEENS1_30default_config_static_selectorELNS0_4arch9wavefront6targetE1EEEvT1_.num_vgpr, 0
	.set _ZN7rocprim17ROCPRIM_400000_NS6detail17trampoline_kernelINS0_14default_configENS1_25partition_config_selectorILNS1_17partition_subalgoE8EiNS0_10empty_typeEbEEZZNS1_14partition_implILS5_8ELb0ES3_jN6thrust23THRUST_200600_302600_NS6detail15normal_iteratorINSA_10device_ptrIiEEEEPS6_PKS6_NS0_5tupleIJSF_S6_EEENSJ_IJSG_SG_EEENS0_18inequality_wrapperINSA_8equal_toIiEEEEPmJS6_EEE10hipError_tPvRmT3_T4_T5_T6_T7_T9_mT8_P12ihipStream_tbDpT10_ENKUlT_T0_E_clISt17integral_constantIbLb0EES19_IbLb1EEEEDaS15_S16_EUlS15_E_NS1_11comp_targetILNS1_3genE9ELNS1_11target_archE1100ELNS1_3gpuE3ELNS1_3repE0EEENS1_30default_config_static_selectorELNS0_4arch9wavefront6targetE1EEEvT1_.num_agpr, 0
	.set _ZN7rocprim17ROCPRIM_400000_NS6detail17trampoline_kernelINS0_14default_configENS1_25partition_config_selectorILNS1_17partition_subalgoE8EiNS0_10empty_typeEbEEZZNS1_14partition_implILS5_8ELb0ES3_jN6thrust23THRUST_200600_302600_NS6detail15normal_iteratorINSA_10device_ptrIiEEEEPS6_PKS6_NS0_5tupleIJSF_S6_EEENSJ_IJSG_SG_EEENS0_18inequality_wrapperINSA_8equal_toIiEEEEPmJS6_EEE10hipError_tPvRmT3_T4_T5_T6_T7_T9_mT8_P12ihipStream_tbDpT10_ENKUlT_T0_E_clISt17integral_constantIbLb0EES19_IbLb1EEEEDaS15_S16_EUlS15_E_NS1_11comp_targetILNS1_3genE9ELNS1_11target_archE1100ELNS1_3gpuE3ELNS1_3repE0EEENS1_30default_config_static_selectorELNS0_4arch9wavefront6targetE1EEEvT1_.numbered_sgpr, 0
	.set _ZN7rocprim17ROCPRIM_400000_NS6detail17trampoline_kernelINS0_14default_configENS1_25partition_config_selectorILNS1_17partition_subalgoE8EiNS0_10empty_typeEbEEZZNS1_14partition_implILS5_8ELb0ES3_jN6thrust23THRUST_200600_302600_NS6detail15normal_iteratorINSA_10device_ptrIiEEEEPS6_PKS6_NS0_5tupleIJSF_S6_EEENSJ_IJSG_SG_EEENS0_18inequality_wrapperINSA_8equal_toIiEEEEPmJS6_EEE10hipError_tPvRmT3_T4_T5_T6_T7_T9_mT8_P12ihipStream_tbDpT10_ENKUlT_T0_E_clISt17integral_constantIbLb0EES19_IbLb1EEEEDaS15_S16_EUlS15_E_NS1_11comp_targetILNS1_3genE9ELNS1_11target_archE1100ELNS1_3gpuE3ELNS1_3repE0EEENS1_30default_config_static_selectorELNS0_4arch9wavefront6targetE1EEEvT1_.num_named_barrier, 0
	.set _ZN7rocprim17ROCPRIM_400000_NS6detail17trampoline_kernelINS0_14default_configENS1_25partition_config_selectorILNS1_17partition_subalgoE8EiNS0_10empty_typeEbEEZZNS1_14partition_implILS5_8ELb0ES3_jN6thrust23THRUST_200600_302600_NS6detail15normal_iteratorINSA_10device_ptrIiEEEEPS6_PKS6_NS0_5tupleIJSF_S6_EEENSJ_IJSG_SG_EEENS0_18inequality_wrapperINSA_8equal_toIiEEEEPmJS6_EEE10hipError_tPvRmT3_T4_T5_T6_T7_T9_mT8_P12ihipStream_tbDpT10_ENKUlT_T0_E_clISt17integral_constantIbLb0EES19_IbLb1EEEEDaS15_S16_EUlS15_E_NS1_11comp_targetILNS1_3genE9ELNS1_11target_archE1100ELNS1_3gpuE3ELNS1_3repE0EEENS1_30default_config_static_selectorELNS0_4arch9wavefront6targetE1EEEvT1_.private_seg_size, 0
	.set _ZN7rocprim17ROCPRIM_400000_NS6detail17trampoline_kernelINS0_14default_configENS1_25partition_config_selectorILNS1_17partition_subalgoE8EiNS0_10empty_typeEbEEZZNS1_14partition_implILS5_8ELb0ES3_jN6thrust23THRUST_200600_302600_NS6detail15normal_iteratorINSA_10device_ptrIiEEEEPS6_PKS6_NS0_5tupleIJSF_S6_EEENSJ_IJSG_SG_EEENS0_18inequality_wrapperINSA_8equal_toIiEEEEPmJS6_EEE10hipError_tPvRmT3_T4_T5_T6_T7_T9_mT8_P12ihipStream_tbDpT10_ENKUlT_T0_E_clISt17integral_constantIbLb0EES19_IbLb1EEEEDaS15_S16_EUlS15_E_NS1_11comp_targetILNS1_3genE9ELNS1_11target_archE1100ELNS1_3gpuE3ELNS1_3repE0EEENS1_30default_config_static_selectorELNS0_4arch9wavefront6targetE1EEEvT1_.uses_vcc, 0
	.set _ZN7rocprim17ROCPRIM_400000_NS6detail17trampoline_kernelINS0_14default_configENS1_25partition_config_selectorILNS1_17partition_subalgoE8EiNS0_10empty_typeEbEEZZNS1_14partition_implILS5_8ELb0ES3_jN6thrust23THRUST_200600_302600_NS6detail15normal_iteratorINSA_10device_ptrIiEEEEPS6_PKS6_NS0_5tupleIJSF_S6_EEENSJ_IJSG_SG_EEENS0_18inequality_wrapperINSA_8equal_toIiEEEEPmJS6_EEE10hipError_tPvRmT3_T4_T5_T6_T7_T9_mT8_P12ihipStream_tbDpT10_ENKUlT_T0_E_clISt17integral_constantIbLb0EES19_IbLb1EEEEDaS15_S16_EUlS15_E_NS1_11comp_targetILNS1_3genE9ELNS1_11target_archE1100ELNS1_3gpuE3ELNS1_3repE0EEENS1_30default_config_static_selectorELNS0_4arch9wavefront6targetE1EEEvT1_.uses_flat_scratch, 0
	.set _ZN7rocprim17ROCPRIM_400000_NS6detail17trampoline_kernelINS0_14default_configENS1_25partition_config_selectorILNS1_17partition_subalgoE8EiNS0_10empty_typeEbEEZZNS1_14partition_implILS5_8ELb0ES3_jN6thrust23THRUST_200600_302600_NS6detail15normal_iteratorINSA_10device_ptrIiEEEEPS6_PKS6_NS0_5tupleIJSF_S6_EEENSJ_IJSG_SG_EEENS0_18inequality_wrapperINSA_8equal_toIiEEEEPmJS6_EEE10hipError_tPvRmT3_T4_T5_T6_T7_T9_mT8_P12ihipStream_tbDpT10_ENKUlT_T0_E_clISt17integral_constantIbLb0EES19_IbLb1EEEEDaS15_S16_EUlS15_E_NS1_11comp_targetILNS1_3genE9ELNS1_11target_archE1100ELNS1_3gpuE3ELNS1_3repE0EEENS1_30default_config_static_selectorELNS0_4arch9wavefront6targetE1EEEvT1_.has_dyn_sized_stack, 0
	.set _ZN7rocprim17ROCPRIM_400000_NS6detail17trampoline_kernelINS0_14default_configENS1_25partition_config_selectorILNS1_17partition_subalgoE8EiNS0_10empty_typeEbEEZZNS1_14partition_implILS5_8ELb0ES3_jN6thrust23THRUST_200600_302600_NS6detail15normal_iteratorINSA_10device_ptrIiEEEEPS6_PKS6_NS0_5tupleIJSF_S6_EEENSJ_IJSG_SG_EEENS0_18inequality_wrapperINSA_8equal_toIiEEEEPmJS6_EEE10hipError_tPvRmT3_T4_T5_T6_T7_T9_mT8_P12ihipStream_tbDpT10_ENKUlT_T0_E_clISt17integral_constantIbLb0EES19_IbLb1EEEEDaS15_S16_EUlS15_E_NS1_11comp_targetILNS1_3genE9ELNS1_11target_archE1100ELNS1_3gpuE3ELNS1_3repE0EEENS1_30default_config_static_selectorELNS0_4arch9wavefront6targetE1EEEvT1_.has_recursion, 0
	.set _ZN7rocprim17ROCPRIM_400000_NS6detail17trampoline_kernelINS0_14default_configENS1_25partition_config_selectorILNS1_17partition_subalgoE8EiNS0_10empty_typeEbEEZZNS1_14partition_implILS5_8ELb0ES3_jN6thrust23THRUST_200600_302600_NS6detail15normal_iteratorINSA_10device_ptrIiEEEEPS6_PKS6_NS0_5tupleIJSF_S6_EEENSJ_IJSG_SG_EEENS0_18inequality_wrapperINSA_8equal_toIiEEEEPmJS6_EEE10hipError_tPvRmT3_T4_T5_T6_T7_T9_mT8_P12ihipStream_tbDpT10_ENKUlT_T0_E_clISt17integral_constantIbLb0EES19_IbLb1EEEEDaS15_S16_EUlS15_E_NS1_11comp_targetILNS1_3genE9ELNS1_11target_archE1100ELNS1_3gpuE3ELNS1_3repE0EEENS1_30default_config_static_selectorELNS0_4arch9wavefront6targetE1EEEvT1_.has_indirect_call, 0
	.section	.AMDGPU.csdata,"",@progbits
; Kernel info:
; codeLenInByte = 0
; TotalNumSgprs: 4
; NumVgprs: 0
; ScratchSize: 0
; MemoryBound: 0
; FloatMode: 240
; IeeeMode: 1
; LDSByteSize: 0 bytes/workgroup (compile time only)
; SGPRBlocks: 0
; VGPRBlocks: 0
; NumSGPRsForWavesPerEU: 4
; NumVGPRsForWavesPerEU: 1
; Occupancy: 10
; WaveLimiterHint : 0
; COMPUTE_PGM_RSRC2:SCRATCH_EN: 0
; COMPUTE_PGM_RSRC2:USER_SGPR: 6
; COMPUTE_PGM_RSRC2:TRAP_HANDLER: 0
; COMPUTE_PGM_RSRC2:TGID_X_EN: 1
; COMPUTE_PGM_RSRC2:TGID_Y_EN: 0
; COMPUTE_PGM_RSRC2:TGID_Z_EN: 0
; COMPUTE_PGM_RSRC2:TIDIG_COMP_CNT: 0
	.section	.text._ZN7rocprim17ROCPRIM_400000_NS6detail17trampoline_kernelINS0_14default_configENS1_25partition_config_selectorILNS1_17partition_subalgoE8EiNS0_10empty_typeEbEEZZNS1_14partition_implILS5_8ELb0ES3_jN6thrust23THRUST_200600_302600_NS6detail15normal_iteratorINSA_10device_ptrIiEEEEPS6_PKS6_NS0_5tupleIJSF_S6_EEENSJ_IJSG_SG_EEENS0_18inequality_wrapperINSA_8equal_toIiEEEEPmJS6_EEE10hipError_tPvRmT3_T4_T5_T6_T7_T9_mT8_P12ihipStream_tbDpT10_ENKUlT_T0_E_clISt17integral_constantIbLb0EES19_IbLb1EEEEDaS15_S16_EUlS15_E_NS1_11comp_targetILNS1_3genE8ELNS1_11target_archE1030ELNS1_3gpuE2ELNS1_3repE0EEENS1_30default_config_static_selectorELNS0_4arch9wavefront6targetE1EEEvT1_,"axG",@progbits,_ZN7rocprim17ROCPRIM_400000_NS6detail17trampoline_kernelINS0_14default_configENS1_25partition_config_selectorILNS1_17partition_subalgoE8EiNS0_10empty_typeEbEEZZNS1_14partition_implILS5_8ELb0ES3_jN6thrust23THRUST_200600_302600_NS6detail15normal_iteratorINSA_10device_ptrIiEEEEPS6_PKS6_NS0_5tupleIJSF_S6_EEENSJ_IJSG_SG_EEENS0_18inequality_wrapperINSA_8equal_toIiEEEEPmJS6_EEE10hipError_tPvRmT3_T4_T5_T6_T7_T9_mT8_P12ihipStream_tbDpT10_ENKUlT_T0_E_clISt17integral_constantIbLb0EES19_IbLb1EEEEDaS15_S16_EUlS15_E_NS1_11comp_targetILNS1_3genE8ELNS1_11target_archE1030ELNS1_3gpuE2ELNS1_3repE0EEENS1_30default_config_static_selectorELNS0_4arch9wavefront6targetE1EEEvT1_,comdat
	.protected	_ZN7rocprim17ROCPRIM_400000_NS6detail17trampoline_kernelINS0_14default_configENS1_25partition_config_selectorILNS1_17partition_subalgoE8EiNS0_10empty_typeEbEEZZNS1_14partition_implILS5_8ELb0ES3_jN6thrust23THRUST_200600_302600_NS6detail15normal_iteratorINSA_10device_ptrIiEEEEPS6_PKS6_NS0_5tupleIJSF_S6_EEENSJ_IJSG_SG_EEENS0_18inequality_wrapperINSA_8equal_toIiEEEEPmJS6_EEE10hipError_tPvRmT3_T4_T5_T6_T7_T9_mT8_P12ihipStream_tbDpT10_ENKUlT_T0_E_clISt17integral_constantIbLb0EES19_IbLb1EEEEDaS15_S16_EUlS15_E_NS1_11comp_targetILNS1_3genE8ELNS1_11target_archE1030ELNS1_3gpuE2ELNS1_3repE0EEENS1_30default_config_static_selectorELNS0_4arch9wavefront6targetE1EEEvT1_ ; -- Begin function _ZN7rocprim17ROCPRIM_400000_NS6detail17trampoline_kernelINS0_14default_configENS1_25partition_config_selectorILNS1_17partition_subalgoE8EiNS0_10empty_typeEbEEZZNS1_14partition_implILS5_8ELb0ES3_jN6thrust23THRUST_200600_302600_NS6detail15normal_iteratorINSA_10device_ptrIiEEEEPS6_PKS6_NS0_5tupleIJSF_S6_EEENSJ_IJSG_SG_EEENS0_18inequality_wrapperINSA_8equal_toIiEEEEPmJS6_EEE10hipError_tPvRmT3_T4_T5_T6_T7_T9_mT8_P12ihipStream_tbDpT10_ENKUlT_T0_E_clISt17integral_constantIbLb0EES19_IbLb1EEEEDaS15_S16_EUlS15_E_NS1_11comp_targetILNS1_3genE8ELNS1_11target_archE1030ELNS1_3gpuE2ELNS1_3repE0EEENS1_30default_config_static_selectorELNS0_4arch9wavefront6targetE1EEEvT1_
	.globl	_ZN7rocprim17ROCPRIM_400000_NS6detail17trampoline_kernelINS0_14default_configENS1_25partition_config_selectorILNS1_17partition_subalgoE8EiNS0_10empty_typeEbEEZZNS1_14partition_implILS5_8ELb0ES3_jN6thrust23THRUST_200600_302600_NS6detail15normal_iteratorINSA_10device_ptrIiEEEEPS6_PKS6_NS0_5tupleIJSF_S6_EEENSJ_IJSG_SG_EEENS0_18inequality_wrapperINSA_8equal_toIiEEEEPmJS6_EEE10hipError_tPvRmT3_T4_T5_T6_T7_T9_mT8_P12ihipStream_tbDpT10_ENKUlT_T0_E_clISt17integral_constantIbLb0EES19_IbLb1EEEEDaS15_S16_EUlS15_E_NS1_11comp_targetILNS1_3genE8ELNS1_11target_archE1030ELNS1_3gpuE2ELNS1_3repE0EEENS1_30default_config_static_selectorELNS0_4arch9wavefront6targetE1EEEvT1_
	.p2align	8
	.type	_ZN7rocprim17ROCPRIM_400000_NS6detail17trampoline_kernelINS0_14default_configENS1_25partition_config_selectorILNS1_17partition_subalgoE8EiNS0_10empty_typeEbEEZZNS1_14partition_implILS5_8ELb0ES3_jN6thrust23THRUST_200600_302600_NS6detail15normal_iteratorINSA_10device_ptrIiEEEEPS6_PKS6_NS0_5tupleIJSF_S6_EEENSJ_IJSG_SG_EEENS0_18inequality_wrapperINSA_8equal_toIiEEEEPmJS6_EEE10hipError_tPvRmT3_T4_T5_T6_T7_T9_mT8_P12ihipStream_tbDpT10_ENKUlT_T0_E_clISt17integral_constantIbLb0EES19_IbLb1EEEEDaS15_S16_EUlS15_E_NS1_11comp_targetILNS1_3genE8ELNS1_11target_archE1030ELNS1_3gpuE2ELNS1_3repE0EEENS1_30default_config_static_selectorELNS0_4arch9wavefront6targetE1EEEvT1_,@function
_ZN7rocprim17ROCPRIM_400000_NS6detail17trampoline_kernelINS0_14default_configENS1_25partition_config_selectorILNS1_17partition_subalgoE8EiNS0_10empty_typeEbEEZZNS1_14partition_implILS5_8ELb0ES3_jN6thrust23THRUST_200600_302600_NS6detail15normal_iteratorINSA_10device_ptrIiEEEEPS6_PKS6_NS0_5tupleIJSF_S6_EEENSJ_IJSG_SG_EEENS0_18inequality_wrapperINSA_8equal_toIiEEEEPmJS6_EEE10hipError_tPvRmT3_T4_T5_T6_T7_T9_mT8_P12ihipStream_tbDpT10_ENKUlT_T0_E_clISt17integral_constantIbLb0EES19_IbLb1EEEEDaS15_S16_EUlS15_E_NS1_11comp_targetILNS1_3genE8ELNS1_11target_archE1030ELNS1_3gpuE2ELNS1_3repE0EEENS1_30default_config_static_selectorELNS0_4arch9wavefront6targetE1EEEvT1_: ; @_ZN7rocprim17ROCPRIM_400000_NS6detail17trampoline_kernelINS0_14default_configENS1_25partition_config_selectorILNS1_17partition_subalgoE8EiNS0_10empty_typeEbEEZZNS1_14partition_implILS5_8ELb0ES3_jN6thrust23THRUST_200600_302600_NS6detail15normal_iteratorINSA_10device_ptrIiEEEEPS6_PKS6_NS0_5tupleIJSF_S6_EEENSJ_IJSG_SG_EEENS0_18inequality_wrapperINSA_8equal_toIiEEEEPmJS6_EEE10hipError_tPvRmT3_T4_T5_T6_T7_T9_mT8_P12ihipStream_tbDpT10_ENKUlT_T0_E_clISt17integral_constantIbLb0EES19_IbLb1EEEEDaS15_S16_EUlS15_E_NS1_11comp_targetILNS1_3genE8ELNS1_11target_archE1030ELNS1_3gpuE2ELNS1_3repE0EEENS1_30default_config_static_selectorELNS0_4arch9wavefront6targetE1EEEvT1_
; %bb.0:
	.section	.rodata,"a",@progbits
	.p2align	6, 0x0
	.amdhsa_kernel _ZN7rocprim17ROCPRIM_400000_NS6detail17trampoline_kernelINS0_14default_configENS1_25partition_config_selectorILNS1_17partition_subalgoE8EiNS0_10empty_typeEbEEZZNS1_14partition_implILS5_8ELb0ES3_jN6thrust23THRUST_200600_302600_NS6detail15normal_iteratorINSA_10device_ptrIiEEEEPS6_PKS6_NS0_5tupleIJSF_S6_EEENSJ_IJSG_SG_EEENS0_18inequality_wrapperINSA_8equal_toIiEEEEPmJS6_EEE10hipError_tPvRmT3_T4_T5_T6_T7_T9_mT8_P12ihipStream_tbDpT10_ENKUlT_T0_E_clISt17integral_constantIbLb0EES19_IbLb1EEEEDaS15_S16_EUlS15_E_NS1_11comp_targetILNS1_3genE8ELNS1_11target_archE1030ELNS1_3gpuE2ELNS1_3repE0EEENS1_30default_config_static_selectorELNS0_4arch9wavefront6targetE1EEEvT1_
		.amdhsa_group_segment_fixed_size 0
		.amdhsa_private_segment_fixed_size 0
		.amdhsa_kernarg_size 128
		.amdhsa_user_sgpr_count 6
		.amdhsa_user_sgpr_private_segment_buffer 1
		.amdhsa_user_sgpr_dispatch_ptr 0
		.amdhsa_user_sgpr_queue_ptr 0
		.amdhsa_user_sgpr_kernarg_segment_ptr 1
		.amdhsa_user_sgpr_dispatch_id 0
		.amdhsa_user_sgpr_flat_scratch_init 0
		.amdhsa_user_sgpr_private_segment_size 0
		.amdhsa_uses_dynamic_stack 0
		.amdhsa_system_sgpr_private_segment_wavefront_offset 0
		.amdhsa_system_sgpr_workgroup_id_x 1
		.amdhsa_system_sgpr_workgroup_id_y 0
		.amdhsa_system_sgpr_workgroup_id_z 0
		.amdhsa_system_sgpr_workgroup_info 0
		.amdhsa_system_vgpr_workitem_id 0
		.amdhsa_next_free_vgpr 1
		.amdhsa_next_free_sgpr 0
		.amdhsa_reserve_vcc 0
		.amdhsa_reserve_flat_scratch 0
		.amdhsa_float_round_mode_32 0
		.amdhsa_float_round_mode_16_64 0
		.amdhsa_float_denorm_mode_32 3
		.amdhsa_float_denorm_mode_16_64 3
		.amdhsa_dx10_clamp 1
		.amdhsa_ieee_mode 1
		.amdhsa_fp16_overflow 0
		.amdhsa_exception_fp_ieee_invalid_op 0
		.amdhsa_exception_fp_denorm_src 0
		.amdhsa_exception_fp_ieee_div_zero 0
		.amdhsa_exception_fp_ieee_overflow 0
		.amdhsa_exception_fp_ieee_underflow 0
		.amdhsa_exception_fp_ieee_inexact 0
		.amdhsa_exception_int_div_zero 0
	.end_amdhsa_kernel
	.section	.text._ZN7rocprim17ROCPRIM_400000_NS6detail17trampoline_kernelINS0_14default_configENS1_25partition_config_selectorILNS1_17partition_subalgoE8EiNS0_10empty_typeEbEEZZNS1_14partition_implILS5_8ELb0ES3_jN6thrust23THRUST_200600_302600_NS6detail15normal_iteratorINSA_10device_ptrIiEEEEPS6_PKS6_NS0_5tupleIJSF_S6_EEENSJ_IJSG_SG_EEENS0_18inequality_wrapperINSA_8equal_toIiEEEEPmJS6_EEE10hipError_tPvRmT3_T4_T5_T6_T7_T9_mT8_P12ihipStream_tbDpT10_ENKUlT_T0_E_clISt17integral_constantIbLb0EES19_IbLb1EEEEDaS15_S16_EUlS15_E_NS1_11comp_targetILNS1_3genE8ELNS1_11target_archE1030ELNS1_3gpuE2ELNS1_3repE0EEENS1_30default_config_static_selectorELNS0_4arch9wavefront6targetE1EEEvT1_,"axG",@progbits,_ZN7rocprim17ROCPRIM_400000_NS6detail17trampoline_kernelINS0_14default_configENS1_25partition_config_selectorILNS1_17partition_subalgoE8EiNS0_10empty_typeEbEEZZNS1_14partition_implILS5_8ELb0ES3_jN6thrust23THRUST_200600_302600_NS6detail15normal_iteratorINSA_10device_ptrIiEEEEPS6_PKS6_NS0_5tupleIJSF_S6_EEENSJ_IJSG_SG_EEENS0_18inequality_wrapperINSA_8equal_toIiEEEEPmJS6_EEE10hipError_tPvRmT3_T4_T5_T6_T7_T9_mT8_P12ihipStream_tbDpT10_ENKUlT_T0_E_clISt17integral_constantIbLb0EES19_IbLb1EEEEDaS15_S16_EUlS15_E_NS1_11comp_targetILNS1_3genE8ELNS1_11target_archE1030ELNS1_3gpuE2ELNS1_3repE0EEENS1_30default_config_static_selectorELNS0_4arch9wavefront6targetE1EEEvT1_,comdat
.Lfunc_end435:
	.size	_ZN7rocprim17ROCPRIM_400000_NS6detail17trampoline_kernelINS0_14default_configENS1_25partition_config_selectorILNS1_17partition_subalgoE8EiNS0_10empty_typeEbEEZZNS1_14partition_implILS5_8ELb0ES3_jN6thrust23THRUST_200600_302600_NS6detail15normal_iteratorINSA_10device_ptrIiEEEEPS6_PKS6_NS0_5tupleIJSF_S6_EEENSJ_IJSG_SG_EEENS0_18inequality_wrapperINSA_8equal_toIiEEEEPmJS6_EEE10hipError_tPvRmT3_T4_T5_T6_T7_T9_mT8_P12ihipStream_tbDpT10_ENKUlT_T0_E_clISt17integral_constantIbLb0EES19_IbLb1EEEEDaS15_S16_EUlS15_E_NS1_11comp_targetILNS1_3genE8ELNS1_11target_archE1030ELNS1_3gpuE2ELNS1_3repE0EEENS1_30default_config_static_selectorELNS0_4arch9wavefront6targetE1EEEvT1_, .Lfunc_end435-_ZN7rocprim17ROCPRIM_400000_NS6detail17trampoline_kernelINS0_14default_configENS1_25partition_config_selectorILNS1_17partition_subalgoE8EiNS0_10empty_typeEbEEZZNS1_14partition_implILS5_8ELb0ES3_jN6thrust23THRUST_200600_302600_NS6detail15normal_iteratorINSA_10device_ptrIiEEEEPS6_PKS6_NS0_5tupleIJSF_S6_EEENSJ_IJSG_SG_EEENS0_18inequality_wrapperINSA_8equal_toIiEEEEPmJS6_EEE10hipError_tPvRmT3_T4_T5_T6_T7_T9_mT8_P12ihipStream_tbDpT10_ENKUlT_T0_E_clISt17integral_constantIbLb0EES19_IbLb1EEEEDaS15_S16_EUlS15_E_NS1_11comp_targetILNS1_3genE8ELNS1_11target_archE1030ELNS1_3gpuE2ELNS1_3repE0EEENS1_30default_config_static_selectorELNS0_4arch9wavefront6targetE1EEEvT1_
                                        ; -- End function
	.set _ZN7rocprim17ROCPRIM_400000_NS6detail17trampoline_kernelINS0_14default_configENS1_25partition_config_selectorILNS1_17partition_subalgoE8EiNS0_10empty_typeEbEEZZNS1_14partition_implILS5_8ELb0ES3_jN6thrust23THRUST_200600_302600_NS6detail15normal_iteratorINSA_10device_ptrIiEEEEPS6_PKS6_NS0_5tupleIJSF_S6_EEENSJ_IJSG_SG_EEENS0_18inequality_wrapperINSA_8equal_toIiEEEEPmJS6_EEE10hipError_tPvRmT3_T4_T5_T6_T7_T9_mT8_P12ihipStream_tbDpT10_ENKUlT_T0_E_clISt17integral_constantIbLb0EES19_IbLb1EEEEDaS15_S16_EUlS15_E_NS1_11comp_targetILNS1_3genE8ELNS1_11target_archE1030ELNS1_3gpuE2ELNS1_3repE0EEENS1_30default_config_static_selectorELNS0_4arch9wavefront6targetE1EEEvT1_.num_vgpr, 0
	.set _ZN7rocprim17ROCPRIM_400000_NS6detail17trampoline_kernelINS0_14default_configENS1_25partition_config_selectorILNS1_17partition_subalgoE8EiNS0_10empty_typeEbEEZZNS1_14partition_implILS5_8ELb0ES3_jN6thrust23THRUST_200600_302600_NS6detail15normal_iteratorINSA_10device_ptrIiEEEEPS6_PKS6_NS0_5tupleIJSF_S6_EEENSJ_IJSG_SG_EEENS0_18inequality_wrapperINSA_8equal_toIiEEEEPmJS6_EEE10hipError_tPvRmT3_T4_T5_T6_T7_T9_mT8_P12ihipStream_tbDpT10_ENKUlT_T0_E_clISt17integral_constantIbLb0EES19_IbLb1EEEEDaS15_S16_EUlS15_E_NS1_11comp_targetILNS1_3genE8ELNS1_11target_archE1030ELNS1_3gpuE2ELNS1_3repE0EEENS1_30default_config_static_selectorELNS0_4arch9wavefront6targetE1EEEvT1_.num_agpr, 0
	.set _ZN7rocprim17ROCPRIM_400000_NS6detail17trampoline_kernelINS0_14default_configENS1_25partition_config_selectorILNS1_17partition_subalgoE8EiNS0_10empty_typeEbEEZZNS1_14partition_implILS5_8ELb0ES3_jN6thrust23THRUST_200600_302600_NS6detail15normal_iteratorINSA_10device_ptrIiEEEEPS6_PKS6_NS0_5tupleIJSF_S6_EEENSJ_IJSG_SG_EEENS0_18inequality_wrapperINSA_8equal_toIiEEEEPmJS6_EEE10hipError_tPvRmT3_T4_T5_T6_T7_T9_mT8_P12ihipStream_tbDpT10_ENKUlT_T0_E_clISt17integral_constantIbLb0EES19_IbLb1EEEEDaS15_S16_EUlS15_E_NS1_11comp_targetILNS1_3genE8ELNS1_11target_archE1030ELNS1_3gpuE2ELNS1_3repE0EEENS1_30default_config_static_selectorELNS0_4arch9wavefront6targetE1EEEvT1_.numbered_sgpr, 0
	.set _ZN7rocprim17ROCPRIM_400000_NS6detail17trampoline_kernelINS0_14default_configENS1_25partition_config_selectorILNS1_17partition_subalgoE8EiNS0_10empty_typeEbEEZZNS1_14partition_implILS5_8ELb0ES3_jN6thrust23THRUST_200600_302600_NS6detail15normal_iteratorINSA_10device_ptrIiEEEEPS6_PKS6_NS0_5tupleIJSF_S6_EEENSJ_IJSG_SG_EEENS0_18inequality_wrapperINSA_8equal_toIiEEEEPmJS6_EEE10hipError_tPvRmT3_T4_T5_T6_T7_T9_mT8_P12ihipStream_tbDpT10_ENKUlT_T0_E_clISt17integral_constantIbLb0EES19_IbLb1EEEEDaS15_S16_EUlS15_E_NS1_11comp_targetILNS1_3genE8ELNS1_11target_archE1030ELNS1_3gpuE2ELNS1_3repE0EEENS1_30default_config_static_selectorELNS0_4arch9wavefront6targetE1EEEvT1_.num_named_barrier, 0
	.set _ZN7rocprim17ROCPRIM_400000_NS6detail17trampoline_kernelINS0_14default_configENS1_25partition_config_selectorILNS1_17partition_subalgoE8EiNS0_10empty_typeEbEEZZNS1_14partition_implILS5_8ELb0ES3_jN6thrust23THRUST_200600_302600_NS6detail15normal_iteratorINSA_10device_ptrIiEEEEPS6_PKS6_NS0_5tupleIJSF_S6_EEENSJ_IJSG_SG_EEENS0_18inequality_wrapperINSA_8equal_toIiEEEEPmJS6_EEE10hipError_tPvRmT3_T4_T5_T6_T7_T9_mT8_P12ihipStream_tbDpT10_ENKUlT_T0_E_clISt17integral_constantIbLb0EES19_IbLb1EEEEDaS15_S16_EUlS15_E_NS1_11comp_targetILNS1_3genE8ELNS1_11target_archE1030ELNS1_3gpuE2ELNS1_3repE0EEENS1_30default_config_static_selectorELNS0_4arch9wavefront6targetE1EEEvT1_.private_seg_size, 0
	.set _ZN7rocprim17ROCPRIM_400000_NS6detail17trampoline_kernelINS0_14default_configENS1_25partition_config_selectorILNS1_17partition_subalgoE8EiNS0_10empty_typeEbEEZZNS1_14partition_implILS5_8ELb0ES3_jN6thrust23THRUST_200600_302600_NS6detail15normal_iteratorINSA_10device_ptrIiEEEEPS6_PKS6_NS0_5tupleIJSF_S6_EEENSJ_IJSG_SG_EEENS0_18inequality_wrapperINSA_8equal_toIiEEEEPmJS6_EEE10hipError_tPvRmT3_T4_T5_T6_T7_T9_mT8_P12ihipStream_tbDpT10_ENKUlT_T0_E_clISt17integral_constantIbLb0EES19_IbLb1EEEEDaS15_S16_EUlS15_E_NS1_11comp_targetILNS1_3genE8ELNS1_11target_archE1030ELNS1_3gpuE2ELNS1_3repE0EEENS1_30default_config_static_selectorELNS0_4arch9wavefront6targetE1EEEvT1_.uses_vcc, 0
	.set _ZN7rocprim17ROCPRIM_400000_NS6detail17trampoline_kernelINS0_14default_configENS1_25partition_config_selectorILNS1_17partition_subalgoE8EiNS0_10empty_typeEbEEZZNS1_14partition_implILS5_8ELb0ES3_jN6thrust23THRUST_200600_302600_NS6detail15normal_iteratorINSA_10device_ptrIiEEEEPS6_PKS6_NS0_5tupleIJSF_S6_EEENSJ_IJSG_SG_EEENS0_18inequality_wrapperINSA_8equal_toIiEEEEPmJS6_EEE10hipError_tPvRmT3_T4_T5_T6_T7_T9_mT8_P12ihipStream_tbDpT10_ENKUlT_T0_E_clISt17integral_constantIbLb0EES19_IbLb1EEEEDaS15_S16_EUlS15_E_NS1_11comp_targetILNS1_3genE8ELNS1_11target_archE1030ELNS1_3gpuE2ELNS1_3repE0EEENS1_30default_config_static_selectorELNS0_4arch9wavefront6targetE1EEEvT1_.uses_flat_scratch, 0
	.set _ZN7rocprim17ROCPRIM_400000_NS6detail17trampoline_kernelINS0_14default_configENS1_25partition_config_selectorILNS1_17partition_subalgoE8EiNS0_10empty_typeEbEEZZNS1_14partition_implILS5_8ELb0ES3_jN6thrust23THRUST_200600_302600_NS6detail15normal_iteratorINSA_10device_ptrIiEEEEPS6_PKS6_NS0_5tupleIJSF_S6_EEENSJ_IJSG_SG_EEENS0_18inequality_wrapperINSA_8equal_toIiEEEEPmJS6_EEE10hipError_tPvRmT3_T4_T5_T6_T7_T9_mT8_P12ihipStream_tbDpT10_ENKUlT_T0_E_clISt17integral_constantIbLb0EES19_IbLb1EEEEDaS15_S16_EUlS15_E_NS1_11comp_targetILNS1_3genE8ELNS1_11target_archE1030ELNS1_3gpuE2ELNS1_3repE0EEENS1_30default_config_static_selectorELNS0_4arch9wavefront6targetE1EEEvT1_.has_dyn_sized_stack, 0
	.set _ZN7rocprim17ROCPRIM_400000_NS6detail17trampoline_kernelINS0_14default_configENS1_25partition_config_selectorILNS1_17partition_subalgoE8EiNS0_10empty_typeEbEEZZNS1_14partition_implILS5_8ELb0ES3_jN6thrust23THRUST_200600_302600_NS6detail15normal_iteratorINSA_10device_ptrIiEEEEPS6_PKS6_NS0_5tupleIJSF_S6_EEENSJ_IJSG_SG_EEENS0_18inequality_wrapperINSA_8equal_toIiEEEEPmJS6_EEE10hipError_tPvRmT3_T4_T5_T6_T7_T9_mT8_P12ihipStream_tbDpT10_ENKUlT_T0_E_clISt17integral_constantIbLb0EES19_IbLb1EEEEDaS15_S16_EUlS15_E_NS1_11comp_targetILNS1_3genE8ELNS1_11target_archE1030ELNS1_3gpuE2ELNS1_3repE0EEENS1_30default_config_static_selectorELNS0_4arch9wavefront6targetE1EEEvT1_.has_recursion, 0
	.set _ZN7rocprim17ROCPRIM_400000_NS6detail17trampoline_kernelINS0_14default_configENS1_25partition_config_selectorILNS1_17partition_subalgoE8EiNS0_10empty_typeEbEEZZNS1_14partition_implILS5_8ELb0ES3_jN6thrust23THRUST_200600_302600_NS6detail15normal_iteratorINSA_10device_ptrIiEEEEPS6_PKS6_NS0_5tupleIJSF_S6_EEENSJ_IJSG_SG_EEENS0_18inequality_wrapperINSA_8equal_toIiEEEEPmJS6_EEE10hipError_tPvRmT3_T4_T5_T6_T7_T9_mT8_P12ihipStream_tbDpT10_ENKUlT_T0_E_clISt17integral_constantIbLb0EES19_IbLb1EEEEDaS15_S16_EUlS15_E_NS1_11comp_targetILNS1_3genE8ELNS1_11target_archE1030ELNS1_3gpuE2ELNS1_3repE0EEENS1_30default_config_static_selectorELNS0_4arch9wavefront6targetE1EEEvT1_.has_indirect_call, 0
	.section	.AMDGPU.csdata,"",@progbits
; Kernel info:
; codeLenInByte = 0
; TotalNumSgprs: 4
; NumVgprs: 0
; ScratchSize: 0
; MemoryBound: 0
; FloatMode: 240
; IeeeMode: 1
; LDSByteSize: 0 bytes/workgroup (compile time only)
; SGPRBlocks: 0
; VGPRBlocks: 0
; NumSGPRsForWavesPerEU: 4
; NumVGPRsForWavesPerEU: 1
; Occupancy: 10
; WaveLimiterHint : 0
; COMPUTE_PGM_RSRC2:SCRATCH_EN: 0
; COMPUTE_PGM_RSRC2:USER_SGPR: 6
; COMPUTE_PGM_RSRC2:TRAP_HANDLER: 0
; COMPUTE_PGM_RSRC2:TGID_X_EN: 1
; COMPUTE_PGM_RSRC2:TGID_Y_EN: 0
; COMPUTE_PGM_RSRC2:TGID_Z_EN: 0
; COMPUTE_PGM_RSRC2:TIDIG_COMP_CNT: 0
	.section	.text._ZN7rocprim17ROCPRIM_400000_NS6detail17trampoline_kernelINS0_14default_configENS1_25partition_config_selectorILNS1_17partition_subalgoE8EiNS0_10empty_typeEbEEZZNS1_14partition_implILS5_8ELb0ES3_jN6thrust23THRUST_200600_302600_NS6detail15normal_iteratorINSA_10device_ptrIiEEEEPS6_PKS6_NS0_5tupleIJSF_S6_EEENSJ_IJSG_SG_EEENS0_18inequality_wrapperI22is_equal_div_10_uniqueIiEEEPmJS6_EEE10hipError_tPvRmT3_T4_T5_T6_T7_T9_mT8_P12ihipStream_tbDpT10_ENKUlT_T0_E_clISt17integral_constantIbLb0EES1A_EEDaS15_S16_EUlS15_E_NS1_11comp_targetILNS1_3genE0ELNS1_11target_archE4294967295ELNS1_3gpuE0ELNS1_3repE0EEENS1_30default_config_static_selectorELNS0_4arch9wavefront6targetE1EEEvT1_,"axG",@progbits,_ZN7rocprim17ROCPRIM_400000_NS6detail17trampoline_kernelINS0_14default_configENS1_25partition_config_selectorILNS1_17partition_subalgoE8EiNS0_10empty_typeEbEEZZNS1_14partition_implILS5_8ELb0ES3_jN6thrust23THRUST_200600_302600_NS6detail15normal_iteratorINSA_10device_ptrIiEEEEPS6_PKS6_NS0_5tupleIJSF_S6_EEENSJ_IJSG_SG_EEENS0_18inequality_wrapperI22is_equal_div_10_uniqueIiEEEPmJS6_EEE10hipError_tPvRmT3_T4_T5_T6_T7_T9_mT8_P12ihipStream_tbDpT10_ENKUlT_T0_E_clISt17integral_constantIbLb0EES1A_EEDaS15_S16_EUlS15_E_NS1_11comp_targetILNS1_3genE0ELNS1_11target_archE4294967295ELNS1_3gpuE0ELNS1_3repE0EEENS1_30default_config_static_selectorELNS0_4arch9wavefront6targetE1EEEvT1_,comdat
	.protected	_ZN7rocprim17ROCPRIM_400000_NS6detail17trampoline_kernelINS0_14default_configENS1_25partition_config_selectorILNS1_17partition_subalgoE8EiNS0_10empty_typeEbEEZZNS1_14partition_implILS5_8ELb0ES3_jN6thrust23THRUST_200600_302600_NS6detail15normal_iteratorINSA_10device_ptrIiEEEEPS6_PKS6_NS0_5tupleIJSF_S6_EEENSJ_IJSG_SG_EEENS0_18inequality_wrapperI22is_equal_div_10_uniqueIiEEEPmJS6_EEE10hipError_tPvRmT3_T4_T5_T6_T7_T9_mT8_P12ihipStream_tbDpT10_ENKUlT_T0_E_clISt17integral_constantIbLb0EES1A_EEDaS15_S16_EUlS15_E_NS1_11comp_targetILNS1_3genE0ELNS1_11target_archE4294967295ELNS1_3gpuE0ELNS1_3repE0EEENS1_30default_config_static_selectorELNS0_4arch9wavefront6targetE1EEEvT1_ ; -- Begin function _ZN7rocprim17ROCPRIM_400000_NS6detail17trampoline_kernelINS0_14default_configENS1_25partition_config_selectorILNS1_17partition_subalgoE8EiNS0_10empty_typeEbEEZZNS1_14partition_implILS5_8ELb0ES3_jN6thrust23THRUST_200600_302600_NS6detail15normal_iteratorINSA_10device_ptrIiEEEEPS6_PKS6_NS0_5tupleIJSF_S6_EEENSJ_IJSG_SG_EEENS0_18inequality_wrapperI22is_equal_div_10_uniqueIiEEEPmJS6_EEE10hipError_tPvRmT3_T4_T5_T6_T7_T9_mT8_P12ihipStream_tbDpT10_ENKUlT_T0_E_clISt17integral_constantIbLb0EES1A_EEDaS15_S16_EUlS15_E_NS1_11comp_targetILNS1_3genE0ELNS1_11target_archE4294967295ELNS1_3gpuE0ELNS1_3repE0EEENS1_30default_config_static_selectorELNS0_4arch9wavefront6targetE1EEEvT1_
	.globl	_ZN7rocprim17ROCPRIM_400000_NS6detail17trampoline_kernelINS0_14default_configENS1_25partition_config_selectorILNS1_17partition_subalgoE8EiNS0_10empty_typeEbEEZZNS1_14partition_implILS5_8ELb0ES3_jN6thrust23THRUST_200600_302600_NS6detail15normal_iteratorINSA_10device_ptrIiEEEEPS6_PKS6_NS0_5tupleIJSF_S6_EEENSJ_IJSG_SG_EEENS0_18inequality_wrapperI22is_equal_div_10_uniqueIiEEEPmJS6_EEE10hipError_tPvRmT3_T4_T5_T6_T7_T9_mT8_P12ihipStream_tbDpT10_ENKUlT_T0_E_clISt17integral_constantIbLb0EES1A_EEDaS15_S16_EUlS15_E_NS1_11comp_targetILNS1_3genE0ELNS1_11target_archE4294967295ELNS1_3gpuE0ELNS1_3repE0EEENS1_30default_config_static_selectorELNS0_4arch9wavefront6targetE1EEEvT1_
	.p2align	8
	.type	_ZN7rocprim17ROCPRIM_400000_NS6detail17trampoline_kernelINS0_14default_configENS1_25partition_config_selectorILNS1_17partition_subalgoE8EiNS0_10empty_typeEbEEZZNS1_14partition_implILS5_8ELb0ES3_jN6thrust23THRUST_200600_302600_NS6detail15normal_iteratorINSA_10device_ptrIiEEEEPS6_PKS6_NS0_5tupleIJSF_S6_EEENSJ_IJSG_SG_EEENS0_18inequality_wrapperI22is_equal_div_10_uniqueIiEEEPmJS6_EEE10hipError_tPvRmT3_T4_T5_T6_T7_T9_mT8_P12ihipStream_tbDpT10_ENKUlT_T0_E_clISt17integral_constantIbLb0EES1A_EEDaS15_S16_EUlS15_E_NS1_11comp_targetILNS1_3genE0ELNS1_11target_archE4294967295ELNS1_3gpuE0ELNS1_3repE0EEENS1_30default_config_static_selectorELNS0_4arch9wavefront6targetE1EEEvT1_,@function
_ZN7rocprim17ROCPRIM_400000_NS6detail17trampoline_kernelINS0_14default_configENS1_25partition_config_selectorILNS1_17partition_subalgoE8EiNS0_10empty_typeEbEEZZNS1_14partition_implILS5_8ELb0ES3_jN6thrust23THRUST_200600_302600_NS6detail15normal_iteratorINSA_10device_ptrIiEEEEPS6_PKS6_NS0_5tupleIJSF_S6_EEENSJ_IJSG_SG_EEENS0_18inequality_wrapperI22is_equal_div_10_uniqueIiEEEPmJS6_EEE10hipError_tPvRmT3_T4_T5_T6_T7_T9_mT8_P12ihipStream_tbDpT10_ENKUlT_T0_E_clISt17integral_constantIbLb0EES1A_EEDaS15_S16_EUlS15_E_NS1_11comp_targetILNS1_3genE0ELNS1_11target_archE4294967295ELNS1_3gpuE0ELNS1_3repE0EEENS1_30default_config_static_selectorELNS0_4arch9wavefront6targetE1EEEvT1_: ; @_ZN7rocprim17ROCPRIM_400000_NS6detail17trampoline_kernelINS0_14default_configENS1_25partition_config_selectorILNS1_17partition_subalgoE8EiNS0_10empty_typeEbEEZZNS1_14partition_implILS5_8ELb0ES3_jN6thrust23THRUST_200600_302600_NS6detail15normal_iteratorINSA_10device_ptrIiEEEEPS6_PKS6_NS0_5tupleIJSF_S6_EEENSJ_IJSG_SG_EEENS0_18inequality_wrapperI22is_equal_div_10_uniqueIiEEEPmJS6_EEE10hipError_tPvRmT3_T4_T5_T6_T7_T9_mT8_P12ihipStream_tbDpT10_ENKUlT_T0_E_clISt17integral_constantIbLb0EES1A_EEDaS15_S16_EUlS15_E_NS1_11comp_targetILNS1_3genE0ELNS1_11target_archE4294967295ELNS1_3gpuE0ELNS1_3repE0EEENS1_30default_config_static_selectorELNS0_4arch9wavefront6targetE1EEEvT1_
; %bb.0:
	.section	.rodata,"a",@progbits
	.p2align	6, 0x0
	.amdhsa_kernel _ZN7rocprim17ROCPRIM_400000_NS6detail17trampoline_kernelINS0_14default_configENS1_25partition_config_selectorILNS1_17partition_subalgoE8EiNS0_10empty_typeEbEEZZNS1_14partition_implILS5_8ELb0ES3_jN6thrust23THRUST_200600_302600_NS6detail15normal_iteratorINSA_10device_ptrIiEEEEPS6_PKS6_NS0_5tupleIJSF_S6_EEENSJ_IJSG_SG_EEENS0_18inequality_wrapperI22is_equal_div_10_uniqueIiEEEPmJS6_EEE10hipError_tPvRmT3_T4_T5_T6_T7_T9_mT8_P12ihipStream_tbDpT10_ENKUlT_T0_E_clISt17integral_constantIbLb0EES1A_EEDaS15_S16_EUlS15_E_NS1_11comp_targetILNS1_3genE0ELNS1_11target_archE4294967295ELNS1_3gpuE0ELNS1_3repE0EEENS1_30default_config_static_selectorELNS0_4arch9wavefront6targetE1EEEvT1_
		.amdhsa_group_segment_fixed_size 0
		.amdhsa_private_segment_fixed_size 0
		.amdhsa_kernarg_size 112
		.amdhsa_user_sgpr_count 6
		.amdhsa_user_sgpr_private_segment_buffer 1
		.amdhsa_user_sgpr_dispatch_ptr 0
		.amdhsa_user_sgpr_queue_ptr 0
		.amdhsa_user_sgpr_kernarg_segment_ptr 1
		.amdhsa_user_sgpr_dispatch_id 0
		.amdhsa_user_sgpr_flat_scratch_init 0
		.amdhsa_user_sgpr_private_segment_size 0
		.amdhsa_uses_dynamic_stack 0
		.amdhsa_system_sgpr_private_segment_wavefront_offset 0
		.amdhsa_system_sgpr_workgroup_id_x 1
		.amdhsa_system_sgpr_workgroup_id_y 0
		.amdhsa_system_sgpr_workgroup_id_z 0
		.amdhsa_system_sgpr_workgroup_info 0
		.amdhsa_system_vgpr_workitem_id 0
		.amdhsa_next_free_vgpr 1
		.amdhsa_next_free_sgpr 0
		.amdhsa_reserve_vcc 0
		.amdhsa_reserve_flat_scratch 0
		.amdhsa_float_round_mode_32 0
		.amdhsa_float_round_mode_16_64 0
		.amdhsa_float_denorm_mode_32 3
		.amdhsa_float_denorm_mode_16_64 3
		.amdhsa_dx10_clamp 1
		.amdhsa_ieee_mode 1
		.amdhsa_fp16_overflow 0
		.amdhsa_exception_fp_ieee_invalid_op 0
		.amdhsa_exception_fp_denorm_src 0
		.amdhsa_exception_fp_ieee_div_zero 0
		.amdhsa_exception_fp_ieee_overflow 0
		.amdhsa_exception_fp_ieee_underflow 0
		.amdhsa_exception_fp_ieee_inexact 0
		.amdhsa_exception_int_div_zero 0
	.end_amdhsa_kernel
	.section	.text._ZN7rocprim17ROCPRIM_400000_NS6detail17trampoline_kernelINS0_14default_configENS1_25partition_config_selectorILNS1_17partition_subalgoE8EiNS0_10empty_typeEbEEZZNS1_14partition_implILS5_8ELb0ES3_jN6thrust23THRUST_200600_302600_NS6detail15normal_iteratorINSA_10device_ptrIiEEEEPS6_PKS6_NS0_5tupleIJSF_S6_EEENSJ_IJSG_SG_EEENS0_18inequality_wrapperI22is_equal_div_10_uniqueIiEEEPmJS6_EEE10hipError_tPvRmT3_T4_T5_T6_T7_T9_mT8_P12ihipStream_tbDpT10_ENKUlT_T0_E_clISt17integral_constantIbLb0EES1A_EEDaS15_S16_EUlS15_E_NS1_11comp_targetILNS1_3genE0ELNS1_11target_archE4294967295ELNS1_3gpuE0ELNS1_3repE0EEENS1_30default_config_static_selectorELNS0_4arch9wavefront6targetE1EEEvT1_,"axG",@progbits,_ZN7rocprim17ROCPRIM_400000_NS6detail17trampoline_kernelINS0_14default_configENS1_25partition_config_selectorILNS1_17partition_subalgoE8EiNS0_10empty_typeEbEEZZNS1_14partition_implILS5_8ELb0ES3_jN6thrust23THRUST_200600_302600_NS6detail15normal_iteratorINSA_10device_ptrIiEEEEPS6_PKS6_NS0_5tupleIJSF_S6_EEENSJ_IJSG_SG_EEENS0_18inequality_wrapperI22is_equal_div_10_uniqueIiEEEPmJS6_EEE10hipError_tPvRmT3_T4_T5_T6_T7_T9_mT8_P12ihipStream_tbDpT10_ENKUlT_T0_E_clISt17integral_constantIbLb0EES1A_EEDaS15_S16_EUlS15_E_NS1_11comp_targetILNS1_3genE0ELNS1_11target_archE4294967295ELNS1_3gpuE0ELNS1_3repE0EEENS1_30default_config_static_selectorELNS0_4arch9wavefront6targetE1EEEvT1_,comdat
.Lfunc_end436:
	.size	_ZN7rocprim17ROCPRIM_400000_NS6detail17trampoline_kernelINS0_14default_configENS1_25partition_config_selectorILNS1_17partition_subalgoE8EiNS0_10empty_typeEbEEZZNS1_14partition_implILS5_8ELb0ES3_jN6thrust23THRUST_200600_302600_NS6detail15normal_iteratorINSA_10device_ptrIiEEEEPS6_PKS6_NS0_5tupleIJSF_S6_EEENSJ_IJSG_SG_EEENS0_18inequality_wrapperI22is_equal_div_10_uniqueIiEEEPmJS6_EEE10hipError_tPvRmT3_T4_T5_T6_T7_T9_mT8_P12ihipStream_tbDpT10_ENKUlT_T0_E_clISt17integral_constantIbLb0EES1A_EEDaS15_S16_EUlS15_E_NS1_11comp_targetILNS1_3genE0ELNS1_11target_archE4294967295ELNS1_3gpuE0ELNS1_3repE0EEENS1_30default_config_static_selectorELNS0_4arch9wavefront6targetE1EEEvT1_, .Lfunc_end436-_ZN7rocprim17ROCPRIM_400000_NS6detail17trampoline_kernelINS0_14default_configENS1_25partition_config_selectorILNS1_17partition_subalgoE8EiNS0_10empty_typeEbEEZZNS1_14partition_implILS5_8ELb0ES3_jN6thrust23THRUST_200600_302600_NS6detail15normal_iteratorINSA_10device_ptrIiEEEEPS6_PKS6_NS0_5tupleIJSF_S6_EEENSJ_IJSG_SG_EEENS0_18inequality_wrapperI22is_equal_div_10_uniqueIiEEEPmJS6_EEE10hipError_tPvRmT3_T4_T5_T6_T7_T9_mT8_P12ihipStream_tbDpT10_ENKUlT_T0_E_clISt17integral_constantIbLb0EES1A_EEDaS15_S16_EUlS15_E_NS1_11comp_targetILNS1_3genE0ELNS1_11target_archE4294967295ELNS1_3gpuE0ELNS1_3repE0EEENS1_30default_config_static_selectorELNS0_4arch9wavefront6targetE1EEEvT1_
                                        ; -- End function
	.set _ZN7rocprim17ROCPRIM_400000_NS6detail17trampoline_kernelINS0_14default_configENS1_25partition_config_selectorILNS1_17partition_subalgoE8EiNS0_10empty_typeEbEEZZNS1_14partition_implILS5_8ELb0ES3_jN6thrust23THRUST_200600_302600_NS6detail15normal_iteratorINSA_10device_ptrIiEEEEPS6_PKS6_NS0_5tupleIJSF_S6_EEENSJ_IJSG_SG_EEENS0_18inequality_wrapperI22is_equal_div_10_uniqueIiEEEPmJS6_EEE10hipError_tPvRmT3_T4_T5_T6_T7_T9_mT8_P12ihipStream_tbDpT10_ENKUlT_T0_E_clISt17integral_constantIbLb0EES1A_EEDaS15_S16_EUlS15_E_NS1_11comp_targetILNS1_3genE0ELNS1_11target_archE4294967295ELNS1_3gpuE0ELNS1_3repE0EEENS1_30default_config_static_selectorELNS0_4arch9wavefront6targetE1EEEvT1_.num_vgpr, 0
	.set _ZN7rocprim17ROCPRIM_400000_NS6detail17trampoline_kernelINS0_14default_configENS1_25partition_config_selectorILNS1_17partition_subalgoE8EiNS0_10empty_typeEbEEZZNS1_14partition_implILS5_8ELb0ES3_jN6thrust23THRUST_200600_302600_NS6detail15normal_iteratorINSA_10device_ptrIiEEEEPS6_PKS6_NS0_5tupleIJSF_S6_EEENSJ_IJSG_SG_EEENS0_18inequality_wrapperI22is_equal_div_10_uniqueIiEEEPmJS6_EEE10hipError_tPvRmT3_T4_T5_T6_T7_T9_mT8_P12ihipStream_tbDpT10_ENKUlT_T0_E_clISt17integral_constantIbLb0EES1A_EEDaS15_S16_EUlS15_E_NS1_11comp_targetILNS1_3genE0ELNS1_11target_archE4294967295ELNS1_3gpuE0ELNS1_3repE0EEENS1_30default_config_static_selectorELNS0_4arch9wavefront6targetE1EEEvT1_.num_agpr, 0
	.set _ZN7rocprim17ROCPRIM_400000_NS6detail17trampoline_kernelINS0_14default_configENS1_25partition_config_selectorILNS1_17partition_subalgoE8EiNS0_10empty_typeEbEEZZNS1_14partition_implILS5_8ELb0ES3_jN6thrust23THRUST_200600_302600_NS6detail15normal_iteratorINSA_10device_ptrIiEEEEPS6_PKS6_NS0_5tupleIJSF_S6_EEENSJ_IJSG_SG_EEENS0_18inequality_wrapperI22is_equal_div_10_uniqueIiEEEPmJS6_EEE10hipError_tPvRmT3_T4_T5_T6_T7_T9_mT8_P12ihipStream_tbDpT10_ENKUlT_T0_E_clISt17integral_constantIbLb0EES1A_EEDaS15_S16_EUlS15_E_NS1_11comp_targetILNS1_3genE0ELNS1_11target_archE4294967295ELNS1_3gpuE0ELNS1_3repE0EEENS1_30default_config_static_selectorELNS0_4arch9wavefront6targetE1EEEvT1_.numbered_sgpr, 0
	.set _ZN7rocprim17ROCPRIM_400000_NS6detail17trampoline_kernelINS0_14default_configENS1_25partition_config_selectorILNS1_17partition_subalgoE8EiNS0_10empty_typeEbEEZZNS1_14partition_implILS5_8ELb0ES3_jN6thrust23THRUST_200600_302600_NS6detail15normal_iteratorINSA_10device_ptrIiEEEEPS6_PKS6_NS0_5tupleIJSF_S6_EEENSJ_IJSG_SG_EEENS0_18inequality_wrapperI22is_equal_div_10_uniqueIiEEEPmJS6_EEE10hipError_tPvRmT3_T4_T5_T6_T7_T9_mT8_P12ihipStream_tbDpT10_ENKUlT_T0_E_clISt17integral_constantIbLb0EES1A_EEDaS15_S16_EUlS15_E_NS1_11comp_targetILNS1_3genE0ELNS1_11target_archE4294967295ELNS1_3gpuE0ELNS1_3repE0EEENS1_30default_config_static_selectorELNS0_4arch9wavefront6targetE1EEEvT1_.num_named_barrier, 0
	.set _ZN7rocprim17ROCPRIM_400000_NS6detail17trampoline_kernelINS0_14default_configENS1_25partition_config_selectorILNS1_17partition_subalgoE8EiNS0_10empty_typeEbEEZZNS1_14partition_implILS5_8ELb0ES3_jN6thrust23THRUST_200600_302600_NS6detail15normal_iteratorINSA_10device_ptrIiEEEEPS6_PKS6_NS0_5tupleIJSF_S6_EEENSJ_IJSG_SG_EEENS0_18inequality_wrapperI22is_equal_div_10_uniqueIiEEEPmJS6_EEE10hipError_tPvRmT3_T4_T5_T6_T7_T9_mT8_P12ihipStream_tbDpT10_ENKUlT_T0_E_clISt17integral_constantIbLb0EES1A_EEDaS15_S16_EUlS15_E_NS1_11comp_targetILNS1_3genE0ELNS1_11target_archE4294967295ELNS1_3gpuE0ELNS1_3repE0EEENS1_30default_config_static_selectorELNS0_4arch9wavefront6targetE1EEEvT1_.private_seg_size, 0
	.set _ZN7rocprim17ROCPRIM_400000_NS6detail17trampoline_kernelINS0_14default_configENS1_25partition_config_selectorILNS1_17partition_subalgoE8EiNS0_10empty_typeEbEEZZNS1_14partition_implILS5_8ELb0ES3_jN6thrust23THRUST_200600_302600_NS6detail15normal_iteratorINSA_10device_ptrIiEEEEPS6_PKS6_NS0_5tupleIJSF_S6_EEENSJ_IJSG_SG_EEENS0_18inequality_wrapperI22is_equal_div_10_uniqueIiEEEPmJS6_EEE10hipError_tPvRmT3_T4_T5_T6_T7_T9_mT8_P12ihipStream_tbDpT10_ENKUlT_T0_E_clISt17integral_constantIbLb0EES1A_EEDaS15_S16_EUlS15_E_NS1_11comp_targetILNS1_3genE0ELNS1_11target_archE4294967295ELNS1_3gpuE0ELNS1_3repE0EEENS1_30default_config_static_selectorELNS0_4arch9wavefront6targetE1EEEvT1_.uses_vcc, 0
	.set _ZN7rocprim17ROCPRIM_400000_NS6detail17trampoline_kernelINS0_14default_configENS1_25partition_config_selectorILNS1_17partition_subalgoE8EiNS0_10empty_typeEbEEZZNS1_14partition_implILS5_8ELb0ES3_jN6thrust23THRUST_200600_302600_NS6detail15normal_iteratorINSA_10device_ptrIiEEEEPS6_PKS6_NS0_5tupleIJSF_S6_EEENSJ_IJSG_SG_EEENS0_18inequality_wrapperI22is_equal_div_10_uniqueIiEEEPmJS6_EEE10hipError_tPvRmT3_T4_T5_T6_T7_T9_mT8_P12ihipStream_tbDpT10_ENKUlT_T0_E_clISt17integral_constantIbLb0EES1A_EEDaS15_S16_EUlS15_E_NS1_11comp_targetILNS1_3genE0ELNS1_11target_archE4294967295ELNS1_3gpuE0ELNS1_3repE0EEENS1_30default_config_static_selectorELNS0_4arch9wavefront6targetE1EEEvT1_.uses_flat_scratch, 0
	.set _ZN7rocprim17ROCPRIM_400000_NS6detail17trampoline_kernelINS0_14default_configENS1_25partition_config_selectorILNS1_17partition_subalgoE8EiNS0_10empty_typeEbEEZZNS1_14partition_implILS5_8ELb0ES3_jN6thrust23THRUST_200600_302600_NS6detail15normal_iteratorINSA_10device_ptrIiEEEEPS6_PKS6_NS0_5tupleIJSF_S6_EEENSJ_IJSG_SG_EEENS0_18inequality_wrapperI22is_equal_div_10_uniqueIiEEEPmJS6_EEE10hipError_tPvRmT3_T4_T5_T6_T7_T9_mT8_P12ihipStream_tbDpT10_ENKUlT_T0_E_clISt17integral_constantIbLb0EES1A_EEDaS15_S16_EUlS15_E_NS1_11comp_targetILNS1_3genE0ELNS1_11target_archE4294967295ELNS1_3gpuE0ELNS1_3repE0EEENS1_30default_config_static_selectorELNS0_4arch9wavefront6targetE1EEEvT1_.has_dyn_sized_stack, 0
	.set _ZN7rocprim17ROCPRIM_400000_NS6detail17trampoline_kernelINS0_14default_configENS1_25partition_config_selectorILNS1_17partition_subalgoE8EiNS0_10empty_typeEbEEZZNS1_14partition_implILS5_8ELb0ES3_jN6thrust23THRUST_200600_302600_NS6detail15normal_iteratorINSA_10device_ptrIiEEEEPS6_PKS6_NS0_5tupleIJSF_S6_EEENSJ_IJSG_SG_EEENS0_18inequality_wrapperI22is_equal_div_10_uniqueIiEEEPmJS6_EEE10hipError_tPvRmT3_T4_T5_T6_T7_T9_mT8_P12ihipStream_tbDpT10_ENKUlT_T0_E_clISt17integral_constantIbLb0EES1A_EEDaS15_S16_EUlS15_E_NS1_11comp_targetILNS1_3genE0ELNS1_11target_archE4294967295ELNS1_3gpuE0ELNS1_3repE0EEENS1_30default_config_static_selectorELNS0_4arch9wavefront6targetE1EEEvT1_.has_recursion, 0
	.set _ZN7rocprim17ROCPRIM_400000_NS6detail17trampoline_kernelINS0_14default_configENS1_25partition_config_selectorILNS1_17partition_subalgoE8EiNS0_10empty_typeEbEEZZNS1_14partition_implILS5_8ELb0ES3_jN6thrust23THRUST_200600_302600_NS6detail15normal_iteratorINSA_10device_ptrIiEEEEPS6_PKS6_NS0_5tupleIJSF_S6_EEENSJ_IJSG_SG_EEENS0_18inequality_wrapperI22is_equal_div_10_uniqueIiEEEPmJS6_EEE10hipError_tPvRmT3_T4_T5_T6_T7_T9_mT8_P12ihipStream_tbDpT10_ENKUlT_T0_E_clISt17integral_constantIbLb0EES1A_EEDaS15_S16_EUlS15_E_NS1_11comp_targetILNS1_3genE0ELNS1_11target_archE4294967295ELNS1_3gpuE0ELNS1_3repE0EEENS1_30default_config_static_selectorELNS0_4arch9wavefront6targetE1EEEvT1_.has_indirect_call, 0
	.section	.AMDGPU.csdata,"",@progbits
; Kernel info:
; codeLenInByte = 0
; TotalNumSgprs: 4
; NumVgprs: 0
; ScratchSize: 0
; MemoryBound: 0
; FloatMode: 240
; IeeeMode: 1
; LDSByteSize: 0 bytes/workgroup (compile time only)
; SGPRBlocks: 0
; VGPRBlocks: 0
; NumSGPRsForWavesPerEU: 4
; NumVGPRsForWavesPerEU: 1
; Occupancy: 10
; WaveLimiterHint : 0
; COMPUTE_PGM_RSRC2:SCRATCH_EN: 0
; COMPUTE_PGM_RSRC2:USER_SGPR: 6
; COMPUTE_PGM_RSRC2:TRAP_HANDLER: 0
; COMPUTE_PGM_RSRC2:TGID_X_EN: 1
; COMPUTE_PGM_RSRC2:TGID_Y_EN: 0
; COMPUTE_PGM_RSRC2:TGID_Z_EN: 0
; COMPUTE_PGM_RSRC2:TIDIG_COMP_CNT: 0
	.section	.text._ZN7rocprim17ROCPRIM_400000_NS6detail17trampoline_kernelINS0_14default_configENS1_25partition_config_selectorILNS1_17partition_subalgoE8EiNS0_10empty_typeEbEEZZNS1_14partition_implILS5_8ELb0ES3_jN6thrust23THRUST_200600_302600_NS6detail15normal_iteratorINSA_10device_ptrIiEEEEPS6_PKS6_NS0_5tupleIJSF_S6_EEENSJ_IJSG_SG_EEENS0_18inequality_wrapperI22is_equal_div_10_uniqueIiEEEPmJS6_EEE10hipError_tPvRmT3_T4_T5_T6_T7_T9_mT8_P12ihipStream_tbDpT10_ENKUlT_T0_E_clISt17integral_constantIbLb0EES1A_EEDaS15_S16_EUlS15_E_NS1_11comp_targetILNS1_3genE5ELNS1_11target_archE942ELNS1_3gpuE9ELNS1_3repE0EEENS1_30default_config_static_selectorELNS0_4arch9wavefront6targetE1EEEvT1_,"axG",@progbits,_ZN7rocprim17ROCPRIM_400000_NS6detail17trampoline_kernelINS0_14default_configENS1_25partition_config_selectorILNS1_17partition_subalgoE8EiNS0_10empty_typeEbEEZZNS1_14partition_implILS5_8ELb0ES3_jN6thrust23THRUST_200600_302600_NS6detail15normal_iteratorINSA_10device_ptrIiEEEEPS6_PKS6_NS0_5tupleIJSF_S6_EEENSJ_IJSG_SG_EEENS0_18inequality_wrapperI22is_equal_div_10_uniqueIiEEEPmJS6_EEE10hipError_tPvRmT3_T4_T5_T6_T7_T9_mT8_P12ihipStream_tbDpT10_ENKUlT_T0_E_clISt17integral_constantIbLb0EES1A_EEDaS15_S16_EUlS15_E_NS1_11comp_targetILNS1_3genE5ELNS1_11target_archE942ELNS1_3gpuE9ELNS1_3repE0EEENS1_30default_config_static_selectorELNS0_4arch9wavefront6targetE1EEEvT1_,comdat
	.protected	_ZN7rocprim17ROCPRIM_400000_NS6detail17trampoline_kernelINS0_14default_configENS1_25partition_config_selectorILNS1_17partition_subalgoE8EiNS0_10empty_typeEbEEZZNS1_14partition_implILS5_8ELb0ES3_jN6thrust23THRUST_200600_302600_NS6detail15normal_iteratorINSA_10device_ptrIiEEEEPS6_PKS6_NS0_5tupleIJSF_S6_EEENSJ_IJSG_SG_EEENS0_18inequality_wrapperI22is_equal_div_10_uniqueIiEEEPmJS6_EEE10hipError_tPvRmT3_T4_T5_T6_T7_T9_mT8_P12ihipStream_tbDpT10_ENKUlT_T0_E_clISt17integral_constantIbLb0EES1A_EEDaS15_S16_EUlS15_E_NS1_11comp_targetILNS1_3genE5ELNS1_11target_archE942ELNS1_3gpuE9ELNS1_3repE0EEENS1_30default_config_static_selectorELNS0_4arch9wavefront6targetE1EEEvT1_ ; -- Begin function _ZN7rocprim17ROCPRIM_400000_NS6detail17trampoline_kernelINS0_14default_configENS1_25partition_config_selectorILNS1_17partition_subalgoE8EiNS0_10empty_typeEbEEZZNS1_14partition_implILS5_8ELb0ES3_jN6thrust23THRUST_200600_302600_NS6detail15normal_iteratorINSA_10device_ptrIiEEEEPS6_PKS6_NS0_5tupleIJSF_S6_EEENSJ_IJSG_SG_EEENS0_18inequality_wrapperI22is_equal_div_10_uniqueIiEEEPmJS6_EEE10hipError_tPvRmT3_T4_T5_T6_T7_T9_mT8_P12ihipStream_tbDpT10_ENKUlT_T0_E_clISt17integral_constantIbLb0EES1A_EEDaS15_S16_EUlS15_E_NS1_11comp_targetILNS1_3genE5ELNS1_11target_archE942ELNS1_3gpuE9ELNS1_3repE0EEENS1_30default_config_static_selectorELNS0_4arch9wavefront6targetE1EEEvT1_
	.globl	_ZN7rocprim17ROCPRIM_400000_NS6detail17trampoline_kernelINS0_14default_configENS1_25partition_config_selectorILNS1_17partition_subalgoE8EiNS0_10empty_typeEbEEZZNS1_14partition_implILS5_8ELb0ES3_jN6thrust23THRUST_200600_302600_NS6detail15normal_iteratorINSA_10device_ptrIiEEEEPS6_PKS6_NS0_5tupleIJSF_S6_EEENSJ_IJSG_SG_EEENS0_18inequality_wrapperI22is_equal_div_10_uniqueIiEEEPmJS6_EEE10hipError_tPvRmT3_T4_T5_T6_T7_T9_mT8_P12ihipStream_tbDpT10_ENKUlT_T0_E_clISt17integral_constantIbLb0EES1A_EEDaS15_S16_EUlS15_E_NS1_11comp_targetILNS1_3genE5ELNS1_11target_archE942ELNS1_3gpuE9ELNS1_3repE0EEENS1_30default_config_static_selectorELNS0_4arch9wavefront6targetE1EEEvT1_
	.p2align	8
	.type	_ZN7rocprim17ROCPRIM_400000_NS6detail17trampoline_kernelINS0_14default_configENS1_25partition_config_selectorILNS1_17partition_subalgoE8EiNS0_10empty_typeEbEEZZNS1_14partition_implILS5_8ELb0ES3_jN6thrust23THRUST_200600_302600_NS6detail15normal_iteratorINSA_10device_ptrIiEEEEPS6_PKS6_NS0_5tupleIJSF_S6_EEENSJ_IJSG_SG_EEENS0_18inequality_wrapperI22is_equal_div_10_uniqueIiEEEPmJS6_EEE10hipError_tPvRmT3_T4_T5_T6_T7_T9_mT8_P12ihipStream_tbDpT10_ENKUlT_T0_E_clISt17integral_constantIbLb0EES1A_EEDaS15_S16_EUlS15_E_NS1_11comp_targetILNS1_3genE5ELNS1_11target_archE942ELNS1_3gpuE9ELNS1_3repE0EEENS1_30default_config_static_selectorELNS0_4arch9wavefront6targetE1EEEvT1_,@function
_ZN7rocprim17ROCPRIM_400000_NS6detail17trampoline_kernelINS0_14default_configENS1_25partition_config_selectorILNS1_17partition_subalgoE8EiNS0_10empty_typeEbEEZZNS1_14partition_implILS5_8ELb0ES3_jN6thrust23THRUST_200600_302600_NS6detail15normal_iteratorINSA_10device_ptrIiEEEEPS6_PKS6_NS0_5tupleIJSF_S6_EEENSJ_IJSG_SG_EEENS0_18inequality_wrapperI22is_equal_div_10_uniqueIiEEEPmJS6_EEE10hipError_tPvRmT3_T4_T5_T6_T7_T9_mT8_P12ihipStream_tbDpT10_ENKUlT_T0_E_clISt17integral_constantIbLb0EES1A_EEDaS15_S16_EUlS15_E_NS1_11comp_targetILNS1_3genE5ELNS1_11target_archE942ELNS1_3gpuE9ELNS1_3repE0EEENS1_30default_config_static_selectorELNS0_4arch9wavefront6targetE1EEEvT1_: ; @_ZN7rocprim17ROCPRIM_400000_NS6detail17trampoline_kernelINS0_14default_configENS1_25partition_config_selectorILNS1_17partition_subalgoE8EiNS0_10empty_typeEbEEZZNS1_14partition_implILS5_8ELb0ES3_jN6thrust23THRUST_200600_302600_NS6detail15normal_iteratorINSA_10device_ptrIiEEEEPS6_PKS6_NS0_5tupleIJSF_S6_EEENSJ_IJSG_SG_EEENS0_18inequality_wrapperI22is_equal_div_10_uniqueIiEEEPmJS6_EEE10hipError_tPvRmT3_T4_T5_T6_T7_T9_mT8_P12ihipStream_tbDpT10_ENKUlT_T0_E_clISt17integral_constantIbLb0EES1A_EEDaS15_S16_EUlS15_E_NS1_11comp_targetILNS1_3genE5ELNS1_11target_archE942ELNS1_3gpuE9ELNS1_3repE0EEENS1_30default_config_static_selectorELNS0_4arch9wavefront6targetE1EEEvT1_
; %bb.0:
	.section	.rodata,"a",@progbits
	.p2align	6, 0x0
	.amdhsa_kernel _ZN7rocprim17ROCPRIM_400000_NS6detail17trampoline_kernelINS0_14default_configENS1_25partition_config_selectorILNS1_17partition_subalgoE8EiNS0_10empty_typeEbEEZZNS1_14partition_implILS5_8ELb0ES3_jN6thrust23THRUST_200600_302600_NS6detail15normal_iteratorINSA_10device_ptrIiEEEEPS6_PKS6_NS0_5tupleIJSF_S6_EEENSJ_IJSG_SG_EEENS0_18inequality_wrapperI22is_equal_div_10_uniqueIiEEEPmJS6_EEE10hipError_tPvRmT3_T4_T5_T6_T7_T9_mT8_P12ihipStream_tbDpT10_ENKUlT_T0_E_clISt17integral_constantIbLb0EES1A_EEDaS15_S16_EUlS15_E_NS1_11comp_targetILNS1_3genE5ELNS1_11target_archE942ELNS1_3gpuE9ELNS1_3repE0EEENS1_30default_config_static_selectorELNS0_4arch9wavefront6targetE1EEEvT1_
		.amdhsa_group_segment_fixed_size 0
		.amdhsa_private_segment_fixed_size 0
		.amdhsa_kernarg_size 112
		.amdhsa_user_sgpr_count 6
		.amdhsa_user_sgpr_private_segment_buffer 1
		.amdhsa_user_sgpr_dispatch_ptr 0
		.amdhsa_user_sgpr_queue_ptr 0
		.amdhsa_user_sgpr_kernarg_segment_ptr 1
		.amdhsa_user_sgpr_dispatch_id 0
		.amdhsa_user_sgpr_flat_scratch_init 0
		.amdhsa_user_sgpr_private_segment_size 0
		.amdhsa_uses_dynamic_stack 0
		.amdhsa_system_sgpr_private_segment_wavefront_offset 0
		.amdhsa_system_sgpr_workgroup_id_x 1
		.amdhsa_system_sgpr_workgroup_id_y 0
		.amdhsa_system_sgpr_workgroup_id_z 0
		.amdhsa_system_sgpr_workgroup_info 0
		.amdhsa_system_vgpr_workitem_id 0
		.amdhsa_next_free_vgpr 1
		.amdhsa_next_free_sgpr 0
		.amdhsa_reserve_vcc 0
		.amdhsa_reserve_flat_scratch 0
		.amdhsa_float_round_mode_32 0
		.amdhsa_float_round_mode_16_64 0
		.amdhsa_float_denorm_mode_32 3
		.amdhsa_float_denorm_mode_16_64 3
		.amdhsa_dx10_clamp 1
		.amdhsa_ieee_mode 1
		.amdhsa_fp16_overflow 0
		.amdhsa_exception_fp_ieee_invalid_op 0
		.amdhsa_exception_fp_denorm_src 0
		.amdhsa_exception_fp_ieee_div_zero 0
		.amdhsa_exception_fp_ieee_overflow 0
		.amdhsa_exception_fp_ieee_underflow 0
		.amdhsa_exception_fp_ieee_inexact 0
		.amdhsa_exception_int_div_zero 0
	.end_amdhsa_kernel
	.section	.text._ZN7rocprim17ROCPRIM_400000_NS6detail17trampoline_kernelINS0_14default_configENS1_25partition_config_selectorILNS1_17partition_subalgoE8EiNS0_10empty_typeEbEEZZNS1_14partition_implILS5_8ELb0ES3_jN6thrust23THRUST_200600_302600_NS6detail15normal_iteratorINSA_10device_ptrIiEEEEPS6_PKS6_NS0_5tupleIJSF_S6_EEENSJ_IJSG_SG_EEENS0_18inequality_wrapperI22is_equal_div_10_uniqueIiEEEPmJS6_EEE10hipError_tPvRmT3_T4_T5_T6_T7_T9_mT8_P12ihipStream_tbDpT10_ENKUlT_T0_E_clISt17integral_constantIbLb0EES1A_EEDaS15_S16_EUlS15_E_NS1_11comp_targetILNS1_3genE5ELNS1_11target_archE942ELNS1_3gpuE9ELNS1_3repE0EEENS1_30default_config_static_selectorELNS0_4arch9wavefront6targetE1EEEvT1_,"axG",@progbits,_ZN7rocprim17ROCPRIM_400000_NS6detail17trampoline_kernelINS0_14default_configENS1_25partition_config_selectorILNS1_17partition_subalgoE8EiNS0_10empty_typeEbEEZZNS1_14partition_implILS5_8ELb0ES3_jN6thrust23THRUST_200600_302600_NS6detail15normal_iteratorINSA_10device_ptrIiEEEEPS6_PKS6_NS0_5tupleIJSF_S6_EEENSJ_IJSG_SG_EEENS0_18inequality_wrapperI22is_equal_div_10_uniqueIiEEEPmJS6_EEE10hipError_tPvRmT3_T4_T5_T6_T7_T9_mT8_P12ihipStream_tbDpT10_ENKUlT_T0_E_clISt17integral_constantIbLb0EES1A_EEDaS15_S16_EUlS15_E_NS1_11comp_targetILNS1_3genE5ELNS1_11target_archE942ELNS1_3gpuE9ELNS1_3repE0EEENS1_30default_config_static_selectorELNS0_4arch9wavefront6targetE1EEEvT1_,comdat
.Lfunc_end437:
	.size	_ZN7rocprim17ROCPRIM_400000_NS6detail17trampoline_kernelINS0_14default_configENS1_25partition_config_selectorILNS1_17partition_subalgoE8EiNS0_10empty_typeEbEEZZNS1_14partition_implILS5_8ELb0ES3_jN6thrust23THRUST_200600_302600_NS6detail15normal_iteratorINSA_10device_ptrIiEEEEPS6_PKS6_NS0_5tupleIJSF_S6_EEENSJ_IJSG_SG_EEENS0_18inequality_wrapperI22is_equal_div_10_uniqueIiEEEPmJS6_EEE10hipError_tPvRmT3_T4_T5_T6_T7_T9_mT8_P12ihipStream_tbDpT10_ENKUlT_T0_E_clISt17integral_constantIbLb0EES1A_EEDaS15_S16_EUlS15_E_NS1_11comp_targetILNS1_3genE5ELNS1_11target_archE942ELNS1_3gpuE9ELNS1_3repE0EEENS1_30default_config_static_selectorELNS0_4arch9wavefront6targetE1EEEvT1_, .Lfunc_end437-_ZN7rocprim17ROCPRIM_400000_NS6detail17trampoline_kernelINS0_14default_configENS1_25partition_config_selectorILNS1_17partition_subalgoE8EiNS0_10empty_typeEbEEZZNS1_14partition_implILS5_8ELb0ES3_jN6thrust23THRUST_200600_302600_NS6detail15normal_iteratorINSA_10device_ptrIiEEEEPS6_PKS6_NS0_5tupleIJSF_S6_EEENSJ_IJSG_SG_EEENS0_18inequality_wrapperI22is_equal_div_10_uniqueIiEEEPmJS6_EEE10hipError_tPvRmT3_T4_T5_T6_T7_T9_mT8_P12ihipStream_tbDpT10_ENKUlT_T0_E_clISt17integral_constantIbLb0EES1A_EEDaS15_S16_EUlS15_E_NS1_11comp_targetILNS1_3genE5ELNS1_11target_archE942ELNS1_3gpuE9ELNS1_3repE0EEENS1_30default_config_static_selectorELNS0_4arch9wavefront6targetE1EEEvT1_
                                        ; -- End function
	.set _ZN7rocprim17ROCPRIM_400000_NS6detail17trampoline_kernelINS0_14default_configENS1_25partition_config_selectorILNS1_17partition_subalgoE8EiNS0_10empty_typeEbEEZZNS1_14partition_implILS5_8ELb0ES3_jN6thrust23THRUST_200600_302600_NS6detail15normal_iteratorINSA_10device_ptrIiEEEEPS6_PKS6_NS0_5tupleIJSF_S6_EEENSJ_IJSG_SG_EEENS0_18inequality_wrapperI22is_equal_div_10_uniqueIiEEEPmJS6_EEE10hipError_tPvRmT3_T4_T5_T6_T7_T9_mT8_P12ihipStream_tbDpT10_ENKUlT_T0_E_clISt17integral_constantIbLb0EES1A_EEDaS15_S16_EUlS15_E_NS1_11comp_targetILNS1_3genE5ELNS1_11target_archE942ELNS1_3gpuE9ELNS1_3repE0EEENS1_30default_config_static_selectorELNS0_4arch9wavefront6targetE1EEEvT1_.num_vgpr, 0
	.set _ZN7rocprim17ROCPRIM_400000_NS6detail17trampoline_kernelINS0_14default_configENS1_25partition_config_selectorILNS1_17partition_subalgoE8EiNS0_10empty_typeEbEEZZNS1_14partition_implILS5_8ELb0ES3_jN6thrust23THRUST_200600_302600_NS6detail15normal_iteratorINSA_10device_ptrIiEEEEPS6_PKS6_NS0_5tupleIJSF_S6_EEENSJ_IJSG_SG_EEENS0_18inequality_wrapperI22is_equal_div_10_uniqueIiEEEPmJS6_EEE10hipError_tPvRmT3_T4_T5_T6_T7_T9_mT8_P12ihipStream_tbDpT10_ENKUlT_T0_E_clISt17integral_constantIbLb0EES1A_EEDaS15_S16_EUlS15_E_NS1_11comp_targetILNS1_3genE5ELNS1_11target_archE942ELNS1_3gpuE9ELNS1_3repE0EEENS1_30default_config_static_selectorELNS0_4arch9wavefront6targetE1EEEvT1_.num_agpr, 0
	.set _ZN7rocprim17ROCPRIM_400000_NS6detail17trampoline_kernelINS0_14default_configENS1_25partition_config_selectorILNS1_17partition_subalgoE8EiNS0_10empty_typeEbEEZZNS1_14partition_implILS5_8ELb0ES3_jN6thrust23THRUST_200600_302600_NS6detail15normal_iteratorINSA_10device_ptrIiEEEEPS6_PKS6_NS0_5tupleIJSF_S6_EEENSJ_IJSG_SG_EEENS0_18inequality_wrapperI22is_equal_div_10_uniqueIiEEEPmJS6_EEE10hipError_tPvRmT3_T4_T5_T6_T7_T9_mT8_P12ihipStream_tbDpT10_ENKUlT_T0_E_clISt17integral_constantIbLb0EES1A_EEDaS15_S16_EUlS15_E_NS1_11comp_targetILNS1_3genE5ELNS1_11target_archE942ELNS1_3gpuE9ELNS1_3repE0EEENS1_30default_config_static_selectorELNS0_4arch9wavefront6targetE1EEEvT1_.numbered_sgpr, 0
	.set _ZN7rocprim17ROCPRIM_400000_NS6detail17trampoline_kernelINS0_14default_configENS1_25partition_config_selectorILNS1_17partition_subalgoE8EiNS0_10empty_typeEbEEZZNS1_14partition_implILS5_8ELb0ES3_jN6thrust23THRUST_200600_302600_NS6detail15normal_iteratorINSA_10device_ptrIiEEEEPS6_PKS6_NS0_5tupleIJSF_S6_EEENSJ_IJSG_SG_EEENS0_18inequality_wrapperI22is_equal_div_10_uniqueIiEEEPmJS6_EEE10hipError_tPvRmT3_T4_T5_T6_T7_T9_mT8_P12ihipStream_tbDpT10_ENKUlT_T0_E_clISt17integral_constantIbLb0EES1A_EEDaS15_S16_EUlS15_E_NS1_11comp_targetILNS1_3genE5ELNS1_11target_archE942ELNS1_3gpuE9ELNS1_3repE0EEENS1_30default_config_static_selectorELNS0_4arch9wavefront6targetE1EEEvT1_.num_named_barrier, 0
	.set _ZN7rocprim17ROCPRIM_400000_NS6detail17trampoline_kernelINS0_14default_configENS1_25partition_config_selectorILNS1_17partition_subalgoE8EiNS0_10empty_typeEbEEZZNS1_14partition_implILS5_8ELb0ES3_jN6thrust23THRUST_200600_302600_NS6detail15normal_iteratorINSA_10device_ptrIiEEEEPS6_PKS6_NS0_5tupleIJSF_S6_EEENSJ_IJSG_SG_EEENS0_18inequality_wrapperI22is_equal_div_10_uniqueIiEEEPmJS6_EEE10hipError_tPvRmT3_T4_T5_T6_T7_T9_mT8_P12ihipStream_tbDpT10_ENKUlT_T0_E_clISt17integral_constantIbLb0EES1A_EEDaS15_S16_EUlS15_E_NS1_11comp_targetILNS1_3genE5ELNS1_11target_archE942ELNS1_3gpuE9ELNS1_3repE0EEENS1_30default_config_static_selectorELNS0_4arch9wavefront6targetE1EEEvT1_.private_seg_size, 0
	.set _ZN7rocprim17ROCPRIM_400000_NS6detail17trampoline_kernelINS0_14default_configENS1_25partition_config_selectorILNS1_17partition_subalgoE8EiNS0_10empty_typeEbEEZZNS1_14partition_implILS5_8ELb0ES3_jN6thrust23THRUST_200600_302600_NS6detail15normal_iteratorINSA_10device_ptrIiEEEEPS6_PKS6_NS0_5tupleIJSF_S6_EEENSJ_IJSG_SG_EEENS0_18inequality_wrapperI22is_equal_div_10_uniqueIiEEEPmJS6_EEE10hipError_tPvRmT3_T4_T5_T6_T7_T9_mT8_P12ihipStream_tbDpT10_ENKUlT_T0_E_clISt17integral_constantIbLb0EES1A_EEDaS15_S16_EUlS15_E_NS1_11comp_targetILNS1_3genE5ELNS1_11target_archE942ELNS1_3gpuE9ELNS1_3repE0EEENS1_30default_config_static_selectorELNS0_4arch9wavefront6targetE1EEEvT1_.uses_vcc, 0
	.set _ZN7rocprim17ROCPRIM_400000_NS6detail17trampoline_kernelINS0_14default_configENS1_25partition_config_selectorILNS1_17partition_subalgoE8EiNS0_10empty_typeEbEEZZNS1_14partition_implILS5_8ELb0ES3_jN6thrust23THRUST_200600_302600_NS6detail15normal_iteratorINSA_10device_ptrIiEEEEPS6_PKS6_NS0_5tupleIJSF_S6_EEENSJ_IJSG_SG_EEENS0_18inequality_wrapperI22is_equal_div_10_uniqueIiEEEPmJS6_EEE10hipError_tPvRmT3_T4_T5_T6_T7_T9_mT8_P12ihipStream_tbDpT10_ENKUlT_T0_E_clISt17integral_constantIbLb0EES1A_EEDaS15_S16_EUlS15_E_NS1_11comp_targetILNS1_3genE5ELNS1_11target_archE942ELNS1_3gpuE9ELNS1_3repE0EEENS1_30default_config_static_selectorELNS0_4arch9wavefront6targetE1EEEvT1_.uses_flat_scratch, 0
	.set _ZN7rocprim17ROCPRIM_400000_NS6detail17trampoline_kernelINS0_14default_configENS1_25partition_config_selectorILNS1_17partition_subalgoE8EiNS0_10empty_typeEbEEZZNS1_14partition_implILS5_8ELb0ES3_jN6thrust23THRUST_200600_302600_NS6detail15normal_iteratorINSA_10device_ptrIiEEEEPS6_PKS6_NS0_5tupleIJSF_S6_EEENSJ_IJSG_SG_EEENS0_18inequality_wrapperI22is_equal_div_10_uniqueIiEEEPmJS6_EEE10hipError_tPvRmT3_T4_T5_T6_T7_T9_mT8_P12ihipStream_tbDpT10_ENKUlT_T0_E_clISt17integral_constantIbLb0EES1A_EEDaS15_S16_EUlS15_E_NS1_11comp_targetILNS1_3genE5ELNS1_11target_archE942ELNS1_3gpuE9ELNS1_3repE0EEENS1_30default_config_static_selectorELNS0_4arch9wavefront6targetE1EEEvT1_.has_dyn_sized_stack, 0
	.set _ZN7rocprim17ROCPRIM_400000_NS6detail17trampoline_kernelINS0_14default_configENS1_25partition_config_selectorILNS1_17partition_subalgoE8EiNS0_10empty_typeEbEEZZNS1_14partition_implILS5_8ELb0ES3_jN6thrust23THRUST_200600_302600_NS6detail15normal_iteratorINSA_10device_ptrIiEEEEPS6_PKS6_NS0_5tupleIJSF_S6_EEENSJ_IJSG_SG_EEENS0_18inequality_wrapperI22is_equal_div_10_uniqueIiEEEPmJS6_EEE10hipError_tPvRmT3_T4_T5_T6_T7_T9_mT8_P12ihipStream_tbDpT10_ENKUlT_T0_E_clISt17integral_constantIbLb0EES1A_EEDaS15_S16_EUlS15_E_NS1_11comp_targetILNS1_3genE5ELNS1_11target_archE942ELNS1_3gpuE9ELNS1_3repE0EEENS1_30default_config_static_selectorELNS0_4arch9wavefront6targetE1EEEvT1_.has_recursion, 0
	.set _ZN7rocprim17ROCPRIM_400000_NS6detail17trampoline_kernelINS0_14default_configENS1_25partition_config_selectorILNS1_17partition_subalgoE8EiNS0_10empty_typeEbEEZZNS1_14partition_implILS5_8ELb0ES3_jN6thrust23THRUST_200600_302600_NS6detail15normal_iteratorINSA_10device_ptrIiEEEEPS6_PKS6_NS0_5tupleIJSF_S6_EEENSJ_IJSG_SG_EEENS0_18inequality_wrapperI22is_equal_div_10_uniqueIiEEEPmJS6_EEE10hipError_tPvRmT3_T4_T5_T6_T7_T9_mT8_P12ihipStream_tbDpT10_ENKUlT_T0_E_clISt17integral_constantIbLb0EES1A_EEDaS15_S16_EUlS15_E_NS1_11comp_targetILNS1_3genE5ELNS1_11target_archE942ELNS1_3gpuE9ELNS1_3repE0EEENS1_30default_config_static_selectorELNS0_4arch9wavefront6targetE1EEEvT1_.has_indirect_call, 0
	.section	.AMDGPU.csdata,"",@progbits
; Kernel info:
; codeLenInByte = 0
; TotalNumSgprs: 4
; NumVgprs: 0
; ScratchSize: 0
; MemoryBound: 0
; FloatMode: 240
; IeeeMode: 1
; LDSByteSize: 0 bytes/workgroup (compile time only)
; SGPRBlocks: 0
; VGPRBlocks: 0
; NumSGPRsForWavesPerEU: 4
; NumVGPRsForWavesPerEU: 1
; Occupancy: 10
; WaveLimiterHint : 0
; COMPUTE_PGM_RSRC2:SCRATCH_EN: 0
; COMPUTE_PGM_RSRC2:USER_SGPR: 6
; COMPUTE_PGM_RSRC2:TRAP_HANDLER: 0
; COMPUTE_PGM_RSRC2:TGID_X_EN: 1
; COMPUTE_PGM_RSRC2:TGID_Y_EN: 0
; COMPUTE_PGM_RSRC2:TGID_Z_EN: 0
; COMPUTE_PGM_RSRC2:TIDIG_COMP_CNT: 0
	.section	.text._ZN7rocprim17ROCPRIM_400000_NS6detail17trampoline_kernelINS0_14default_configENS1_25partition_config_selectorILNS1_17partition_subalgoE8EiNS0_10empty_typeEbEEZZNS1_14partition_implILS5_8ELb0ES3_jN6thrust23THRUST_200600_302600_NS6detail15normal_iteratorINSA_10device_ptrIiEEEEPS6_PKS6_NS0_5tupleIJSF_S6_EEENSJ_IJSG_SG_EEENS0_18inequality_wrapperI22is_equal_div_10_uniqueIiEEEPmJS6_EEE10hipError_tPvRmT3_T4_T5_T6_T7_T9_mT8_P12ihipStream_tbDpT10_ENKUlT_T0_E_clISt17integral_constantIbLb0EES1A_EEDaS15_S16_EUlS15_E_NS1_11comp_targetILNS1_3genE4ELNS1_11target_archE910ELNS1_3gpuE8ELNS1_3repE0EEENS1_30default_config_static_selectorELNS0_4arch9wavefront6targetE1EEEvT1_,"axG",@progbits,_ZN7rocprim17ROCPRIM_400000_NS6detail17trampoline_kernelINS0_14default_configENS1_25partition_config_selectorILNS1_17partition_subalgoE8EiNS0_10empty_typeEbEEZZNS1_14partition_implILS5_8ELb0ES3_jN6thrust23THRUST_200600_302600_NS6detail15normal_iteratorINSA_10device_ptrIiEEEEPS6_PKS6_NS0_5tupleIJSF_S6_EEENSJ_IJSG_SG_EEENS0_18inequality_wrapperI22is_equal_div_10_uniqueIiEEEPmJS6_EEE10hipError_tPvRmT3_T4_T5_T6_T7_T9_mT8_P12ihipStream_tbDpT10_ENKUlT_T0_E_clISt17integral_constantIbLb0EES1A_EEDaS15_S16_EUlS15_E_NS1_11comp_targetILNS1_3genE4ELNS1_11target_archE910ELNS1_3gpuE8ELNS1_3repE0EEENS1_30default_config_static_selectorELNS0_4arch9wavefront6targetE1EEEvT1_,comdat
	.protected	_ZN7rocprim17ROCPRIM_400000_NS6detail17trampoline_kernelINS0_14default_configENS1_25partition_config_selectorILNS1_17partition_subalgoE8EiNS0_10empty_typeEbEEZZNS1_14partition_implILS5_8ELb0ES3_jN6thrust23THRUST_200600_302600_NS6detail15normal_iteratorINSA_10device_ptrIiEEEEPS6_PKS6_NS0_5tupleIJSF_S6_EEENSJ_IJSG_SG_EEENS0_18inequality_wrapperI22is_equal_div_10_uniqueIiEEEPmJS6_EEE10hipError_tPvRmT3_T4_T5_T6_T7_T9_mT8_P12ihipStream_tbDpT10_ENKUlT_T0_E_clISt17integral_constantIbLb0EES1A_EEDaS15_S16_EUlS15_E_NS1_11comp_targetILNS1_3genE4ELNS1_11target_archE910ELNS1_3gpuE8ELNS1_3repE0EEENS1_30default_config_static_selectorELNS0_4arch9wavefront6targetE1EEEvT1_ ; -- Begin function _ZN7rocprim17ROCPRIM_400000_NS6detail17trampoline_kernelINS0_14default_configENS1_25partition_config_selectorILNS1_17partition_subalgoE8EiNS0_10empty_typeEbEEZZNS1_14partition_implILS5_8ELb0ES3_jN6thrust23THRUST_200600_302600_NS6detail15normal_iteratorINSA_10device_ptrIiEEEEPS6_PKS6_NS0_5tupleIJSF_S6_EEENSJ_IJSG_SG_EEENS0_18inequality_wrapperI22is_equal_div_10_uniqueIiEEEPmJS6_EEE10hipError_tPvRmT3_T4_T5_T6_T7_T9_mT8_P12ihipStream_tbDpT10_ENKUlT_T0_E_clISt17integral_constantIbLb0EES1A_EEDaS15_S16_EUlS15_E_NS1_11comp_targetILNS1_3genE4ELNS1_11target_archE910ELNS1_3gpuE8ELNS1_3repE0EEENS1_30default_config_static_selectorELNS0_4arch9wavefront6targetE1EEEvT1_
	.globl	_ZN7rocprim17ROCPRIM_400000_NS6detail17trampoline_kernelINS0_14default_configENS1_25partition_config_selectorILNS1_17partition_subalgoE8EiNS0_10empty_typeEbEEZZNS1_14partition_implILS5_8ELb0ES3_jN6thrust23THRUST_200600_302600_NS6detail15normal_iteratorINSA_10device_ptrIiEEEEPS6_PKS6_NS0_5tupleIJSF_S6_EEENSJ_IJSG_SG_EEENS0_18inequality_wrapperI22is_equal_div_10_uniqueIiEEEPmJS6_EEE10hipError_tPvRmT3_T4_T5_T6_T7_T9_mT8_P12ihipStream_tbDpT10_ENKUlT_T0_E_clISt17integral_constantIbLb0EES1A_EEDaS15_S16_EUlS15_E_NS1_11comp_targetILNS1_3genE4ELNS1_11target_archE910ELNS1_3gpuE8ELNS1_3repE0EEENS1_30default_config_static_selectorELNS0_4arch9wavefront6targetE1EEEvT1_
	.p2align	8
	.type	_ZN7rocprim17ROCPRIM_400000_NS6detail17trampoline_kernelINS0_14default_configENS1_25partition_config_selectorILNS1_17partition_subalgoE8EiNS0_10empty_typeEbEEZZNS1_14partition_implILS5_8ELb0ES3_jN6thrust23THRUST_200600_302600_NS6detail15normal_iteratorINSA_10device_ptrIiEEEEPS6_PKS6_NS0_5tupleIJSF_S6_EEENSJ_IJSG_SG_EEENS0_18inequality_wrapperI22is_equal_div_10_uniqueIiEEEPmJS6_EEE10hipError_tPvRmT3_T4_T5_T6_T7_T9_mT8_P12ihipStream_tbDpT10_ENKUlT_T0_E_clISt17integral_constantIbLb0EES1A_EEDaS15_S16_EUlS15_E_NS1_11comp_targetILNS1_3genE4ELNS1_11target_archE910ELNS1_3gpuE8ELNS1_3repE0EEENS1_30default_config_static_selectorELNS0_4arch9wavefront6targetE1EEEvT1_,@function
_ZN7rocprim17ROCPRIM_400000_NS6detail17trampoline_kernelINS0_14default_configENS1_25partition_config_selectorILNS1_17partition_subalgoE8EiNS0_10empty_typeEbEEZZNS1_14partition_implILS5_8ELb0ES3_jN6thrust23THRUST_200600_302600_NS6detail15normal_iteratorINSA_10device_ptrIiEEEEPS6_PKS6_NS0_5tupleIJSF_S6_EEENSJ_IJSG_SG_EEENS0_18inequality_wrapperI22is_equal_div_10_uniqueIiEEEPmJS6_EEE10hipError_tPvRmT3_T4_T5_T6_T7_T9_mT8_P12ihipStream_tbDpT10_ENKUlT_T0_E_clISt17integral_constantIbLb0EES1A_EEDaS15_S16_EUlS15_E_NS1_11comp_targetILNS1_3genE4ELNS1_11target_archE910ELNS1_3gpuE8ELNS1_3repE0EEENS1_30default_config_static_selectorELNS0_4arch9wavefront6targetE1EEEvT1_: ; @_ZN7rocprim17ROCPRIM_400000_NS6detail17trampoline_kernelINS0_14default_configENS1_25partition_config_selectorILNS1_17partition_subalgoE8EiNS0_10empty_typeEbEEZZNS1_14partition_implILS5_8ELb0ES3_jN6thrust23THRUST_200600_302600_NS6detail15normal_iteratorINSA_10device_ptrIiEEEEPS6_PKS6_NS0_5tupleIJSF_S6_EEENSJ_IJSG_SG_EEENS0_18inequality_wrapperI22is_equal_div_10_uniqueIiEEEPmJS6_EEE10hipError_tPvRmT3_T4_T5_T6_T7_T9_mT8_P12ihipStream_tbDpT10_ENKUlT_T0_E_clISt17integral_constantIbLb0EES1A_EEDaS15_S16_EUlS15_E_NS1_11comp_targetILNS1_3genE4ELNS1_11target_archE910ELNS1_3gpuE8ELNS1_3repE0EEENS1_30default_config_static_selectorELNS0_4arch9wavefront6targetE1EEEvT1_
; %bb.0:
	.section	.rodata,"a",@progbits
	.p2align	6, 0x0
	.amdhsa_kernel _ZN7rocprim17ROCPRIM_400000_NS6detail17trampoline_kernelINS0_14default_configENS1_25partition_config_selectorILNS1_17partition_subalgoE8EiNS0_10empty_typeEbEEZZNS1_14partition_implILS5_8ELb0ES3_jN6thrust23THRUST_200600_302600_NS6detail15normal_iteratorINSA_10device_ptrIiEEEEPS6_PKS6_NS0_5tupleIJSF_S6_EEENSJ_IJSG_SG_EEENS0_18inequality_wrapperI22is_equal_div_10_uniqueIiEEEPmJS6_EEE10hipError_tPvRmT3_T4_T5_T6_T7_T9_mT8_P12ihipStream_tbDpT10_ENKUlT_T0_E_clISt17integral_constantIbLb0EES1A_EEDaS15_S16_EUlS15_E_NS1_11comp_targetILNS1_3genE4ELNS1_11target_archE910ELNS1_3gpuE8ELNS1_3repE0EEENS1_30default_config_static_selectorELNS0_4arch9wavefront6targetE1EEEvT1_
		.amdhsa_group_segment_fixed_size 0
		.amdhsa_private_segment_fixed_size 0
		.amdhsa_kernarg_size 112
		.amdhsa_user_sgpr_count 6
		.amdhsa_user_sgpr_private_segment_buffer 1
		.amdhsa_user_sgpr_dispatch_ptr 0
		.amdhsa_user_sgpr_queue_ptr 0
		.amdhsa_user_sgpr_kernarg_segment_ptr 1
		.amdhsa_user_sgpr_dispatch_id 0
		.amdhsa_user_sgpr_flat_scratch_init 0
		.amdhsa_user_sgpr_private_segment_size 0
		.amdhsa_uses_dynamic_stack 0
		.amdhsa_system_sgpr_private_segment_wavefront_offset 0
		.amdhsa_system_sgpr_workgroup_id_x 1
		.amdhsa_system_sgpr_workgroup_id_y 0
		.amdhsa_system_sgpr_workgroup_id_z 0
		.amdhsa_system_sgpr_workgroup_info 0
		.amdhsa_system_vgpr_workitem_id 0
		.amdhsa_next_free_vgpr 1
		.amdhsa_next_free_sgpr 0
		.amdhsa_reserve_vcc 0
		.amdhsa_reserve_flat_scratch 0
		.amdhsa_float_round_mode_32 0
		.amdhsa_float_round_mode_16_64 0
		.amdhsa_float_denorm_mode_32 3
		.amdhsa_float_denorm_mode_16_64 3
		.amdhsa_dx10_clamp 1
		.amdhsa_ieee_mode 1
		.amdhsa_fp16_overflow 0
		.amdhsa_exception_fp_ieee_invalid_op 0
		.amdhsa_exception_fp_denorm_src 0
		.amdhsa_exception_fp_ieee_div_zero 0
		.amdhsa_exception_fp_ieee_overflow 0
		.amdhsa_exception_fp_ieee_underflow 0
		.amdhsa_exception_fp_ieee_inexact 0
		.amdhsa_exception_int_div_zero 0
	.end_amdhsa_kernel
	.section	.text._ZN7rocprim17ROCPRIM_400000_NS6detail17trampoline_kernelINS0_14default_configENS1_25partition_config_selectorILNS1_17partition_subalgoE8EiNS0_10empty_typeEbEEZZNS1_14partition_implILS5_8ELb0ES3_jN6thrust23THRUST_200600_302600_NS6detail15normal_iteratorINSA_10device_ptrIiEEEEPS6_PKS6_NS0_5tupleIJSF_S6_EEENSJ_IJSG_SG_EEENS0_18inequality_wrapperI22is_equal_div_10_uniqueIiEEEPmJS6_EEE10hipError_tPvRmT3_T4_T5_T6_T7_T9_mT8_P12ihipStream_tbDpT10_ENKUlT_T0_E_clISt17integral_constantIbLb0EES1A_EEDaS15_S16_EUlS15_E_NS1_11comp_targetILNS1_3genE4ELNS1_11target_archE910ELNS1_3gpuE8ELNS1_3repE0EEENS1_30default_config_static_selectorELNS0_4arch9wavefront6targetE1EEEvT1_,"axG",@progbits,_ZN7rocprim17ROCPRIM_400000_NS6detail17trampoline_kernelINS0_14default_configENS1_25partition_config_selectorILNS1_17partition_subalgoE8EiNS0_10empty_typeEbEEZZNS1_14partition_implILS5_8ELb0ES3_jN6thrust23THRUST_200600_302600_NS6detail15normal_iteratorINSA_10device_ptrIiEEEEPS6_PKS6_NS0_5tupleIJSF_S6_EEENSJ_IJSG_SG_EEENS0_18inequality_wrapperI22is_equal_div_10_uniqueIiEEEPmJS6_EEE10hipError_tPvRmT3_T4_T5_T6_T7_T9_mT8_P12ihipStream_tbDpT10_ENKUlT_T0_E_clISt17integral_constantIbLb0EES1A_EEDaS15_S16_EUlS15_E_NS1_11comp_targetILNS1_3genE4ELNS1_11target_archE910ELNS1_3gpuE8ELNS1_3repE0EEENS1_30default_config_static_selectorELNS0_4arch9wavefront6targetE1EEEvT1_,comdat
.Lfunc_end438:
	.size	_ZN7rocprim17ROCPRIM_400000_NS6detail17trampoline_kernelINS0_14default_configENS1_25partition_config_selectorILNS1_17partition_subalgoE8EiNS0_10empty_typeEbEEZZNS1_14partition_implILS5_8ELb0ES3_jN6thrust23THRUST_200600_302600_NS6detail15normal_iteratorINSA_10device_ptrIiEEEEPS6_PKS6_NS0_5tupleIJSF_S6_EEENSJ_IJSG_SG_EEENS0_18inequality_wrapperI22is_equal_div_10_uniqueIiEEEPmJS6_EEE10hipError_tPvRmT3_T4_T5_T6_T7_T9_mT8_P12ihipStream_tbDpT10_ENKUlT_T0_E_clISt17integral_constantIbLb0EES1A_EEDaS15_S16_EUlS15_E_NS1_11comp_targetILNS1_3genE4ELNS1_11target_archE910ELNS1_3gpuE8ELNS1_3repE0EEENS1_30default_config_static_selectorELNS0_4arch9wavefront6targetE1EEEvT1_, .Lfunc_end438-_ZN7rocprim17ROCPRIM_400000_NS6detail17trampoline_kernelINS0_14default_configENS1_25partition_config_selectorILNS1_17partition_subalgoE8EiNS0_10empty_typeEbEEZZNS1_14partition_implILS5_8ELb0ES3_jN6thrust23THRUST_200600_302600_NS6detail15normal_iteratorINSA_10device_ptrIiEEEEPS6_PKS6_NS0_5tupleIJSF_S6_EEENSJ_IJSG_SG_EEENS0_18inequality_wrapperI22is_equal_div_10_uniqueIiEEEPmJS6_EEE10hipError_tPvRmT3_T4_T5_T6_T7_T9_mT8_P12ihipStream_tbDpT10_ENKUlT_T0_E_clISt17integral_constantIbLb0EES1A_EEDaS15_S16_EUlS15_E_NS1_11comp_targetILNS1_3genE4ELNS1_11target_archE910ELNS1_3gpuE8ELNS1_3repE0EEENS1_30default_config_static_selectorELNS0_4arch9wavefront6targetE1EEEvT1_
                                        ; -- End function
	.set _ZN7rocprim17ROCPRIM_400000_NS6detail17trampoline_kernelINS0_14default_configENS1_25partition_config_selectorILNS1_17partition_subalgoE8EiNS0_10empty_typeEbEEZZNS1_14partition_implILS5_8ELb0ES3_jN6thrust23THRUST_200600_302600_NS6detail15normal_iteratorINSA_10device_ptrIiEEEEPS6_PKS6_NS0_5tupleIJSF_S6_EEENSJ_IJSG_SG_EEENS0_18inequality_wrapperI22is_equal_div_10_uniqueIiEEEPmJS6_EEE10hipError_tPvRmT3_T4_T5_T6_T7_T9_mT8_P12ihipStream_tbDpT10_ENKUlT_T0_E_clISt17integral_constantIbLb0EES1A_EEDaS15_S16_EUlS15_E_NS1_11comp_targetILNS1_3genE4ELNS1_11target_archE910ELNS1_3gpuE8ELNS1_3repE0EEENS1_30default_config_static_selectorELNS0_4arch9wavefront6targetE1EEEvT1_.num_vgpr, 0
	.set _ZN7rocprim17ROCPRIM_400000_NS6detail17trampoline_kernelINS0_14default_configENS1_25partition_config_selectorILNS1_17partition_subalgoE8EiNS0_10empty_typeEbEEZZNS1_14partition_implILS5_8ELb0ES3_jN6thrust23THRUST_200600_302600_NS6detail15normal_iteratorINSA_10device_ptrIiEEEEPS6_PKS6_NS0_5tupleIJSF_S6_EEENSJ_IJSG_SG_EEENS0_18inequality_wrapperI22is_equal_div_10_uniqueIiEEEPmJS6_EEE10hipError_tPvRmT3_T4_T5_T6_T7_T9_mT8_P12ihipStream_tbDpT10_ENKUlT_T0_E_clISt17integral_constantIbLb0EES1A_EEDaS15_S16_EUlS15_E_NS1_11comp_targetILNS1_3genE4ELNS1_11target_archE910ELNS1_3gpuE8ELNS1_3repE0EEENS1_30default_config_static_selectorELNS0_4arch9wavefront6targetE1EEEvT1_.num_agpr, 0
	.set _ZN7rocprim17ROCPRIM_400000_NS6detail17trampoline_kernelINS0_14default_configENS1_25partition_config_selectorILNS1_17partition_subalgoE8EiNS0_10empty_typeEbEEZZNS1_14partition_implILS5_8ELb0ES3_jN6thrust23THRUST_200600_302600_NS6detail15normal_iteratorINSA_10device_ptrIiEEEEPS6_PKS6_NS0_5tupleIJSF_S6_EEENSJ_IJSG_SG_EEENS0_18inequality_wrapperI22is_equal_div_10_uniqueIiEEEPmJS6_EEE10hipError_tPvRmT3_T4_T5_T6_T7_T9_mT8_P12ihipStream_tbDpT10_ENKUlT_T0_E_clISt17integral_constantIbLb0EES1A_EEDaS15_S16_EUlS15_E_NS1_11comp_targetILNS1_3genE4ELNS1_11target_archE910ELNS1_3gpuE8ELNS1_3repE0EEENS1_30default_config_static_selectorELNS0_4arch9wavefront6targetE1EEEvT1_.numbered_sgpr, 0
	.set _ZN7rocprim17ROCPRIM_400000_NS6detail17trampoline_kernelINS0_14default_configENS1_25partition_config_selectorILNS1_17partition_subalgoE8EiNS0_10empty_typeEbEEZZNS1_14partition_implILS5_8ELb0ES3_jN6thrust23THRUST_200600_302600_NS6detail15normal_iteratorINSA_10device_ptrIiEEEEPS6_PKS6_NS0_5tupleIJSF_S6_EEENSJ_IJSG_SG_EEENS0_18inequality_wrapperI22is_equal_div_10_uniqueIiEEEPmJS6_EEE10hipError_tPvRmT3_T4_T5_T6_T7_T9_mT8_P12ihipStream_tbDpT10_ENKUlT_T0_E_clISt17integral_constantIbLb0EES1A_EEDaS15_S16_EUlS15_E_NS1_11comp_targetILNS1_3genE4ELNS1_11target_archE910ELNS1_3gpuE8ELNS1_3repE0EEENS1_30default_config_static_selectorELNS0_4arch9wavefront6targetE1EEEvT1_.num_named_barrier, 0
	.set _ZN7rocprim17ROCPRIM_400000_NS6detail17trampoline_kernelINS0_14default_configENS1_25partition_config_selectorILNS1_17partition_subalgoE8EiNS0_10empty_typeEbEEZZNS1_14partition_implILS5_8ELb0ES3_jN6thrust23THRUST_200600_302600_NS6detail15normal_iteratorINSA_10device_ptrIiEEEEPS6_PKS6_NS0_5tupleIJSF_S6_EEENSJ_IJSG_SG_EEENS0_18inequality_wrapperI22is_equal_div_10_uniqueIiEEEPmJS6_EEE10hipError_tPvRmT3_T4_T5_T6_T7_T9_mT8_P12ihipStream_tbDpT10_ENKUlT_T0_E_clISt17integral_constantIbLb0EES1A_EEDaS15_S16_EUlS15_E_NS1_11comp_targetILNS1_3genE4ELNS1_11target_archE910ELNS1_3gpuE8ELNS1_3repE0EEENS1_30default_config_static_selectorELNS0_4arch9wavefront6targetE1EEEvT1_.private_seg_size, 0
	.set _ZN7rocprim17ROCPRIM_400000_NS6detail17trampoline_kernelINS0_14default_configENS1_25partition_config_selectorILNS1_17partition_subalgoE8EiNS0_10empty_typeEbEEZZNS1_14partition_implILS5_8ELb0ES3_jN6thrust23THRUST_200600_302600_NS6detail15normal_iteratorINSA_10device_ptrIiEEEEPS6_PKS6_NS0_5tupleIJSF_S6_EEENSJ_IJSG_SG_EEENS0_18inequality_wrapperI22is_equal_div_10_uniqueIiEEEPmJS6_EEE10hipError_tPvRmT3_T4_T5_T6_T7_T9_mT8_P12ihipStream_tbDpT10_ENKUlT_T0_E_clISt17integral_constantIbLb0EES1A_EEDaS15_S16_EUlS15_E_NS1_11comp_targetILNS1_3genE4ELNS1_11target_archE910ELNS1_3gpuE8ELNS1_3repE0EEENS1_30default_config_static_selectorELNS0_4arch9wavefront6targetE1EEEvT1_.uses_vcc, 0
	.set _ZN7rocprim17ROCPRIM_400000_NS6detail17trampoline_kernelINS0_14default_configENS1_25partition_config_selectorILNS1_17partition_subalgoE8EiNS0_10empty_typeEbEEZZNS1_14partition_implILS5_8ELb0ES3_jN6thrust23THRUST_200600_302600_NS6detail15normal_iteratorINSA_10device_ptrIiEEEEPS6_PKS6_NS0_5tupleIJSF_S6_EEENSJ_IJSG_SG_EEENS0_18inequality_wrapperI22is_equal_div_10_uniqueIiEEEPmJS6_EEE10hipError_tPvRmT3_T4_T5_T6_T7_T9_mT8_P12ihipStream_tbDpT10_ENKUlT_T0_E_clISt17integral_constantIbLb0EES1A_EEDaS15_S16_EUlS15_E_NS1_11comp_targetILNS1_3genE4ELNS1_11target_archE910ELNS1_3gpuE8ELNS1_3repE0EEENS1_30default_config_static_selectorELNS0_4arch9wavefront6targetE1EEEvT1_.uses_flat_scratch, 0
	.set _ZN7rocprim17ROCPRIM_400000_NS6detail17trampoline_kernelINS0_14default_configENS1_25partition_config_selectorILNS1_17partition_subalgoE8EiNS0_10empty_typeEbEEZZNS1_14partition_implILS5_8ELb0ES3_jN6thrust23THRUST_200600_302600_NS6detail15normal_iteratorINSA_10device_ptrIiEEEEPS6_PKS6_NS0_5tupleIJSF_S6_EEENSJ_IJSG_SG_EEENS0_18inequality_wrapperI22is_equal_div_10_uniqueIiEEEPmJS6_EEE10hipError_tPvRmT3_T4_T5_T6_T7_T9_mT8_P12ihipStream_tbDpT10_ENKUlT_T0_E_clISt17integral_constantIbLb0EES1A_EEDaS15_S16_EUlS15_E_NS1_11comp_targetILNS1_3genE4ELNS1_11target_archE910ELNS1_3gpuE8ELNS1_3repE0EEENS1_30default_config_static_selectorELNS0_4arch9wavefront6targetE1EEEvT1_.has_dyn_sized_stack, 0
	.set _ZN7rocprim17ROCPRIM_400000_NS6detail17trampoline_kernelINS0_14default_configENS1_25partition_config_selectorILNS1_17partition_subalgoE8EiNS0_10empty_typeEbEEZZNS1_14partition_implILS5_8ELb0ES3_jN6thrust23THRUST_200600_302600_NS6detail15normal_iteratorINSA_10device_ptrIiEEEEPS6_PKS6_NS0_5tupleIJSF_S6_EEENSJ_IJSG_SG_EEENS0_18inequality_wrapperI22is_equal_div_10_uniqueIiEEEPmJS6_EEE10hipError_tPvRmT3_T4_T5_T6_T7_T9_mT8_P12ihipStream_tbDpT10_ENKUlT_T0_E_clISt17integral_constantIbLb0EES1A_EEDaS15_S16_EUlS15_E_NS1_11comp_targetILNS1_3genE4ELNS1_11target_archE910ELNS1_3gpuE8ELNS1_3repE0EEENS1_30default_config_static_selectorELNS0_4arch9wavefront6targetE1EEEvT1_.has_recursion, 0
	.set _ZN7rocprim17ROCPRIM_400000_NS6detail17trampoline_kernelINS0_14default_configENS1_25partition_config_selectorILNS1_17partition_subalgoE8EiNS0_10empty_typeEbEEZZNS1_14partition_implILS5_8ELb0ES3_jN6thrust23THRUST_200600_302600_NS6detail15normal_iteratorINSA_10device_ptrIiEEEEPS6_PKS6_NS0_5tupleIJSF_S6_EEENSJ_IJSG_SG_EEENS0_18inequality_wrapperI22is_equal_div_10_uniqueIiEEEPmJS6_EEE10hipError_tPvRmT3_T4_T5_T6_T7_T9_mT8_P12ihipStream_tbDpT10_ENKUlT_T0_E_clISt17integral_constantIbLb0EES1A_EEDaS15_S16_EUlS15_E_NS1_11comp_targetILNS1_3genE4ELNS1_11target_archE910ELNS1_3gpuE8ELNS1_3repE0EEENS1_30default_config_static_selectorELNS0_4arch9wavefront6targetE1EEEvT1_.has_indirect_call, 0
	.section	.AMDGPU.csdata,"",@progbits
; Kernel info:
; codeLenInByte = 0
; TotalNumSgprs: 4
; NumVgprs: 0
; ScratchSize: 0
; MemoryBound: 0
; FloatMode: 240
; IeeeMode: 1
; LDSByteSize: 0 bytes/workgroup (compile time only)
; SGPRBlocks: 0
; VGPRBlocks: 0
; NumSGPRsForWavesPerEU: 4
; NumVGPRsForWavesPerEU: 1
; Occupancy: 10
; WaveLimiterHint : 0
; COMPUTE_PGM_RSRC2:SCRATCH_EN: 0
; COMPUTE_PGM_RSRC2:USER_SGPR: 6
; COMPUTE_PGM_RSRC2:TRAP_HANDLER: 0
; COMPUTE_PGM_RSRC2:TGID_X_EN: 1
; COMPUTE_PGM_RSRC2:TGID_Y_EN: 0
; COMPUTE_PGM_RSRC2:TGID_Z_EN: 0
; COMPUTE_PGM_RSRC2:TIDIG_COMP_CNT: 0
	.section	.text._ZN7rocprim17ROCPRIM_400000_NS6detail17trampoline_kernelINS0_14default_configENS1_25partition_config_selectorILNS1_17partition_subalgoE8EiNS0_10empty_typeEbEEZZNS1_14partition_implILS5_8ELb0ES3_jN6thrust23THRUST_200600_302600_NS6detail15normal_iteratorINSA_10device_ptrIiEEEEPS6_PKS6_NS0_5tupleIJSF_S6_EEENSJ_IJSG_SG_EEENS0_18inequality_wrapperI22is_equal_div_10_uniqueIiEEEPmJS6_EEE10hipError_tPvRmT3_T4_T5_T6_T7_T9_mT8_P12ihipStream_tbDpT10_ENKUlT_T0_E_clISt17integral_constantIbLb0EES1A_EEDaS15_S16_EUlS15_E_NS1_11comp_targetILNS1_3genE3ELNS1_11target_archE908ELNS1_3gpuE7ELNS1_3repE0EEENS1_30default_config_static_selectorELNS0_4arch9wavefront6targetE1EEEvT1_,"axG",@progbits,_ZN7rocprim17ROCPRIM_400000_NS6detail17trampoline_kernelINS0_14default_configENS1_25partition_config_selectorILNS1_17partition_subalgoE8EiNS0_10empty_typeEbEEZZNS1_14partition_implILS5_8ELb0ES3_jN6thrust23THRUST_200600_302600_NS6detail15normal_iteratorINSA_10device_ptrIiEEEEPS6_PKS6_NS0_5tupleIJSF_S6_EEENSJ_IJSG_SG_EEENS0_18inequality_wrapperI22is_equal_div_10_uniqueIiEEEPmJS6_EEE10hipError_tPvRmT3_T4_T5_T6_T7_T9_mT8_P12ihipStream_tbDpT10_ENKUlT_T0_E_clISt17integral_constantIbLb0EES1A_EEDaS15_S16_EUlS15_E_NS1_11comp_targetILNS1_3genE3ELNS1_11target_archE908ELNS1_3gpuE7ELNS1_3repE0EEENS1_30default_config_static_selectorELNS0_4arch9wavefront6targetE1EEEvT1_,comdat
	.protected	_ZN7rocprim17ROCPRIM_400000_NS6detail17trampoline_kernelINS0_14default_configENS1_25partition_config_selectorILNS1_17partition_subalgoE8EiNS0_10empty_typeEbEEZZNS1_14partition_implILS5_8ELb0ES3_jN6thrust23THRUST_200600_302600_NS6detail15normal_iteratorINSA_10device_ptrIiEEEEPS6_PKS6_NS0_5tupleIJSF_S6_EEENSJ_IJSG_SG_EEENS0_18inequality_wrapperI22is_equal_div_10_uniqueIiEEEPmJS6_EEE10hipError_tPvRmT3_T4_T5_T6_T7_T9_mT8_P12ihipStream_tbDpT10_ENKUlT_T0_E_clISt17integral_constantIbLb0EES1A_EEDaS15_S16_EUlS15_E_NS1_11comp_targetILNS1_3genE3ELNS1_11target_archE908ELNS1_3gpuE7ELNS1_3repE0EEENS1_30default_config_static_selectorELNS0_4arch9wavefront6targetE1EEEvT1_ ; -- Begin function _ZN7rocprim17ROCPRIM_400000_NS6detail17trampoline_kernelINS0_14default_configENS1_25partition_config_selectorILNS1_17partition_subalgoE8EiNS0_10empty_typeEbEEZZNS1_14partition_implILS5_8ELb0ES3_jN6thrust23THRUST_200600_302600_NS6detail15normal_iteratorINSA_10device_ptrIiEEEEPS6_PKS6_NS0_5tupleIJSF_S6_EEENSJ_IJSG_SG_EEENS0_18inequality_wrapperI22is_equal_div_10_uniqueIiEEEPmJS6_EEE10hipError_tPvRmT3_T4_T5_T6_T7_T9_mT8_P12ihipStream_tbDpT10_ENKUlT_T0_E_clISt17integral_constantIbLb0EES1A_EEDaS15_S16_EUlS15_E_NS1_11comp_targetILNS1_3genE3ELNS1_11target_archE908ELNS1_3gpuE7ELNS1_3repE0EEENS1_30default_config_static_selectorELNS0_4arch9wavefront6targetE1EEEvT1_
	.globl	_ZN7rocprim17ROCPRIM_400000_NS6detail17trampoline_kernelINS0_14default_configENS1_25partition_config_selectorILNS1_17partition_subalgoE8EiNS0_10empty_typeEbEEZZNS1_14partition_implILS5_8ELb0ES3_jN6thrust23THRUST_200600_302600_NS6detail15normal_iteratorINSA_10device_ptrIiEEEEPS6_PKS6_NS0_5tupleIJSF_S6_EEENSJ_IJSG_SG_EEENS0_18inequality_wrapperI22is_equal_div_10_uniqueIiEEEPmJS6_EEE10hipError_tPvRmT3_T4_T5_T6_T7_T9_mT8_P12ihipStream_tbDpT10_ENKUlT_T0_E_clISt17integral_constantIbLb0EES1A_EEDaS15_S16_EUlS15_E_NS1_11comp_targetILNS1_3genE3ELNS1_11target_archE908ELNS1_3gpuE7ELNS1_3repE0EEENS1_30default_config_static_selectorELNS0_4arch9wavefront6targetE1EEEvT1_
	.p2align	8
	.type	_ZN7rocprim17ROCPRIM_400000_NS6detail17trampoline_kernelINS0_14default_configENS1_25partition_config_selectorILNS1_17partition_subalgoE8EiNS0_10empty_typeEbEEZZNS1_14partition_implILS5_8ELb0ES3_jN6thrust23THRUST_200600_302600_NS6detail15normal_iteratorINSA_10device_ptrIiEEEEPS6_PKS6_NS0_5tupleIJSF_S6_EEENSJ_IJSG_SG_EEENS0_18inequality_wrapperI22is_equal_div_10_uniqueIiEEEPmJS6_EEE10hipError_tPvRmT3_T4_T5_T6_T7_T9_mT8_P12ihipStream_tbDpT10_ENKUlT_T0_E_clISt17integral_constantIbLb0EES1A_EEDaS15_S16_EUlS15_E_NS1_11comp_targetILNS1_3genE3ELNS1_11target_archE908ELNS1_3gpuE7ELNS1_3repE0EEENS1_30default_config_static_selectorELNS0_4arch9wavefront6targetE1EEEvT1_,@function
_ZN7rocprim17ROCPRIM_400000_NS6detail17trampoline_kernelINS0_14default_configENS1_25partition_config_selectorILNS1_17partition_subalgoE8EiNS0_10empty_typeEbEEZZNS1_14partition_implILS5_8ELb0ES3_jN6thrust23THRUST_200600_302600_NS6detail15normal_iteratorINSA_10device_ptrIiEEEEPS6_PKS6_NS0_5tupleIJSF_S6_EEENSJ_IJSG_SG_EEENS0_18inequality_wrapperI22is_equal_div_10_uniqueIiEEEPmJS6_EEE10hipError_tPvRmT3_T4_T5_T6_T7_T9_mT8_P12ihipStream_tbDpT10_ENKUlT_T0_E_clISt17integral_constantIbLb0EES1A_EEDaS15_S16_EUlS15_E_NS1_11comp_targetILNS1_3genE3ELNS1_11target_archE908ELNS1_3gpuE7ELNS1_3repE0EEENS1_30default_config_static_selectorELNS0_4arch9wavefront6targetE1EEEvT1_: ; @_ZN7rocprim17ROCPRIM_400000_NS6detail17trampoline_kernelINS0_14default_configENS1_25partition_config_selectorILNS1_17partition_subalgoE8EiNS0_10empty_typeEbEEZZNS1_14partition_implILS5_8ELb0ES3_jN6thrust23THRUST_200600_302600_NS6detail15normal_iteratorINSA_10device_ptrIiEEEEPS6_PKS6_NS0_5tupleIJSF_S6_EEENSJ_IJSG_SG_EEENS0_18inequality_wrapperI22is_equal_div_10_uniqueIiEEEPmJS6_EEE10hipError_tPvRmT3_T4_T5_T6_T7_T9_mT8_P12ihipStream_tbDpT10_ENKUlT_T0_E_clISt17integral_constantIbLb0EES1A_EEDaS15_S16_EUlS15_E_NS1_11comp_targetILNS1_3genE3ELNS1_11target_archE908ELNS1_3gpuE7ELNS1_3repE0EEENS1_30default_config_static_selectorELNS0_4arch9wavefront6targetE1EEEvT1_
; %bb.0:
	.section	.rodata,"a",@progbits
	.p2align	6, 0x0
	.amdhsa_kernel _ZN7rocprim17ROCPRIM_400000_NS6detail17trampoline_kernelINS0_14default_configENS1_25partition_config_selectorILNS1_17partition_subalgoE8EiNS0_10empty_typeEbEEZZNS1_14partition_implILS5_8ELb0ES3_jN6thrust23THRUST_200600_302600_NS6detail15normal_iteratorINSA_10device_ptrIiEEEEPS6_PKS6_NS0_5tupleIJSF_S6_EEENSJ_IJSG_SG_EEENS0_18inequality_wrapperI22is_equal_div_10_uniqueIiEEEPmJS6_EEE10hipError_tPvRmT3_T4_T5_T6_T7_T9_mT8_P12ihipStream_tbDpT10_ENKUlT_T0_E_clISt17integral_constantIbLb0EES1A_EEDaS15_S16_EUlS15_E_NS1_11comp_targetILNS1_3genE3ELNS1_11target_archE908ELNS1_3gpuE7ELNS1_3repE0EEENS1_30default_config_static_selectorELNS0_4arch9wavefront6targetE1EEEvT1_
		.amdhsa_group_segment_fixed_size 0
		.amdhsa_private_segment_fixed_size 0
		.amdhsa_kernarg_size 112
		.amdhsa_user_sgpr_count 6
		.amdhsa_user_sgpr_private_segment_buffer 1
		.amdhsa_user_sgpr_dispatch_ptr 0
		.amdhsa_user_sgpr_queue_ptr 0
		.amdhsa_user_sgpr_kernarg_segment_ptr 1
		.amdhsa_user_sgpr_dispatch_id 0
		.amdhsa_user_sgpr_flat_scratch_init 0
		.amdhsa_user_sgpr_private_segment_size 0
		.amdhsa_uses_dynamic_stack 0
		.amdhsa_system_sgpr_private_segment_wavefront_offset 0
		.amdhsa_system_sgpr_workgroup_id_x 1
		.amdhsa_system_sgpr_workgroup_id_y 0
		.amdhsa_system_sgpr_workgroup_id_z 0
		.amdhsa_system_sgpr_workgroup_info 0
		.amdhsa_system_vgpr_workitem_id 0
		.amdhsa_next_free_vgpr 1
		.amdhsa_next_free_sgpr 0
		.amdhsa_reserve_vcc 0
		.amdhsa_reserve_flat_scratch 0
		.amdhsa_float_round_mode_32 0
		.amdhsa_float_round_mode_16_64 0
		.amdhsa_float_denorm_mode_32 3
		.amdhsa_float_denorm_mode_16_64 3
		.amdhsa_dx10_clamp 1
		.amdhsa_ieee_mode 1
		.amdhsa_fp16_overflow 0
		.amdhsa_exception_fp_ieee_invalid_op 0
		.amdhsa_exception_fp_denorm_src 0
		.amdhsa_exception_fp_ieee_div_zero 0
		.amdhsa_exception_fp_ieee_overflow 0
		.amdhsa_exception_fp_ieee_underflow 0
		.amdhsa_exception_fp_ieee_inexact 0
		.amdhsa_exception_int_div_zero 0
	.end_amdhsa_kernel
	.section	.text._ZN7rocprim17ROCPRIM_400000_NS6detail17trampoline_kernelINS0_14default_configENS1_25partition_config_selectorILNS1_17partition_subalgoE8EiNS0_10empty_typeEbEEZZNS1_14partition_implILS5_8ELb0ES3_jN6thrust23THRUST_200600_302600_NS6detail15normal_iteratorINSA_10device_ptrIiEEEEPS6_PKS6_NS0_5tupleIJSF_S6_EEENSJ_IJSG_SG_EEENS0_18inequality_wrapperI22is_equal_div_10_uniqueIiEEEPmJS6_EEE10hipError_tPvRmT3_T4_T5_T6_T7_T9_mT8_P12ihipStream_tbDpT10_ENKUlT_T0_E_clISt17integral_constantIbLb0EES1A_EEDaS15_S16_EUlS15_E_NS1_11comp_targetILNS1_3genE3ELNS1_11target_archE908ELNS1_3gpuE7ELNS1_3repE0EEENS1_30default_config_static_selectorELNS0_4arch9wavefront6targetE1EEEvT1_,"axG",@progbits,_ZN7rocprim17ROCPRIM_400000_NS6detail17trampoline_kernelINS0_14default_configENS1_25partition_config_selectorILNS1_17partition_subalgoE8EiNS0_10empty_typeEbEEZZNS1_14partition_implILS5_8ELb0ES3_jN6thrust23THRUST_200600_302600_NS6detail15normal_iteratorINSA_10device_ptrIiEEEEPS6_PKS6_NS0_5tupleIJSF_S6_EEENSJ_IJSG_SG_EEENS0_18inequality_wrapperI22is_equal_div_10_uniqueIiEEEPmJS6_EEE10hipError_tPvRmT3_T4_T5_T6_T7_T9_mT8_P12ihipStream_tbDpT10_ENKUlT_T0_E_clISt17integral_constantIbLb0EES1A_EEDaS15_S16_EUlS15_E_NS1_11comp_targetILNS1_3genE3ELNS1_11target_archE908ELNS1_3gpuE7ELNS1_3repE0EEENS1_30default_config_static_selectorELNS0_4arch9wavefront6targetE1EEEvT1_,comdat
.Lfunc_end439:
	.size	_ZN7rocprim17ROCPRIM_400000_NS6detail17trampoline_kernelINS0_14default_configENS1_25partition_config_selectorILNS1_17partition_subalgoE8EiNS0_10empty_typeEbEEZZNS1_14partition_implILS5_8ELb0ES3_jN6thrust23THRUST_200600_302600_NS6detail15normal_iteratorINSA_10device_ptrIiEEEEPS6_PKS6_NS0_5tupleIJSF_S6_EEENSJ_IJSG_SG_EEENS0_18inequality_wrapperI22is_equal_div_10_uniqueIiEEEPmJS6_EEE10hipError_tPvRmT3_T4_T5_T6_T7_T9_mT8_P12ihipStream_tbDpT10_ENKUlT_T0_E_clISt17integral_constantIbLb0EES1A_EEDaS15_S16_EUlS15_E_NS1_11comp_targetILNS1_3genE3ELNS1_11target_archE908ELNS1_3gpuE7ELNS1_3repE0EEENS1_30default_config_static_selectorELNS0_4arch9wavefront6targetE1EEEvT1_, .Lfunc_end439-_ZN7rocprim17ROCPRIM_400000_NS6detail17trampoline_kernelINS0_14default_configENS1_25partition_config_selectorILNS1_17partition_subalgoE8EiNS0_10empty_typeEbEEZZNS1_14partition_implILS5_8ELb0ES3_jN6thrust23THRUST_200600_302600_NS6detail15normal_iteratorINSA_10device_ptrIiEEEEPS6_PKS6_NS0_5tupleIJSF_S6_EEENSJ_IJSG_SG_EEENS0_18inequality_wrapperI22is_equal_div_10_uniqueIiEEEPmJS6_EEE10hipError_tPvRmT3_T4_T5_T6_T7_T9_mT8_P12ihipStream_tbDpT10_ENKUlT_T0_E_clISt17integral_constantIbLb0EES1A_EEDaS15_S16_EUlS15_E_NS1_11comp_targetILNS1_3genE3ELNS1_11target_archE908ELNS1_3gpuE7ELNS1_3repE0EEENS1_30default_config_static_selectorELNS0_4arch9wavefront6targetE1EEEvT1_
                                        ; -- End function
	.set _ZN7rocprim17ROCPRIM_400000_NS6detail17trampoline_kernelINS0_14default_configENS1_25partition_config_selectorILNS1_17partition_subalgoE8EiNS0_10empty_typeEbEEZZNS1_14partition_implILS5_8ELb0ES3_jN6thrust23THRUST_200600_302600_NS6detail15normal_iteratorINSA_10device_ptrIiEEEEPS6_PKS6_NS0_5tupleIJSF_S6_EEENSJ_IJSG_SG_EEENS0_18inequality_wrapperI22is_equal_div_10_uniqueIiEEEPmJS6_EEE10hipError_tPvRmT3_T4_T5_T6_T7_T9_mT8_P12ihipStream_tbDpT10_ENKUlT_T0_E_clISt17integral_constantIbLb0EES1A_EEDaS15_S16_EUlS15_E_NS1_11comp_targetILNS1_3genE3ELNS1_11target_archE908ELNS1_3gpuE7ELNS1_3repE0EEENS1_30default_config_static_selectorELNS0_4arch9wavefront6targetE1EEEvT1_.num_vgpr, 0
	.set _ZN7rocprim17ROCPRIM_400000_NS6detail17trampoline_kernelINS0_14default_configENS1_25partition_config_selectorILNS1_17partition_subalgoE8EiNS0_10empty_typeEbEEZZNS1_14partition_implILS5_8ELb0ES3_jN6thrust23THRUST_200600_302600_NS6detail15normal_iteratorINSA_10device_ptrIiEEEEPS6_PKS6_NS0_5tupleIJSF_S6_EEENSJ_IJSG_SG_EEENS0_18inequality_wrapperI22is_equal_div_10_uniqueIiEEEPmJS6_EEE10hipError_tPvRmT3_T4_T5_T6_T7_T9_mT8_P12ihipStream_tbDpT10_ENKUlT_T0_E_clISt17integral_constantIbLb0EES1A_EEDaS15_S16_EUlS15_E_NS1_11comp_targetILNS1_3genE3ELNS1_11target_archE908ELNS1_3gpuE7ELNS1_3repE0EEENS1_30default_config_static_selectorELNS0_4arch9wavefront6targetE1EEEvT1_.num_agpr, 0
	.set _ZN7rocprim17ROCPRIM_400000_NS6detail17trampoline_kernelINS0_14default_configENS1_25partition_config_selectorILNS1_17partition_subalgoE8EiNS0_10empty_typeEbEEZZNS1_14partition_implILS5_8ELb0ES3_jN6thrust23THRUST_200600_302600_NS6detail15normal_iteratorINSA_10device_ptrIiEEEEPS6_PKS6_NS0_5tupleIJSF_S6_EEENSJ_IJSG_SG_EEENS0_18inequality_wrapperI22is_equal_div_10_uniqueIiEEEPmJS6_EEE10hipError_tPvRmT3_T4_T5_T6_T7_T9_mT8_P12ihipStream_tbDpT10_ENKUlT_T0_E_clISt17integral_constantIbLb0EES1A_EEDaS15_S16_EUlS15_E_NS1_11comp_targetILNS1_3genE3ELNS1_11target_archE908ELNS1_3gpuE7ELNS1_3repE0EEENS1_30default_config_static_selectorELNS0_4arch9wavefront6targetE1EEEvT1_.numbered_sgpr, 0
	.set _ZN7rocprim17ROCPRIM_400000_NS6detail17trampoline_kernelINS0_14default_configENS1_25partition_config_selectorILNS1_17partition_subalgoE8EiNS0_10empty_typeEbEEZZNS1_14partition_implILS5_8ELb0ES3_jN6thrust23THRUST_200600_302600_NS6detail15normal_iteratorINSA_10device_ptrIiEEEEPS6_PKS6_NS0_5tupleIJSF_S6_EEENSJ_IJSG_SG_EEENS0_18inequality_wrapperI22is_equal_div_10_uniqueIiEEEPmJS6_EEE10hipError_tPvRmT3_T4_T5_T6_T7_T9_mT8_P12ihipStream_tbDpT10_ENKUlT_T0_E_clISt17integral_constantIbLb0EES1A_EEDaS15_S16_EUlS15_E_NS1_11comp_targetILNS1_3genE3ELNS1_11target_archE908ELNS1_3gpuE7ELNS1_3repE0EEENS1_30default_config_static_selectorELNS0_4arch9wavefront6targetE1EEEvT1_.num_named_barrier, 0
	.set _ZN7rocprim17ROCPRIM_400000_NS6detail17trampoline_kernelINS0_14default_configENS1_25partition_config_selectorILNS1_17partition_subalgoE8EiNS0_10empty_typeEbEEZZNS1_14partition_implILS5_8ELb0ES3_jN6thrust23THRUST_200600_302600_NS6detail15normal_iteratorINSA_10device_ptrIiEEEEPS6_PKS6_NS0_5tupleIJSF_S6_EEENSJ_IJSG_SG_EEENS0_18inequality_wrapperI22is_equal_div_10_uniqueIiEEEPmJS6_EEE10hipError_tPvRmT3_T4_T5_T6_T7_T9_mT8_P12ihipStream_tbDpT10_ENKUlT_T0_E_clISt17integral_constantIbLb0EES1A_EEDaS15_S16_EUlS15_E_NS1_11comp_targetILNS1_3genE3ELNS1_11target_archE908ELNS1_3gpuE7ELNS1_3repE0EEENS1_30default_config_static_selectorELNS0_4arch9wavefront6targetE1EEEvT1_.private_seg_size, 0
	.set _ZN7rocprim17ROCPRIM_400000_NS6detail17trampoline_kernelINS0_14default_configENS1_25partition_config_selectorILNS1_17partition_subalgoE8EiNS0_10empty_typeEbEEZZNS1_14partition_implILS5_8ELb0ES3_jN6thrust23THRUST_200600_302600_NS6detail15normal_iteratorINSA_10device_ptrIiEEEEPS6_PKS6_NS0_5tupleIJSF_S6_EEENSJ_IJSG_SG_EEENS0_18inequality_wrapperI22is_equal_div_10_uniqueIiEEEPmJS6_EEE10hipError_tPvRmT3_T4_T5_T6_T7_T9_mT8_P12ihipStream_tbDpT10_ENKUlT_T0_E_clISt17integral_constantIbLb0EES1A_EEDaS15_S16_EUlS15_E_NS1_11comp_targetILNS1_3genE3ELNS1_11target_archE908ELNS1_3gpuE7ELNS1_3repE0EEENS1_30default_config_static_selectorELNS0_4arch9wavefront6targetE1EEEvT1_.uses_vcc, 0
	.set _ZN7rocprim17ROCPRIM_400000_NS6detail17trampoline_kernelINS0_14default_configENS1_25partition_config_selectorILNS1_17partition_subalgoE8EiNS0_10empty_typeEbEEZZNS1_14partition_implILS5_8ELb0ES3_jN6thrust23THRUST_200600_302600_NS6detail15normal_iteratorINSA_10device_ptrIiEEEEPS6_PKS6_NS0_5tupleIJSF_S6_EEENSJ_IJSG_SG_EEENS0_18inequality_wrapperI22is_equal_div_10_uniqueIiEEEPmJS6_EEE10hipError_tPvRmT3_T4_T5_T6_T7_T9_mT8_P12ihipStream_tbDpT10_ENKUlT_T0_E_clISt17integral_constantIbLb0EES1A_EEDaS15_S16_EUlS15_E_NS1_11comp_targetILNS1_3genE3ELNS1_11target_archE908ELNS1_3gpuE7ELNS1_3repE0EEENS1_30default_config_static_selectorELNS0_4arch9wavefront6targetE1EEEvT1_.uses_flat_scratch, 0
	.set _ZN7rocprim17ROCPRIM_400000_NS6detail17trampoline_kernelINS0_14default_configENS1_25partition_config_selectorILNS1_17partition_subalgoE8EiNS0_10empty_typeEbEEZZNS1_14partition_implILS5_8ELb0ES3_jN6thrust23THRUST_200600_302600_NS6detail15normal_iteratorINSA_10device_ptrIiEEEEPS6_PKS6_NS0_5tupleIJSF_S6_EEENSJ_IJSG_SG_EEENS0_18inequality_wrapperI22is_equal_div_10_uniqueIiEEEPmJS6_EEE10hipError_tPvRmT3_T4_T5_T6_T7_T9_mT8_P12ihipStream_tbDpT10_ENKUlT_T0_E_clISt17integral_constantIbLb0EES1A_EEDaS15_S16_EUlS15_E_NS1_11comp_targetILNS1_3genE3ELNS1_11target_archE908ELNS1_3gpuE7ELNS1_3repE0EEENS1_30default_config_static_selectorELNS0_4arch9wavefront6targetE1EEEvT1_.has_dyn_sized_stack, 0
	.set _ZN7rocprim17ROCPRIM_400000_NS6detail17trampoline_kernelINS0_14default_configENS1_25partition_config_selectorILNS1_17partition_subalgoE8EiNS0_10empty_typeEbEEZZNS1_14partition_implILS5_8ELb0ES3_jN6thrust23THRUST_200600_302600_NS6detail15normal_iteratorINSA_10device_ptrIiEEEEPS6_PKS6_NS0_5tupleIJSF_S6_EEENSJ_IJSG_SG_EEENS0_18inequality_wrapperI22is_equal_div_10_uniqueIiEEEPmJS6_EEE10hipError_tPvRmT3_T4_T5_T6_T7_T9_mT8_P12ihipStream_tbDpT10_ENKUlT_T0_E_clISt17integral_constantIbLb0EES1A_EEDaS15_S16_EUlS15_E_NS1_11comp_targetILNS1_3genE3ELNS1_11target_archE908ELNS1_3gpuE7ELNS1_3repE0EEENS1_30default_config_static_selectorELNS0_4arch9wavefront6targetE1EEEvT1_.has_recursion, 0
	.set _ZN7rocprim17ROCPRIM_400000_NS6detail17trampoline_kernelINS0_14default_configENS1_25partition_config_selectorILNS1_17partition_subalgoE8EiNS0_10empty_typeEbEEZZNS1_14partition_implILS5_8ELb0ES3_jN6thrust23THRUST_200600_302600_NS6detail15normal_iteratorINSA_10device_ptrIiEEEEPS6_PKS6_NS0_5tupleIJSF_S6_EEENSJ_IJSG_SG_EEENS0_18inequality_wrapperI22is_equal_div_10_uniqueIiEEEPmJS6_EEE10hipError_tPvRmT3_T4_T5_T6_T7_T9_mT8_P12ihipStream_tbDpT10_ENKUlT_T0_E_clISt17integral_constantIbLb0EES1A_EEDaS15_S16_EUlS15_E_NS1_11comp_targetILNS1_3genE3ELNS1_11target_archE908ELNS1_3gpuE7ELNS1_3repE0EEENS1_30default_config_static_selectorELNS0_4arch9wavefront6targetE1EEEvT1_.has_indirect_call, 0
	.section	.AMDGPU.csdata,"",@progbits
; Kernel info:
; codeLenInByte = 0
; TotalNumSgprs: 4
; NumVgprs: 0
; ScratchSize: 0
; MemoryBound: 0
; FloatMode: 240
; IeeeMode: 1
; LDSByteSize: 0 bytes/workgroup (compile time only)
; SGPRBlocks: 0
; VGPRBlocks: 0
; NumSGPRsForWavesPerEU: 4
; NumVGPRsForWavesPerEU: 1
; Occupancy: 10
; WaveLimiterHint : 0
; COMPUTE_PGM_RSRC2:SCRATCH_EN: 0
; COMPUTE_PGM_RSRC2:USER_SGPR: 6
; COMPUTE_PGM_RSRC2:TRAP_HANDLER: 0
; COMPUTE_PGM_RSRC2:TGID_X_EN: 1
; COMPUTE_PGM_RSRC2:TGID_Y_EN: 0
; COMPUTE_PGM_RSRC2:TGID_Z_EN: 0
; COMPUTE_PGM_RSRC2:TIDIG_COMP_CNT: 0
	.section	.text._ZN7rocprim17ROCPRIM_400000_NS6detail17trampoline_kernelINS0_14default_configENS1_25partition_config_selectorILNS1_17partition_subalgoE8EiNS0_10empty_typeEbEEZZNS1_14partition_implILS5_8ELb0ES3_jN6thrust23THRUST_200600_302600_NS6detail15normal_iteratorINSA_10device_ptrIiEEEEPS6_PKS6_NS0_5tupleIJSF_S6_EEENSJ_IJSG_SG_EEENS0_18inequality_wrapperI22is_equal_div_10_uniqueIiEEEPmJS6_EEE10hipError_tPvRmT3_T4_T5_T6_T7_T9_mT8_P12ihipStream_tbDpT10_ENKUlT_T0_E_clISt17integral_constantIbLb0EES1A_EEDaS15_S16_EUlS15_E_NS1_11comp_targetILNS1_3genE2ELNS1_11target_archE906ELNS1_3gpuE6ELNS1_3repE0EEENS1_30default_config_static_selectorELNS0_4arch9wavefront6targetE1EEEvT1_,"axG",@progbits,_ZN7rocprim17ROCPRIM_400000_NS6detail17trampoline_kernelINS0_14default_configENS1_25partition_config_selectorILNS1_17partition_subalgoE8EiNS0_10empty_typeEbEEZZNS1_14partition_implILS5_8ELb0ES3_jN6thrust23THRUST_200600_302600_NS6detail15normal_iteratorINSA_10device_ptrIiEEEEPS6_PKS6_NS0_5tupleIJSF_S6_EEENSJ_IJSG_SG_EEENS0_18inequality_wrapperI22is_equal_div_10_uniqueIiEEEPmJS6_EEE10hipError_tPvRmT3_T4_T5_T6_T7_T9_mT8_P12ihipStream_tbDpT10_ENKUlT_T0_E_clISt17integral_constantIbLb0EES1A_EEDaS15_S16_EUlS15_E_NS1_11comp_targetILNS1_3genE2ELNS1_11target_archE906ELNS1_3gpuE6ELNS1_3repE0EEENS1_30default_config_static_selectorELNS0_4arch9wavefront6targetE1EEEvT1_,comdat
	.protected	_ZN7rocprim17ROCPRIM_400000_NS6detail17trampoline_kernelINS0_14default_configENS1_25partition_config_selectorILNS1_17partition_subalgoE8EiNS0_10empty_typeEbEEZZNS1_14partition_implILS5_8ELb0ES3_jN6thrust23THRUST_200600_302600_NS6detail15normal_iteratorINSA_10device_ptrIiEEEEPS6_PKS6_NS0_5tupleIJSF_S6_EEENSJ_IJSG_SG_EEENS0_18inequality_wrapperI22is_equal_div_10_uniqueIiEEEPmJS6_EEE10hipError_tPvRmT3_T4_T5_T6_T7_T9_mT8_P12ihipStream_tbDpT10_ENKUlT_T0_E_clISt17integral_constantIbLb0EES1A_EEDaS15_S16_EUlS15_E_NS1_11comp_targetILNS1_3genE2ELNS1_11target_archE906ELNS1_3gpuE6ELNS1_3repE0EEENS1_30default_config_static_selectorELNS0_4arch9wavefront6targetE1EEEvT1_ ; -- Begin function _ZN7rocprim17ROCPRIM_400000_NS6detail17trampoline_kernelINS0_14default_configENS1_25partition_config_selectorILNS1_17partition_subalgoE8EiNS0_10empty_typeEbEEZZNS1_14partition_implILS5_8ELb0ES3_jN6thrust23THRUST_200600_302600_NS6detail15normal_iteratorINSA_10device_ptrIiEEEEPS6_PKS6_NS0_5tupleIJSF_S6_EEENSJ_IJSG_SG_EEENS0_18inequality_wrapperI22is_equal_div_10_uniqueIiEEEPmJS6_EEE10hipError_tPvRmT3_T4_T5_T6_T7_T9_mT8_P12ihipStream_tbDpT10_ENKUlT_T0_E_clISt17integral_constantIbLb0EES1A_EEDaS15_S16_EUlS15_E_NS1_11comp_targetILNS1_3genE2ELNS1_11target_archE906ELNS1_3gpuE6ELNS1_3repE0EEENS1_30default_config_static_selectorELNS0_4arch9wavefront6targetE1EEEvT1_
	.globl	_ZN7rocprim17ROCPRIM_400000_NS6detail17trampoline_kernelINS0_14default_configENS1_25partition_config_selectorILNS1_17partition_subalgoE8EiNS0_10empty_typeEbEEZZNS1_14partition_implILS5_8ELb0ES3_jN6thrust23THRUST_200600_302600_NS6detail15normal_iteratorINSA_10device_ptrIiEEEEPS6_PKS6_NS0_5tupleIJSF_S6_EEENSJ_IJSG_SG_EEENS0_18inequality_wrapperI22is_equal_div_10_uniqueIiEEEPmJS6_EEE10hipError_tPvRmT3_T4_T5_T6_T7_T9_mT8_P12ihipStream_tbDpT10_ENKUlT_T0_E_clISt17integral_constantIbLb0EES1A_EEDaS15_S16_EUlS15_E_NS1_11comp_targetILNS1_3genE2ELNS1_11target_archE906ELNS1_3gpuE6ELNS1_3repE0EEENS1_30default_config_static_selectorELNS0_4arch9wavefront6targetE1EEEvT1_
	.p2align	8
	.type	_ZN7rocprim17ROCPRIM_400000_NS6detail17trampoline_kernelINS0_14default_configENS1_25partition_config_selectorILNS1_17partition_subalgoE8EiNS0_10empty_typeEbEEZZNS1_14partition_implILS5_8ELb0ES3_jN6thrust23THRUST_200600_302600_NS6detail15normal_iteratorINSA_10device_ptrIiEEEEPS6_PKS6_NS0_5tupleIJSF_S6_EEENSJ_IJSG_SG_EEENS0_18inequality_wrapperI22is_equal_div_10_uniqueIiEEEPmJS6_EEE10hipError_tPvRmT3_T4_T5_T6_T7_T9_mT8_P12ihipStream_tbDpT10_ENKUlT_T0_E_clISt17integral_constantIbLb0EES1A_EEDaS15_S16_EUlS15_E_NS1_11comp_targetILNS1_3genE2ELNS1_11target_archE906ELNS1_3gpuE6ELNS1_3repE0EEENS1_30default_config_static_selectorELNS0_4arch9wavefront6targetE1EEEvT1_,@function
_ZN7rocprim17ROCPRIM_400000_NS6detail17trampoline_kernelINS0_14default_configENS1_25partition_config_selectorILNS1_17partition_subalgoE8EiNS0_10empty_typeEbEEZZNS1_14partition_implILS5_8ELb0ES3_jN6thrust23THRUST_200600_302600_NS6detail15normal_iteratorINSA_10device_ptrIiEEEEPS6_PKS6_NS0_5tupleIJSF_S6_EEENSJ_IJSG_SG_EEENS0_18inequality_wrapperI22is_equal_div_10_uniqueIiEEEPmJS6_EEE10hipError_tPvRmT3_T4_T5_T6_T7_T9_mT8_P12ihipStream_tbDpT10_ENKUlT_T0_E_clISt17integral_constantIbLb0EES1A_EEDaS15_S16_EUlS15_E_NS1_11comp_targetILNS1_3genE2ELNS1_11target_archE906ELNS1_3gpuE6ELNS1_3repE0EEENS1_30default_config_static_selectorELNS0_4arch9wavefront6targetE1EEEvT1_: ; @_ZN7rocprim17ROCPRIM_400000_NS6detail17trampoline_kernelINS0_14default_configENS1_25partition_config_selectorILNS1_17partition_subalgoE8EiNS0_10empty_typeEbEEZZNS1_14partition_implILS5_8ELb0ES3_jN6thrust23THRUST_200600_302600_NS6detail15normal_iteratorINSA_10device_ptrIiEEEEPS6_PKS6_NS0_5tupleIJSF_S6_EEENSJ_IJSG_SG_EEENS0_18inequality_wrapperI22is_equal_div_10_uniqueIiEEEPmJS6_EEE10hipError_tPvRmT3_T4_T5_T6_T7_T9_mT8_P12ihipStream_tbDpT10_ENKUlT_T0_E_clISt17integral_constantIbLb0EES1A_EEDaS15_S16_EUlS15_E_NS1_11comp_targetILNS1_3genE2ELNS1_11target_archE906ELNS1_3gpuE6ELNS1_3repE0EEENS1_30default_config_static_selectorELNS0_4arch9wavefront6targetE1EEEvT1_
; %bb.0:
	s_load_dwordx4 s[0:3], s[4:5], 0x8
	s_load_dwordx4 s[36:39], s[4:5], 0x40
	s_load_dwordx2 s[8:9], s[4:5], 0x50
	s_load_dword s12, s[4:5], 0x68
	v_lshrrev_b32_e32 v18, 3, v0
	s_waitcnt lgkmcnt(0)
	s_lshl_b64 s[10:11], s[2:3], 2
	s_add_u32 s13, s0, s10
	s_addc_u32 s14, s1, s11
	s_add_i32 s15, s12, -1
	s_lshl_b32 s0, s15, 12
	s_lshl_b32 s10, s6, 12
	s_add_i32 s7, s2, s0
	s_lshl_b32 s0, s12, 12
	s_add_u32 s0, s2, s0
	s_addc_u32 s1, s3, 0
	v_mov_b32_e32 v2, s1
	v_mov_b32_e32 v1, s0
	v_cmp_le_u64_e32 vcc, s[8:9], v[1:2]
	s_cmp_eq_u32 s6, s15
	s_load_dwordx2 s[38:39], s[38:39], 0x0
	s_cselect_b64 s[40:41], -1, 0
	s_mov_b32 s11, 0
	s_and_b64 s[44:45], s[40:41], vcc
	s_xor_b64 s[42:43], s[44:45], -1
	s_lshl_b64 s[10:11], s[10:11], 2
	s_add_u32 s9, s13, s10
	s_mov_b64 s[0:1], -1
	s_addc_u32 s10, s14, s11
	s_and_b64 vcc, exec, s[42:43]
	s_cbranch_vccz .LBB440_2
; %bb.1:
	v_lshlrev_b32_e32 v5, 2, v0
	v_mov_b32_e32 v2, s10
	v_add_co_u32_e32 v1, vcc, s9, v5
	v_addc_co_u32_e32 v2, vcc, 0, v2, vcc
	v_add_co_u32_e32 v3, vcc, 0x1000, v1
	v_addc_co_u32_e32 v4, vcc, 0, v2, vcc
	flat_load_dword v6, v[1:2]
	flat_load_dword v7, v[1:2] offset:1024
	flat_load_dword v8, v[1:2] offset:2048
	;; [unrolled: 1-line block ×3, first 2 shown]
	flat_load_dword v10, v[3:4]
	flat_load_dword v11, v[3:4] offset:1024
	flat_load_dword v12, v[3:4] offset:2048
	;; [unrolled: 1-line block ×3, first 2 shown]
	v_add_co_u32_e32 v3, vcc, 0x2000, v1
	v_addc_co_u32_e32 v4, vcc, 0, v2, vcc
	flat_load_dword v14, v[3:4]
	flat_load_dword v15, v[3:4] offset:1024
	flat_load_dword v16, v[3:4] offset:2048
	flat_load_dword v17, v[3:4] offset:3072
	v_add_co_u32_e32 v1, vcc, 0x3000, v1
	v_addc_co_u32_e32 v2, vcc, 0, v2, vcc
	flat_load_dword v3, v[1:2]
	flat_load_dword v4, v[1:2] offset:1024
	flat_load_dword v19, v[1:2] offset:2048
	;; [unrolled: 1-line block ×3, first 2 shown]
	v_or_b32_e32 v2, 0x100, v0
	v_or_b32_e32 v21, 0x200, v0
	v_or_b32_e32 v22, 0x300, v0
	v_or_b32_e32 v23, 0x400, v0
	v_or_b32_e32 v24, 0x500, v0
	v_or_b32_e32 v25, 0x600, v0
	v_or_b32_e32 v26, 0x700, v0
	v_or_b32_e32 v27, 0x800, v0
	v_or_b32_e32 v28, 0x900, v0
	v_and_b32_e32 v1, 28, v18
	v_lshrrev_b32_e32 v2, 3, v2
	v_lshrrev_b32_e32 v21, 3, v21
	;; [unrolled: 1-line block ×9, first 2 shown]
	v_or_b32_e32 v29, 0xa00, v0
	v_add_u32_e32 v1, v1, v5
	v_and_b32_e32 v2, 60, v2
	v_and_b32_e32 v21, 0x5c, v21
	;; [unrolled: 1-line block ×9, first 2 shown]
	v_add_u32_e32 v2, v2, v5
	v_add_u32_e32 v21, v21, v5
	;; [unrolled: 1-line block ×9, first 2 shown]
	s_mov_b64 s[0:1], 0
	s_waitcnt vmcnt(0) lgkmcnt(0)
	ds_write_b32 v1, v6
	ds_write_b32 v2, v7 offset:1024
	ds_write_b32 v21, v8 offset:2048
	;; [unrolled: 1-line block ×9, first 2 shown]
	v_lshrrev_b32_e32 v1, 3, v29
	v_and_b32_e32 v1, 0x15c, v1
	v_add_u32_e32 v1, v1, v5
	ds_write_b32 v1, v16 offset:10240
	v_or_b32_e32 v1, 0xb00, v0
	v_lshrrev_b32_e32 v1, 3, v1
	v_and_b32_e32 v1, 0x17c, v1
	v_add_u32_e32 v1, v1, v5
	ds_write_b32 v1, v17 offset:11264
	v_or_b32_e32 v1, 0xc00, v0
	;; [unrolled: 5-line block ×5, first 2 shown]
	v_lshrrev_b32_e32 v1, 3, v1
	v_and_b32_e32 v1, 0x1fc, v1
	v_add_u32_e32 v1, v1, v5
	ds_write_b32 v1, v20 offset:15360
	s_waitcnt lgkmcnt(0)
	s_barrier
.LBB440_2:
	s_andn2_b64 vcc, exec, s[0:1]
	s_sub_i32 s7, s8, s7
	s_cbranch_vccnz .LBB440_36
; %bb.3:
	v_mov_b32_e32 v1, 0
	v_cmp_gt_u32_e32 vcc, s7, v0
	v_mov_b32_e32 v2, v1
	v_mov_b32_e32 v3, v1
	;; [unrolled: 1-line block ×15, first 2 shown]
	s_and_saveexec_b64 s[0:1], vcc
	s_cbranch_execz .LBB440_5
; %bb.4:
	v_lshlrev_b32_e32 v2, 2, v0
	v_mov_b32_e32 v3, s10
	v_add_co_u32_e32 v2, vcc, s9, v2
	v_addc_co_u32_e32 v3, vcc, 0, v3, vcc
	flat_load_dword v2, v[2:3]
	v_mov_b32_e32 v3, v1
	v_mov_b32_e32 v4, v1
	;; [unrolled: 1-line block ×15, first 2 shown]
	s_waitcnt vmcnt(0) lgkmcnt(0)
	v_mov_b32_e32 v1, v2
	v_mov_b32_e32 v2, v3
	;; [unrolled: 1-line block ×16, first 2 shown]
.LBB440_5:
	s_or_b64 exec, exec, s[0:1]
	v_or_b32_e32 v17, 0x100, v0
	v_cmp_gt_u32_e32 vcc, s7, v17
	s_and_saveexec_b64 s[0:1], vcc
	s_cbranch_execz .LBB440_7
; %bb.6:
	v_lshlrev_b32_e32 v2, 2, v0
	v_mov_b32_e32 v20, s10
	v_add_co_u32_e32 v19, vcc, s9, v2
	v_addc_co_u32_e32 v20, vcc, 0, v20, vcc
	flat_load_dword v2, v[19:20] offset:1024
.LBB440_7:
	s_or_b64 exec, exec, s[0:1]
	v_or_b32_e32 v19, 0x200, v0
	v_cmp_gt_u32_e32 vcc, s7, v19
	s_and_saveexec_b64 s[0:1], vcc
	s_cbranch_execz .LBB440_9
; %bb.8:
	v_lshlrev_b32_e32 v3, 2, v0
	v_mov_b32_e32 v21, s10
	v_add_co_u32_e32 v20, vcc, s9, v3
	v_addc_co_u32_e32 v21, vcc, 0, v21, vcc
	flat_load_dword v3, v[20:21] offset:2048
.LBB440_9:
	;; [unrolled: 12-line block ×3, first 2 shown]
	s_or_b64 exec, exec, s[0:1]
	v_or_b32_e32 v21, 0x400, v0
	v_cmp_gt_u32_e32 vcc, s7, v21
	s_and_saveexec_b64 s[0:1], vcc
	s_cbranch_execz .LBB440_13
; %bb.12:
	v_lshlrev_b32_e32 v5, 2, v21
	v_mov_b32_e32 v23, s10
	v_add_co_u32_e32 v22, vcc, s9, v5
	v_addc_co_u32_e32 v23, vcc, 0, v23, vcc
	flat_load_dword v5, v[22:23]
.LBB440_13:
	s_or_b64 exec, exec, s[0:1]
	v_or_b32_e32 v22, 0x500, v0
	v_cmp_gt_u32_e32 vcc, s7, v22
	s_and_saveexec_b64 s[0:1], vcc
	s_cbranch_execz .LBB440_15
; %bb.14:
	v_lshlrev_b32_e32 v6, 2, v22
	v_mov_b32_e32 v24, s10
	v_add_co_u32_e32 v23, vcc, s9, v6
	v_addc_co_u32_e32 v24, vcc, 0, v24, vcc
	flat_load_dword v6, v[23:24]
.LBB440_15:
	;; [unrolled: 12-line block ×12, first 2 shown]
	s_or_b64 exec, exec, s[0:1]
	v_and_b32_e32 v18, 28, v18
	v_lshlrev_b32_e32 v33, 2, v0
	v_add_u32_e32 v18, v18, v33
	ds_write_b32 v18, v1
	v_lshrrev_b32_e32 v1, 3, v17
	v_and_b32_e32 v1, 60, v1
	v_add_u32_e32 v1, v1, v33
	s_waitcnt vmcnt(0) lgkmcnt(0)
	ds_write_b32 v1, v2 offset:1024
	v_lshrrev_b32_e32 v1, 3, v19
	v_and_b32_e32 v1, 0x7c, v1
	v_add_u32_e32 v1, v1, v33
	ds_write_b32 v1, v3 offset:2048
	v_lshrrev_b32_e32 v1, 3, v20
	v_and_b32_e32 v1, 0x7c, v1
	v_add_u32_e32 v1, v1, v33
	;; [unrolled: 4-line block ×14, first 2 shown]
	ds_write_b32 v1, v16 offset:15360
	s_waitcnt lgkmcnt(0)
	s_barrier
.LBB440_36:
	v_lshlrev_b32_e32 v1, 1, v0
	v_and_b32_e32 v1, 0x1fc, v1
	v_lshl_add_u32 v1, v0, 6, v1
	s_waitcnt lgkmcnt(0)
	ds_read2_b32 v[15:16], v1 offset1:1
	ds_read2_b32 v[13:14], v1 offset0:2 offset1:3
	ds_read2_b32 v[11:12], v1 offset0:4 offset1:5
	;; [unrolled: 1-line block ×7, first 2 shown]
	s_cmp_lg_u32 s6, 0
	s_cselect_b64 s[46:47], -1, 0
	s_cmp_lg_u64 s[2:3], 0
	s_cselect_b64 s[0:1], -1, 0
	s_or_b64 s[0:1], s[46:47], s[0:1]
	v_lshlrev_b32_e32 v17, 4, v0
	s_mov_b64 s[48:49], 0
	s_and_b64 vcc, exec, s[0:1]
	s_waitcnt lgkmcnt(0)
	s_barrier
	s_cbranch_vccz .LBB440_41
; %bb.37:
	v_mov_b32_e32 v19, s10
	v_add_co_u32_e64 v18, vcc, -4, s9
	v_addc_co_u32_e32 v19, vcc, -1, v19, vcc
	flat_load_dword v18, v[18:19]
	v_lshlrev_b32_e32 v19, 2, v0
	s_and_b64 vcc, exec, s[42:43]
	ds_write_b32 v19, v2
	s_cbranch_vccz .LBB440_42
; %bb.38:
	v_cmp_ne_u32_e32 vcc, 0, v0
	s_waitcnt vmcnt(0) lgkmcnt(0)
	v_mov_b32_e32 v20, v18
	s_barrier
	s_and_saveexec_b64 s[0:1], vcc
; %bb.39:
	v_add_u32_e32 v20, -4, v19
	ds_read_b32 v20, v20
; %bb.40:
	s_or_b64 exec, exec, s[0:1]
	s_mov_b32 s0, 0x66666667
	v_mul_hi_i32 v21, v1, s0
	v_mul_hi_i32 v22, v2, s0
	s_waitcnt lgkmcnt(0)
	v_mul_hi_i32 v20, v20, s0
	v_lshrrev_b32_e32 v23, 31, v21
	v_ashrrev_i32_e32 v21, 2, v21
	v_add_u32_e32 v21, v21, v23
	v_mul_hi_i32 v23, v4, s0
	v_lshrrev_b32_e32 v24, 31, v22
	v_ashrrev_i32_e32 v22, 2, v22
	v_add_u32_e32 v22, v22, v24
	v_mul_hi_i32 v24, v3, s0
	v_cmp_ne_u32_e32 vcc, v21, v22
	v_lshrrev_b32_e32 v22, 31, v23
	v_ashrrev_i32_e32 v23, 2, v23
	v_add_u32_e32 v22, v23, v22
	v_cndmask_b32_e64 v51, 0, 1, vcc
	v_cmp_ne_u32_e32 vcc, v22, v21
	v_lshrrev_b32_e32 v21, 31, v24
	v_ashrrev_i32_e32 v23, 2, v24
	v_mul_hi_i32 v24, v6, s0
	v_add_u32_e32 v21, v23, v21
	v_cndmask_b32_e64 v52, 0, 1, vcc
	v_cmp_ne_u32_e32 vcc, v21, v22
	v_lshrrev_b32_e32 v22, 31, v24
	v_ashrrev_i32_e32 v23, 2, v24
	v_mul_hi_i32 v24, v5, s0
	;; [unrolled: 6-line block ×12, first 2 shown]
	v_add_u32_e32 v22, v23, v22
	v_cndmask_b32_e64 v63, 0, 1, vcc
	v_cmp_ne_u32_e32 vcc, v22, v21
	v_lshrrev_b32_e32 v21, 31, v24
	v_ashrrev_i32_e32 v23, 2, v24
	v_add_u32_e32 v21, v23, v21
	v_cndmask_b32_e64 v64, 0, 1, vcc
	v_cmp_ne_u32_e32 vcc, v21, v22
	v_lshrrev_b32_e32 v22, 31, v20
	v_ashrrev_i32_e32 v20, 2, v20
	v_add_u32_e32 v20, v20, v22
	v_cndmask_b32_e64 v65, 0, 1, vcc
	v_cmp_ne_u32_e64 s[50:51], v20, v21
	s_branch .LBB440_78
.LBB440_41:
                                        ; implicit-def: $sgpr50_sgpr51
                                        ; implicit-def: $vgpr51
                                        ; implicit-def: $vgpr52
                                        ; implicit-def: $vgpr53
                                        ; implicit-def: $vgpr54
                                        ; implicit-def: $vgpr55
                                        ; implicit-def: $vgpr56
                                        ; implicit-def: $vgpr57
                                        ; implicit-def: $vgpr58
                                        ; implicit-def: $vgpr59
                                        ; implicit-def: $vgpr65
                                        ; implicit-def: $vgpr64
                                        ; implicit-def: $vgpr63
                                        ; implicit-def: $vgpr62
                                        ; implicit-def: $vgpr61
                                        ; implicit-def: $vgpr60
	s_branch .LBB440_79
.LBB440_42:
                                        ; implicit-def: $sgpr50_sgpr51
                                        ; implicit-def: $vgpr51
                                        ; implicit-def: $vgpr52
                                        ; implicit-def: $vgpr53
                                        ; implicit-def: $vgpr54
                                        ; implicit-def: $vgpr55
                                        ; implicit-def: $vgpr56
                                        ; implicit-def: $vgpr57
                                        ; implicit-def: $vgpr58
                                        ; implicit-def: $vgpr59
                                        ; implicit-def: $vgpr65
                                        ; implicit-def: $vgpr64
                                        ; implicit-def: $vgpr63
                                        ; implicit-def: $vgpr62
                                        ; implicit-def: $vgpr61
                                        ; implicit-def: $vgpr60
	s_cbranch_execz .LBB440_78
; %bb.43:
	v_or_b32_e32 v20, 15, v17
	v_cmp_gt_u32_e32 vcc, s7, v20
	s_mov_b64 s[2:3], 0
	s_mov_b64 s[0:1], 0
	s_and_saveexec_b64 s[8:9], vcc
	s_cbranch_execz .LBB440_45
; %bb.44:
	s_mov_b32 s0, 0x66666667
	v_mul_hi_i32 v20, v1, s0
	v_mul_hi_i32 v21, v2, s0
	v_lshrrev_b32_e32 v22, 31, v20
	v_ashrrev_i32_e32 v20, 2, v20
	v_lshrrev_b32_e32 v23, 31, v21
	v_ashrrev_i32_e32 v21, 2, v21
	v_add_u32_e32 v20, v20, v22
	v_add_u32_e32 v21, v21, v23
	v_cmp_ne_u32_e32 vcc, v20, v21
	s_and_b64 s[0:1], vcc, exec
.LBB440_45:
	s_or_b64 exec, exec, s[8:9]
	v_or_b32_e32 v20, 14, v17
	v_cmp_gt_u32_e32 vcc, s7, v20
	s_and_saveexec_b64 s[8:9], vcc
	s_cbranch_execz .LBB440_47
; %bb.46:
	s_mov_b32 s2, 0x66666667
	v_mul_hi_i32 v20, v4, s2
	v_mul_hi_i32 v21, v1, s2
	v_lshrrev_b32_e32 v22, 31, v20
	v_ashrrev_i32_e32 v20, 2, v20
	v_lshrrev_b32_e32 v23, 31, v21
	v_ashrrev_i32_e32 v21, 2, v21
	v_add_u32_e32 v20, v20, v22
	v_add_u32_e32 v21, v21, v23
	v_cmp_ne_u32_e32 vcc, v20, v21
	s_and_b64 s[2:3], vcc, exec
.LBB440_47:
	s_or_b64 exec, exec, s[8:9]
	v_or_b32_e32 v20, 13, v17
	v_cmp_gt_u32_e32 vcc, s7, v20
	s_mov_b64 s[10:11], 0
	s_mov_b64 s[8:9], 0
	s_and_saveexec_b64 s[12:13], vcc
	s_cbranch_execz .LBB440_49
; %bb.48:
	s_mov_b32 s8, 0x66666667
	v_mul_hi_i32 v20, v3, s8
	v_mul_hi_i32 v21, v4, s8
	v_lshrrev_b32_e32 v22, 31, v20
	v_ashrrev_i32_e32 v20, 2, v20
	v_lshrrev_b32_e32 v23, 31, v21
	v_ashrrev_i32_e32 v21, 2, v21
	v_add_u32_e32 v20, v20, v22
	v_add_u32_e32 v21, v21, v23
	v_cmp_ne_u32_e32 vcc, v20, v21
	s_and_b64 s[8:9], vcc, exec
.LBB440_49:
	s_or_b64 exec, exec, s[12:13]
	v_or_b32_e32 v20, 12, v17
	v_cmp_gt_u32_e32 vcc, s7, v20
	s_and_saveexec_b64 s[12:13], vcc
	s_cbranch_execz .LBB440_51
; %bb.50:
	s_mov_b32 s10, 0x66666667
	v_mul_hi_i32 v20, v6, s10
	v_mul_hi_i32 v21, v3, s10
	v_lshrrev_b32_e32 v22, 31, v20
	v_ashrrev_i32_e32 v20, 2, v20
	v_lshrrev_b32_e32 v23, 31, v21
	v_ashrrev_i32_e32 v21, 2, v21
	v_add_u32_e32 v20, v20, v22
	v_add_u32_e32 v21, v21, v23
	v_cmp_ne_u32_e32 vcc, v20, v21
	s_and_b64 s[10:11], vcc, exec
.LBB440_51:
	s_or_b64 exec, exec, s[12:13]
	v_or_b32_e32 v20, 11, v17
	v_cmp_gt_u32_e32 vcc, s7, v20
	s_mov_b64 s[14:15], 0
	s_mov_b64 s[12:13], 0
	s_and_saveexec_b64 s[16:17], vcc
	s_cbranch_execz .LBB440_53
; %bb.52:
	s_mov_b32 s12, 0x66666667
	v_mul_hi_i32 v20, v5, s12
	v_mul_hi_i32 v21, v6, s12
	v_lshrrev_b32_e32 v22, 31, v20
	v_ashrrev_i32_e32 v20, 2, v20
	v_lshrrev_b32_e32 v23, 31, v21
	v_ashrrev_i32_e32 v21, 2, v21
	v_add_u32_e32 v20, v20, v22
	v_add_u32_e32 v21, v21, v23
	v_cmp_ne_u32_e32 vcc, v20, v21
	s_and_b64 s[12:13], vcc, exec
.LBB440_53:
	s_or_b64 exec, exec, s[16:17]
	v_or_b32_e32 v20, 10, v17
	v_cmp_gt_u32_e32 vcc, s7, v20
	s_and_saveexec_b64 s[16:17], vcc
	s_cbranch_execz .LBB440_55
; %bb.54:
	s_mov_b32 s14, 0x66666667
	v_mul_hi_i32 v20, v8, s14
	v_mul_hi_i32 v21, v5, s14
	v_lshrrev_b32_e32 v22, 31, v20
	v_ashrrev_i32_e32 v20, 2, v20
	v_lshrrev_b32_e32 v23, 31, v21
	v_ashrrev_i32_e32 v21, 2, v21
	v_add_u32_e32 v20, v20, v22
	v_add_u32_e32 v21, v21, v23
	v_cmp_ne_u32_e32 vcc, v20, v21
	s_and_b64 s[14:15], vcc, exec
.LBB440_55:
	s_or_b64 exec, exec, s[16:17]
	v_or_b32_e32 v20, 9, v17
	v_cmp_gt_u32_e32 vcc, s7, v20
	s_mov_b64 s[18:19], 0
	s_mov_b64 s[16:17], 0
	s_and_saveexec_b64 s[20:21], vcc
	s_cbranch_execz .LBB440_57
; %bb.56:
	s_mov_b32 s16, 0x66666667
	v_mul_hi_i32 v20, v7, s16
	v_mul_hi_i32 v21, v8, s16
	v_lshrrev_b32_e32 v22, 31, v20
	v_ashrrev_i32_e32 v20, 2, v20
	v_lshrrev_b32_e32 v23, 31, v21
	v_ashrrev_i32_e32 v21, 2, v21
	v_add_u32_e32 v20, v20, v22
	v_add_u32_e32 v21, v21, v23
	v_cmp_ne_u32_e32 vcc, v20, v21
	s_and_b64 s[16:17], vcc, exec
.LBB440_57:
	s_or_b64 exec, exec, s[20:21]
	v_or_b32_e32 v20, 8, v17
	v_cmp_gt_u32_e32 vcc, s7, v20
	s_and_saveexec_b64 s[20:21], vcc
	s_cbranch_execz .LBB440_59
; %bb.58:
	s_mov_b32 s18, 0x66666667
	v_mul_hi_i32 v20, v10, s18
	v_mul_hi_i32 v21, v7, s18
	v_lshrrev_b32_e32 v22, 31, v20
	v_ashrrev_i32_e32 v20, 2, v20
	v_lshrrev_b32_e32 v23, 31, v21
	v_ashrrev_i32_e32 v21, 2, v21
	v_add_u32_e32 v20, v20, v22
	v_add_u32_e32 v21, v21, v23
	v_cmp_ne_u32_e32 vcc, v20, v21
	s_and_b64 s[18:19], vcc, exec
.LBB440_59:
	s_or_b64 exec, exec, s[20:21]
	v_or_b32_e32 v20, 7, v17
	v_cmp_gt_u32_e32 vcc, s7, v20
	s_mov_b64 s[22:23], 0
	s_mov_b64 s[20:21], 0
	s_and_saveexec_b64 s[24:25], vcc
	s_cbranch_execz .LBB440_61
; %bb.60:
	s_mov_b32 s20, 0x66666667
	v_mul_hi_i32 v20, v9, s20
	v_mul_hi_i32 v21, v10, s20
	v_lshrrev_b32_e32 v22, 31, v20
	v_ashrrev_i32_e32 v20, 2, v20
	v_lshrrev_b32_e32 v23, 31, v21
	v_ashrrev_i32_e32 v21, 2, v21
	v_add_u32_e32 v20, v20, v22
	v_add_u32_e32 v21, v21, v23
	v_cmp_ne_u32_e32 vcc, v20, v21
	s_and_b64 s[20:21], vcc, exec
.LBB440_61:
	s_or_b64 exec, exec, s[24:25]
	v_or_b32_e32 v20, 6, v17
	v_cmp_gt_u32_e32 vcc, s7, v20
	s_and_saveexec_b64 s[24:25], vcc
	s_cbranch_execz .LBB440_63
; %bb.62:
	s_mov_b32 s22, 0x66666667
	v_mul_hi_i32 v20, v12, s22
	v_mul_hi_i32 v21, v9, s22
	v_lshrrev_b32_e32 v22, 31, v20
	v_ashrrev_i32_e32 v20, 2, v20
	v_lshrrev_b32_e32 v23, 31, v21
	v_ashrrev_i32_e32 v21, 2, v21
	v_add_u32_e32 v20, v20, v22
	v_add_u32_e32 v21, v21, v23
	v_cmp_ne_u32_e32 vcc, v20, v21
	s_and_b64 s[22:23], vcc, exec
.LBB440_63:
	s_or_b64 exec, exec, s[24:25]
	v_or_b32_e32 v20, 5, v17
	v_cmp_gt_u32_e32 vcc, s7, v20
	s_mov_b64 s[26:27], 0
	s_mov_b64 s[24:25], 0
	s_and_saveexec_b64 s[28:29], vcc
	s_cbranch_execz .LBB440_65
; %bb.64:
	s_mov_b32 s24, 0x66666667
	v_mul_hi_i32 v20, v11, s24
	v_mul_hi_i32 v21, v12, s24
	v_lshrrev_b32_e32 v22, 31, v20
	v_ashrrev_i32_e32 v20, 2, v20
	v_lshrrev_b32_e32 v23, 31, v21
	v_ashrrev_i32_e32 v21, 2, v21
	v_add_u32_e32 v20, v20, v22
	v_add_u32_e32 v21, v21, v23
	v_cmp_ne_u32_e32 vcc, v20, v21
	s_and_b64 s[24:25], vcc, exec
.LBB440_65:
	s_or_b64 exec, exec, s[28:29]
	v_or_b32_e32 v20, 4, v17
	v_cmp_gt_u32_e32 vcc, s7, v20
	s_and_saveexec_b64 s[28:29], vcc
	s_cbranch_execz .LBB440_67
; %bb.66:
	s_mov_b32 s26, 0x66666667
	v_mul_hi_i32 v20, v14, s26
	v_mul_hi_i32 v21, v11, s26
	v_lshrrev_b32_e32 v22, 31, v20
	v_ashrrev_i32_e32 v20, 2, v20
	v_lshrrev_b32_e32 v23, 31, v21
	v_ashrrev_i32_e32 v21, 2, v21
	v_add_u32_e32 v20, v20, v22
	v_add_u32_e32 v21, v21, v23
	v_cmp_ne_u32_e32 vcc, v20, v21
	s_and_b64 s[26:27], vcc, exec
.LBB440_67:
	s_or_b64 exec, exec, s[28:29]
	v_or_b32_e32 v20, 3, v17
	v_cmp_gt_u32_e32 vcc, s7, v20
	s_mov_b64 s[30:31], 0
	s_mov_b64 s[28:29], 0
	s_and_saveexec_b64 s[34:35], vcc
	s_cbranch_execz .LBB440_69
; %bb.68:
	s_mov_b32 s28, 0x66666667
	v_mul_hi_i32 v20, v13, s28
	v_mul_hi_i32 v21, v14, s28
	v_lshrrev_b32_e32 v22, 31, v20
	v_ashrrev_i32_e32 v20, 2, v20
	v_lshrrev_b32_e32 v23, 31, v21
	v_ashrrev_i32_e32 v21, 2, v21
	v_add_u32_e32 v20, v20, v22
	v_add_u32_e32 v21, v21, v23
	v_cmp_ne_u32_e32 vcc, v20, v21
	s_and_b64 s[28:29], vcc, exec
.LBB440_69:
	s_or_b64 exec, exec, s[34:35]
	v_or_b32_e32 v20, 2, v17
	v_cmp_gt_u32_e32 vcc, s7, v20
	s_and_saveexec_b64 s[34:35], vcc
	s_cbranch_execz .LBB440_71
; %bb.70:
	s_mov_b32 s30, 0x66666667
	v_mul_hi_i32 v20, v16, s30
	v_mul_hi_i32 v21, v13, s30
	v_lshrrev_b32_e32 v22, 31, v20
	v_ashrrev_i32_e32 v20, 2, v20
	v_lshrrev_b32_e32 v23, 31, v21
	v_ashrrev_i32_e32 v21, 2, v21
	v_add_u32_e32 v20, v20, v22
	v_add_u32_e32 v21, v21, v23
	v_cmp_ne_u32_e32 vcc, v20, v21
	s_and_b64 s[30:31], vcc, exec
.LBB440_71:
	s_or_b64 exec, exec, s[34:35]
	v_or_b32_e32 v20, 1, v17
	v_cmp_gt_u32_e32 vcc, s7, v20
	s_mov_b64 s[34:35], 0
	s_and_saveexec_b64 s[48:49], vcc
	s_cbranch_execz .LBB440_73
; %bb.72:
	s_mov_b32 s33, 0x66666667
	v_mul_hi_i32 v20, v15, s33
	v_mul_hi_i32 v21, v16, s33
	v_lshrrev_b32_e32 v22, 31, v20
	v_ashrrev_i32_e32 v20, 2, v20
	v_lshrrev_b32_e32 v23, 31, v21
	v_ashrrev_i32_e32 v21, 2, v21
	v_add_u32_e32 v20, v20, v22
	v_add_u32_e32 v21, v21, v23
	v_cmp_ne_u32_e32 vcc, v20, v21
	s_and_b64 s[34:35], vcc, exec
.LBB440_73:
	s_or_b64 exec, exec, s[48:49]
	v_cmp_ne_u32_e32 vcc, 0, v0
	s_waitcnt vmcnt(0) lgkmcnt(0)
	s_barrier
	s_and_saveexec_b64 s[48:49], vcc
; %bb.74:
	v_add_u32_e32 v18, -4, v19
	ds_read_b32 v18, v18
; %bb.75:
	s_or_b64 exec, exec, s[48:49]
	v_cmp_gt_u32_e32 vcc, s7, v17
	s_mov_b64 s[50:51], 0
	s_and_saveexec_b64 s[48:49], vcc
	s_cbranch_execz .LBB440_77
; %bb.76:
	s_mov_b32 s33, 0x66666667
	s_waitcnt lgkmcnt(0)
	v_mul_hi_i32 v18, v18, s33
	v_mul_hi_i32 v19, v15, s33
	v_lshrrev_b32_e32 v20, 31, v18
	v_ashrrev_i32_e32 v18, 2, v18
	v_lshrrev_b32_e32 v21, 31, v19
	v_ashrrev_i32_e32 v19, 2, v19
	v_add_u32_e32 v18, v18, v20
	v_add_u32_e32 v19, v19, v21
	v_cmp_ne_u32_e32 vcc, v18, v19
	s_and_b64 s[50:51], vcc, exec
.LBB440_77:
	s_or_b64 exec, exec, s[48:49]
	v_cndmask_b32_e64 v65, 0, 1, s[34:35]
	v_cndmask_b32_e64 v64, 0, 1, s[30:31]
	;; [unrolled: 1-line block ×15, first 2 shown]
.LBB440_78:
	s_mov_b64 s[48:49], -1
	s_cbranch_execnz .LBB440_119
.LBB440_79:
	s_waitcnt vmcnt(0) lgkmcnt(0)
	v_lshlrev_b32_e32 v18, 2, v0
	s_and_b64 vcc, exec, s[42:43]
	ds_write_b32 v18, v2
	s_cbranch_vccz .LBB440_83
; %bb.80:
	s_mov_b32 s33, 0x66666667
	v_mul_hi_i32 v19, v1, s33
	v_mul_hi_i32 v20, v2, s33
	v_cmp_ne_u32_e64 s[34:35], 0, v0
	s_waitcnt lgkmcnt(0)
	v_lshrrev_b32_e32 v21, 31, v19
	v_ashrrev_i32_e32 v19, 2, v19
	v_add_u32_e32 v19, v19, v21
	v_mul_hi_i32 v21, v4, s33
	v_lshrrev_b32_e32 v22, 31, v20
	v_ashrrev_i32_e32 v20, 2, v20
	v_add_u32_e32 v20, v20, v22
	v_mul_hi_i32 v22, v3, s33
	v_cmp_ne_u32_e32 vcc, v19, v20
	v_lshrrev_b32_e32 v20, 31, v21
	v_ashrrev_i32_e32 v21, 2, v21
	v_add_u32_e32 v20, v21, v20
	v_mul_hi_i32 v21, v6, s33
	v_cmp_ne_u32_e64 s[0:1], v20, v19
	v_lshrrev_b32_e32 v19, 31, v22
	v_ashrrev_i32_e32 v22, 2, v22
	v_add_u32_e32 v19, v22, v19
	v_mul_hi_i32 v22, v5, s33
	v_cmp_ne_u32_e64 s[2:3], v19, v20
	;; [unrolled: 5-line block ×12, first 2 shown]
	v_lshrrev_b32_e32 v20, 31, v21
	v_ashrrev_i32_e32 v21, 2, v21
	v_add_u32_e32 v20, v21, v20
	v_cmp_ne_u32_e64 s[26:27], v20, v19
	v_lshrrev_b32_e32 v19, 31, v22
	v_ashrrev_i32_e32 v21, 2, v22
	v_add_u32_e32 v19, v21, v19
	v_cmp_ne_u32_e64 s[28:29], v19, v20
	s_barrier
                                        ; implicit-def: $sgpr50_sgpr51
	s_and_saveexec_b64 s[52:53], s[34:35]
	s_xor_b64 s[34:35], exec, s[52:53]
	s_cbranch_execz .LBB440_82
; %bb.81:
	v_add_u32_e32 v20, -4, v18
	ds_read_b32 v20, v20
	s_or_b64 s[48:49], s[48:49], exec
	s_waitcnt lgkmcnt(0)
	v_mul_hi_i32 v20, v20, s33
	v_lshrrev_b32_e32 v21, 31, v20
	v_ashrrev_i32_e32 v20, 2, v20
	v_add_u32_e32 v20, v20, v21
	v_cmp_ne_u32_e64 s[50:51], v20, v19
.LBB440_82:
	s_or_b64 exec, exec, s[34:35]
	v_cndmask_b32_e64 v51, 0, 1, vcc
	v_cndmask_b32_e64 v52, 0, 1, s[0:1]
	v_cndmask_b32_e64 v53, 0, 1, s[2:3]
	;; [unrolled: 1-line block ×14, first 2 shown]
	s_branch .LBB440_119
.LBB440_83:
                                        ; implicit-def: $sgpr50_sgpr51
                                        ; implicit-def: $vgpr51
                                        ; implicit-def: $vgpr52
                                        ; implicit-def: $vgpr53
                                        ; implicit-def: $vgpr54
                                        ; implicit-def: $vgpr55
                                        ; implicit-def: $vgpr56
                                        ; implicit-def: $vgpr57
                                        ; implicit-def: $vgpr58
                                        ; implicit-def: $vgpr59
                                        ; implicit-def: $vgpr65
                                        ; implicit-def: $vgpr64
                                        ; implicit-def: $vgpr63
                                        ; implicit-def: $vgpr62
                                        ; implicit-def: $vgpr61
                                        ; implicit-def: $vgpr60
	s_cbranch_execz .LBB440_119
; %bb.84:
	v_or_b32_e32 v19, 15, v17
	v_cmp_gt_u32_e32 vcc, s7, v19
	s_mov_b64 s[2:3], 0
	s_mov_b64 s[0:1], 0
	s_and_saveexec_b64 s[8:9], vcc
	s_cbranch_execz .LBB440_86
; %bb.85:
	s_mov_b32 s0, 0x66666667
	v_mul_hi_i32 v19, v1, s0
	v_mul_hi_i32 v20, v2, s0
	v_lshrrev_b32_e32 v21, 31, v19
	v_ashrrev_i32_e32 v19, 2, v19
	v_lshrrev_b32_e32 v22, 31, v20
	v_ashrrev_i32_e32 v20, 2, v20
	v_add_u32_e32 v19, v19, v21
	v_add_u32_e32 v20, v20, v22
	v_cmp_ne_u32_e32 vcc, v19, v20
	s_and_b64 s[0:1], vcc, exec
.LBB440_86:
	s_or_b64 exec, exec, s[8:9]
	v_or_b32_e32 v19, 14, v17
	v_cmp_gt_u32_e32 vcc, s7, v19
	s_and_saveexec_b64 s[8:9], vcc
	s_cbranch_execz .LBB440_88
; %bb.87:
	s_mov_b32 s2, 0x66666667
	v_mul_hi_i32 v19, v4, s2
	v_mul_hi_i32 v20, v1, s2
	v_lshrrev_b32_e32 v21, 31, v19
	v_ashrrev_i32_e32 v19, 2, v19
	v_lshrrev_b32_e32 v22, 31, v20
	v_ashrrev_i32_e32 v20, 2, v20
	v_add_u32_e32 v19, v19, v21
	v_add_u32_e32 v20, v20, v22
	v_cmp_ne_u32_e32 vcc, v19, v20
	s_and_b64 s[2:3], vcc, exec
.LBB440_88:
	s_or_b64 exec, exec, s[8:9]
	v_or_b32_e32 v19, 13, v17
	v_cmp_gt_u32_e32 vcc, s7, v19
	s_mov_b64 s[10:11], 0
	s_mov_b64 s[8:9], 0
	s_and_saveexec_b64 s[12:13], vcc
	s_cbranch_execz .LBB440_90
; %bb.89:
	s_mov_b32 s8, 0x66666667
	v_mul_hi_i32 v19, v3, s8
	v_mul_hi_i32 v20, v4, s8
	v_lshrrev_b32_e32 v21, 31, v19
	v_ashrrev_i32_e32 v19, 2, v19
	v_lshrrev_b32_e32 v22, 31, v20
	v_ashrrev_i32_e32 v20, 2, v20
	v_add_u32_e32 v19, v19, v21
	v_add_u32_e32 v20, v20, v22
	v_cmp_ne_u32_e32 vcc, v19, v20
	s_and_b64 s[8:9], vcc, exec
.LBB440_90:
	s_or_b64 exec, exec, s[12:13]
	v_or_b32_e32 v19, 12, v17
	v_cmp_gt_u32_e32 vcc, s7, v19
	s_and_saveexec_b64 s[12:13], vcc
	s_cbranch_execz .LBB440_92
; %bb.91:
	s_mov_b32 s10, 0x66666667
	v_mul_hi_i32 v19, v6, s10
	v_mul_hi_i32 v20, v3, s10
	v_lshrrev_b32_e32 v21, 31, v19
	v_ashrrev_i32_e32 v19, 2, v19
	v_lshrrev_b32_e32 v22, 31, v20
	v_ashrrev_i32_e32 v20, 2, v20
	v_add_u32_e32 v19, v19, v21
	v_add_u32_e32 v20, v20, v22
	v_cmp_ne_u32_e32 vcc, v19, v20
	s_and_b64 s[10:11], vcc, exec
.LBB440_92:
	s_or_b64 exec, exec, s[12:13]
	;; [unrolled: 38-line block ×7, first 2 shown]
	v_or_b32_e32 v19, 1, v17
	v_cmp_gt_u32_e32 vcc, s7, v19
	s_mov_b64 s[34:35], 0
	s_and_saveexec_b64 s[50:51], vcc
	s_cbranch_execz .LBB440_114
; %bb.113:
	s_mov_b32 s33, 0x66666667
	v_mul_hi_i32 v19, v15, s33
	v_mul_hi_i32 v20, v16, s33
	v_lshrrev_b32_e32 v21, 31, v19
	v_ashrrev_i32_e32 v19, 2, v19
	v_lshrrev_b32_e32 v22, 31, v20
	v_ashrrev_i32_e32 v20, 2, v20
	v_add_u32_e32 v19, v19, v21
	v_add_u32_e32 v20, v20, v22
	v_cmp_ne_u32_e32 vcc, v19, v20
	s_and_b64 s[34:35], vcc, exec
.LBB440_114:
	s_or_b64 exec, exec, s[50:51]
	v_cmp_ne_u32_e32 vcc, 0, v0
	s_waitcnt lgkmcnt(0)
	s_barrier
                                        ; implicit-def: $sgpr50_sgpr51
	s_and_saveexec_b64 s[52:53], vcc
	s_cbranch_execz .LBB440_118
; %bb.115:
	v_cmp_gt_u32_e32 vcc, s7, v17
	s_mov_b64 s[50:51], 0
	s_and_saveexec_b64 s[54:55], vcc
	s_cbranch_execz .LBB440_117
; %bb.116:
	v_add_u32_e32 v18, -4, v18
	ds_read_b32 v18, v18
	s_mov_b32 s33, 0x66666667
	v_mul_hi_i32 v19, v15, s33
	s_waitcnt lgkmcnt(0)
	v_mul_hi_i32 v18, v18, s33
	v_lshrrev_b32_e32 v20, 31, v19
	v_ashrrev_i32_e32 v19, 2, v19
	v_add_u32_e32 v19, v19, v20
	v_lshrrev_b32_e32 v21, 31, v18
	v_ashrrev_i32_e32 v18, 2, v18
	v_add_u32_e32 v18, v18, v21
	v_cmp_ne_u32_e32 vcc, v18, v19
	s_and_b64 s[50:51], vcc, exec
.LBB440_117:
	s_or_b64 exec, exec, s[54:55]
	s_or_b64 s[48:49], s[48:49], exec
.LBB440_118:
	s_or_b64 exec, exec, s[52:53]
	v_cndmask_b32_e64 v64, 0, 1, s[30:31]
	v_cndmask_b32_e64 v63, 0, 1, s[28:29]
	;; [unrolled: 1-line block ×15, first 2 shown]
.LBB440_119:
	v_mov_b32_e32 v28, 1
	s_and_saveexec_b64 s[0:1], s[48:49]
; %bb.120:
	v_cndmask_b32_e64 v28, 0, 1, s[50:51]
; %bb.121:
	s_or_b64 exec, exec, s[0:1]
	s_load_dwordx2 s[22:23], s[4:5], 0x60
	s_andn2_b64 vcc, exec, s[44:45]
	s_cbranch_vccnz .LBB440_123
; %bb.122:
	v_cmp_gt_u32_e32 vcc, s7, v17
	s_waitcnt vmcnt(0) lgkmcnt(0)
	v_or_b32_e32 v18, 1, v17
	v_cndmask_b32_e32 v28, 0, v28, vcc
	v_cmp_gt_u32_e32 vcc, s7, v18
	v_or_b32_e32 v18, 2, v17
	v_cndmask_b32_e32 v65, 0, v65, vcc
	v_cmp_gt_u32_e32 vcc, s7, v18
	;; [unrolled: 3-line block ×15, first 2 shown]
	v_cndmask_b32_e32 v51, 0, v51, vcc
.LBB440_123:
	v_and_b32_e32 v37, 0xff, v63
	v_and_b32_e32 v39, 0xff, v62
	s_waitcnt vmcnt(0) lgkmcnt(0)
	v_add_u32_sdwa v18, v61, v60 dst_sel:DWORD dst_unused:UNUSED_PAD src0_sel:BYTE_0 src1_sel:BYTE_0
	v_and_b32_e32 v33, 0xff, v65
	v_and_b32_e32 v35, 0xff, v64
	v_add3_u32 v18, v18, v39, v37
	v_and_b32_e32 v31, 0xffff, v28
	v_and_b32_e32 v27, 0xff, v59
	v_add3_u32 v18, v18, v35, v33
	;; [unrolled: 3-line block ×6, first 2 shown]
	v_add3_u32 v44, v18, v40, v17
	v_mbcnt_lo_u32_b32 v17, -1, 0
	v_mbcnt_hi_u32_b32 v41, -1, v17
	v_and_b32_e32 v17, 15, v41
	v_cmp_eq_u32_e64 s[14:15], 0, v17
	v_cmp_lt_u32_e64 s[12:13], 1, v17
	v_cmp_lt_u32_e64 s[10:11], 3, v17
	;; [unrolled: 1-line block ×3, first 2 shown]
	v_and_b32_e32 v17, 16, v41
	v_cmp_eq_u32_e64 s[18:19], 0, v17
	v_or_b32_e32 v17, 63, v0
	v_cmp_lt_u32_e64 s[0:1], 31, v41
	v_lshrrev_b32_e32 v42, 6, v0
	v_cmp_eq_u32_e64 s[2:3], v0, v17
	s_and_b64 vcc, exec, s[46:47]
	s_barrier
	s_cbranch_vccz .LBB440_145
; %bb.124:
	v_mov_b32_dpp v17, v44 row_shr:1 row_mask:0xf bank_mask:0xf
	v_cndmask_b32_e64 v17, v17, 0, s[14:15]
	v_add_u32_e32 v17, v17, v44
	s_nop 1
	v_mov_b32_dpp v18, v17 row_shr:2 row_mask:0xf bank_mask:0xf
	v_cndmask_b32_e64 v18, 0, v18, s[12:13]
	v_add_u32_e32 v17, v17, v18
	s_nop 1
	;; [unrolled: 4-line block ×4, first 2 shown]
	v_mov_b32_dpp v18, v17 row_bcast:15 row_mask:0xf bank_mask:0xf
	v_cndmask_b32_e64 v18, v18, 0, s[18:19]
	v_add_u32_e32 v17, v17, v18
	s_nop 1
	v_mov_b32_dpp v18, v17 row_bcast:31 row_mask:0xf bank_mask:0xf
	v_cndmask_b32_e64 v18, 0, v18, s[0:1]
	v_add_u32_e32 v17, v17, v18
	s_and_saveexec_b64 s[16:17], s[2:3]
; %bb.125:
	v_lshlrev_b32_e32 v18, 2, v42
	ds_write_b32 v18, v17
; %bb.126:
	s_or_b64 exec, exec, s[16:17]
	v_cmp_gt_u32_e32 vcc, 4, v0
	s_waitcnt lgkmcnt(0)
	s_barrier
	s_and_saveexec_b64 s[16:17], vcc
	s_cbranch_execz .LBB440_128
; %bb.127:
	v_lshlrev_b32_e32 v18, 2, v0
	ds_read_b32 v19, v18
	v_and_b32_e32 v20, 3, v41
	v_cmp_ne_u32_e32 vcc, 0, v20
	s_waitcnt lgkmcnt(0)
	v_mov_b32_dpp v21, v19 row_shr:1 row_mask:0xf bank_mask:0xf
	v_cndmask_b32_e32 v21, 0, v21, vcc
	v_add_u32_e32 v19, v21, v19
	v_cmp_lt_u32_e32 vcc, 1, v20
	s_nop 0
	v_mov_b32_dpp v21, v19 row_shr:2 row_mask:0xf bank_mask:0xf
	v_cndmask_b32_e32 v20, 0, v21, vcc
	v_add_u32_e32 v19, v19, v20
	ds_write_b32 v18, v19
.LBB440_128:
	s_or_b64 exec, exec, s[16:17]
	v_cmp_gt_u32_e32 vcc, 64, v0
	v_cmp_lt_u32_e64 s[16:17], 63, v0
	s_waitcnt lgkmcnt(0)
	s_barrier
                                        ; implicit-def: $vgpr43
	s_and_saveexec_b64 s[20:21], s[16:17]
	s_cbranch_execz .LBB440_130
; %bb.129:
	v_lshl_add_u32 v18, v42, 2, -4
	ds_read_b32 v43, v18
	s_waitcnt lgkmcnt(0)
	v_add_u32_e32 v17, v43, v17
.LBB440_130:
	s_or_b64 exec, exec, s[20:21]
	v_subrev_co_u32_e64 v18, s[16:17], 1, v41
	v_and_b32_e32 v19, 64, v41
	v_cmp_lt_i32_e64 s[20:21], v18, v19
	v_cndmask_b32_e64 v18, v18, v41, s[20:21]
	v_lshlrev_b32_e32 v18, 2, v18
	ds_bpermute_b32 v45, v18, v17
	s_and_saveexec_b64 s[20:21], vcc
	s_cbranch_execz .LBB440_150
; %bb.131:
	v_mov_b32_e32 v23, 0
	ds_read_b32 v17, v23 offset:12
	s_and_saveexec_b64 s[24:25], s[16:17]
	s_cbranch_execz .LBB440_133
; %bb.132:
	s_add_i32 s26, s6, 64
	s_mov_b32 s27, 0
	s_lshl_b64 s[26:27], s[26:27], 3
	s_add_u32 s26, s22, s26
	v_mov_b32_e32 v18, 1
	s_addc_u32 s27, s23, s27
	s_waitcnt lgkmcnt(0)
	global_store_dwordx2 v23, v[17:18], s[26:27]
.LBB440_133:
	s_or_b64 exec, exec, s[24:25]
	v_xad_u32 v19, v41, -1, s6
	v_add_u32_e32 v22, 64, v19
	v_lshlrev_b64 v[20:21], 3, v[22:23]
	v_mov_b32_e32 v18, s23
	v_add_co_u32_e32 v24, vcc, s22, v20
	v_addc_co_u32_e32 v25, vcc, v18, v21, vcc
	global_load_dwordx2 v[21:22], v[24:25], off glc
	s_waitcnt vmcnt(0)
	v_cmp_eq_u16_sdwa s[26:27], v22, v23 src0_sel:BYTE_0 src1_sel:DWORD
	s_and_saveexec_b64 s[24:25], s[26:27]
	s_cbranch_execz .LBB440_137
; %bb.134:
	s_mov_b64 s[26:27], 0
	v_mov_b32_e32 v18, 0
.LBB440_135:                            ; =>This Inner Loop Header: Depth=1
	global_load_dwordx2 v[21:22], v[24:25], off glc
	s_waitcnt vmcnt(0)
	v_cmp_ne_u16_sdwa s[28:29], v22, v18 src0_sel:BYTE_0 src1_sel:DWORD
	s_or_b64 s[26:27], s[28:29], s[26:27]
	s_andn2_b64 exec, exec, s[26:27]
	s_cbranch_execnz .LBB440_135
; %bb.136:
	s_or_b64 exec, exec, s[26:27]
.LBB440_137:
	s_or_b64 exec, exec, s[24:25]
	v_and_b32_e32 v47, 63, v41
	v_mov_b32_e32 v46, 2
	v_lshlrev_b64 v[23:24], v41, -1
	v_cmp_ne_u32_e32 vcc, 63, v47
	v_cmp_eq_u16_sdwa s[24:25], v22, v46 src0_sel:BYTE_0 src1_sel:DWORD
	v_addc_co_u32_e32 v25, vcc, 0, v41, vcc
	v_and_b32_e32 v18, s25, v24
	v_lshlrev_b32_e32 v48, 2, v25
	v_or_b32_e32 v18, 0x80000000, v18
	ds_bpermute_b32 v25, v48, v21
	v_and_b32_e32 v20, s24, v23
	v_ffbl_b32_e32 v18, v18
	v_add_u32_e32 v18, 32, v18
	v_ffbl_b32_e32 v20, v20
	v_min_u32_e32 v18, v20, v18
	v_cmp_lt_u32_e32 vcc, v47, v18
	s_waitcnt lgkmcnt(0)
	v_cndmask_b32_e32 v20, 0, v25, vcc
	v_cmp_gt_u32_e32 vcc, 62, v47
	v_add_u32_e32 v20, v20, v21
	v_cndmask_b32_e64 v21, 0, 2, vcc
	v_add_lshl_u32 v49, v21, v41, 2
	ds_bpermute_b32 v21, v49, v20
	v_add_u32_e32 v50, 2, v47
	v_cmp_le_u32_e32 vcc, v50, v18
	v_add_u32_e32 v67, 4, v47
	v_add_u32_e32 v69, 8, v47
	s_waitcnt lgkmcnt(0)
	v_cndmask_b32_e32 v21, 0, v21, vcc
	v_cmp_gt_u32_e32 vcc, 60, v47
	v_add_u32_e32 v20, v20, v21
	v_cndmask_b32_e64 v21, 0, 4, vcc
	v_add_lshl_u32 v66, v21, v41, 2
	ds_bpermute_b32 v21, v66, v20
	v_cmp_le_u32_e32 vcc, v67, v18
	v_add_u32_e32 v71, 16, v47
	v_add_u32_e32 v73, 32, v47
	s_waitcnt lgkmcnt(0)
	v_cndmask_b32_e32 v21, 0, v21, vcc
	v_cmp_gt_u32_e32 vcc, 56, v47
	v_add_u32_e32 v20, v20, v21
	v_cndmask_b32_e64 v21, 0, 8, vcc
	v_add_lshl_u32 v68, v21, v41, 2
	ds_bpermute_b32 v21, v68, v20
	v_cmp_le_u32_e32 vcc, v69, v18
	s_waitcnt lgkmcnt(0)
	v_cndmask_b32_e32 v21, 0, v21, vcc
	v_cmp_gt_u32_e32 vcc, 48, v47
	v_add_u32_e32 v20, v20, v21
	v_cndmask_b32_e64 v21, 0, 16, vcc
	v_add_lshl_u32 v70, v21, v41, 2
	ds_bpermute_b32 v21, v70, v20
	v_cmp_le_u32_e32 vcc, v71, v18
	s_waitcnt lgkmcnt(0)
	v_cndmask_b32_e32 v21, 0, v21, vcc
	v_add_u32_e32 v20, v20, v21
	v_mov_b32_e32 v21, 0x80
	v_lshl_or_b32 v72, v41, 2, v21
	ds_bpermute_b32 v21, v72, v20
	v_cmp_le_u32_e32 vcc, v73, v18
	s_waitcnt lgkmcnt(0)
	v_cndmask_b32_e32 v18, 0, v21, vcc
	v_add_u32_e32 v21, v20, v18
	v_mov_b32_e32 v20, 0
	s_branch .LBB440_140
.LBB440_138:                            ;   in Loop: Header=BB440_140 Depth=1
	s_or_b64 exec, exec, s[24:25]
	v_cmp_eq_u16_sdwa s[24:25], v22, v46 src0_sel:BYTE_0 src1_sel:DWORD
	v_and_b32_e32 v25, s25, v24
	v_or_b32_e32 v25, 0x80000000, v25
	ds_bpermute_b32 v74, v48, v21
	v_and_b32_e32 v26, s24, v23
	v_ffbl_b32_e32 v25, v25
	v_add_u32_e32 v25, 32, v25
	v_ffbl_b32_e32 v26, v26
	v_min_u32_e32 v25, v26, v25
	v_cmp_lt_u32_e32 vcc, v47, v25
	s_waitcnt lgkmcnt(0)
	v_cndmask_b32_e32 v26, 0, v74, vcc
	v_add_u32_e32 v21, v26, v21
	ds_bpermute_b32 v26, v49, v21
	v_cmp_le_u32_e32 vcc, v50, v25
	v_subrev_u32_e32 v19, 64, v19
	s_mov_b64 s[24:25], 0
	s_waitcnt lgkmcnt(0)
	v_cndmask_b32_e32 v26, 0, v26, vcc
	v_add_u32_e32 v21, v21, v26
	ds_bpermute_b32 v26, v66, v21
	v_cmp_le_u32_e32 vcc, v67, v25
	s_waitcnt lgkmcnt(0)
	v_cndmask_b32_e32 v26, 0, v26, vcc
	v_add_u32_e32 v21, v21, v26
	ds_bpermute_b32 v26, v68, v21
	v_cmp_le_u32_e32 vcc, v69, v25
	;; [unrolled: 5-line block ×4, first 2 shown]
	s_waitcnt lgkmcnt(0)
	v_cndmask_b32_e32 v25, 0, v26, vcc
	v_add3_u32 v21, v25, v18, v21
.LBB440_139:                            ;   in Loop: Header=BB440_140 Depth=1
	s_and_b64 vcc, exec, s[24:25]
	s_cbranch_vccnz .LBB440_146
.LBB440_140:                            ; =>This Loop Header: Depth=1
                                        ;     Child Loop BB440_143 Depth 2
	v_cmp_ne_u16_sdwa s[24:25], v22, v46 src0_sel:BYTE_0 src1_sel:DWORD
	v_mov_b32_e32 v18, v21
	s_cmp_lg_u64 s[24:25], exec
	s_mov_b64 s[24:25], -1
                                        ; implicit-def: $vgpr21
                                        ; implicit-def: $vgpr22
	s_cbranch_scc1 .LBB440_139
; %bb.141:                              ;   in Loop: Header=BB440_140 Depth=1
	v_lshlrev_b64 v[21:22], 3, v[19:20]
	v_mov_b32_e32 v26, s23
	v_add_co_u32_e32 v25, vcc, s22, v21
	v_addc_co_u32_e32 v26, vcc, v26, v22, vcc
	global_load_dwordx2 v[21:22], v[25:26], off glc
	s_waitcnt vmcnt(0)
	v_cmp_eq_u16_sdwa s[26:27], v22, v20 src0_sel:BYTE_0 src1_sel:DWORD
	s_and_saveexec_b64 s[24:25], s[26:27]
	s_cbranch_execz .LBB440_138
; %bb.142:                              ;   in Loop: Header=BB440_140 Depth=1
	s_mov_b64 s[26:27], 0
.LBB440_143:                            ;   Parent Loop BB440_140 Depth=1
                                        ; =>  This Inner Loop Header: Depth=2
	global_load_dwordx2 v[21:22], v[25:26], off glc
	s_waitcnt vmcnt(0)
	v_cmp_ne_u16_sdwa s[28:29], v22, v20 src0_sel:BYTE_0 src1_sel:DWORD
	s_or_b64 s[26:27], s[28:29], s[26:27]
	s_andn2_b64 exec, exec, s[26:27]
	s_cbranch_execnz .LBB440_143
; %bb.144:                              ;   in Loop: Header=BB440_140 Depth=1
	s_or_b64 exec, exec, s[26:27]
	s_branch .LBB440_138
.LBB440_145:
                                        ; implicit-def: $vgpr18
                                        ; implicit-def: $vgpr43
	s_load_dwordx2 s[4:5], s[4:5], 0x28
	s_cbranch_execnz .LBB440_151
	s_branch .LBB440_160
.LBB440_146:
	s_and_saveexec_b64 s[24:25], s[16:17]
	s_cbranch_execz .LBB440_148
; %bb.147:
	s_add_i32 s6, s6, 64
	s_mov_b32 s7, 0
	s_lshl_b64 s[6:7], s[6:7], 3
	s_add_u32 s6, s22, s6
	v_add_u32_e32 v19, v18, v17
	v_mov_b32_e32 v20, 2
	s_addc_u32 s7, s23, s7
	v_mov_b32_e32 v21, 0
	global_store_dwordx2 v21, v[19:20], s[6:7]
	ds_write_b64 v21, v[17:18] offset:16896
.LBB440_148:
	s_or_b64 exec, exec, s[24:25]
	v_cmp_eq_u32_e32 vcc, 0, v0
	s_and_b64 exec, exec, vcc
; %bb.149:
	v_mov_b32_e32 v17, 0
	ds_write_b32 v17, v18 offset:12
.LBB440_150:
	s_or_b64 exec, exec, s[20:21]
	v_mov_b32_e32 v17, 0
	s_waitcnt vmcnt(0) lgkmcnt(0)
	s_barrier
	ds_read_b32 v20, v17 offset:12
	s_waitcnt lgkmcnt(0)
	s_barrier
	ds_read_b64 v[17:18], v17 offset:16896
	v_cndmask_b32_e64 v19, v45, v43, s[16:17]
	v_cmp_ne_u32_e32 vcc, 0, v0
	v_cndmask_b32_e32 v19, 0, v19, vcc
	v_add_u32_e32 v43, v20, v19
	s_load_dwordx2 s[4:5], s[4:5], 0x28
	s_branch .LBB440_160
.LBB440_151:
	s_waitcnt lgkmcnt(0)
	v_mov_b32_dpp v17, v44 row_shr:1 row_mask:0xf bank_mask:0xf
	v_cndmask_b32_e64 v17, v17, 0, s[14:15]
	v_add_u32_e32 v17, v17, v44
	s_nop 1
	v_mov_b32_dpp v18, v17 row_shr:2 row_mask:0xf bank_mask:0xf
	v_cndmask_b32_e64 v18, 0, v18, s[12:13]
	v_add_u32_e32 v17, v17, v18
	s_nop 1
	v_mov_b32_dpp v18, v17 row_shr:4 row_mask:0xf bank_mask:0xf
	v_cndmask_b32_e64 v18, 0, v18, s[10:11]
	v_add_u32_e32 v17, v17, v18
	s_nop 1
	v_mov_b32_dpp v18, v17 row_shr:8 row_mask:0xf bank_mask:0xf
	v_cndmask_b32_e64 v18, 0, v18, s[8:9]
	v_add_u32_e32 v17, v17, v18
	s_nop 1
	v_mov_b32_dpp v18, v17 row_bcast:15 row_mask:0xf bank_mask:0xf
	v_cndmask_b32_e64 v18, v18, 0, s[18:19]
	v_add_u32_e32 v17, v17, v18
	s_nop 1
	v_mov_b32_dpp v18, v17 row_bcast:31 row_mask:0xf bank_mask:0xf
	v_cndmask_b32_e64 v18, 0, v18, s[0:1]
	v_add_u32_e32 v17, v17, v18
	s_and_saveexec_b64 s[0:1], s[2:3]
; %bb.152:
	v_lshlrev_b32_e32 v18, 2, v42
	ds_write_b32 v18, v17
; %bb.153:
	s_or_b64 exec, exec, s[0:1]
	v_cmp_gt_u32_e32 vcc, 4, v0
	s_waitcnt lgkmcnt(0)
	s_barrier
	s_and_saveexec_b64 s[0:1], vcc
	s_cbranch_execz .LBB440_155
; %bb.154:
	v_lshlrev_b32_e32 v18, 2, v0
	ds_read_b32 v19, v18
	v_and_b32_e32 v20, 3, v41
	v_cmp_ne_u32_e32 vcc, 0, v20
	s_waitcnt lgkmcnt(0)
	v_mov_b32_dpp v21, v19 row_shr:1 row_mask:0xf bank_mask:0xf
	v_cndmask_b32_e32 v21, 0, v21, vcc
	v_add_u32_e32 v19, v21, v19
	v_cmp_lt_u32_e32 vcc, 1, v20
	s_nop 0
	v_mov_b32_dpp v21, v19 row_shr:2 row_mask:0xf bank_mask:0xf
	v_cndmask_b32_e32 v20, 0, v21, vcc
	v_add_u32_e32 v19, v19, v20
	ds_write_b32 v18, v19
.LBB440_155:
	s_or_b64 exec, exec, s[0:1]
	v_cmp_lt_u32_e32 vcc, 63, v0
	v_mov_b32_e32 v18, 0
	v_mov_b32_e32 v19, 0
	s_waitcnt lgkmcnt(0)
	s_barrier
	s_and_saveexec_b64 s[0:1], vcc
; %bb.156:
	v_lshl_add_u32 v19, v42, 2, -4
	ds_read_b32 v19, v19
; %bb.157:
	s_or_b64 exec, exec, s[0:1]
	v_subrev_co_u32_e32 v20, vcc, 1, v41
	v_and_b32_e32 v21, 64, v41
	v_cmp_lt_i32_e64 s[0:1], v20, v21
	v_cndmask_b32_e64 v20, v20, v41, s[0:1]
	s_waitcnt lgkmcnt(0)
	v_add_u32_e32 v17, v19, v17
	v_lshlrev_b32_e32 v20, 2, v20
	ds_bpermute_b32 v20, v20, v17
	ds_read_b32 v17, v18 offset:12
	v_cmp_eq_u32_e64 s[0:1], 0, v0
	s_and_saveexec_b64 s[2:3], s[0:1]
	s_cbranch_execz .LBB440_159
; %bb.158:
	v_mov_b32_e32 v21, 0
	v_mov_b32_e32 v18, 2
	s_waitcnt lgkmcnt(0)
	global_store_dwordx2 v21, v[17:18], s[22:23] offset:512
.LBB440_159:
	s_or_b64 exec, exec, s[2:3]
	s_waitcnt lgkmcnt(1)
	v_cndmask_b32_e32 v18, v20, v19, vcc
	v_cndmask_b32_e64 v43, v18, 0, s[0:1]
	s_waitcnt vmcnt(0) lgkmcnt(0)
	s_barrier
	v_mov_b32_e32 v18, 0
.LBB440_160:
	v_add_u32_e32 v49, v43, v31
	v_add_u32_e32 v47, v49, v33
	;; [unrolled: 1-line block ×5, first 2 shown]
	v_add_u32_sdwa v37, v39, v61 dst_sel:DWORD dst_unused:UNUSED_PAD src0_sel:DWORD src1_sel:BYTE_0
	v_add_u32_sdwa v35, v37, v60 dst_sel:DWORD dst_unused:UNUSED_PAD src0_sel:DWORD src1_sel:BYTE_0
	v_add_u32_e32 v33, v35, v27
	v_add_u32_e32 v31, v33, v29
	;; [unrolled: 1-line block ×6, first 2 shown]
	s_movk_i32 s2, 0x101
	v_add_u32_e32 v21, v23, v38
	s_waitcnt lgkmcnt(0)
	v_cmp_gt_u32_e32 vcc, s2, v17
	v_add_u32_e32 v19, v21, v40
	s_mov_b64 s[0:1], -1
	v_and_b32_e32 v66, 1, v28
	s_cbranch_vccnz .LBB440_164
; %bb.161:
	s_and_b64 vcc, exec, s[0:1]
	s_cbranch_vccnz .LBB440_197
.LBB440_162:
	v_cmp_eq_u32_e32 vcc, 0, v0
	s_and_b64 s[0:1], vcc, s[40:41]
	s_and_saveexec_b64 s[2:3], s[0:1]
	s_cbranch_execnz .LBB440_233
.LBB440_163:
	s_endpgm
.LBB440_164:
	v_add_u32_e32 v20, v18, v17
	s_lshl_b64 s[0:1], s[38:39], 2
	s_add_u32 s2, s4, s0
	v_cmp_lt_u32_e32 vcc, v43, v20
	s_addc_u32 s3, s5, s1
	s_or_b64 s[0:1], s[42:43], vcc
	v_cmp_eq_u32_e32 vcc, 1, v66
	s_and_b64 s[6:7], s[0:1], vcc
	s_and_saveexec_b64 s[0:1], s[6:7]
	s_cbranch_execz .LBB440_166
; %bb.165:
	v_mov_b32_e32 v44, 0
	v_lshlrev_b64 v[67:68], 2, v[43:44]
	v_mov_b32_e32 v22, s3
	v_add_co_u32_e32 v67, vcc, s2, v67
	v_addc_co_u32_e32 v68, vcc, v22, v68, vcc
	global_store_dword v[67:68], v15, off
.LBB440_166:
	s_or_b64 exec, exec, s[0:1]
	v_cmp_lt_u32_e32 vcc, v49, v20
	v_and_b32_e32 v22, 1, v65
	s_or_b64 s[0:1], s[42:43], vcc
	v_cmp_eq_u32_e32 vcc, 1, v22
	s_and_b64 s[6:7], s[0:1], vcc
	s_and_saveexec_b64 s[0:1], s[6:7]
	s_cbranch_execz .LBB440_168
; %bb.167:
	v_mov_b32_e32 v50, 0
	v_lshlrev_b64 v[67:68], 2, v[49:50]
	v_mov_b32_e32 v22, s3
	v_add_co_u32_e32 v67, vcc, s2, v67
	v_addc_co_u32_e32 v68, vcc, v22, v68, vcc
	global_store_dword v[67:68], v16, off
.LBB440_168:
	s_or_b64 exec, exec, s[0:1]
	v_cmp_lt_u32_e32 vcc, v47, v20
	v_and_b32_e32 v22, 1, v64
	;; [unrolled: 16-line block ×15, first 2 shown]
	s_or_b64 s[0:1], s[42:43], vcc
	v_cmp_eq_u32_e32 vcc, 1, v20
	s_and_b64 s[6:7], s[0:1], vcc
	s_and_saveexec_b64 s[0:1], s[6:7]
	s_cbranch_execz .LBB440_196
; %bb.195:
	v_mov_b32_e32 v20, 0
	v_lshlrev_b64 v[67:68], 2, v[19:20]
	v_mov_b32_e32 v20, s3
	v_add_co_u32_e32 v67, vcc, s2, v67
	v_addc_co_u32_e32 v68, vcc, v20, v68, vcc
	global_store_dword v[67:68], v2, off
.LBB440_196:
	s_or_b64 exec, exec, s[0:1]
	s_branch .LBB440_162
.LBB440_197:
	v_cmp_eq_u32_e32 vcc, 1, v66
	s_and_saveexec_b64 s[0:1], vcc
; %bb.198:
	v_sub_u32_e32 v20, v43, v18
	v_lshlrev_b32_e32 v20, 2, v20
	ds_write_b32 v20, v15
; %bb.199:
	s_or_b64 exec, exec, s[0:1]
	v_and_b32_e32 v15, 1, v65
	v_cmp_eq_u32_e32 vcc, 1, v15
	s_and_saveexec_b64 s[0:1], vcc
; %bb.200:
	v_sub_u32_e32 v15, v49, v18
	v_lshlrev_b32_e32 v15, 2, v15
	ds_write_b32 v15, v16
; %bb.201:
	s_or_b64 exec, exec, s[0:1]
	v_and_b32_e32 v15, 1, v64
	;; [unrolled: 9-line block ×15, first 2 shown]
	v_cmp_eq_u32_e32 vcc, 1, v1
	s_and_saveexec_b64 s[0:1], vcc
; %bb.228:
	v_sub_u32_e32 v1, v19, v18
	v_lshlrev_b32_e32 v1, 2, v1
	ds_write_b32 v1, v2
; %bb.229:
	s_or_b64 exec, exec, s[0:1]
	v_cmp_lt_u32_e32 vcc, v0, v17
	s_waitcnt vmcnt(0) lgkmcnt(0)
	s_barrier
	s_and_saveexec_b64 s[2:3], vcc
	s_cbranch_execz .LBB440_232
; %bb.230:
	v_mov_b32_e32 v2, 0
	v_mov_b32_e32 v1, v18
	s_lshl_b64 s[0:1], s[38:39], 2
	s_add_u32 s0, s4, s0
	v_lshlrev_b64 v[3:4], 2, v[1:2]
	s_addc_u32 s1, s5, s1
	v_mov_b32_e32 v1, s1
	v_add_co_u32_e32 v3, vcc, s0, v3
	v_addc_co_u32_e32 v4, vcc, v1, v4, vcc
	v_lshlrev_b32_e32 v5, 2, v0
	s_mov_b64 s[4:5], 0
	v_mov_b32_e32 v1, v0
.LBB440_231:                            ; =>This Inner Loop Header: Depth=1
	ds_read_b32 v8, v5
	v_lshlrev_b64 v[6:7], 2, v[1:2]
	v_add_u32_e32 v1, 0x100, v1
	v_cmp_ge_u32_e32 vcc, v1, v17
	v_add_co_u32_e64 v6, s[0:1], v3, v6
	v_add_u32_e32 v5, 0x400, v5
	v_addc_co_u32_e64 v7, s[0:1], v4, v7, s[0:1]
	s_or_b64 s[4:5], vcc, s[4:5]
	s_waitcnt lgkmcnt(0)
	global_store_dword v[6:7], v8, off
	s_andn2_b64 exec, exec, s[4:5]
	s_cbranch_execnz .LBB440_231
.LBB440_232:
	s_or_b64 exec, exec, s[2:3]
	v_cmp_eq_u32_e32 vcc, 0, v0
	s_and_b64 s[0:1], vcc, s[40:41]
	s_and_saveexec_b64 s[2:3], s[0:1]
	s_cbranch_execz .LBB440_163
.LBB440_233:
	v_mov_b32_e32 v0, s39
	v_add_co_u32_e32 v1, vcc, s38, v17
	v_addc_co_u32_e32 v3, vcc, 0, v0, vcc
	v_add_co_u32_e32 v0, vcc, v1, v18
	v_mov_b32_e32 v2, 0
	v_addc_co_u32_e32 v1, vcc, 0, v3, vcc
	global_store_dwordx2 v2, v[0:1], s[36:37]
	s_endpgm
	.section	.rodata,"a",@progbits
	.p2align	6, 0x0
	.amdhsa_kernel _ZN7rocprim17ROCPRIM_400000_NS6detail17trampoline_kernelINS0_14default_configENS1_25partition_config_selectorILNS1_17partition_subalgoE8EiNS0_10empty_typeEbEEZZNS1_14partition_implILS5_8ELb0ES3_jN6thrust23THRUST_200600_302600_NS6detail15normal_iteratorINSA_10device_ptrIiEEEEPS6_PKS6_NS0_5tupleIJSF_S6_EEENSJ_IJSG_SG_EEENS0_18inequality_wrapperI22is_equal_div_10_uniqueIiEEEPmJS6_EEE10hipError_tPvRmT3_T4_T5_T6_T7_T9_mT8_P12ihipStream_tbDpT10_ENKUlT_T0_E_clISt17integral_constantIbLb0EES1A_EEDaS15_S16_EUlS15_E_NS1_11comp_targetILNS1_3genE2ELNS1_11target_archE906ELNS1_3gpuE6ELNS1_3repE0EEENS1_30default_config_static_selectorELNS0_4arch9wavefront6targetE1EEEvT1_
		.amdhsa_group_segment_fixed_size 16904
		.amdhsa_private_segment_fixed_size 0
		.amdhsa_kernarg_size 112
		.amdhsa_user_sgpr_count 6
		.amdhsa_user_sgpr_private_segment_buffer 1
		.amdhsa_user_sgpr_dispatch_ptr 0
		.amdhsa_user_sgpr_queue_ptr 0
		.amdhsa_user_sgpr_kernarg_segment_ptr 1
		.amdhsa_user_sgpr_dispatch_id 0
		.amdhsa_user_sgpr_flat_scratch_init 0
		.amdhsa_user_sgpr_private_segment_size 0
		.amdhsa_uses_dynamic_stack 0
		.amdhsa_system_sgpr_private_segment_wavefront_offset 0
		.amdhsa_system_sgpr_workgroup_id_x 1
		.amdhsa_system_sgpr_workgroup_id_y 0
		.amdhsa_system_sgpr_workgroup_id_z 0
		.amdhsa_system_sgpr_workgroup_info 0
		.amdhsa_system_vgpr_workitem_id 0
		.amdhsa_next_free_vgpr 75
		.amdhsa_next_free_sgpr 98
		.amdhsa_reserve_vcc 1
		.amdhsa_reserve_flat_scratch 0
		.amdhsa_float_round_mode_32 0
		.amdhsa_float_round_mode_16_64 0
		.amdhsa_float_denorm_mode_32 3
		.amdhsa_float_denorm_mode_16_64 3
		.amdhsa_dx10_clamp 1
		.amdhsa_ieee_mode 1
		.amdhsa_fp16_overflow 0
		.amdhsa_exception_fp_ieee_invalid_op 0
		.amdhsa_exception_fp_denorm_src 0
		.amdhsa_exception_fp_ieee_div_zero 0
		.amdhsa_exception_fp_ieee_overflow 0
		.amdhsa_exception_fp_ieee_underflow 0
		.amdhsa_exception_fp_ieee_inexact 0
		.amdhsa_exception_int_div_zero 0
	.end_amdhsa_kernel
	.section	.text._ZN7rocprim17ROCPRIM_400000_NS6detail17trampoline_kernelINS0_14default_configENS1_25partition_config_selectorILNS1_17partition_subalgoE8EiNS0_10empty_typeEbEEZZNS1_14partition_implILS5_8ELb0ES3_jN6thrust23THRUST_200600_302600_NS6detail15normal_iteratorINSA_10device_ptrIiEEEEPS6_PKS6_NS0_5tupleIJSF_S6_EEENSJ_IJSG_SG_EEENS0_18inequality_wrapperI22is_equal_div_10_uniqueIiEEEPmJS6_EEE10hipError_tPvRmT3_T4_T5_T6_T7_T9_mT8_P12ihipStream_tbDpT10_ENKUlT_T0_E_clISt17integral_constantIbLb0EES1A_EEDaS15_S16_EUlS15_E_NS1_11comp_targetILNS1_3genE2ELNS1_11target_archE906ELNS1_3gpuE6ELNS1_3repE0EEENS1_30default_config_static_selectorELNS0_4arch9wavefront6targetE1EEEvT1_,"axG",@progbits,_ZN7rocprim17ROCPRIM_400000_NS6detail17trampoline_kernelINS0_14default_configENS1_25partition_config_selectorILNS1_17partition_subalgoE8EiNS0_10empty_typeEbEEZZNS1_14partition_implILS5_8ELb0ES3_jN6thrust23THRUST_200600_302600_NS6detail15normal_iteratorINSA_10device_ptrIiEEEEPS6_PKS6_NS0_5tupleIJSF_S6_EEENSJ_IJSG_SG_EEENS0_18inequality_wrapperI22is_equal_div_10_uniqueIiEEEPmJS6_EEE10hipError_tPvRmT3_T4_T5_T6_T7_T9_mT8_P12ihipStream_tbDpT10_ENKUlT_T0_E_clISt17integral_constantIbLb0EES1A_EEDaS15_S16_EUlS15_E_NS1_11comp_targetILNS1_3genE2ELNS1_11target_archE906ELNS1_3gpuE6ELNS1_3repE0EEENS1_30default_config_static_selectorELNS0_4arch9wavefront6targetE1EEEvT1_,comdat
.Lfunc_end440:
	.size	_ZN7rocprim17ROCPRIM_400000_NS6detail17trampoline_kernelINS0_14default_configENS1_25partition_config_selectorILNS1_17partition_subalgoE8EiNS0_10empty_typeEbEEZZNS1_14partition_implILS5_8ELb0ES3_jN6thrust23THRUST_200600_302600_NS6detail15normal_iteratorINSA_10device_ptrIiEEEEPS6_PKS6_NS0_5tupleIJSF_S6_EEENSJ_IJSG_SG_EEENS0_18inequality_wrapperI22is_equal_div_10_uniqueIiEEEPmJS6_EEE10hipError_tPvRmT3_T4_T5_T6_T7_T9_mT8_P12ihipStream_tbDpT10_ENKUlT_T0_E_clISt17integral_constantIbLb0EES1A_EEDaS15_S16_EUlS15_E_NS1_11comp_targetILNS1_3genE2ELNS1_11target_archE906ELNS1_3gpuE6ELNS1_3repE0EEENS1_30default_config_static_selectorELNS0_4arch9wavefront6targetE1EEEvT1_, .Lfunc_end440-_ZN7rocprim17ROCPRIM_400000_NS6detail17trampoline_kernelINS0_14default_configENS1_25partition_config_selectorILNS1_17partition_subalgoE8EiNS0_10empty_typeEbEEZZNS1_14partition_implILS5_8ELb0ES3_jN6thrust23THRUST_200600_302600_NS6detail15normal_iteratorINSA_10device_ptrIiEEEEPS6_PKS6_NS0_5tupleIJSF_S6_EEENSJ_IJSG_SG_EEENS0_18inequality_wrapperI22is_equal_div_10_uniqueIiEEEPmJS6_EEE10hipError_tPvRmT3_T4_T5_T6_T7_T9_mT8_P12ihipStream_tbDpT10_ENKUlT_T0_E_clISt17integral_constantIbLb0EES1A_EEDaS15_S16_EUlS15_E_NS1_11comp_targetILNS1_3genE2ELNS1_11target_archE906ELNS1_3gpuE6ELNS1_3repE0EEENS1_30default_config_static_selectorELNS0_4arch9wavefront6targetE1EEEvT1_
                                        ; -- End function
	.set _ZN7rocprim17ROCPRIM_400000_NS6detail17trampoline_kernelINS0_14default_configENS1_25partition_config_selectorILNS1_17partition_subalgoE8EiNS0_10empty_typeEbEEZZNS1_14partition_implILS5_8ELb0ES3_jN6thrust23THRUST_200600_302600_NS6detail15normal_iteratorINSA_10device_ptrIiEEEEPS6_PKS6_NS0_5tupleIJSF_S6_EEENSJ_IJSG_SG_EEENS0_18inequality_wrapperI22is_equal_div_10_uniqueIiEEEPmJS6_EEE10hipError_tPvRmT3_T4_T5_T6_T7_T9_mT8_P12ihipStream_tbDpT10_ENKUlT_T0_E_clISt17integral_constantIbLb0EES1A_EEDaS15_S16_EUlS15_E_NS1_11comp_targetILNS1_3genE2ELNS1_11target_archE906ELNS1_3gpuE6ELNS1_3repE0EEENS1_30default_config_static_selectorELNS0_4arch9wavefront6targetE1EEEvT1_.num_vgpr, 75
	.set _ZN7rocprim17ROCPRIM_400000_NS6detail17trampoline_kernelINS0_14default_configENS1_25partition_config_selectorILNS1_17partition_subalgoE8EiNS0_10empty_typeEbEEZZNS1_14partition_implILS5_8ELb0ES3_jN6thrust23THRUST_200600_302600_NS6detail15normal_iteratorINSA_10device_ptrIiEEEEPS6_PKS6_NS0_5tupleIJSF_S6_EEENSJ_IJSG_SG_EEENS0_18inequality_wrapperI22is_equal_div_10_uniqueIiEEEPmJS6_EEE10hipError_tPvRmT3_T4_T5_T6_T7_T9_mT8_P12ihipStream_tbDpT10_ENKUlT_T0_E_clISt17integral_constantIbLb0EES1A_EEDaS15_S16_EUlS15_E_NS1_11comp_targetILNS1_3genE2ELNS1_11target_archE906ELNS1_3gpuE6ELNS1_3repE0EEENS1_30default_config_static_selectorELNS0_4arch9wavefront6targetE1EEEvT1_.num_agpr, 0
	.set _ZN7rocprim17ROCPRIM_400000_NS6detail17trampoline_kernelINS0_14default_configENS1_25partition_config_selectorILNS1_17partition_subalgoE8EiNS0_10empty_typeEbEEZZNS1_14partition_implILS5_8ELb0ES3_jN6thrust23THRUST_200600_302600_NS6detail15normal_iteratorINSA_10device_ptrIiEEEEPS6_PKS6_NS0_5tupleIJSF_S6_EEENSJ_IJSG_SG_EEENS0_18inequality_wrapperI22is_equal_div_10_uniqueIiEEEPmJS6_EEE10hipError_tPvRmT3_T4_T5_T6_T7_T9_mT8_P12ihipStream_tbDpT10_ENKUlT_T0_E_clISt17integral_constantIbLb0EES1A_EEDaS15_S16_EUlS15_E_NS1_11comp_targetILNS1_3genE2ELNS1_11target_archE906ELNS1_3gpuE6ELNS1_3repE0EEENS1_30default_config_static_selectorELNS0_4arch9wavefront6targetE1EEEvT1_.numbered_sgpr, 56
	.set _ZN7rocprim17ROCPRIM_400000_NS6detail17trampoline_kernelINS0_14default_configENS1_25partition_config_selectorILNS1_17partition_subalgoE8EiNS0_10empty_typeEbEEZZNS1_14partition_implILS5_8ELb0ES3_jN6thrust23THRUST_200600_302600_NS6detail15normal_iteratorINSA_10device_ptrIiEEEEPS6_PKS6_NS0_5tupleIJSF_S6_EEENSJ_IJSG_SG_EEENS0_18inequality_wrapperI22is_equal_div_10_uniqueIiEEEPmJS6_EEE10hipError_tPvRmT3_T4_T5_T6_T7_T9_mT8_P12ihipStream_tbDpT10_ENKUlT_T0_E_clISt17integral_constantIbLb0EES1A_EEDaS15_S16_EUlS15_E_NS1_11comp_targetILNS1_3genE2ELNS1_11target_archE906ELNS1_3gpuE6ELNS1_3repE0EEENS1_30default_config_static_selectorELNS0_4arch9wavefront6targetE1EEEvT1_.num_named_barrier, 0
	.set _ZN7rocprim17ROCPRIM_400000_NS6detail17trampoline_kernelINS0_14default_configENS1_25partition_config_selectorILNS1_17partition_subalgoE8EiNS0_10empty_typeEbEEZZNS1_14partition_implILS5_8ELb0ES3_jN6thrust23THRUST_200600_302600_NS6detail15normal_iteratorINSA_10device_ptrIiEEEEPS6_PKS6_NS0_5tupleIJSF_S6_EEENSJ_IJSG_SG_EEENS0_18inequality_wrapperI22is_equal_div_10_uniqueIiEEEPmJS6_EEE10hipError_tPvRmT3_T4_T5_T6_T7_T9_mT8_P12ihipStream_tbDpT10_ENKUlT_T0_E_clISt17integral_constantIbLb0EES1A_EEDaS15_S16_EUlS15_E_NS1_11comp_targetILNS1_3genE2ELNS1_11target_archE906ELNS1_3gpuE6ELNS1_3repE0EEENS1_30default_config_static_selectorELNS0_4arch9wavefront6targetE1EEEvT1_.private_seg_size, 0
	.set _ZN7rocprim17ROCPRIM_400000_NS6detail17trampoline_kernelINS0_14default_configENS1_25partition_config_selectorILNS1_17partition_subalgoE8EiNS0_10empty_typeEbEEZZNS1_14partition_implILS5_8ELb0ES3_jN6thrust23THRUST_200600_302600_NS6detail15normal_iteratorINSA_10device_ptrIiEEEEPS6_PKS6_NS0_5tupleIJSF_S6_EEENSJ_IJSG_SG_EEENS0_18inequality_wrapperI22is_equal_div_10_uniqueIiEEEPmJS6_EEE10hipError_tPvRmT3_T4_T5_T6_T7_T9_mT8_P12ihipStream_tbDpT10_ENKUlT_T0_E_clISt17integral_constantIbLb0EES1A_EEDaS15_S16_EUlS15_E_NS1_11comp_targetILNS1_3genE2ELNS1_11target_archE906ELNS1_3gpuE6ELNS1_3repE0EEENS1_30default_config_static_selectorELNS0_4arch9wavefront6targetE1EEEvT1_.uses_vcc, 1
	.set _ZN7rocprim17ROCPRIM_400000_NS6detail17trampoline_kernelINS0_14default_configENS1_25partition_config_selectorILNS1_17partition_subalgoE8EiNS0_10empty_typeEbEEZZNS1_14partition_implILS5_8ELb0ES3_jN6thrust23THRUST_200600_302600_NS6detail15normal_iteratorINSA_10device_ptrIiEEEEPS6_PKS6_NS0_5tupleIJSF_S6_EEENSJ_IJSG_SG_EEENS0_18inequality_wrapperI22is_equal_div_10_uniqueIiEEEPmJS6_EEE10hipError_tPvRmT3_T4_T5_T6_T7_T9_mT8_P12ihipStream_tbDpT10_ENKUlT_T0_E_clISt17integral_constantIbLb0EES1A_EEDaS15_S16_EUlS15_E_NS1_11comp_targetILNS1_3genE2ELNS1_11target_archE906ELNS1_3gpuE6ELNS1_3repE0EEENS1_30default_config_static_selectorELNS0_4arch9wavefront6targetE1EEEvT1_.uses_flat_scratch, 0
	.set _ZN7rocprim17ROCPRIM_400000_NS6detail17trampoline_kernelINS0_14default_configENS1_25partition_config_selectorILNS1_17partition_subalgoE8EiNS0_10empty_typeEbEEZZNS1_14partition_implILS5_8ELb0ES3_jN6thrust23THRUST_200600_302600_NS6detail15normal_iteratorINSA_10device_ptrIiEEEEPS6_PKS6_NS0_5tupleIJSF_S6_EEENSJ_IJSG_SG_EEENS0_18inequality_wrapperI22is_equal_div_10_uniqueIiEEEPmJS6_EEE10hipError_tPvRmT3_T4_T5_T6_T7_T9_mT8_P12ihipStream_tbDpT10_ENKUlT_T0_E_clISt17integral_constantIbLb0EES1A_EEDaS15_S16_EUlS15_E_NS1_11comp_targetILNS1_3genE2ELNS1_11target_archE906ELNS1_3gpuE6ELNS1_3repE0EEENS1_30default_config_static_selectorELNS0_4arch9wavefront6targetE1EEEvT1_.has_dyn_sized_stack, 0
	.set _ZN7rocprim17ROCPRIM_400000_NS6detail17trampoline_kernelINS0_14default_configENS1_25partition_config_selectorILNS1_17partition_subalgoE8EiNS0_10empty_typeEbEEZZNS1_14partition_implILS5_8ELb0ES3_jN6thrust23THRUST_200600_302600_NS6detail15normal_iteratorINSA_10device_ptrIiEEEEPS6_PKS6_NS0_5tupleIJSF_S6_EEENSJ_IJSG_SG_EEENS0_18inequality_wrapperI22is_equal_div_10_uniqueIiEEEPmJS6_EEE10hipError_tPvRmT3_T4_T5_T6_T7_T9_mT8_P12ihipStream_tbDpT10_ENKUlT_T0_E_clISt17integral_constantIbLb0EES1A_EEDaS15_S16_EUlS15_E_NS1_11comp_targetILNS1_3genE2ELNS1_11target_archE906ELNS1_3gpuE6ELNS1_3repE0EEENS1_30default_config_static_selectorELNS0_4arch9wavefront6targetE1EEEvT1_.has_recursion, 0
	.set _ZN7rocprim17ROCPRIM_400000_NS6detail17trampoline_kernelINS0_14default_configENS1_25partition_config_selectorILNS1_17partition_subalgoE8EiNS0_10empty_typeEbEEZZNS1_14partition_implILS5_8ELb0ES3_jN6thrust23THRUST_200600_302600_NS6detail15normal_iteratorINSA_10device_ptrIiEEEEPS6_PKS6_NS0_5tupleIJSF_S6_EEENSJ_IJSG_SG_EEENS0_18inequality_wrapperI22is_equal_div_10_uniqueIiEEEPmJS6_EEE10hipError_tPvRmT3_T4_T5_T6_T7_T9_mT8_P12ihipStream_tbDpT10_ENKUlT_T0_E_clISt17integral_constantIbLb0EES1A_EEDaS15_S16_EUlS15_E_NS1_11comp_targetILNS1_3genE2ELNS1_11target_archE906ELNS1_3gpuE6ELNS1_3repE0EEENS1_30default_config_static_selectorELNS0_4arch9wavefront6targetE1EEEvT1_.has_indirect_call, 0
	.section	.AMDGPU.csdata,"",@progbits
; Kernel info:
; codeLenInByte = 10664
; TotalNumSgprs: 60
; NumVgprs: 75
; ScratchSize: 0
; MemoryBound: 0
; FloatMode: 240
; IeeeMode: 1
; LDSByteSize: 16904 bytes/workgroup (compile time only)
; SGPRBlocks: 12
; VGPRBlocks: 18
; NumSGPRsForWavesPerEU: 102
; NumVGPRsForWavesPerEU: 75
; Occupancy: 3
; WaveLimiterHint : 1
; COMPUTE_PGM_RSRC2:SCRATCH_EN: 0
; COMPUTE_PGM_RSRC2:USER_SGPR: 6
; COMPUTE_PGM_RSRC2:TRAP_HANDLER: 0
; COMPUTE_PGM_RSRC2:TGID_X_EN: 1
; COMPUTE_PGM_RSRC2:TGID_Y_EN: 0
; COMPUTE_PGM_RSRC2:TGID_Z_EN: 0
; COMPUTE_PGM_RSRC2:TIDIG_COMP_CNT: 0
	.section	.text._ZN7rocprim17ROCPRIM_400000_NS6detail17trampoline_kernelINS0_14default_configENS1_25partition_config_selectorILNS1_17partition_subalgoE8EiNS0_10empty_typeEbEEZZNS1_14partition_implILS5_8ELb0ES3_jN6thrust23THRUST_200600_302600_NS6detail15normal_iteratorINSA_10device_ptrIiEEEEPS6_PKS6_NS0_5tupleIJSF_S6_EEENSJ_IJSG_SG_EEENS0_18inequality_wrapperI22is_equal_div_10_uniqueIiEEEPmJS6_EEE10hipError_tPvRmT3_T4_T5_T6_T7_T9_mT8_P12ihipStream_tbDpT10_ENKUlT_T0_E_clISt17integral_constantIbLb0EES1A_EEDaS15_S16_EUlS15_E_NS1_11comp_targetILNS1_3genE10ELNS1_11target_archE1200ELNS1_3gpuE4ELNS1_3repE0EEENS1_30default_config_static_selectorELNS0_4arch9wavefront6targetE1EEEvT1_,"axG",@progbits,_ZN7rocprim17ROCPRIM_400000_NS6detail17trampoline_kernelINS0_14default_configENS1_25partition_config_selectorILNS1_17partition_subalgoE8EiNS0_10empty_typeEbEEZZNS1_14partition_implILS5_8ELb0ES3_jN6thrust23THRUST_200600_302600_NS6detail15normal_iteratorINSA_10device_ptrIiEEEEPS6_PKS6_NS0_5tupleIJSF_S6_EEENSJ_IJSG_SG_EEENS0_18inequality_wrapperI22is_equal_div_10_uniqueIiEEEPmJS6_EEE10hipError_tPvRmT3_T4_T5_T6_T7_T9_mT8_P12ihipStream_tbDpT10_ENKUlT_T0_E_clISt17integral_constantIbLb0EES1A_EEDaS15_S16_EUlS15_E_NS1_11comp_targetILNS1_3genE10ELNS1_11target_archE1200ELNS1_3gpuE4ELNS1_3repE0EEENS1_30default_config_static_selectorELNS0_4arch9wavefront6targetE1EEEvT1_,comdat
	.protected	_ZN7rocprim17ROCPRIM_400000_NS6detail17trampoline_kernelINS0_14default_configENS1_25partition_config_selectorILNS1_17partition_subalgoE8EiNS0_10empty_typeEbEEZZNS1_14partition_implILS5_8ELb0ES3_jN6thrust23THRUST_200600_302600_NS6detail15normal_iteratorINSA_10device_ptrIiEEEEPS6_PKS6_NS0_5tupleIJSF_S6_EEENSJ_IJSG_SG_EEENS0_18inequality_wrapperI22is_equal_div_10_uniqueIiEEEPmJS6_EEE10hipError_tPvRmT3_T4_T5_T6_T7_T9_mT8_P12ihipStream_tbDpT10_ENKUlT_T0_E_clISt17integral_constantIbLb0EES1A_EEDaS15_S16_EUlS15_E_NS1_11comp_targetILNS1_3genE10ELNS1_11target_archE1200ELNS1_3gpuE4ELNS1_3repE0EEENS1_30default_config_static_selectorELNS0_4arch9wavefront6targetE1EEEvT1_ ; -- Begin function _ZN7rocprim17ROCPRIM_400000_NS6detail17trampoline_kernelINS0_14default_configENS1_25partition_config_selectorILNS1_17partition_subalgoE8EiNS0_10empty_typeEbEEZZNS1_14partition_implILS5_8ELb0ES3_jN6thrust23THRUST_200600_302600_NS6detail15normal_iteratorINSA_10device_ptrIiEEEEPS6_PKS6_NS0_5tupleIJSF_S6_EEENSJ_IJSG_SG_EEENS0_18inequality_wrapperI22is_equal_div_10_uniqueIiEEEPmJS6_EEE10hipError_tPvRmT3_T4_T5_T6_T7_T9_mT8_P12ihipStream_tbDpT10_ENKUlT_T0_E_clISt17integral_constantIbLb0EES1A_EEDaS15_S16_EUlS15_E_NS1_11comp_targetILNS1_3genE10ELNS1_11target_archE1200ELNS1_3gpuE4ELNS1_3repE0EEENS1_30default_config_static_selectorELNS0_4arch9wavefront6targetE1EEEvT1_
	.globl	_ZN7rocprim17ROCPRIM_400000_NS6detail17trampoline_kernelINS0_14default_configENS1_25partition_config_selectorILNS1_17partition_subalgoE8EiNS0_10empty_typeEbEEZZNS1_14partition_implILS5_8ELb0ES3_jN6thrust23THRUST_200600_302600_NS6detail15normal_iteratorINSA_10device_ptrIiEEEEPS6_PKS6_NS0_5tupleIJSF_S6_EEENSJ_IJSG_SG_EEENS0_18inequality_wrapperI22is_equal_div_10_uniqueIiEEEPmJS6_EEE10hipError_tPvRmT3_T4_T5_T6_T7_T9_mT8_P12ihipStream_tbDpT10_ENKUlT_T0_E_clISt17integral_constantIbLb0EES1A_EEDaS15_S16_EUlS15_E_NS1_11comp_targetILNS1_3genE10ELNS1_11target_archE1200ELNS1_3gpuE4ELNS1_3repE0EEENS1_30default_config_static_selectorELNS0_4arch9wavefront6targetE1EEEvT1_
	.p2align	8
	.type	_ZN7rocprim17ROCPRIM_400000_NS6detail17trampoline_kernelINS0_14default_configENS1_25partition_config_selectorILNS1_17partition_subalgoE8EiNS0_10empty_typeEbEEZZNS1_14partition_implILS5_8ELb0ES3_jN6thrust23THRUST_200600_302600_NS6detail15normal_iteratorINSA_10device_ptrIiEEEEPS6_PKS6_NS0_5tupleIJSF_S6_EEENSJ_IJSG_SG_EEENS0_18inequality_wrapperI22is_equal_div_10_uniqueIiEEEPmJS6_EEE10hipError_tPvRmT3_T4_T5_T6_T7_T9_mT8_P12ihipStream_tbDpT10_ENKUlT_T0_E_clISt17integral_constantIbLb0EES1A_EEDaS15_S16_EUlS15_E_NS1_11comp_targetILNS1_3genE10ELNS1_11target_archE1200ELNS1_3gpuE4ELNS1_3repE0EEENS1_30default_config_static_selectorELNS0_4arch9wavefront6targetE1EEEvT1_,@function
_ZN7rocprim17ROCPRIM_400000_NS6detail17trampoline_kernelINS0_14default_configENS1_25partition_config_selectorILNS1_17partition_subalgoE8EiNS0_10empty_typeEbEEZZNS1_14partition_implILS5_8ELb0ES3_jN6thrust23THRUST_200600_302600_NS6detail15normal_iteratorINSA_10device_ptrIiEEEEPS6_PKS6_NS0_5tupleIJSF_S6_EEENSJ_IJSG_SG_EEENS0_18inequality_wrapperI22is_equal_div_10_uniqueIiEEEPmJS6_EEE10hipError_tPvRmT3_T4_T5_T6_T7_T9_mT8_P12ihipStream_tbDpT10_ENKUlT_T0_E_clISt17integral_constantIbLb0EES1A_EEDaS15_S16_EUlS15_E_NS1_11comp_targetILNS1_3genE10ELNS1_11target_archE1200ELNS1_3gpuE4ELNS1_3repE0EEENS1_30default_config_static_selectorELNS0_4arch9wavefront6targetE1EEEvT1_: ; @_ZN7rocprim17ROCPRIM_400000_NS6detail17trampoline_kernelINS0_14default_configENS1_25partition_config_selectorILNS1_17partition_subalgoE8EiNS0_10empty_typeEbEEZZNS1_14partition_implILS5_8ELb0ES3_jN6thrust23THRUST_200600_302600_NS6detail15normal_iteratorINSA_10device_ptrIiEEEEPS6_PKS6_NS0_5tupleIJSF_S6_EEENSJ_IJSG_SG_EEENS0_18inequality_wrapperI22is_equal_div_10_uniqueIiEEEPmJS6_EEE10hipError_tPvRmT3_T4_T5_T6_T7_T9_mT8_P12ihipStream_tbDpT10_ENKUlT_T0_E_clISt17integral_constantIbLb0EES1A_EEDaS15_S16_EUlS15_E_NS1_11comp_targetILNS1_3genE10ELNS1_11target_archE1200ELNS1_3gpuE4ELNS1_3repE0EEENS1_30default_config_static_selectorELNS0_4arch9wavefront6targetE1EEEvT1_
; %bb.0:
	.section	.rodata,"a",@progbits
	.p2align	6, 0x0
	.amdhsa_kernel _ZN7rocprim17ROCPRIM_400000_NS6detail17trampoline_kernelINS0_14default_configENS1_25partition_config_selectorILNS1_17partition_subalgoE8EiNS0_10empty_typeEbEEZZNS1_14partition_implILS5_8ELb0ES3_jN6thrust23THRUST_200600_302600_NS6detail15normal_iteratorINSA_10device_ptrIiEEEEPS6_PKS6_NS0_5tupleIJSF_S6_EEENSJ_IJSG_SG_EEENS0_18inequality_wrapperI22is_equal_div_10_uniqueIiEEEPmJS6_EEE10hipError_tPvRmT3_T4_T5_T6_T7_T9_mT8_P12ihipStream_tbDpT10_ENKUlT_T0_E_clISt17integral_constantIbLb0EES1A_EEDaS15_S16_EUlS15_E_NS1_11comp_targetILNS1_3genE10ELNS1_11target_archE1200ELNS1_3gpuE4ELNS1_3repE0EEENS1_30default_config_static_selectorELNS0_4arch9wavefront6targetE1EEEvT1_
		.amdhsa_group_segment_fixed_size 0
		.amdhsa_private_segment_fixed_size 0
		.amdhsa_kernarg_size 112
		.amdhsa_user_sgpr_count 6
		.amdhsa_user_sgpr_private_segment_buffer 1
		.amdhsa_user_sgpr_dispatch_ptr 0
		.amdhsa_user_sgpr_queue_ptr 0
		.amdhsa_user_sgpr_kernarg_segment_ptr 1
		.amdhsa_user_sgpr_dispatch_id 0
		.amdhsa_user_sgpr_flat_scratch_init 0
		.amdhsa_user_sgpr_private_segment_size 0
		.amdhsa_uses_dynamic_stack 0
		.amdhsa_system_sgpr_private_segment_wavefront_offset 0
		.amdhsa_system_sgpr_workgroup_id_x 1
		.amdhsa_system_sgpr_workgroup_id_y 0
		.amdhsa_system_sgpr_workgroup_id_z 0
		.amdhsa_system_sgpr_workgroup_info 0
		.amdhsa_system_vgpr_workitem_id 0
		.amdhsa_next_free_vgpr 1
		.amdhsa_next_free_sgpr 0
		.amdhsa_reserve_vcc 0
		.amdhsa_reserve_flat_scratch 0
		.amdhsa_float_round_mode_32 0
		.amdhsa_float_round_mode_16_64 0
		.amdhsa_float_denorm_mode_32 3
		.amdhsa_float_denorm_mode_16_64 3
		.amdhsa_dx10_clamp 1
		.amdhsa_ieee_mode 1
		.amdhsa_fp16_overflow 0
		.amdhsa_exception_fp_ieee_invalid_op 0
		.amdhsa_exception_fp_denorm_src 0
		.amdhsa_exception_fp_ieee_div_zero 0
		.amdhsa_exception_fp_ieee_overflow 0
		.amdhsa_exception_fp_ieee_underflow 0
		.amdhsa_exception_fp_ieee_inexact 0
		.amdhsa_exception_int_div_zero 0
	.end_amdhsa_kernel
	.section	.text._ZN7rocprim17ROCPRIM_400000_NS6detail17trampoline_kernelINS0_14default_configENS1_25partition_config_selectorILNS1_17partition_subalgoE8EiNS0_10empty_typeEbEEZZNS1_14partition_implILS5_8ELb0ES3_jN6thrust23THRUST_200600_302600_NS6detail15normal_iteratorINSA_10device_ptrIiEEEEPS6_PKS6_NS0_5tupleIJSF_S6_EEENSJ_IJSG_SG_EEENS0_18inequality_wrapperI22is_equal_div_10_uniqueIiEEEPmJS6_EEE10hipError_tPvRmT3_T4_T5_T6_T7_T9_mT8_P12ihipStream_tbDpT10_ENKUlT_T0_E_clISt17integral_constantIbLb0EES1A_EEDaS15_S16_EUlS15_E_NS1_11comp_targetILNS1_3genE10ELNS1_11target_archE1200ELNS1_3gpuE4ELNS1_3repE0EEENS1_30default_config_static_selectorELNS0_4arch9wavefront6targetE1EEEvT1_,"axG",@progbits,_ZN7rocprim17ROCPRIM_400000_NS6detail17trampoline_kernelINS0_14default_configENS1_25partition_config_selectorILNS1_17partition_subalgoE8EiNS0_10empty_typeEbEEZZNS1_14partition_implILS5_8ELb0ES3_jN6thrust23THRUST_200600_302600_NS6detail15normal_iteratorINSA_10device_ptrIiEEEEPS6_PKS6_NS0_5tupleIJSF_S6_EEENSJ_IJSG_SG_EEENS0_18inequality_wrapperI22is_equal_div_10_uniqueIiEEEPmJS6_EEE10hipError_tPvRmT3_T4_T5_T6_T7_T9_mT8_P12ihipStream_tbDpT10_ENKUlT_T0_E_clISt17integral_constantIbLb0EES1A_EEDaS15_S16_EUlS15_E_NS1_11comp_targetILNS1_3genE10ELNS1_11target_archE1200ELNS1_3gpuE4ELNS1_3repE0EEENS1_30default_config_static_selectorELNS0_4arch9wavefront6targetE1EEEvT1_,comdat
.Lfunc_end441:
	.size	_ZN7rocprim17ROCPRIM_400000_NS6detail17trampoline_kernelINS0_14default_configENS1_25partition_config_selectorILNS1_17partition_subalgoE8EiNS0_10empty_typeEbEEZZNS1_14partition_implILS5_8ELb0ES3_jN6thrust23THRUST_200600_302600_NS6detail15normal_iteratorINSA_10device_ptrIiEEEEPS6_PKS6_NS0_5tupleIJSF_S6_EEENSJ_IJSG_SG_EEENS0_18inequality_wrapperI22is_equal_div_10_uniqueIiEEEPmJS6_EEE10hipError_tPvRmT3_T4_T5_T6_T7_T9_mT8_P12ihipStream_tbDpT10_ENKUlT_T0_E_clISt17integral_constantIbLb0EES1A_EEDaS15_S16_EUlS15_E_NS1_11comp_targetILNS1_3genE10ELNS1_11target_archE1200ELNS1_3gpuE4ELNS1_3repE0EEENS1_30default_config_static_selectorELNS0_4arch9wavefront6targetE1EEEvT1_, .Lfunc_end441-_ZN7rocprim17ROCPRIM_400000_NS6detail17trampoline_kernelINS0_14default_configENS1_25partition_config_selectorILNS1_17partition_subalgoE8EiNS0_10empty_typeEbEEZZNS1_14partition_implILS5_8ELb0ES3_jN6thrust23THRUST_200600_302600_NS6detail15normal_iteratorINSA_10device_ptrIiEEEEPS6_PKS6_NS0_5tupleIJSF_S6_EEENSJ_IJSG_SG_EEENS0_18inequality_wrapperI22is_equal_div_10_uniqueIiEEEPmJS6_EEE10hipError_tPvRmT3_T4_T5_T6_T7_T9_mT8_P12ihipStream_tbDpT10_ENKUlT_T0_E_clISt17integral_constantIbLb0EES1A_EEDaS15_S16_EUlS15_E_NS1_11comp_targetILNS1_3genE10ELNS1_11target_archE1200ELNS1_3gpuE4ELNS1_3repE0EEENS1_30default_config_static_selectorELNS0_4arch9wavefront6targetE1EEEvT1_
                                        ; -- End function
	.set _ZN7rocprim17ROCPRIM_400000_NS6detail17trampoline_kernelINS0_14default_configENS1_25partition_config_selectorILNS1_17partition_subalgoE8EiNS0_10empty_typeEbEEZZNS1_14partition_implILS5_8ELb0ES3_jN6thrust23THRUST_200600_302600_NS6detail15normal_iteratorINSA_10device_ptrIiEEEEPS6_PKS6_NS0_5tupleIJSF_S6_EEENSJ_IJSG_SG_EEENS0_18inequality_wrapperI22is_equal_div_10_uniqueIiEEEPmJS6_EEE10hipError_tPvRmT3_T4_T5_T6_T7_T9_mT8_P12ihipStream_tbDpT10_ENKUlT_T0_E_clISt17integral_constantIbLb0EES1A_EEDaS15_S16_EUlS15_E_NS1_11comp_targetILNS1_3genE10ELNS1_11target_archE1200ELNS1_3gpuE4ELNS1_3repE0EEENS1_30default_config_static_selectorELNS0_4arch9wavefront6targetE1EEEvT1_.num_vgpr, 0
	.set _ZN7rocprim17ROCPRIM_400000_NS6detail17trampoline_kernelINS0_14default_configENS1_25partition_config_selectorILNS1_17partition_subalgoE8EiNS0_10empty_typeEbEEZZNS1_14partition_implILS5_8ELb0ES3_jN6thrust23THRUST_200600_302600_NS6detail15normal_iteratorINSA_10device_ptrIiEEEEPS6_PKS6_NS0_5tupleIJSF_S6_EEENSJ_IJSG_SG_EEENS0_18inequality_wrapperI22is_equal_div_10_uniqueIiEEEPmJS6_EEE10hipError_tPvRmT3_T4_T5_T6_T7_T9_mT8_P12ihipStream_tbDpT10_ENKUlT_T0_E_clISt17integral_constantIbLb0EES1A_EEDaS15_S16_EUlS15_E_NS1_11comp_targetILNS1_3genE10ELNS1_11target_archE1200ELNS1_3gpuE4ELNS1_3repE0EEENS1_30default_config_static_selectorELNS0_4arch9wavefront6targetE1EEEvT1_.num_agpr, 0
	.set _ZN7rocprim17ROCPRIM_400000_NS6detail17trampoline_kernelINS0_14default_configENS1_25partition_config_selectorILNS1_17partition_subalgoE8EiNS0_10empty_typeEbEEZZNS1_14partition_implILS5_8ELb0ES3_jN6thrust23THRUST_200600_302600_NS6detail15normal_iteratorINSA_10device_ptrIiEEEEPS6_PKS6_NS0_5tupleIJSF_S6_EEENSJ_IJSG_SG_EEENS0_18inequality_wrapperI22is_equal_div_10_uniqueIiEEEPmJS6_EEE10hipError_tPvRmT3_T4_T5_T6_T7_T9_mT8_P12ihipStream_tbDpT10_ENKUlT_T0_E_clISt17integral_constantIbLb0EES1A_EEDaS15_S16_EUlS15_E_NS1_11comp_targetILNS1_3genE10ELNS1_11target_archE1200ELNS1_3gpuE4ELNS1_3repE0EEENS1_30default_config_static_selectorELNS0_4arch9wavefront6targetE1EEEvT1_.numbered_sgpr, 0
	.set _ZN7rocprim17ROCPRIM_400000_NS6detail17trampoline_kernelINS0_14default_configENS1_25partition_config_selectorILNS1_17partition_subalgoE8EiNS0_10empty_typeEbEEZZNS1_14partition_implILS5_8ELb0ES3_jN6thrust23THRUST_200600_302600_NS6detail15normal_iteratorINSA_10device_ptrIiEEEEPS6_PKS6_NS0_5tupleIJSF_S6_EEENSJ_IJSG_SG_EEENS0_18inequality_wrapperI22is_equal_div_10_uniqueIiEEEPmJS6_EEE10hipError_tPvRmT3_T4_T5_T6_T7_T9_mT8_P12ihipStream_tbDpT10_ENKUlT_T0_E_clISt17integral_constantIbLb0EES1A_EEDaS15_S16_EUlS15_E_NS1_11comp_targetILNS1_3genE10ELNS1_11target_archE1200ELNS1_3gpuE4ELNS1_3repE0EEENS1_30default_config_static_selectorELNS0_4arch9wavefront6targetE1EEEvT1_.num_named_barrier, 0
	.set _ZN7rocprim17ROCPRIM_400000_NS6detail17trampoline_kernelINS0_14default_configENS1_25partition_config_selectorILNS1_17partition_subalgoE8EiNS0_10empty_typeEbEEZZNS1_14partition_implILS5_8ELb0ES3_jN6thrust23THRUST_200600_302600_NS6detail15normal_iteratorINSA_10device_ptrIiEEEEPS6_PKS6_NS0_5tupleIJSF_S6_EEENSJ_IJSG_SG_EEENS0_18inequality_wrapperI22is_equal_div_10_uniqueIiEEEPmJS6_EEE10hipError_tPvRmT3_T4_T5_T6_T7_T9_mT8_P12ihipStream_tbDpT10_ENKUlT_T0_E_clISt17integral_constantIbLb0EES1A_EEDaS15_S16_EUlS15_E_NS1_11comp_targetILNS1_3genE10ELNS1_11target_archE1200ELNS1_3gpuE4ELNS1_3repE0EEENS1_30default_config_static_selectorELNS0_4arch9wavefront6targetE1EEEvT1_.private_seg_size, 0
	.set _ZN7rocprim17ROCPRIM_400000_NS6detail17trampoline_kernelINS0_14default_configENS1_25partition_config_selectorILNS1_17partition_subalgoE8EiNS0_10empty_typeEbEEZZNS1_14partition_implILS5_8ELb0ES3_jN6thrust23THRUST_200600_302600_NS6detail15normal_iteratorINSA_10device_ptrIiEEEEPS6_PKS6_NS0_5tupleIJSF_S6_EEENSJ_IJSG_SG_EEENS0_18inequality_wrapperI22is_equal_div_10_uniqueIiEEEPmJS6_EEE10hipError_tPvRmT3_T4_T5_T6_T7_T9_mT8_P12ihipStream_tbDpT10_ENKUlT_T0_E_clISt17integral_constantIbLb0EES1A_EEDaS15_S16_EUlS15_E_NS1_11comp_targetILNS1_3genE10ELNS1_11target_archE1200ELNS1_3gpuE4ELNS1_3repE0EEENS1_30default_config_static_selectorELNS0_4arch9wavefront6targetE1EEEvT1_.uses_vcc, 0
	.set _ZN7rocprim17ROCPRIM_400000_NS6detail17trampoline_kernelINS0_14default_configENS1_25partition_config_selectorILNS1_17partition_subalgoE8EiNS0_10empty_typeEbEEZZNS1_14partition_implILS5_8ELb0ES3_jN6thrust23THRUST_200600_302600_NS6detail15normal_iteratorINSA_10device_ptrIiEEEEPS6_PKS6_NS0_5tupleIJSF_S6_EEENSJ_IJSG_SG_EEENS0_18inequality_wrapperI22is_equal_div_10_uniqueIiEEEPmJS6_EEE10hipError_tPvRmT3_T4_T5_T6_T7_T9_mT8_P12ihipStream_tbDpT10_ENKUlT_T0_E_clISt17integral_constantIbLb0EES1A_EEDaS15_S16_EUlS15_E_NS1_11comp_targetILNS1_3genE10ELNS1_11target_archE1200ELNS1_3gpuE4ELNS1_3repE0EEENS1_30default_config_static_selectorELNS0_4arch9wavefront6targetE1EEEvT1_.uses_flat_scratch, 0
	.set _ZN7rocprim17ROCPRIM_400000_NS6detail17trampoline_kernelINS0_14default_configENS1_25partition_config_selectorILNS1_17partition_subalgoE8EiNS0_10empty_typeEbEEZZNS1_14partition_implILS5_8ELb0ES3_jN6thrust23THRUST_200600_302600_NS6detail15normal_iteratorINSA_10device_ptrIiEEEEPS6_PKS6_NS0_5tupleIJSF_S6_EEENSJ_IJSG_SG_EEENS0_18inequality_wrapperI22is_equal_div_10_uniqueIiEEEPmJS6_EEE10hipError_tPvRmT3_T4_T5_T6_T7_T9_mT8_P12ihipStream_tbDpT10_ENKUlT_T0_E_clISt17integral_constantIbLb0EES1A_EEDaS15_S16_EUlS15_E_NS1_11comp_targetILNS1_3genE10ELNS1_11target_archE1200ELNS1_3gpuE4ELNS1_3repE0EEENS1_30default_config_static_selectorELNS0_4arch9wavefront6targetE1EEEvT1_.has_dyn_sized_stack, 0
	.set _ZN7rocprim17ROCPRIM_400000_NS6detail17trampoline_kernelINS0_14default_configENS1_25partition_config_selectorILNS1_17partition_subalgoE8EiNS0_10empty_typeEbEEZZNS1_14partition_implILS5_8ELb0ES3_jN6thrust23THRUST_200600_302600_NS6detail15normal_iteratorINSA_10device_ptrIiEEEEPS6_PKS6_NS0_5tupleIJSF_S6_EEENSJ_IJSG_SG_EEENS0_18inequality_wrapperI22is_equal_div_10_uniqueIiEEEPmJS6_EEE10hipError_tPvRmT3_T4_T5_T6_T7_T9_mT8_P12ihipStream_tbDpT10_ENKUlT_T0_E_clISt17integral_constantIbLb0EES1A_EEDaS15_S16_EUlS15_E_NS1_11comp_targetILNS1_3genE10ELNS1_11target_archE1200ELNS1_3gpuE4ELNS1_3repE0EEENS1_30default_config_static_selectorELNS0_4arch9wavefront6targetE1EEEvT1_.has_recursion, 0
	.set _ZN7rocprim17ROCPRIM_400000_NS6detail17trampoline_kernelINS0_14default_configENS1_25partition_config_selectorILNS1_17partition_subalgoE8EiNS0_10empty_typeEbEEZZNS1_14partition_implILS5_8ELb0ES3_jN6thrust23THRUST_200600_302600_NS6detail15normal_iteratorINSA_10device_ptrIiEEEEPS6_PKS6_NS0_5tupleIJSF_S6_EEENSJ_IJSG_SG_EEENS0_18inequality_wrapperI22is_equal_div_10_uniqueIiEEEPmJS6_EEE10hipError_tPvRmT3_T4_T5_T6_T7_T9_mT8_P12ihipStream_tbDpT10_ENKUlT_T0_E_clISt17integral_constantIbLb0EES1A_EEDaS15_S16_EUlS15_E_NS1_11comp_targetILNS1_3genE10ELNS1_11target_archE1200ELNS1_3gpuE4ELNS1_3repE0EEENS1_30default_config_static_selectorELNS0_4arch9wavefront6targetE1EEEvT1_.has_indirect_call, 0
	.section	.AMDGPU.csdata,"",@progbits
; Kernel info:
; codeLenInByte = 0
; TotalNumSgprs: 4
; NumVgprs: 0
; ScratchSize: 0
; MemoryBound: 0
; FloatMode: 240
; IeeeMode: 1
; LDSByteSize: 0 bytes/workgroup (compile time only)
; SGPRBlocks: 0
; VGPRBlocks: 0
; NumSGPRsForWavesPerEU: 4
; NumVGPRsForWavesPerEU: 1
; Occupancy: 10
; WaveLimiterHint : 0
; COMPUTE_PGM_RSRC2:SCRATCH_EN: 0
; COMPUTE_PGM_RSRC2:USER_SGPR: 6
; COMPUTE_PGM_RSRC2:TRAP_HANDLER: 0
; COMPUTE_PGM_RSRC2:TGID_X_EN: 1
; COMPUTE_PGM_RSRC2:TGID_Y_EN: 0
; COMPUTE_PGM_RSRC2:TGID_Z_EN: 0
; COMPUTE_PGM_RSRC2:TIDIG_COMP_CNT: 0
	.section	.text._ZN7rocprim17ROCPRIM_400000_NS6detail17trampoline_kernelINS0_14default_configENS1_25partition_config_selectorILNS1_17partition_subalgoE8EiNS0_10empty_typeEbEEZZNS1_14partition_implILS5_8ELb0ES3_jN6thrust23THRUST_200600_302600_NS6detail15normal_iteratorINSA_10device_ptrIiEEEEPS6_PKS6_NS0_5tupleIJSF_S6_EEENSJ_IJSG_SG_EEENS0_18inequality_wrapperI22is_equal_div_10_uniqueIiEEEPmJS6_EEE10hipError_tPvRmT3_T4_T5_T6_T7_T9_mT8_P12ihipStream_tbDpT10_ENKUlT_T0_E_clISt17integral_constantIbLb0EES1A_EEDaS15_S16_EUlS15_E_NS1_11comp_targetILNS1_3genE9ELNS1_11target_archE1100ELNS1_3gpuE3ELNS1_3repE0EEENS1_30default_config_static_selectorELNS0_4arch9wavefront6targetE1EEEvT1_,"axG",@progbits,_ZN7rocprim17ROCPRIM_400000_NS6detail17trampoline_kernelINS0_14default_configENS1_25partition_config_selectorILNS1_17partition_subalgoE8EiNS0_10empty_typeEbEEZZNS1_14partition_implILS5_8ELb0ES3_jN6thrust23THRUST_200600_302600_NS6detail15normal_iteratorINSA_10device_ptrIiEEEEPS6_PKS6_NS0_5tupleIJSF_S6_EEENSJ_IJSG_SG_EEENS0_18inequality_wrapperI22is_equal_div_10_uniqueIiEEEPmJS6_EEE10hipError_tPvRmT3_T4_T5_T6_T7_T9_mT8_P12ihipStream_tbDpT10_ENKUlT_T0_E_clISt17integral_constantIbLb0EES1A_EEDaS15_S16_EUlS15_E_NS1_11comp_targetILNS1_3genE9ELNS1_11target_archE1100ELNS1_3gpuE3ELNS1_3repE0EEENS1_30default_config_static_selectorELNS0_4arch9wavefront6targetE1EEEvT1_,comdat
	.protected	_ZN7rocprim17ROCPRIM_400000_NS6detail17trampoline_kernelINS0_14default_configENS1_25partition_config_selectorILNS1_17partition_subalgoE8EiNS0_10empty_typeEbEEZZNS1_14partition_implILS5_8ELb0ES3_jN6thrust23THRUST_200600_302600_NS6detail15normal_iteratorINSA_10device_ptrIiEEEEPS6_PKS6_NS0_5tupleIJSF_S6_EEENSJ_IJSG_SG_EEENS0_18inequality_wrapperI22is_equal_div_10_uniqueIiEEEPmJS6_EEE10hipError_tPvRmT3_T4_T5_T6_T7_T9_mT8_P12ihipStream_tbDpT10_ENKUlT_T0_E_clISt17integral_constantIbLb0EES1A_EEDaS15_S16_EUlS15_E_NS1_11comp_targetILNS1_3genE9ELNS1_11target_archE1100ELNS1_3gpuE3ELNS1_3repE0EEENS1_30default_config_static_selectorELNS0_4arch9wavefront6targetE1EEEvT1_ ; -- Begin function _ZN7rocprim17ROCPRIM_400000_NS6detail17trampoline_kernelINS0_14default_configENS1_25partition_config_selectorILNS1_17partition_subalgoE8EiNS0_10empty_typeEbEEZZNS1_14partition_implILS5_8ELb0ES3_jN6thrust23THRUST_200600_302600_NS6detail15normal_iteratorINSA_10device_ptrIiEEEEPS6_PKS6_NS0_5tupleIJSF_S6_EEENSJ_IJSG_SG_EEENS0_18inequality_wrapperI22is_equal_div_10_uniqueIiEEEPmJS6_EEE10hipError_tPvRmT3_T4_T5_T6_T7_T9_mT8_P12ihipStream_tbDpT10_ENKUlT_T0_E_clISt17integral_constantIbLb0EES1A_EEDaS15_S16_EUlS15_E_NS1_11comp_targetILNS1_3genE9ELNS1_11target_archE1100ELNS1_3gpuE3ELNS1_3repE0EEENS1_30default_config_static_selectorELNS0_4arch9wavefront6targetE1EEEvT1_
	.globl	_ZN7rocprim17ROCPRIM_400000_NS6detail17trampoline_kernelINS0_14default_configENS1_25partition_config_selectorILNS1_17partition_subalgoE8EiNS0_10empty_typeEbEEZZNS1_14partition_implILS5_8ELb0ES3_jN6thrust23THRUST_200600_302600_NS6detail15normal_iteratorINSA_10device_ptrIiEEEEPS6_PKS6_NS0_5tupleIJSF_S6_EEENSJ_IJSG_SG_EEENS0_18inequality_wrapperI22is_equal_div_10_uniqueIiEEEPmJS6_EEE10hipError_tPvRmT3_T4_T5_T6_T7_T9_mT8_P12ihipStream_tbDpT10_ENKUlT_T0_E_clISt17integral_constantIbLb0EES1A_EEDaS15_S16_EUlS15_E_NS1_11comp_targetILNS1_3genE9ELNS1_11target_archE1100ELNS1_3gpuE3ELNS1_3repE0EEENS1_30default_config_static_selectorELNS0_4arch9wavefront6targetE1EEEvT1_
	.p2align	8
	.type	_ZN7rocprim17ROCPRIM_400000_NS6detail17trampoline_kernelINS0_14default_configENS1_25partition_config_selectorILNS1_17partition_subalgoE8EiNS0_10empty_typeEbEEZZNS1_14partition_implILS5_8ELb0ES3_jN6thrust23THRUST_200600_302600_NS6detail15normal_iteratorINSA_10device_ptrIiEEEEPS6_PKS6_NS0_5tupleIJSF_S6_EEENSJ_IJSG_SG_EEENS0_18inequality_wrapperI22is_equal_div_10_uniqueIiEEEPmJS6_EEE10hipError_tPvRmT3_T4_T5_T6_T7_T9_mT8_P12ihipStream_tbDpT10_ENKUlT_T0_E_clISt17integral_constantIbLb0EES1A_EEDaS15_S16_EUlS15_E_NS1_11comp_targetILNS1_3genE9ELNS1_11target_archE1100ELNS1_3gpuE3ELNS1_3repE0EEENS1_30default_config_static_selectorELNS0_4arch9wavefront6targetE1EEEvT1_,@function
_ZN7rocprim17ROCPRIM_400000_NS6detail17trampoline_kernelINS0_14default_configENS1_25partition_config_selectorILNS1_17partition_subalgoE8EiNS0_10empty_typeEbEEZZNS1_14partition_implILS5_8ELb0ES3_jN6thrust23THRUST_200600_302600_NS6detail15normal_iteratorINSA_10device_ptrIiEEEEPS6_PKS6_NS0_5tupleIJSF_S6_EEENSJ_IJSG_SG_EEENS0_18inequality_wrapperI22is_equal_div_10_uniqueIiEEEPmJS6_EEE10hipError_tPvRmT3_T4_T5_T6_T7_T9_mT8_P12ihipStream_tbDpT10_ENKUlT_T0_E_clISt17integral_constantIbLb0EES1A_EEDaS15_S16_EUlS15_E_NS1_11comp_targetILNS1_3genE9ELNS1_11target_archE1100ELNS1_3gpuE3ELNS1_3repE0EEENS1_30default_config_static_selectorELNS0_4arch9wavefront6targetE1EEEvT1_: ; @_ZN7rocprim17ROCPRIM_400000_NS6detail17trampoline_kernelINS0_14default_configENS1_25partition_config_selectorILNS1_17partition_subalgoE8EiNS0_10empty_typeEbEEZZNS1_14partition_implILS5_8ELb0ES3_jN6thrust23THRUST_200600_302600_NS6detail15normal_iteratorINSA_10device_ptrIiEEEEPS6_PKS6_NS0_5tupleIJSF_S6_EEENSJ_IJSG_SG_EEENS0_18inequality_wrapperI22is_equal_div_10_uniqueIiEEEPmJS6_EEE10hipError_tPvRmT3_T4_T5_T6_T7_T9_mT8_P12ihipStream_tbDpT10_ENKUlT_T0_E_clISt17integral_constantIbLb0EES1A_EEDaS15_S16_EUlS15_E_NS1_11comp_targetILNS1_3genE9ELNS1_11target_archE1100ELNS1_3gpuE3ELNS1_3repE0EEENS1_30default_config_static_selectorELNS0_4arch9wavefront6targetE1EEEvT1_
; %bb.0:
	.section	.rodata,"a",@progbits
	.p2align	6, 0x0
	.amdhsa_kernel _ZN7rocprim17ROCPRIM_400000_NS6detail17trampoline_kernelINS0_14default_configENS1_25partition_config_selectorILNS1_17partition_subalgoE8EiNS0_10empty_typeEbEEZZNS1_14partition_implILS5_8ELb0ES3_jN6thrust23THRUST_200600_302600_NS6detail15normal_iteratorINSA_10device_ptrIiEEEEPS6_PKS6_NS0_5tupleIJSF_S6_EEENSJ_IJSG_SG_EEENS0_18inequality_wrapperI22is_equal_div_10_uniqueIiEEEPmJS6_EEE10hipError_tPvRmT3_T4_T5_T6_T7_T9_mT8_P12ihipStream_tbDpT10_ENKUlT_T0_E_clISt17integral_constantIbLb0EES1A_EEDaS15_S16_EUlS15_E_NS1_11comp_targetILNS1_3genE9ELNS1_11target_archE1100ELNS1_3gpuE3ELNS1_3repE0EEENS1_30default_config_static_selectorELNS0_4arch9wavefront6targetE1EEEvT1_
		.amdhsa_group_segment_fixed_size 0
		.amdhsa_private_segment_fixed_size 0
		.amdhsa_kernarg_size 112
		.amdhsa_user_sgpr_count 6
		.amdhsa_user_sgpr_private_segment_buffer 1
		.amdhsa_user_sgpr_dispatch_ptr 0
		.amdhsa_user_sgpr_queue_ptr 0
		.amdhsa_user_sgpr_kernarg_segment_ptr 1
		.amdhsa_user_sgpr_dispatch_id 0
		.amdhsa_user_sgpr_flat_scratch_init 0
		.amdhsa_user_sgpr_private_segment_size 0
		.amdhsa_uses_dynamic_stack 0
		.amdhsa_system_sgpr_private_segment_wavefront_offset 0
		.amdhsa_system_sgpr_workgroup_id_x 1
		.amdhsa_system_sgpr_workgroup_id_y 0
		.amdhsa_system_sgpr_workgroup_id_z 0
		.amdhsa_system_sgpr_workgroup_info 0
		.amdhsa_system_vgpr_workitem_id 0
		.amdhsa_next_free_vgpr 1
		.amdhsa_next_free_sgpr 0
		.amdhsa_reserve_vcc 0
		.amdhsa_reserve_flat_scratch 0
		.amdhsa_float_round_mode_32 0
		.amdhsa_float_round_mode_16_64 0
		.amdhsa_float_denorm_mode_32 3
		.amdhsa_float_denorm_mode_16_64 3
		.amdhsa_dx10_clamp 1
		.amdhsa_ieee_mode 1
		.amdhsa_fp16_overflow 0
		.amdhsa_exception_fp_ieee_invalid_op 0
		.amdhsa_exception_fp_denorm_src 0
		.amdhsa_exception_fp_ieee_div_zero 0
		.amdhsa_exception_fp_ieee_overflow 0
		.amdhsa_exception_fp_ieee_underflow 0
		.amdhsa_exception_fp_ieee_inexact 0
		.amdhsa_exception_int_div_zero 0
	.end_amdhsa_kernel
	.section	.text._ZN7rocprim17ROCPRIM_400000_NS6detail17trampoline_kernelINS0_14default_configENS1_25partition_config_selectorILNS1_17partition_subalgoE8EiNS0_10empty_typeEbEEZZNS1_14partition_implILS5_8ELb0ES3_jN6thrust23THRUST_200600_302600_NS6detail15normal_iteratorINSA_10device_ptrIiEEEEPS6_PKS6_NS0_5tupleIJSF_S6_EEENSJ_IJSG_SG_EEENS0_18inequality_wrapperI22is_equal_div_10_uniqueIiEEEPmJS6_EEE10hipError_tPvRmT3_T4_T5_T6_T7_T9_mT8_P12ihipStream_tbDpT10_ENKUlT_T0_E_clISt17integral_constantIbLb0EES1A_EEDaS15_S16_EUlS15_E_NS1_11comp_targetILNS1_3genE9ELNS1_11target_archE1100ELNS1_3gpuE3ELNS1_3repE0EEENS1_30default_config_static_selectorELNS0_4arch9wavefront6targetE1EEEvT1_,"axG",@progbits,_ZN7rocprim17ROCPRIM_400000_NS6detail17trampoline_kernelINS0_14default_configENS1_25partition_config_selectorILNS1_17partition_subalgoE8EiNS0_10empty_typeEbEEZZNS1_14partition_implILS5_8ELb0ES3_jN6thrust23THRUST_200600_302600_NS6detail15normal_iteratorINSA_10device_ptrIiEEEEPS6_PKS6_NS0_5tupleIJSF_S6_EEENSJ_IJSG_SG_EEENS0_18inequality_wrapperI22is_equal_div_10_uniqueIiEEEPmJS6_EEE10hipError_tPvRmT3_T4_T5_T6_T7_T9_mT8_P12ihipStream_tbDpT10_ENKUlT_T0_E_clISt17integral_constantIbLb0EES1A_EEDaS15_S16_EUlS15_E_NS1_11comp_targetILNS1_3genE9ELNS1_11target_archE1100ELNS1_3gpuE3ELNS1_3repE0EEENS1_30default_config_static_selectorELNS0_4arch9wavefront6targetE1EEEvT1_,comdat
.Lfunc_end442:
	.size	_ZN7rocprim17ROCPRIM_400000_NS6detail17trampoline_kernelINS0_14default_configENS1_25partition_config_selectorILNS1_17partition_subalgoE8EiNS0_10empty_typeEbEEZZNS1_14partition_implILS5_8ELb0ES3_jN6thrust23THRUST_200600_302600_NS6detail15normal_iteratorINSA_10device_ptrIiEEEEPS6_PKS6_NS0_5tupleIJSF_S6_EEENSJ_IJSG_SG_EEENS0_18inequality_wrapperI22is_equal_div_10_uniqueIiEEEPmJS6_EEE10hipError_tPvRmT3_T4_T5_T6_T7_T9_mT8_P12ihipStream_tbDpT10_ENKUlT_T0_E_clISt17integral_constantIbLb0EES1A_EEDaS15_S16_EUlS15_E_NS1_11comp_targetILNS1_3genE9ELNS1_11target_archE1100ELNS1_3gpuE3ELNS1_3repE0EEENS1_30default_config_static_selectorELNS0_4arch9wavefront6targetE1EEEvT1_, .Lfunc_end442-_ZN7rocprim17ROCPRIM_400000_NS6detail17trampoline_kernelINS0_14default_configENS1_25partition_config_selectorILNS1_17partition_subalgoE8EiNS0_10empty_typeEbEEZZNS1_14partition_implILS5_8ELb0ES3_jN6thrust23THRUST_200600_302600_NS6detail15normal_iteratorINSA_10device_ptrIiEEEEPS6_PKS6_NS0_5tupleIJSF_S6_EEENSJ_IJSG_SG_EEENS0_18inequality_wrapperI22is_equal_div_10_uniqueIiEEEPmJS6_EEE10hipError_tPvRmT3_T4_T5_T6_T7_T9_mT8_P12ihipStream_tbDpT10_ENKUlT_T0_E_clISt17integral_constantIbLb0EES1A_EEDaS15_S16_EUlS15_E_NS1_11comp_targetILNS1_3genE9ELNS1_11target_archE1100ELNS1_3gpuE3ELNS1_3repE0EEENS1_30default_config_static_selectorELNS0_4arch9wavefront6targetE1EEEvT1_
                                        ; -- End function
	.set _ZN7rocprim17ROCPRIM_400000_NS6detail17trampoline_kernelINS0_14default_configENS1_25partition_config_selectorILNS1_17partition_subalgoE8EiNS0_10empty_typeEbEEZZNS1_14partition_implILS5_8ELb0ES3_jN6thrust23THRUST_200600_302600_NS6detail15normal_iteratorINSA_10device_ptrIiEEEEPS6_PKS6_NS0_5tupleIJSF_S6_EEENSJ_IJSG_SG_EEENS0_18inequality_wrapperI22is_equal_div_10_uniqueIiEEEPmJS6_EEE10hipError_tPvRmT3_T4_T5_T6_T7_T9_mT8_P12ihipStream_tbDpT10_ENKUlT_T0_E_clISt17integral_constantIbLb0EES1A_EEDaS15_S16_EUlS15_E_NS1_11comp_targetILNS1_3genE9ELNS1_11target_archE1100ELNS1_3gpuE3ELNS1_3repE0EEENS1_30default_config_static_selectorELNS0_4arch9wavefront6targetE1EEEvT1_.num_vgpr, 0
	.set _ZN7rocprim17ROCPRIM_400000_NS6detail17trampoline_kernelINS0_14default_configENS1_25partition_config_selectorILNS1_17partition_subalgoE8EiNS0_10empty_typeEbEEZZNS1_14partition_implILS5_8ELb0ES3_jN6thrust23THRUST_200600_302600_NS6detail15normal_iteratorINSA_10device_ptrIiEEEEPS6_PKS6_NS0_5tupleIJSF_S6_EEENSJ_IJSG_SG_EEENS0_18inequality_wrapperI22is_equal_div_10_uniqueIiEEEPmJS6_EEE10hipError_tPvRmT3_T4_T5_T6_T7_T9_mT8_P12ihipStream_tbDpT10_ENKUlT_T0_E_clISt17integral_constantIbLb0EES1A_EEDaS15_S16_EUlS15_E_NS1_11comp_targetILNS1_3genE9ELNS1_11target_archE1100ELNS1_3gpuE3ELNS1_3repE0EEENS1_30default_config_static_selectorELNS0_4arch9wavefront6targetE1EEEvT1_.num_agpr, 0
	.set _ZN7rocprim17ROCPRIM_400000_NS6detail17trampoline_kernelINS0_14default_configENS1_25partition_config_selectorILNS1_17partition_subalgoE8EiNS0_10empty_typeEbEEZZNS1_14partition_implILS5_8ELb0ES3_jN6thrust23THRUST_200600_302600_NS6detail15normal_iteratorINSA_10device_ptrIiEEEEPS6_PKS6_NS0_5tupleIJSF_S6_EEENSJ_IJSG_SG_EEENS0_18inequality_wrapperI22is_equal_div_10_uniqueIiEEEPmJS6_EEE10hipError_tPvRmT3_T4_T5_T6_T7_T9_mT8_P12ihipStream_tbDpT10_ENKUlT_T0_E_clISt17integral_constantIbLb0EES1A_EEDaS15_S16_EUlS15_E_NS1_11comp_targetILNS1_3genE9ELNS1_11target_archE1100ELNS1_3gpuE3ELNS1_3repE0EEENS1_30default_config_static_selectorELNS0_4arch9wavefront6targetE1EEEvT1_.numbered_sgpr, 0
	.set _ZN7rocprim17ROCPRIM_400000_NS6detail17trampoline_kernelINS0_14default_configENS1_25partition_config_selectorILNS1_17partition_subalgoE8EiNS0_10empty_typeEbEEZZNS1_14partition_implILS5_8ELb0ES3_jN6thrust23THRUST_200600_302600_NS6detail15normal_iteratorINSA_10device_ptrIiEEEEPS6_PKS6_NS0_5tupleIJSF_S6_EEENSJ_IJSG_SG_EEENS0_18inequality_wrapperI22is_equal_div_10_uniqueIiEEEPmJS6_EEE10hipError_tPvRmT3_T4_T5_T6_T7_T9_mT8_P12ihipStream_tbDpT10_ENKUlT_T0_E_clISt17integral_constantIbLb0EES1A_EEDaS15_S16_EUlS15_E_NS1_11comp_targetILNS1_3genE9ELNS1_11target_archE1100ELNS1_3gpuE3ELNS1_3repE0EEENS1_30default_config_static_selectorELNS0_4arch9wavefront6targetE1EEEvT1_.num_named_barrier, 0
	.set _ZN7rocprim17ROCPRIM_400000_NS6detail17trampoline_kernelINS0_14default_configENS1_25partition_config_selectorILNS1_17partition_subalgoE8EiNS0_10empty_typeEbEEZZNS1_14partition_implILS5_8ELb0ES3_jN6thrust23THRUST_200600_302600_NS6detail15normal_iteratorINSA_10device_ptrIiEEEEPS6_PKS6_NS0_5tupleIJSF_S6_EEENSJ_IJSG_SG_EEENS0_18inequality_wrapperI22is_equal_div_10_uniqueIiEEEPmJS6_EEE10hipError_tPvRmT3_T4_T5_T6_T7_T9_mT8_P12ihipStream_tbDpT10_ENKUlT_T0_E_clISt17integral_constantIbLb0EES1A_EEDaS15_S16_EUlS15_E_NS1_11comp_targetILNS1_3genE9ELNS1_11target_archE1100ELNS1_3gpuE3ELNS1_3repE0EEENS1_30default_config_static_selectorELNS0_4arch9wavefront6targetE1EEEvT1_.private_seg_size, 0
	.set _ZN7rocprim17ROCPRIM_400000_NS6detail17trampoline_kernelINS0_14default_configENS1_25partition_config_selectorILNS1_17partition_subalgoE8EiNS0_10empty_typeEbEEZZNS1_14partition_implILS5_8ELb0ES3_jN6thrust23THRUST_200600_302600_NS6detail15normal_iteratorINSA_10device_ptrIiEEEEPS6_PKS6_NS0_5tupleIJSF_S6_EEENSJ_IJSG_SG_EEENS0_18inequality_wrapperI22is_equal_div_10_uniqueIiEEEPmJS6_EEE10hipError_tPvRmT3_T4_T5_T6_T7_T9_mT8_P12ihipStream_tbDpT10_ENKUlT_T0_E_clISt17integral_constantIbLb0EES1A_EEDaS15_S16_EUlS15_E_NS1_11comp_targetILNS1_3genE9ELNS1_11target_archE1100ELNS1_3gpuE3ELNS1_3repE0EEENS1_30default_config_static_selectorELNS0_4arch9wavefront6targetE1EEEvT1_.uses_vcc, 0
	.set _ZN7rocprim17ROCPRIM_400000_NS6detail17trampoline_kernelINS0_14default_configENS1_25partition_config_selectorILNS1_17partition_subalgoE8EiNS0_10empty_typeEbEEZZNS1_14partition_implILS5_8ELb0ES3_jN6thrust23THRUST_200600_302600_NS6detail15normal_iteratorINSA_10device_ptrIiEEEEPS6_PKS6_NS0_5tupleIJSF_S6_EEENSJ_IJSG_SG_EEENS0_18inequality_wrapperI22is_equal_div_10_uniqueIiEEEPmJS6_EEE10hipError_tPvRmT3_T4_T5_T6_T7_T9_mT8_P12ihipStream_tbDpT10_ENKUlT_T0_E_clISt17integral_constantIbLb0EES1A_EEDaS15_S16_EUlS15_E_NS1_11comp_targetILNS1_3genE9ELNS1_11target_archE1100ELNS1_3gpuE3ELNS1_3repE0EEENS1_30default_config_static_selectorELNS0_4arch9wavefront6targetE1EEEvT1_.uses_flat_scratch, 0
	.set _ZN7rocprim17ROCPRIM_400000_NS6detail17trampoline_kernelINS0_14default_configENS1_25partition_config_selectorILNS1_17partition_subalgoE8EiNS0_10empty_typeEbEEZZNS1_14partition_implILS5_8ELb0ES3_jN6thrust23THRUST_200600_302600_NS6detail15normal_iteratorINSA_10device_ptrIiEEEEPS6_PKS6_NS0_5tupleIJSF_S6_EEENSJ_IJSG_SG_EEENS0_18inequality_wrapperI22is_equal_div_10_uniqueIiEEEPmJS6_EEE10hipError_tPvRmT3_T4_T5_T6_T7_T9_mT8_P12ihipStream_tbDpT10_ENKUlT_T0_E_clISt17integral_constantIbLb0EES1A_EEDaS15_S16_EUlS15_E_NS1_11comp_targetILNS1_3genE9ELNS1_11target_archE1100ELNS1_3gpuE3ELNS1_3repE0EEENS1_30default_config_static_selectorELNS0_4arch9wavefront6targetE1EEEvT1_.has_dyn_sized_stack, 0
	.set _ZN7rocprim17ROCPRIM_400000_NS6detail17trampoline_kernelINS0_14default_configENS1_25partition_config_selectorILNS1_17partition_subalgoE8EiNS0_10empty_typeEbEEZZNS1_14partition_implILS5_8ELb0ES3_jN6thrust23THRUST_200600_302600_NS6detail15normal_iteratorINSA_10device_ptrIiEEEEPS6_PKS6_NS0_5tupleIJSF_S6_EEENSJ_IJSG_SG_EEENS0_18inequality_wrapperI22is_equal_div_10_uniqueIiEEEPmJS6_EEE10hipError_tPvRmT3_T4_T5_T6_T7_T9_mT8_P12ihipStream_tbDpT10_ENKUlT_T0_E_clISt17integral_constantIbLb0EES1A_EEDaS15_S16_EUlS15_E_NS1_11comp_targetILNS1_3genE9ELNS1_11target_archE1100ELNS1_3gpuE3ELNS1_3repE0EEENS1_30default_config_static_selectorELNS0_4arch9wavefront6targetE1EEEvT1_.has_recursion, 0
	.set _ZN7rocprim17ROCPRIM_400000_NS6detail17trampoline_kernelINS0_14default_configENS1_25partition_config_selectorILNS1_17partition_subalgoE8EiNS0_10empty_typeEbEEZZNS1_14partition_implILS5_8ELb0ES3_jN6thrust23THRUST_200600_302600_NS6detail15normal_iteratorINSA_10device_ptrIiEEEEPS6_PKS6_NS0_5tupleIJSF_S6_EEENSJ_IJSG_SG_EEENS0_18inequality_wrapperI22is_equal_div_10_uniqueIiEEEPmJS6_EEE10hipError_tPvRmT3_T4_T5_T6_T7_T9_mT8_P12ihipStream_tbDpT10_ENKUlT_T0_E_clISt17integral_constantIbLb0EES1A_EEDaS15_S16_EUlS15_E_NS1_11comp_targetILNS1_3genE9ELNS1_11target_archE1100ELNS1_3gpuE3ELNS1_3repE0EEENS1_30default_config_static_selectorELNS0_4arch9wavefront6targetE1EEEvT1_.has_indirect_call, 0
	.section	.AMDGPU.csdata,"",@progbits
; Kernel info:
; codeLenInByte = 0
; TotalNumSgprs: 4
; NumVgprs: 0
; ScratchSize: 0
; MemoryBound: 0
; FloatMode: 240
; IeeeMode: 1
; LDSByteSize: 0 bytes/workgroup (compile time only)
; SGPRBlocks: 0
; VGPRBlocks: 0
; NumSGPRsForWavesPerEU: 4
; NumVGPRsForWavesPerEU: 1
; Occupancy: 10
; WaveLimiterHint : 0
; COMPUTE_PGM_RSRC2:SCRATCH_EN: 0
; COMPUTE_PGM_RSRC2:USER_SGPR: 6
; COMPUTE_PGM_RSRC2:TRAP_HANDLER: 0
; COMPUTE_PGM_RSRC2:TGID_X_EN: 1
; COMPUTE_PGM_RSRC2:TGID_Y_EN: 0
; COMPUTE_PGM_RSRC2:TGID_Z_EN: 0
; COMPUTE_PGM_RSRC2:TIDIG_COMP_CNT: 0
	.section	.text._ZN7rocprim17ROCPRIM_400000_NS6detail17trampoline_kernelINS0_14default_configENS1_25partition_config_selectorILNS1_17partition_subalgoE8EiNS0_10empty_typeEbEEZZNS1_14partition_implILS5_8ELb0ES3_jN6thrust23THRUST_200600_302600_NS6detail15normal_iteratorINSA_10device_ptrIiEEEEPS6_PKS6_NS0_5tupleIJSF_S6_EEENSJ_IJSG_SG_EEENS0_18inequality_wrapperI22is_equal_div_10_uniqueIiEEEPmJS6_EEE10hipError_tPvRmT3_T4_T5_T6_T7_T9_mT8_P12ihipStream_tbDpT10_ENKUlT_T0_E_clISt17integral_constantIbLb0EES1A_EEDaS15_S16_EUlS15_E_NS1_11comp_targetILNS1_3genE8ELNS1_11target_archE1030ELNS1_3gpuE2ELNS1_3repE0EEENS1_30default_config_static_selectorELNS0_4arch9wavefront6targetE1EEEvT1_,"axG",@progbits,_ZN7rocprim17ROCPRIM_400000_NS6detail17trampoline_kernelINS0_14default_configENS1_25partition_config_selectorILNS1_17partition_subalgoE8EiNS0_10empty_typeEbEEZZNS1_14partition_implILS5_8ELb0ES3_jN6thrust23THRUST_200600_302600_NS6detail15normal_iteratorINSA_10device_ptrIiEEEEPS6_PKS6_NS0_5tupleIJSF_S6_EEENSJ_IJSG_SG_EEENS0_18inequality_wrapperI22is_equal_div_10_uniqueIiEEEPmJS6_EEE10hipError_tPvRmT3_T4_T5_T6_T7_T9_mT8_P12ihipStream_tbDpT10_ENKUlT_T0_E_clISt17integral_constantIbLb0EES1A_EEDaS15_S16_EUlS15_E_NS1_11comp_targetILNS1_3genE8ELNS1_11target_archE1030ELNS1_3gpuE2ELNS1_3repE0EEENS1_30default_config_static_selectorELNS0_4arch9wavefront6targetE1EEEvT1_,comdat
	.protected	_ZN7rocprim17ROCPRIM_400000_NS6detail17trampoline_kernelINS0_14default_configENS1_25partition_config_selectorILNS1_17partition_subalgoE8EiNS0_10empty_typeEbEEZZNS1_14partition_implILS5_8ELb0ES3_jN6thrust23THRUST_200600_302600_NS6detail15normal_iteratorINSA_10device_ptrIiEEEEPS6_PKS6_NS0_5tupleIJSF_S6_EEENSJ_IJSG_SG_EEENS0_18inequality_wrapperI22is_equal_div_10_uniqueIiEEEPmJS6_EEE10hipError_tPvRmT3_T4_T5_T6_T7_T9_mT8_P12ihipStream_tbDpT10_ENKUlT_T0_E_clISt17integral_constantIbLb0EES1A_EEDaS15_S16_EUlS15_E_NS1_11comp_targetILNS1_3genE8ELNS1_11target_archE1030ELNS1_3gpuE2ELNS1_3repE0EEENS1_30default_config_static_selectorELNS0_4arch9wavefront6targetE1EEEvT1_ ; -- Begin function _ZN7rocprim17ROCPRIM_400000_NS6detail17trampoline_kernelINS0_14default_configENS1_25partition_config_selectorILNS1_17partition_subalgoE8EiNS0_10empty_typeEbEEZZNS1_14partition_implILS5_8ELb0ES3_jN6thrust23THRUST_200600_302600_NS6detail15normal_iteratorINSA_10device_ptrIiEEEEPS6_PKS6_NS0_5tupleIJSF_S6_EEENSJ_IJSG_SG_EEENS0_18inequality_wrapperI22is_equal_div_10_uniqueIiEEEPmJS6_EEE10hipError_tPvRmT3_T4_T5_T6_T7_T9_mT8_P12ihipStream_tbDpT10_ENKUlT_T0_E_clISt17integral_constantIbLb0EES1A_EEDaS15_S16_EUlS15_E_NS1_11comp_targetILNS1_3genE8ELNS1_11target_archE1030ELNS1_3gpuE2ELNS1_3repE0EEENS1_30default_config_static_selectorELNS0_4arch9wavefront6targetE1EEEvT1_
	.globl	_ZN7rocprim17ROCPRIM_400000_NS6detail17trampoline_kernelINS0_14default_configENS1_25partition_config_selectorILNS1_17partition_subalgoE8EiNS0_10empty_typeEbEEZZNS1_14partition_implILS5_8ELb0ES3_jN6thrust23THRUST_200600_302600_NS6detail15normal_iteratorINSA_10device_ptrIiEEEEPS6_PKS6_NS0_5tupleIJSF_S6_EEENSJ_IJSG_SG_EEENS0_18inequality_wrapperI22is_equal_div_10_uniqueIiEEEPmJS6_EEE10hipError_tPvRmT3_T4_T5_T6_T7_T9_mT8_P12ihipStream_tbDpT10_ENKUlT_T0_E_clISt17integral_constantIbLb0EES1A_EEDaS15_S16_EUlS15_E_NS1_11comp_targetILNS1_3genE8ELNS1_11target_archE1030ELNS1_3gpuE2ELNS1_3repE0EEENS1_30default_config_static_selectorELNS0_4arch9wavefront6targetE1EEEvT1_
	.p2align	8
	.type	_ZN7rocprim17ROCPRIM_400000_NS6detail17trampoline_kernelINS0_14default_configENS1_25partition_config_selectorILNS1_17partition_subalgoE8EiNS0_10empty_typeEbEEZZNS1_14partition_implILS5_8ELb0ES3_jN6thrust23THRUST_200600_302600_NS6detail15normal_iteratorINSA_10device_ptrIiEEEEPS6_PKS6_NS0_5tupleIJSF_S6_EEENSJ_IJSG_SG_EEENS0_18inequality_wrapperI22is_equal_div_10_uniqueIiEEEPmJS6_EEE10hipError_tPvRmT3_T4_T5_T6_T7_T9_mT8_P12ihipStream_tbDpT10_ENKUlT_T0_E_clISt17integral_constantIbLb0EES1A_EEDaS15_S16_EUlS15_E_NS1_11comp_targetILNS1_3genE8ELNS1_11target_archE1030ELNS1_3gpuE2ELNS1_3repE0EEENS1_30default_config_static_selectorELNS0_4arch9wavefront6targetE1EEEvT1_,@function
_ZN7rocprim17ROCPRIM_400000_NS6detail17trampoline_kernelINS0_14default_configENS1_25partition_config_selectorILNS1_17partition_subalgoE8EiNS0_10empty_typeEbEEZZNS1_14partition_implILS5_8ELb0ES3_jN6thrust23THRUST_200600_302600_NS6detail15normal_iteratorINSA_10device_ptrIiEEEEPS6_PKS6_NS0_5tupleIJSF_S6_EEENSJ_IJSG_SG_EEENS0_18inequality_wrapperI22is_equal_div_10_uniqueIiEEEPmJS6_EEE10hipError_tPvRmT3_T4_T5_T6_T7_T9_mT8_P12ihipStream_tbDpT10_ENKUlT_T0_E_clISt17integral_constantIbLb0EES1A_EEDaS15_S16_EUlS15_E_NS1_11comp_targetILNS1_3genE8ELNS1_11target_archE1030ELNS1_3gpuE2ELNS1_3repE0EEENS1_30default_config_static_selectorELNS0_4arch9wavefront6targetE1EEEvT1_: ; @_ZN7rocprim17ROCPRIM_400000_NS6detail17trampoline_kernelINS0_14default_configENS1_25partition_config_selectorILNS1_17partition_subalgoE8EiNS0_10empty_typeEbEEZZNS1_14partition_implILS5_8ELb0ES3_jN6thrust23THRUST_200600_302600_NS6detail15normal_iteratorINSA_10device_ptrIiEEEEPS6_PKS6_NS0_5tupleIJSF_S6_EEENSJ_IJSG_SG_EEENS0_18inequality_wrapperI22is_equal_div_10_uniqueIiEEEPmJS6_EEE10hipError_tPvRmT3_T4_T5_T6_T7_T9_mT8_P12ihipStream_tbDpT10_ENKUlT_T0_E_clISt17integral_constantIbLb0EES1A_EEDaS15_S16_EUlS15_E_NS1_11comp_targetILNS1_3genE8ELNS1_11target_archE1030ELNS1_3gpuE2ELNS1_3repE0EEENS1_30default_config_static_selectorELNS0_4arch9wavefront6targetE1EEEvT1_
; %bb.0:
	.section	.rodata,"a",@progbits
	.p2align	6, 0x0
	.amdhsa_kernel _ZN7rocprim17ROCPRIM_400000_NS6detail17trampoline_kernelINS0_14default_configENS1_25partition_config_selectorILNS1_17partition_subalgoE8EiNS0_10empty_typeEbEEZZNS1_14partition_implILS5_8ELb0ES3_jN6thrust23THRUST_200600_302600_NS6detail15normal_iteratorINSA_10device_ptrIiEEEEPS6_PKS6_NS0_5tupleIJSF_S6_EEENSJ_IJSG_SG_EEENS0_18inequality_wrapperI22is_equal_div_10_uniqueIiEEEPmJS6_EEE10hipError_tPvRmT3_T4_T5_T6_T7_T9_mT8_P12ihipStream_tbDpT10_ENKUlT_T0_E_clISt17integral_constantIbLb0EES1A_EEDaS15_S16_EUlS15_E_NS1_11comp_targetILNS1_3genE8ELNS1_11target_archE1030ELNS1_3gpuE2ELNS1_3repE0EEENS1_30default_config_static_selectorELNS0_4arch9wavefront6targetE1EEEvT1_
		.amdhsa_group_segment_fixed_size 0
		.amdhsa_private_segment_fixed_size 0
		.amdhsa_kernarg_size 112
		.amdhsa_user_sgpr_count 6
		.amdhsa_user_sgpr_private_segment_buffer 1
		.amdhsa_user_sgpr_dispatch_ptr 0
		.amdhsa_user_sgpr_queue_ptr 0
		.amdhsa_user_sgpr_kernarg_segment_ptr 1
		.amdhsa_user_sgpr_dispatch_id 0
		.amdhsa_user_sgpr_flat_scratch_init 0
		.amdhsa_user_sgpr_private_segment_size 0
		.amdhsa_uses_dynamic_stack 0
		.amdhsa_system_sgpr_private_segment_wavefront_offset 0
		.amdhsa_system_sgpr_workgroup_id_x 1
		.amdhsa_system_sgpr_workgroup_id_y 0
		.amdhsa_system_sgpr_workgroup_id_z 0
		.amdhsa_system_sgpr_workgroup_info 0
		.amdhsa_system_vgpr_workitem_id 0
		.amdhsa_next_free_vgpr 1
		.amdhsa_next_free_sgpr 0
		.amdhsa_reserve_vcc 0
		.amdhsa_reserve_flat_scratch 0
		.amdhsa_float_round_mode_32 0
		.amdhsa_float_round_mode_16_64 0
		.amdhsa_float_denorm_mode_32 3
		.amdhsa_float_denorm_mode_16_64 3
		.amdhsa_dx10_clamp 1
		.amdhsa_ieee_mode 1
		.amdhsa_fp16_overflow 0
		.amdhsa_exception_fp_ieee_invalid_op 0
		.amdhsa_exception_fp_denorm_src 0
		.amdhsa_exception_fp_ieee_div_zero 0
		.amdhsa_exception_fp_ieee_overflow 0
		.amdhsa_exception_fp_ieee_underflow 0
		.amdhsa_exception_fp_ieee_inexact 0
		.amdhsa_exception_int_div_zero 0
	.end_amdhsa_kernel
	.section	.text._ZN7rocprim17ROCPRIM_400000_NS6detail17trampoline_kernelINS0_14default_configENS1_25partition_config_selectorILNS1_17partition_subalgoE8EiNS0_10empty_typeEbEEZZNS1_14partition_implILS5_8ELb0ES3_jN6thrust23THRUST_200600_302600_NS6detail15normal_iteratorINSA_10device_ptrIiEEEEPS6_PKS6_NS0_5tupleIJSF_S6_EEENSJ_IJSG_SG_EEENS0_18inequality_wrapperI22is_equal_div_10_uniqueIiEEEPmJS6_EEE10hipError_tPvRmT3_T4_T5_T6_T7_T9_mT8_P12ihipStream_tbDpT10_ENKUlT_T0_E_clISt17integral_constantIbLb0EES1A_EEDaS15_S16_EUlS15_E_NS1_11comp_targetILNS1_3genE8ELNS1_11target_archE1030ELNS1_3gpuE2ELNS1_3repE0EEENS1_30default_config_static_selectorELNS0_4arch9wavefront6targetE1EEEvT1_,"axG",@progbits,_ZN7rocprim17ROCPRIM_400000_NS6detail17trampoline_kernelINS0_14default_configENS1_25partition_config_selectorILNS1_17partition_subalgoE8EiNS0_10empty_typeEbEEZZNS1_14partition_implILS5_8ELb0ES3_jN6thrust23THRUST_200600_302600_NS6detail15normal_iteratorINSA_10device_ptrIiEEEEPS6_PKS6_NS0_5tupleIJSF_S6_EEENSJ_IJSG_SG_EEENS0_18inequality_wrapperI22is_equal_div_10_uniqueIiEEEPmJS6_EEE10hipError_tPvRmT3_T4_T5_T6_T7_T9_mT8_P12ihipStream_tbDpT10_ENKUlT_T0_E_clISt17integral_constantIbLb0EES1A_EEDaS15_S16_EUlS15_E_NS1_11comp_targetILNS1_3genE8ELNS1_11target_archE1030ELNS1_3gpuE2ELNS1_3repE0EEENS1_30default_config_static_selectorELNS0_4arch9wavefront6targetE1EEEvT1_,comdat
.Lfunc_end443:
	.size	_ZN7rocprim17ROCPRIM_400000_NS6detail17trampoline_kernelINS0_14default_configENS1_25partition_config_selectorILNS1_17partition_subalgoE8EiNS0_10empty_typeEbEEZZNS1_14partition_implILS5_8ELb0ES3_jN6thrust23THRUST_200600_302600_NS6detail15normal_iteratorINSA_10device_ptrIiEEEEPS6_PKS6_NS0_5tupleIJSF_S6_EEENSJ_IJSG_SG_EEENS0_18inequality_wrapperI22is_equal_div_10_uniqueIiEEEPmJS6_EEE10hipError_tPvRmT3_T4_T5_T6_T7_T9_mT8_P12ihipStream_tbDpT10_ENKUlT_T0_E_clISt17integral_constantIbLb0EES1A_EEDaS15_S16_EUlS15_E_NS1_11comp_targetILNS1_3genE8ELNS1_11target_archE1030ELNS1_3gpuE2ELNS1_3repE0EEENS1_30default_config_static_selectorELNS0_4arch9wavefront6targetE1EEEvT1_, .Lfunc_end443-_ZN7rocprim17ROCPRIM_400000_NS6detail17trampoline_kernelINS0_14default_configENS1_25partition_config_selectorILNS1_17partition_subalgoE8EiNS0_10empty_typeEbEEZZNS1_14partition_implILS5_8ELb0ES3_jN6thrust23THRUST_200600_302600_NS6detail15normal_iteratorINSA_10device_ptrIiEEEEPS6_PKS6_NS0_5tupleIJSF_S6_EEENSJ_IJSG_SG_EEENS0_18inequality_wrapperI22is_equal_div_10_uniqueIiEEEPmJS6_EEE10hipError_tPvRmT3_T4_T5_T6_T7_T9_mT8_P12ihipStream_tbDpT10_ENKUlT_T0_E_clISt17integral_constantIbLb0EES1A_EEDaS15_S16_EUlS15_E_NS1_11comp_targetILNS1_3genE8ELNS1_11target_archE1030ELNS1_3gpuE2ELNS1_3repE0EEENS1_30default_config_static_selectorELNS0_4arch9wavefront6targetE1EEEvT1_
                                        ; -- End function
	.set _ZN7rocprim17ROCPRIM_400000_NS6detail17trampoline_kernelINS0_14default_configENS1_25partition_config_selectorILNS1_17partition_subalgoE8EiNS0_10empty_typeEbEEZZNS1_14partition_implILS5_8ELb0ES3_jN6thrust23THRUST_200600_302600_NS6detail15normal_iteratorINSA_10device_ptrIiEEEEPS6_PKS6_NS0_5tupleIJSF_S6_EEENSJ_IJSG_SG_EEENS0_18inequality_wrapperI22is_equal_div_10_uniqueIiEEEPmJS6_EEE10hipError_tPvRmT3_T4_T5_T6_T7_T9_mT8_P12ihipStream_tbDpT10_ENKUlT_T0_E_clISt17integral_constantIbLb0EES1A_EEDaS15_S16_EUlS15_E_NS1_11comp_targetILNS1_3genE8ELNS1_11target_archE1030ELNS1_3gpuE2ELNS1_3repE0EEENS1_30default_config_static_selectorELNS0_4arch9wavefront6targetE1EEEvT1_.num_vgpr, 0
	.set _ZN7rocprim17ROCPRIM_400000_NS6detail17trampoline_kernelINS0_14default_configENS1_25partition_config_selectorILNS1_17partition_subalgoE8EiNS0_10empty_typeEbEEZZNS1_14partition_implILS5_8ELb0ES3_jN6thrust23THRUST_200600_302600_NS6detail15normal_iteratorINSA_10device_ptrIiEEEEPS6_PKS6_NS0_5tupleIJSF_S6_EEENSJ_IJSG_SG_EEENS0_18inequality_wrapperI22is_equal_div_10_uniqueIiEEEPmJS6_EEE10hipError_tPvRmT3_T4_T5_T6_T7_T9_mT8_P12ihipStream_tbDpT10_ENKUlT_T0_E_clISt17integral_constantIbLb0EES1A_EEDaS15_S16_EUlS15_E_NS1_11comp_targetILNS1_3genE8ELNS1_11target_archE1030ELNS1_3gpuE2ELNS1_3repE0EEENS1_30default_config_static_selectorELNS0_4arch9wavefront6targetE1EEEvT1_.num_agpr, 0
	.set _ZN7rocprim17ROCPRIM_400000_NS6detail17trampoline_kernelINS0_14default_configENS1_25partition_config_selectorILNS1_17partition_subalgoE8EiNS0_10empty_typeEbEEZZNS1_14partition_implILS5_8ELb0ES3_jN6thrust23THRUST_200600_302600_NS6detail15normal_iteratorINSA_10device_ptrIiEEEEPS6_PKS6_NS0_5tupleIJSF_S6_EEENSJ_IJSG_SG_EEENS0_18inequality_wrapperI22is_equal_div_10_uniqueIiEEEPmJS6_EEE10hipError_tPvRmT3_T4_T5_T6_T7_T9_mT8_P12ihipStream_tbDpT10_ENKUlT_T0_E_clISt17integral_constantIbLb0EES1A_EEDaS15_S16_EUlS15_E_NS1_11comp_targetILNS1_3genE8ELNS1_11target_archE1030ELNS1_3gpuE2ELNS1_3repE0EEENS1_30default_config_static_selectorELNS0_4arch9wavefront6targetE1EEEvT1_.numbered_sgpr, 0
	.set _ZN7rocprim17ROCPRIM_400000_NS6detail17trampoline_kernelINS0_14default_configENS1_25partition_config_selectorILNS1_17partition_subalgoE8EiNS0_10empty_typeEbEEZZNS1_14partition_implILS5_8ELb0ES3_jN6thrust23THRUST_200600_302600_NS6detail15normal_iteratorINSA_10device_ptrIiEEEEPS6_PKS6_NS0_5tupleIJSF_S6_EEENSJ_IJSG_SG_EEENS0_18inequality_wrapperI22is_equal_div_10_uniqueIiEEEPmJS6_EEE10hipError_tPvRmT3_T4_T5_T6_T7_T9_mT8_P12ihipStream_tbDpT10_ENKUlT_T0_E_clISt17integral_constantIbLb0EES1A_EEDaS15_S16_EUlS15_E_NS1_11comp_targetILNS1_3genE8ELNS1_11target_archE1030ELNS1_3gpuE2ELNS1_3repE0EEENS1_30default_config_static_selectorELNS0_4arch9wavefront6targetE1EEEvT1_.num_named_barrier, 0
	.set _ZN7rocprim17ROCPRIM_400000_NS6detail17trampoline_kernelINS0_14default_configENS1_25partition_config_selectorILNS1_17partition_subalgoE8EiNS0_10empty_typeEbEEZZNS1_14partition_implILS5_8ELb0ES3_jN6thrust23THRUST_200600_302600_NS6detail15normal_iteratorINSA_10device_ptrIiEEEEPS6_PKS6_NS0_5tupleIJSF_S6_EEENSJ_IJSG_SG_EEENS0_18inequality_wrapperI22is_equal_div_10_uniqueIiEEEPmJS6_EEE10hipError_tPvRmT3_T4_T5_T6_T7_T9_mT8_P12ihipStream_tbDpT10_ENKUlT_T0_E_clISt17integral_constantIbLb0EES1A_EEDaS15_S16_EUlS15_E_NS1_11comp_targetILNS1_3genE8ELNS1_11target_archE1030ELNS1_3gpuE2ELNS1_3repE0EEENS1_30default_config_static_selectorELNS0_4arch9wavefront6targetE1EEEvT1_.private_seg_size, 0
	.set _ZN7rocprim17ROCPRIM_400000_NS6detail17trampoline_kernelINS0_14default_configENS1_25partition_config_selectorILNS1_17partition_subalgoE8EiNS0_10empty_typeEbEEZZNS1_14partition_implILS5_8ELb0ES3_jN6thrust23THRUST_200600_302600_NS6detail15normal_iteratorINSA_10device_ptrIiEEEEPS6_PKS6_NS0_5tupleIJSF_S6_EEENSJ_IJSG_SG_EEENS0_18inequality_wrapperI22is_equal_div_10_uniqueIiEEEPmJS6_EEE10hipError_tPvRmT3_T4_T5_T6_T7_T9_mT8_P12ihipStream_tbDpT10_ENKUlT_T0_E_clISt17integral_constantIbLb0EES1A_EEDaS15_S16_EUlS15_E_NS1_11comp_targetILNS1_3genE8ELNS1_11target_archE1030ELNS1_3gpuE2ELNS1_3repE0EEENS1_30default_config_static_selectorELNS0_4arch9wavefront6targetE1EEEvT1_.uses_vcc, 0
	.set _ZN7rocprim17ROCPRIM_400000_NS6detail17trampoline_kernelINS0_14default_configENS1_25partition_config_selectorILNS1_17partition_subalgoE8EiNS0_10empty_typeEbEEZZNS1_14partition_implILS5_8ELb0ES3_jN6thrust23THRUST_200600_302600_NS6detail15normal_iteratorINSA_10device_ptrIiEEEEPS6_PKS6_NS0_5tupleIJSF_S6_EEENSJ_IJSG_SG_EEENS0_18inequality_wrapperI22is_equal_div_10_uniqueIiEEEPmJS6_EEE10hipError_tPvRmT3_T4_T5_T6_T7_T9_mT8_P12ihipStream_tbDpT10_ENKUlT_T0_E_clISt17integral_constantIbLb0EES1A_EEDaS15_S16_EUlS15_E_NS1_11comp_targetILNS1_3genE8ELNS1_11target_archE1030ELNS1_3gpuE2ELNS1_3repE0EEENS1_30default_config_static_selectorELNS0_4arch9wavefront6targetE1EEEvT1_.uses_flat_scratch, 0
	.set _ZN7rocprim17ROCPRIM_400000_NS6detail17trampoline_kernelINS0_14default_configENS1_25partition_config_selectorILNS1_17partition_subalgoE8EiNS0_10empty_typeEbEEZZNS1_14partition_implILS5_8ELb0ES3_jN6thrust23THRUST_200600_302600_NS6detail15normal_iteratorINSA_10device_ptrIiEEEEPS6_PKS6_NS0_5tupleIJSF_S6_EEENSJ_IJSG_SG_EEENS0_18inequality_wrapperI22is_equal_div_10_uniqueIiEEEPmJS6_EEE10hipError_tPvRmT3_T4_T5_T6_T7_T9_mT8_P12ihipStream_tbDpT10_ENKUlT_T0_E_clISt17integral_constantIbLb0EES1A_EEDaS15_S16_EUlS15_E_NS1_11comp_targetILNS1_3genE8ELNS1_11target_archE1030ELNS1_3gpuE2ELNS1_3repE0EEENS1_30default_config_static_selectorELNS0_4arch9wavefront6targetE1EEEvT1_.has_dyn_sized_stack, 0
	.set _ZN7rocprim17ROCPRIM_400000_NS6detail17trampoline_kernelINS0_14default_configENS1_25partition_config_selectorILNS1_17partition_subalgoE8EiNS0_10empty_typeEbEEZZNS1_14partition_implILS5_8ELb0ES3_jN6thrust23THRUST_200600_302600_NS6detail15normal_iteratorINSA_10device_ptrIiEEEEPS6_PKS6_NS0_5tupleIJSF_S6_EEENSJ_IJSG_SG_EEENS0_18inequality_wrapperI22is_equal_div_10_uniqueIiEEEPmJS6_EEE10hipError_tPvRmT3_T4_T5_T6_T7_T9_mT8_P12ihipStream_tbDpT10_ENKUlT_T0_E_clISt17integral_constantIbLb0EES1A_EEDaS15_S16_EUlS15_E_NS1_11comp_targetILNS1_3genE8ELNS1_11target_archE1030ELNS1_3gpuE2ELNS1_3repE0EEENS1_30default_config_static_selectorELNS0_4arch9wavefront6targetE1EEEvT1_.has_recursion, 0
	.set _ZN7rocprim17ROCPRIM_400000_NS6detail17trampoline_kernelINS0_14default_configENS1_25partition_config_selectorILNS1_17partition_subalgoE8EiNS0_10empty_typeEbEEZZNS1_14partition_implILS5_8ELb0ES3_jN6thrust23THRUST_200600_302600_NS6detail15normal_iteratorINSA_10device_ptrIiEEEEPS6_PKS6_NS0_5tupleIJSF_S6_EEENSJ_IJSG_SG_EEENS0_18inequality_wrapperI22is_equal_div_10_uniqueIiEEEPmJS6_EEE10hipError_tPvRmT3_T4_T5_T6_T7_T9_mT8_P12ihipStream_tbDpT10_ENKUlT_T0_E_clISt17integral_constantIbLb0EES1A_EEDaS15_S16_EUlS15_E_NS1_11comp_targetILNS1_3genE8ELNS1_11target_archE1030ELNS1_3gpuE2ELNS1_3repE0EEENS1_30default_config_static_selectorELNS0_4arch9wavefront6targetE1EEEvT1_.has_indirect_call, 0
	.section	.AMDGPU.csdata,"",@progbits
; Kernel info:
; codeLenInByte = 0
; TotalNumSgprs: 4
; NumVgprs: 0
; ScratchSize: 0
; MemoryBound: 0
; FloatMode: 240
; IeeeMode: 1
; LDSByteSize: 0 bytes/workgroup (compile time only)
; SGPRBlocks: 0
; VGPRBlocks: 0
; NumSGPRsForWavesPerEU: 4
; NumVGPRsForWavesPerEU: 1
; Occupancy: 10
; WaveLimiterHint : 0
; COMPUTE_PGM_RSRC2:SCRATCH_EN: 0
; COMPUTE_PGM_RSRC2:USER_SGPR: 6
; COMPUTE_PGM_RSRC2:TRAP_HANDLER: 0
; COMPUTE_PGM_RSRC2:TGID_X_EN: 1
; COMPUTE_PGM_RSRC2:TGID_Y_EN: 0
; COMPUTE_PGM_RSRC2:TGID_Z_EN: 0
; COMPUTE_PGM_RSRC2:TIDIG_COMP_CNT: 0
	.section	.text._ZN7rocprim17ROCPRIM_400000_NS6detail17trampoline_kernelINS0_14default_configENS1_25partition_config_selectorILNS1_17partition_subalgoE8EiNS0_10empty_typeEbEEZZNS1_14partition_implILS5_8ELb0ES3_jN6thrust23THRUST_200600_302600_NS6detail15normal_iteratorINSA_10device_ptrIiEEEEPS6_PKS6_NS0_5tupleIJSF_S6_EEENSJ_IJSG_SG_EEENS0_18inequality_wrapperI22is_equal_div_10_uniqueIiEEEPmJS6_EEE10hipError_tPvRmT3_T4_T5_T6_T7_T9_mT8_P12ihipStream_tbDpT10_ENKUlT_T0_E_clISt17integral_constantIbLb1EES1A_EEDaS15_S16_EUlS15_E_NS1_11comp_targetILNS1_3genE0ELNS1_11target_archE4294967295ELNS1_3gpuE0ELNS1_3repE0EEENS1_30default_config_static_selectorELNS0_4arch9wavefront6targetE1EEEvT1_,"axG",@progbits,_ZN7rocprim17ROCPRIM_400000_NS6detail17trampoline_kernelINS0_14default_configENS1_25partition_config_selectorILNS1_17partition_subalgoE8EiNS0_10empty_typeEbEEZZNS1_14partition_implILS5_8ELb0ES3_jN6thrust23THRUST_200600_302600_NS6detail15normal_iteratorINSA_10device_ptrIiEEEEPS6_PKS6_NS0_5tupleIJSF_S6_EEENSJ_IJSG_SG_EEENS0_18inequality_wrapperI22is_equal_div_10_uniqueIiEEEPmJS6_EEE10hipError_tPvRmT3_T4_T5_T6_T7_T9_mT8_P12ihipStream_tbDpT10_ENKUlT_T0_E_clISt17integral_constantIbLb1EES1A_EEDaS15_S16_EUlS15_E_NS1_11comp_targetILNS1_3genE0ELNS1_11target_archE4294967295ELNS1_3gpuE0ELNS1_3repE0EEENS1_30default_config_static_selectorELNS0_4arch9wavefront6targetE1EEEvT1_,comdat
	.protected	_ZN7rocprim17ROCPRIM_400000_NS6detail17trampoline_kernelINS0_14default_configENS1_25partition_config_selectorILNS1_17partition_subalgoE8EiNS0_10empty_typeEbEEZZNS1_14partition_implILS5_8ELb0ES3_jN6thrust23THRUST_200600_302600_NS6detail15normal_iteratorINSA_10device_ptrIiEEEEPS6_PKS6_NS0_5tupleIJSF_S6_EEENSJ_IJSG_SG_EEENS0_18inequality_wrapperI22is_equal_div_10_uniqueIiEEEPmJS6_EEE10hipError_tPvRmT3_T4_T5_T6_T7_T9_mT8_P12ihipStream_tbDpT10_ENKUlT_T0_E_clISt17integral_constantIbLb1EES1A_EEDaS15_S16_EUlS15_E_NS1_11comp_targetILNS1_3genE0ELNS1_11target_archE4294967295ELNS1_3gpuE0ELNS1_3repE0EEENS1_30default_config_static_selectorELNS0_4arch9wavefront6targetE1EEEvT1_ ; -- Begin function _ZN7rocprim17ROCPRIM_400000_NS6detail17trampoline_kernelINS0_14default_configENS1_25partition_config_selectorILNS1_17partition_subalgoE8EiNS0_10empty_typeEbEEZZNS1_14partition_implILS5_8ELb0ES3_jN6thrust23THRUST_200600_302600_NS6detail15normal_iteratorINSA_10device_ptrIiEEEEPS6_PKS6_NS0_5tupleIJSF_S6_EEENSJ_IJSG_SG_EEENS0_18inequality_wrapperI22is_equal_div_10_uniqueIiEEEPmJS6_EEE10hipError_tPvRmT3_T4_T5_T6_T7_T9_mT8_P12ihipStream_tbDpT10_ENKUlT_T0_E_clISt17integral_constantIbLb1EES1A_EEDaS15_S16_EUlS15_E_NS1_11comp_targetILNS1_3genE0ELNS1_11target_archE4294967295ELNS1_3gpuE0ELNS1_3repE0EEENS1_30default_config_static_selectorELNS0_4arch9wavefront6targetE1EEEvT1_
	.globl	_ZN7rocprim17ROCPRIM_400000_NS6detail17trampoline_kernelINS0_14default_configENS1_25partition_config_selectorILNS1_17partition_subalgoE8EiNS0_10empty_typeEbEEZZNS1_14partition_implILS5_8ELb0ES3_jN6thrust23THRUST_200600_302600_NS6detail15normal_iteratorINSA_10device_ptrIiEEEEPS6_PKS6_NS0_5tupleIJSF_S6_EEENSJ_IJSG_SG_EEENS0_18inequality_wrapperI22is_equal_div_10_uniqueIiEEEPmJS6_EEE10hipError_tPvRmT3_T4_T5_T6_T7_T9_mT8_P12ihipStream_tbDpT10_ENKUlT_T0_E_clISt17integral_constantIbLb1EES1A_EEDaS15_S16_EUlS15_E_NS1_11comp_targetILNS1_3genE0ELNS1_11target_archE4294967295ELNS1_3gpuE0ELNS1_3repE0EEENS1_30default_config_static_selectorELNS0_4arch9wavefront6targetE1EEEvT1_
	.p2align	8
	.type	_ZN7rocprim17ROCPRIM_400000_NS6detail17trampoline_kernelINS0_14default_configENS1_25partition_config_selectorILNS1_17partition_subalgoE8EiNS0_10empty_typeEbEEZZNS1_14partition_implILS5_8ELb0ES3_jN6thrust23THRUST_200600_302600_NS6detail15normal_iteratorINSA_10device_ptrIiEEEEPS6_PKS6_NS0_5tupleIJSF_S6_EEENSJ_IJSG_SG_EEENS0_18inequality_wrapperI22is_equal_div_10_uniqueIiEEEPmJS6_EEE10hipError_tPvRmT3_T4_T5_T6_T7_T9_mT8_P12ihipStream_tbDpT10_ENKUlT_T0_E_clISt17integral_constantIbLb1EES1A_EEDaS15_S16_EUlS15_E_NS1_11comp_targetILNS1_3genE0ELNS1_11target_archE4294967295ELNS1_3gpuE0ELNS1_3repE0EEENS1_30default_config_static_selectorELNS0_4arch9wavefront6targetE1EEEvT1_,@function
_ZN7rocprim17ROCPRIM_400000_NS6detail17trampoline_kernelINS0_14default_configENS1_25partition_config_selectorILNS1_17partition_subalgoE8EiNS0_10empty_typeEbEEZZNS1_14partition_implILS5_8ELb0ES3_jN6thrust23THRUST_200600_302600_NS6detail15normal_iteratorINSA_10device_ptrIiEEEEPS6_PKS6_NS0_5tupleIJSF_S6_EEENSJ_IJSG_SG_EEENS0_18inequality_wrapperI22is_equal_div_10_uniqueIiEEEPmJS6_EEE10hipError_tPvRmT3_T4_T5_T6_T7_T9_mT8_P12ihipStream_tbDpT10_ENKUlT_T0_E_clISt17integral_constantIbLb1EES1A_EEDaS15_S16_EUlS15_E_NS1_11comp_targetILNS1_3genE0ELNS1_11target_archE4294967295ELNS1_3gpuE0ELNS1_3repE0EEENS1_30default_config_static_selectorELNS0_4arch9wavefront6targetE1EEEvT1_: ; @_ZN7rocprim17ROCPRIM_400000_NS6detail17trampoline_kernelINS0_14default_configENS1_25partition_config_selectorILNS1_17partition_subalgoE8EiNS0_10empty_typeEbEEZZNS1_14partition_implILS5_8ELb0ES3_jN6thrust23THRUST_200600_302600_NS6detail15normal_iteratorINSA_10device_ptrIiEEEEPS6_PKS6_NS0_5tupleIJSF_S6_EEENSJ_IJSG_SG_EEENS0_18inequality_wrapperI22is_equal_div_10_uniqueIiEEEPmJS6_EEE10hipError_tPvRmT3_T4_T5_T6_T7_T9_mT8_P12ihipStream_tbDpT10_ENKUlT_T0_E_clISt17integral_constantIbLb1EES1A_EEDaS15_S16_EUlS15_E_NS1_11comp_targetILNS1_3genE0ELNS1_11target_archE4294967295ELNS1_3gpuE0ELNS1_3repE0EEENS1_30default_config_static_selectorELNS0_4arch9wavefront6targetE1EEEvT1_
; %bb.0:
	.section	.rodata,"a",@progbits
	.p2align	6, 0x0
	.amdhsa_kernel _ZN7rocprim17ROCPRIM_400000_NS6detail17trampoline_kernelINS0_14default_configENS1_25partition_config_selectorILNS1_17partition_subalgoE8EiNS0_10empty_typeEbEEZZNS1_14partition_implILS5_8ELb0ES3_jN6thrust23THRUST_200600_302600_NS6detail15normal_iteratorINSA_10device_ptrIiEEEEPS6_PKS6_NS0_5tupleIJSF_S6_EEENSJ_IJSG_SG_EEENS0_18inequality_wrapperI22is_equal_div_10_uniqueIiEEEPmJS6_EEE10hipError_tPvRmT3_T4_T5_T6_T7_T9_mT8_P12ihipStream_tbDpT10_ENKUlT_T0_E_clISt17integral_constantIbLb1EES1A_EEDaS15_S16_EUlS15_E_NS1_11comp_targetILNS1_3genE0ELNS1_11target_archE4294967295ELNS1_3gpuE0ELNS1_3repE0EEENS1_30default_config_static_selectorELNS0_4arch9wavefront6targetE1EEEvT1_
		.amdhsa_group_segment_fixed_size 0
		.amdhsa_private_segment_fixed_size 0
		.amdhsa_kernarg_size 128
		.amdhsa_user_sgpr_count 6
		.amdhsa_user_sgpr_private_segment_buffer 1
		.amdhsa_user_sgpr_dispatch_ptr 0
		.amdhsa_user_sgpr_queue_ptr 0
		.amdhsa_user_sgpr_kernarg_segment_ptr 1
		.amdhsa_user_sgpr_dispatch_id 0
		.amdhsa_user_sgpr_flat_scratch_init 0
		.amdhsa_user_sgpr_private_segment_size 0
		.amdhsa_uses_dynamic_stack 0
		.amdhsa_system_sgpr_private_segment_wavefront_offset 0
		.amdhsa_system_sgpr_workgroup_id_x 1
		.amdhsa_system_sgpr_workgroup_id_y 0
		.amdhsa_system_sgpr_workgroup_id_z 0
		.amdhsa_system_sgpr_workgroup_info 0
		.amdhsa_system_vgpr_workitem_id 0
		.amdhsa_next_free_vgpr 1
		.amdhsa_next_free_sgpr 0
		.amdhsa_reserve_vcc 0
		.amdhsa_reserve_flat_scratch 0
		.amdhsa_float_round_mode_32 0
		.amdhsa_float_round_mode_16_64 0
		.amdhsa_float_denorm_mode_32 3
		.amdhsa_float_denorm_mode_16_64 3
		.amdhsa_dx10_clamp 1
		.amdhsa_ieee_mode 1
		.amdhsa_fp16_overflow 0
		.amdhsa_exception_fp_ieee_invalid_op 0
		.amdhsa_exception_fp_denorm_src 0
		.amdhsa_exception_fp_ieee_div_zero 0
		.amdhsa_exception_fp_ieee_overflow 0
		.amdhsa_exception_fp_ieee_underflow 0
		.amdhsa_exception_fp_ieee_inexact 0
		.amdhsa_exception_int_div_zero 0
	.end_amdhsa_kernel
	.section	.text._ZN7rocprim17ROCPRIM_400000_NS6detail17trampoline_kernelINS0_14default_configENS1_25partition_config_selectorILNS1_17partition_subalgoE8EiNS0_10empty_typeEbEEZZNS1_14partition_implILS5_8ELb0ES3_jN6thrust23THRUST_200600_302600_NS6detail15normal_iteratorINSA_10device_ptrIiEEEEPS6_PKS6_NS0_5tupleIJSF_S6_EEENSJ_IJSG_SG_EEENS0_18inequality_wrapperI22is_equal_div_10_uniqueIiEEEPmJS6_EEE10hipError_tPvRmT3_T4_T5_T6_T7_T9_mT8_P12ihipStream_tbDpT10_ENKUlT_T0_E_clISt17integral_constantIbLb1EES1A_EEDaS15_S16_EUlS15_E_NS1_11comp_targetILNS1_3genE0ELNS1_11target_archE4294967295ELNS1_3gpuE0ELNS1_3repE0EEENS1_30default_config_static_selectorELNS0_4arch9wavefront6targetE1EEEvT1_,"axG",@progbits,_ZN7rocprim17ROCPRIM_400000_NS6detail17trampoline_kernelINS0_14default_configENS1_25partition_config_selectorILNS1_17partition_subalgoE8EiNS0_10empty_typeEbEEZZNS1_14partition_implILS5_8ELb0ES3_jN6thrust23THRUST_200600_302600_NS6detail15normal_iteratorINSA_10device_ptrIiEEEEPS6_PKS6_NS0_5tupleIJSF_S6_EEENSJ_IJSG_SG_EEENS0_18inequality_wrapperI22is_equal_div_10_uniqueIiEEEPmJS6_EEE10hipError_tPvRmT3_T4_T5_T6_T7_T9_mT8_P12ihipStream_tbDpT10_ENKUlT_T0_E_clISt17integral_constantIbLb1EES1A_EEDaS15_S16_EUlS15_E_NS1_11comp_targetILNS1_3genE0ELNS1_11target_archE4294967295ELNS1_3gpuE0ELNS1_3repE0EEENS1_30default_config_static_selectorELNS0_4arch9wavefront6targetE1EEEvT1_,comdat
.Lfunc_end444:
	.size	_ZN7rocprim17ROCPRIM_400000_NS6detail17trampoline_kernelINS0_14default_configENS1_25partition_config_selectorILNS1_17partition_subalgoE8EiNS0_10empty_typeEbEEZZNS1_14partition_implILS5_8ELb0ES3_jN6thrust23THRUST_200600_302600_NS6detail15normal_iteratorINSA_10device_ptrIiEEEEPS6_PKS6_NS0_5tupleIJSF_S6_EEENSJ_IJSG_SG_EEENS0_18inequality_wrapperI22is_equal_div_10_uniqueIiEEEPmJS6_EEE10hipError_tPvRmT3_T4_T5_T6_T7_T9_mT8_P12ihipStream_tbDpT10_ENKUlT_T0_E_clISt17integral_constantIbLb1EES1A_EEDaS15_S16_EUlS15_E_NS1_11comp_targetILNS1_3genE0ELNS1_11target_archE4294967295ELNS1_3gpuE0ELNS1_3repE0EEENS1_30default_config_static_selectorELNS0_4arch9wavefront6targetE1EEEvT1_, .Lfunc_end444-_ZN7rocprim17ROCPRIM_400000_NS6detail17trampoline_kernelINS0_14default_configENS1_25partition_config_selectorILNS1_17partition_subalgoE8EiNS0_10empty_typeEbEEZZNS1_14partition_implILS5_8ELb0ES3_jN6thrust23THRUST_200600_302600_NS6detail15normal_iteratorINSA_10device_ptrIiEEEEPS6_PKS6_NS0_5tupleIJSF_S6_EEENSJ_IJSG_SG_EEENS0_18inequality_wrapperI22is_equal_div_10_uniqueIiEEEPmJS6_EEE10hipError_tPvRmT3_T4_T5_T6_T7_T9_mT8_P12ihipStream_tbDpT10_ENKUlT_T0_E_clISt17integral_constantIbLb1EES1A_EEDaS15_S16_EUlS15_E_NS1_11comp_targetILNS1_3genE0ELNS1_11target_archE4294967295ELNS1_3gpuE0ELNS1_3repE0EEENS1_30default_config_static_selectorELNS0_4arch9wavefront6targetE1EEEvT1_
                                        ; -- End function
	.set _ZN7rocprim17ROCPRIM_400000_NS6detail17trampoline_kernelINS0_14default_configENS1_25partition_config_selectorILNS1_17partition_subalgoE8EiNS0_10empty_typeEbEEZZNS1_14partition_implILS5_8ELb0ES3_jN6thrust23THRUST_200600_302600_NS6detail15normal_iteratorINSA_10device_ptrIiEEEEPS6_PKS6_NS0_5tupleIJSF_S6_EEENSJ_IJSG_SG_EEENS0_18inequality_wrapperI22is_equal_div_10_uniqueIiEEEPmJS6_EEE10hipError_tPvRmT3_T4_T5_T6_T7_T9_mT8_P12ihipStream_tbDpT10_ENKUlT_T0_E_clISt17integral_constantIbLb1EES1A_EEDaS15_S16_EUlS15_E_NS1_11comp_targetILNS1_3genE0ELNS1_11target_archE4294967295ELNS1_3gpuE0ELNS1_3repE0EEENS1_30default_config_static_selectorELNS0_4arch9wavefront6targetE1EEEvT1_.num_vgpr, 0
	.set _ZN7rocprim17ROCPRIM_400000_NS6detail17trampoline_kernelINS0_14default_configENS1_25partition_config_selectorILNS1_17partition_subalgoE8EiNS0_10empty_typeEbEEZZNS1_14partition_implILS5_8ELb0ES3_jN6thrust23THRUST_200600_302600_NS6detail15normal_iteratorINSA_10device_ptrIiEEEEPS6_PKS6_NS0_5tupleIJSF_S6_EEENSJ_IJSG_SG_EEENS0_18inequality_wrapperI22is_equal_div_10_uniqueIiEEEPmJS6_EEE10hipError_tPvRmT3_T4_T5_T6_T7_T9_mT8_P12ihipStream_tbDpT10_ENKUlT_T0_E_clISt17integral_constantIbLb1EES1A_EEDaS15_S16_EUlS15_E_NS1_11comp_targetILNS1_3genE0ELNS1_11target_archE4294967295ELNS1_3gpuE0ELNS1_3repE0EEENS1_30default_config_static_selectorELNS0_4arch9wavefront6targetE1EEEvT1_.num_agpr, 0
	.set _ZN7rocprim17ROCPRIM_400000_NS6detail17trampoline_kernelINS0_14default_configENS1_25partition_config_selectorILNS1_17partition_subalgoE8EiNS0_10empty_typeEbEEZZNS1_14partition_implILS5_8ELb0ES3_jN6thrust23THRUST_200600_302600_NS6detail15normal_iteratorINSA_10device_ptrIiEEEEPS6_PKS6_NS0_5tupleIJSF_S6_EEENSJ_IJSG_SG_EEENS0_18inequality_wrapperI22is_equal_div_10_uniqueIiEEEPmJS6_EEE10hipError_tPvRmT3_T4_T5_T6_T7_T9_mT8_P12ihipStream_tbDpT10_ENKUlT_T0_E_clISt17integral_constantIbLb1EES1A_EEDaS15_S16_EUlS15_E_NS1_11comp_targetILNS1_3genE0ELNS1_11target_archE4294967295ELNS1_3gpuE0ELNS1_3repE0EEENS1_30default_config_static_selectorELNS0_4arch9wavefront6targetE1EEEvT1_.numbered_sgpr, 0
	.set _ZN7rocprim17ROCPRIM_400000_NS6detail17trampoline_kernelINS0_14default_configENS1_25partition_config_selectorILNS1_17partition_subalgoE8EiNS0_10empty_typeEbEEZZNS1_14partition_implILS5_8ELb0ES3_jN6thrust23THRUST_200600_302600_NS6detail15normal_iteratorINSA_10device_ptrIiEEEEPS6_PKS6_NS0_5tupleIJSF_S6_EEENSJ_IJSG_SG_EEENS0_18inequality_wrapperI22is_equal_div_10_uniqueIiEEEPmJS6_EEE10hipError_tPvRmT3_T4_T5_T6_T7_T9_mT8_P12ihipStream_tbDpT10_ENKUlT_T0_E_clISt17integral_constantIbLb1EES1A_EEDaS15_S16_EUlS15_E_NS1_11comp_targetILNS1_3genE0ELNS1_11target_archE4294967295ELNS1_3gpuE0ELNS1_3repE0EEENS1_30default_config_static_selectorELNS0_4arch9wavefront6targetE1EEEvT1_.num_named_barrier, 0
	.set _ZN7rocprim17ROCPRIM_400000_NS6detail17trampoline_kernelINS0_14default_configENS1_25partition_config_selectorILNS1_17partition_subalgoE8EiNS0_10empty_typeEbEEZZNS1_14partition_implILS5_8ELb0ES3_jN6thrust23THRUST_200600_302600_NS6detail15normal_iteratorINSA_10device_ptrIiEEEEPS6_PKS6_NS0_5tupleIJSF_S6_EEENSJ_IJSG_SG_EEENS0_18inequality_wrapperI22is_equal_div_10_uniqueIiEEEPmJS6_EEE10hipError_tPvRmT3_T4_T5_T6_T7_T9_mT8_P12ihipStream_tbDpT10_ENKUlT_T0_E_clISt17integral_constantIbLb1EES1A_EEDaS15_S16_EUlS15_E_NS1_11comp_targetILNS1_3genE0ELNS1_11target_archE4294967295ELNS1_3gpuE0ELNS1_3repE0EEENS1_30default_config_static_selectorELNS0_4arch9wavefront6targetE1EEEvT1_.private_seg_size, 0
	.set _ZN7rocprim17ROCPRIM_400000_NS6detail17trampoline_kernelINS0_14default_configENS1_25partition_config_selectorILNS1_17partition_subalgoE8EiNS0_10empty_typeEbEEZZNS1_14partition_implILS5_8ELb0ES3_jN6thrust23THRUST_200600_302600_NS6detail15normal_iteratorINSA_10device_ptrIiEEEEPS6_PKS6_NS0_5tupleIJSF_S6_EEENSJ_IJSG_SG_EEENS0_18inequality_wrapperI22is_equal_div_10_uniqueIiEEEPmJS6_EEE10hipError_tPvRmT3_T4_T5_T6_T7_T9_mT8_P12ihipStream_tbDpT10_ENKUlT_T0_E_clISt17integral_constantIbLb1EES1A_EEDaS15_S16_EUlS15_E_NS1_11comp_targetILNS1_3genE0ELNS1_11target_archE4294967295ELNS1_3gpuE0ELNS1_3repE0EEENS1_30default_config_static_selectorELNS0_4arch9wavefront6targetE1EEEvT1_.uses_vcc, 0
	.set _ZN7rocprim17ROCPRIM_400000_NS6detail17trampoline_kernelINS0_14default_configENS1_25partition_config_selectorILNS1_17partition_subalgoE8EiNS0_10empty_typeEbEEZZNS1_14partition_implILS5_8ELb0ES3_jN6thrust23THRUST_200600_302600_NS6detail15normal_iteratorINSA_10device_ptrIiEEEEPS6_PKS6_NS0_5tupleIJSF_S6_EEENSJ_IJSG_SG_EEENS0_18inequality_wrapperI22is_equal_div_10_uniqueIiEEEPmJS6_EEE10hipError_tPvRmT3_T4_T5_T6_T7_T9_mT8_P12ihipStream_tbDpT10_ENKUlT_T0_E_clISt17integral_constantIbLb1EES1A_EEDaS15_S16_EUlS15_E_NS1_11comp_targetILNS1_3genE0ELNS1_11target_archE4294967295ELNS1_3gpuE0ELNS1_3repE0EEENS1_30default_config_static_selectorELNS0_4arch9wavefront6targetE1EEEvT1_.uses_flat_scratch, 0
	.set _ZN7rocprim17ROCPRIM_400000_NS6detail17trampoline_kernelINS0_14default_configENS1_25partition_config_selectorILNS1_17partition_subalgoE8EiNS0_10empty_typeEbEEZZNS1_14partition_implILS5_8ELb0ES3_jN6thrust23THRUST_200600_302600_NS6detail15normal_iteratorINSA_10device_ptrIiEEEEPS6_PKS6_NS0_5tupleIJSF_S6_EEENSJ_IJSG_SG_EEENS0_18inequality_wrapperI22is_equal_div_10_uniqueIiEEEPmJS6_EEE10hipError_tPvRmT3_T4_T5_T6_T7_T9_mT8_P12ihipStream_tbDpT10_ENKUlT_T0_E_clISt17integral_constantIbLb1EES1A_EEDaS15_S16_EUlS15_E_NS1_11comp_targetILNS1_3genE0ELNS1_11target_archE4294967295ELNS1_3gpuE0ELNS1_3repE0EEENS1_30default_config_static_selectorELNS0_4arch9wavefront6targetE1EEEvT1_.has_dyn_sized_stack, 0
	.set _ZN7rocprim17ROCPRIM_400000_NS6detail17trampoline_kernelINS0_14default_configENS1_25partition_config_selectorILNS1_17partition_subalgoE8EiNS0_10empty_typeEbEEZZNS1_14partition_implILS5_8ELb0ES3_jN6thrust23THRUST_200600_302600_NS6detail15normal_iteratorINSA_10device_ptrIiEEEEPS6_PKS6_NS0_5tupleIJSF_S6_EEENSJ_IJSG_SG_EEENS0_18inequality_wrapperI22is_equal_div_10_uniqueIiEEEPmJS6_EEE10hipError_tPvRmT3_T4_T5_T6_T7_T9_mT8_P12ihipStream_tbDpT10_ENKUlT_T0_E_clISt17integral_constantIbLb1EES1A_EEDaS15_S16_EUlS15_E_NS1_11comp_targetILNS1_3genE0ELNS1_11target_archE4294967295ELNS1_3gpuE0ELNS1_3repE0EEENS1_30default_config_static_selectorELNS0_4arch9wavefront6targetE1EEEvT1_.has_recursion, 0
	.set _ZN7rocprim17ROCPRIM_400000_NS6detail17trampoline_kernelINS0_14default_configENS1_25partition_config_selectorILNS1_17partition_subalgoE8EiNS0_10empty_typeEbEEZZNS1_14partition_implILS5_8ELb0ES3_jN6thrust23THRUST_200600_302600_NS6detail15normal_iteratorINSA_10device_ptrIiEEEEPS6_PKS6_NS0_5tupleIJSF_S6_EEENSJ_IJSG_SG_EEENS0_18inequality_wrapperI22is_equal_div_10_uniqueIiEEEPmJS6_EEE10hipError_tPvRmT3_T4_T5_T6_T7_T9_mT8_P12ihipStream_tbDpT10_ENKUlT_T0_E_clISt17integral_constantIbLb1EES1A_EEDaS15_S16_EUlS15_E_NS1_11comp_targetILNS1_3genE0ELNS1_11target_archE4294967295ELNS1_3gpuE0ELNS1_3repE0EEENS1_30default_config_static_selectorELNS0_4arch9wavefront6targetE1EEEvT1_.has_indirect_call, 0
	.section	.AMDGPU.csdata,"",@progbits
; Kernel info:
; codeLenInByte = 0
; TotalNumSgprs: 4
; NumVgprs: 0
; ScratchSize: 0
; MemoryBound: 0
; FloatMode: 240
; IeeeMode: 1
; LDSByteSize: 0 bytes/workgroup (compile time only)
; SGPRBlocks: 0
; VGPRBlocks: 0
; NumSGPRsForWavesPerEU: 4
; NumVGPRsForWavesPerEU: 1
; Occupancy: 10
; WaveLimiterHint : 0
; COMPUTE_PGM_RSRC2:SCRATCH_EN: 0
; COMPUTE_PGM_RSRC2:USER_SGPR: 6
; COMPUTE_PGM_RSRC2:TRAP_HANDLER: 0
; COMPUTE_PGM_RSRC2:TGID_X_EN: 1
; COMPUTE_PGM_RSRC2:TGID_Y_EN: 0
; COMPUTE_PGM_RSRC2:TGID_Z_EN: 0
; COMPUTE_PGM_RSRC2:TIDIG_COMP_CNT: 0
	.section	.text._ZN7rocprim17ROCPRIM_400000_NS6detail17trampoline_kernelINS0_14default_configENS1_25partition_config_selectorILNS1_17partition_subalgoE8EiNS0_10empty_typeEbEEZZNS1_14partition_implILS5_8ELb0ES3_jN6thrust23THRUST_200600_302600_NS6detail15normal_iteratorINSA_10device_ptrIiEEEEPS6_PKS6_NS0_5tupleIJSF_S6_EEENSJ_IJSG_SG_EEENS0_18inequality_wrapperI22is_equal_div_10_uniqueIiEEEPmJS6_EEE10hipError_tPvRmT3_T4_T5_T6_T7_T9_mT8_P12ihipStream_tbDpT10_ENKUlT_T0_E_clISt17integral_constantIbLb1EES1A_EEDaS15_S16_EUlS15_E_NS1_11comp_targetILNS1_3genE5ELNS1_11target_archE942ELNS1_3gpuE9ELNS1_3repE0EEENS1_30default_config_static_selectorELNS0_4arch9wavefront6targetE1EEEvT1_,"axG",@progbits,_ZN7rocprim17ROCPRIM_400000_NS6detail17trampoline_kernelINS0_14default_configENS1_25partition_config_selectorILNS1_17partition_subalgoE8EiNS0_10empty_typeEbEEZZNS1_14partition_implILS5_8ELb0ES3_jN6thrust23THRUST_200600_302600_NS6detail15normal_iteratorINSA_10device_ptrIiEEEEPS6_PKS6_NS0_5tupleIJSF_S6_EEENSJ_IJSG_SG_EEENS0_18inequality_wrapperI22is_equal_div_10_uniqueIiEEEPmJS6_EEE10hipError_tPvRmT3_T4_T5_T6_T7_T9_mT8_P12ihipStream_tbDpT10_ENKUlT_T0_E_clISt17integral_constantIbLb1EES1A_EEDaS15_S16_EUlS15_E_NS1_11comp_targetILNS1_3genE5ELNS1_11target_archE942ELNS1_3gpuE9ELNS1_3repE0EEENS1_30default_config_static_selectorELNS0_4arch9wavefront6targetE1EEEvT1_,comdat
	.protected	_ZN7rocprim17ROCPRIM_400000_NS6detail17trampoline_kernelINS0_14default_configENS1_25partition_config_selectorILNS1_17partition_subalgoE8EiNS0_10empty_typeEbEEZZNS1_14partition_implILS5_8ELb0ES3_jN6thrust23THRUST_200600_302600_NS6detail15normal_iteratorINSA_10device_ptrIiEEEEPS6_PKS6_NS0_5tupleIJSF_S6_EEENSJ_IJSG_SG_EEENS0_18inequality_wrapperI22is_equal_div_10_uniqueIiEEEPmJS6_EEE10hipError_tPvRmT3_T4_T5_T6_T7_T9_mT8_P12ihipStream_tbDpT10_ENKUlT_T0_E_clISt17integral_constantIbLb1EES1A_EEDaS15_S16_EUlS15_E_NS1_11comp_targetILNS1_3genE5ELNS1_11target_archE942ELNS1_3gpuE9ELNS1_3repE0EEENS1_30default_config_static_selectorELNS0_4arch9wavefront6targetE1EEEvT1_ ; -- Begin function _ZN7rocprim17ROCPRIM_400000_NS6detail17trampoline_kernelINS0_14default_configENS1_25partition_config_selectorILNS1_17partition_subalgoE8EiNS0_10empty_typeEbEEZZNS1_14partition_implILS5_8ELb0ES3_jN6thrust23THRUST_200600_302600_NS6detail15normal_iteratorINSA_10device_ptrIiEEEEPS6_PKS6_NS0_5tupleIJSF_S6_EEENSJ_IJSG_SG_EEENS0_18inequality_wrapperI22is_equal_div_10_uniqueIiEEEPmJS6_EEE10hipError_tPvRmT3_T4_T5_T6_T7_T9_mT8_P12ihipStream_tbDpT10_ENKUlT_T0_E_clISt17integral_constantIbLb1EES1A_EEDaS15_S16_EUlS15_E_NS1_11comp_targetILNS1_3genE5ELNS1_11target_archE942ELNS1_3gpuE9ELNS1_3repE0EEENS1_30default_config_static_selectorELNS0_4arch9wavefront6targetE1EEEvT1_
	.globl	_ZN7rocprim17ROCPRIM_400000_NS6detail17trampoline_kernelINS0_14default_configENS1_25partition_config_selectorILNS1_17partition_subalgoE8EiNS0_10empty_typeEbEEZZNS1_14partition_implILS5_8ELb0ES3_jN6thrust23THRUST_200600_302600_NS6detail15normal_iteratorINSA_10device_ptrIiEEEEPS6_PKS6_NS0_5tupleIJSF_S6_EEENSJ_IJSG_SG_EEENS0_18inequality_wrapperI22is_equal_div_10_uniqueIiEEEPmJS6_EEE10hipError_tPvRmT3_T4_T5_T6_T7_T9_mT8_P12ihipStream_tbDpT10_ENKUlT_T0_E_clISt17integral_constantIbLb1EES1A_EEDaS15_S16_EUlS15_E_NS1_11comp_targetILNS1_3genE5ELNS1_11target_archE942ELNS1_3gpuE9ELNS1_3repE0EEENS1_30default_config_static_selectorELNS0_4arch9wavefront6targetE1EEEvT1_
	.p2align	8
	.type	_ZN7rocprim17ROCPRIM_400000_NS6detail17trampoline_kernelINS0_14default_configENS1_25partition_config_selectorILNS1_17partition_subalgoE8EiNS0_10empty_typeEbEEZZNS1_14partition_implILS5_8ELb0ES3_jN6thrust23THRUST_200600_302600_NS6detail15normal_iteratorINSA_10device_ptrIiEEEEPS6_PKS6_NS0_5tupleIJSF_S6_EEENSJ_IJSG_SG_EEENS0_18inequality_wrapperI22is_equal_div_10_uniqueIiEEEPmJS6_EEE10hipError_tPvRmT3_T4_T5_T6_T7_T9_mT8_P12ihipStream_tbDpT10_ENKUlT_T0_E_clISt17integral_constantIbLb1EES1A_EEDaS15_S16_EUlS15_E_NS1_11comp_targetILNS1_3genE5ELNS1_11target_archE942ELNS1_3gpuE9ELNS1_3repE0EEENS1_30default_config_static_selectorELNS0_4arch9wavefront6targetE1EEEvT1_,@function
_ZN7rocprim17ROCPRIM_400000_NS6detail17trampoline_kernelINS0_14default_configENS1_25partition_config_selectorILNS1_17partition_subalgoE8EiNS0_10empty_typeEbEEZZNS1_14partition_implILS5_8ELb0ES3_jN6thrust23THRUST_200600_302600_NS6detail15normal_iteratorINSA_10device_ptrIiEEEEPS6_PKS6_NS0_5tupleIJSF_S6_EEENSJ_IJSG_SG_EEENS0_18inequality_wrapperI22is_equal_div_10_uniqueIiEEEPmJS6_EEE10hipError_tPvRmT3_T4_T5_T6_T7_T9_mT8_P12ihipStream_tbDpT10_ENKUlT_T0_E_clISt17integral_constantIbLb1EES1A_EEDaS15_S16_EUlS15_E_NS1_11comp_targetILNS1_3genE5ELNS1_11target_archE942ELNS1_3gpuE9ELNS1_3repE0EEENS1_30default_config_static_selectorELNS0_4arch9wavefront6targetE1EEEvT1_: ; @_ZN7rocprim17ROCPRIM_400000_NS6detail17trampoline_kernelINS0_14default_configENS1_25partition_config_selectorILNS1_17partition_subalgoE8EiNS0_10empty_typeEbEEZZNS1_14partition_implILS5_8ELb0ES3_jN6thrust23THRUST_200600_302600_NS6detail15normal_iteratorINSA_10device_ptrIiEEEEPS6_PKS6_NS0_5tupleIJSF_S6_EEENSJ_IJSG_SG_EEENS0_18inequality_wrapperI22is_equal_div_10_uniqueIiEEEPmJS6_EEE10hipError_tPvRmT3_T4_T5_T6_T7_T9_mT8_P12ihipStream_tbDpT10_ENKUlT_T0_E_clISt17integral_constantIbLb1EES1A_EEDaS15_S16_EUlS15_E_NS1_11comp_targetILNS1_3genE5ELNS1_11target_archE942ELNS1_3gpuE9ELNS1_3repE0EEENS1_30default_config_static_selectorELNS0_4arch9wavefront6targetE1EEEvT1_
; %bb.0:
	.section	.rodata,"a",@progbits
	.p2align	6, 0x0
	.amdhsa_kernel _ZN7rocprim17ROCPRIM_400000_NS6detail17trampoline_kernelINS0_14default_configENS1_25partition_config_selectorILNS1_17partition_subalgoE8EiNS0_10empty_typeEbEEZZNS1_14partition_implILS5_8ELb0ES3_jN6thrust23THRUST_200600_302600_NS6detail15normal_iteratorINSA_10device_ptrIiEEEEPS6_PKS6_NS0_5tupleIJSF_S6_EEENSJ_IJSG_SG_EEENS0_18inequality_wrapperI22is_equal_div_10_uniqueIiEEEPmJS6_EEE10hipError_tPvRmT3_T4_T5_T6_T7_T9_mT8_P12ihipStream_tbDpT10_ENKUlT_T0_E_clISt17integral_constantIbLb1EES1A_EEDaS15_S16_EUlS15_E_NS1_11comp_targetILNS1_3genE5ELNS1_11target_archE942ELNS1_3gpuE9ELNS1_3repE0EEENS1_30default_config_static_selectorELNS0_4arch9wavefront6targetE1EEEvT1_
		.amdhsa_group_segment_fixed_size 0
		.amdhsa_private_segment_fixed_size 0
		.amdhsa_kernarg_size 128
		.amdhsa_user_sgpr_count 6
		.amdhsa_user_sgpr_private_segment_buffer 1
		.amdhsa_user_sgpr_dispatch_ptr 0
		.amdhsa_user_sgpr_queue_ptr 0
		.amdhsa_user_sgpr_kernarg_segment_ptr 1
		.amdhsa_user_sgpr_dispatch_id 0
		.amdhsa_user_sgpr_flat_scratch_init 0
		.amdhsa_user_sgpr_private_segment_size 0
		.amdhsa_uses_dynamic_stack 0
		.amdhsa_system_sgpr_private_segment_wavefront_offset 0
		.amdhsa_system_sgpr_workgroup_id_x 1
		.amdhsa_system_sgpr_workgroup_id_y 0
		.amdhsa_system_sgpr_workgroup_id_z 0
		.amdhsa_system_sgpr_workgroup_info 0
		.amdhsa_system_vgpr_workitem_id 0
		.amdhsa_next_free_vgpr 1
		.amdhsa_next_free_sgpr 0
		.amdhsa_reserve_vcc 0
		.amdhsa_reserve_flat_scratch 0
		.amdhsa_float_round_mode_32 0
		.amdhsa_float_round_mode_16_64 0
		.amdhsa_float_denorm_mode_32 3
		.amdhsa_float_denorm_mode_16_64 3
		.amdhsa_dx10_clamp 1
		.amdhsa_ieee_mode 1
		.amdhsa_fp16_overflow 0
		.amdhsa_exception_fp_ieee_invalid_op 0
		.amdhsa_exception_fp_denorm_src 0
		.amdhsa_exception_fp_ieee_div_zero 0
		.amdhsa_exception_fp_ieee_overflow 0
		.amdhsa_exception_fp_ieee_underflow 0
		.amdhsa_exception_fp_ieee_inexact 0
		.amdhsa_exception_int_div_zero 0
	.end_amdhsa_kernel
	.section	.text._ZN7rocprim17ROCPRIM_400000_NS6detail17trampoline_kernelINS0_14default_configENS1_25partition_config_selectorILNS1_17partition_subalgoE8EiNS0_10empty_typeEbEEZZNS1_14partition_implILS5_8ELb0ES3_jN6thrust23THRUST_200600_302600_NS6detail15normal_iteratorINSA_10device_ptrIiEEEEPS6_PKS6_NS0_5tupleIJSF_S6_EEENSJ_IJSG_SG_EEENS0_18inequality_wrapperI22is_equal_div_10_uniqueIiEEEPmJS6_EEE10hipError_tPvRmT3_T4_T5_T6_T7_T9_mT8_P12ihipStream_tbDpT10_ENKUlT_T0_E_clISt17integral_constantIbLb1EES1A_EEDaS15_S16_EUlS15_E_NS1_11comp_targetILNS1_3genE5ELNS1_11target_archE942ELNS1_3gpuE9ELNS1_3repE0EEENS1_30default_config_static_selectorELNS0_4arch9wavefront6targetE1EEEvT1_,"axG",@progbits,_ZN7rocprim17ROCPRIM_400000_NS6detail17trampoline_kernelINS0_14default_configENS1_25partition_config_selectorILNS1_17partition_subalgoE8EiNS0_10empty_typeEbEEZZNS1_14partition_implILS5_8ELb0ES3_jN6thrust23THRUST_200600_302600_NS6detail15normal_iteratorINSA_10device_ptrIiEEEEPS6_PKS6_NS0_5tupleIJSF_S6_EEENSJ_IJSG_SG_EEENS0_18inequality_wrapperI22is_equal_div_10_uniqueIiEEEPmJS6_EEE10hipError_tPvRmT3_T4_T5_T6_T7_T9_mT8_P12ihipStream_tbDpT10_ENKUlT_T0_E_clISt17integral_constantIbLb1EES1A_EEDaS15_S16_EUlS15_E_NS1_11comp_targetILNS1_3genE5ELNS1_11target_archE942ELNS1_3gpuE9ELNS1_3repE0EEENS1_30default_config_static_selectorELNS0_4arch9wavefront6targetE1EEEvT1_,comdat
.Lfunc_end445:
	.size	_ZN7rocprim17ROCPRIM_400000_NS6detail17trampoline_kernelINS0_14default_configENS1_25partition_config_selectorILNS1_17partition_subalgoE8EiNS0_10empty_typeEbEEZZNS1_14partition_implILS5_8ELb0ES3_jN6thrust23THRUST_200600_302600_NS6detail15normal_iteratorINSA_10device_ptrIiEEEEPS6_PKS6_NS0_5tupleIJSF_S6_EEENSJ_IJSG_SG_EEENS0_18inequality_wrapperI22is_equal_div_10_uniqueIiEEEPmJS6_EEE10hipError_tPvRmT3_T4_T5_T6_T7_T9_mT8_P12ihipStream_tbDpT10_ENKUlT_T0_E_clISt17integral_constantIbLb1EES1A_EEDaS15_S16_EUlS15_E_NS1_11comp_targetILNS1_3genE5ELNS1_11target_archE942ELNS1_3gpuE9ELNS1_3repE0EEENS1_30default_config_static_selectorELNS0_4arch9wavefront6targetE1EEEvT1_, .Lfunc_end445-_ZN7rocprim17ROCPRIM_400000_NS6detail17trampoline_kernelINS0_14default_configENS1_25partition_config_selectorILNS1_17partition_subalgoE8EiNS0_10empty_typeEbEEZZNS1_14partition_implILS5_8ELb0ES3_jN6thrust23THRUST_200600_302600_NS6detail15normal_iteratorINSA_10device_ptrIiEEEEPS6_PKS6_NS0_5tupleIJSF_S6_EEENSJ_IJSG_SG_EEENS0_18inequality_wrapperI22is_equal_div_10_uniqueIiEEEPmJS6_EEE10hipError_tPvRmT3_T4_T5_T6_T7_T9_mT8_P12ihipStream_tbDpT10_ENKUlT_T0_E_clISt17integral_constantIbLb1EES1A_EEDaS15_S16_EUlS15_E_NS1_11comp_targetILNS1_3genE5ELNS1_11target_archE942ELNS1_3gpuE9ELNS1_3repE0EEENS1_30default_config_static_selectorELNS0_4arch9wavefront6targetE1EEEvT1_
                                        ; -- End function
	.set _ZN7rocprim17ROCPRIM_400000_NS6detail17trampoline_kernelINS0_14default_configENS1_25partition_config_selectorILNS1_17partition_subalgoE8EiNS0_10empty_typeEbEEZZNS1_14partition_implILS5_8ELb0ES3_jN6thrust23THRUST_200600_302600_NS6detail15normal_iteratorINSA_10device_ptrIiEEEEPS6_PKS6_NS0_5tupleIJSF_S6_EEENSJ_IJSG_SG_EEENS0_18inequality_wrapperI22is_equal_div_10_uniqueIiEEEPmJS6_EEE10hipError_tPvRmT3_T4_T5_T6_T7_T9_mT8_P12ihipStream_tbDpT10_ENKUlT_T0_E_clISt17integral_constantIbLb1EES1A_EEDaS15_S16_EUlS15_E_NS1_11comp_targetILNS1_3genE5ELNS1_11target_archE942ELNS1_3gpuE9ELNS1_3repE0EEENS1_30default_config_static_selectorELNS0_4arch9wavefront6targetE1EEEvT1_.num_vgpr, 0
	.set _ZN7rocprim17ROCPRIM_400000_NS6detail17trampoline_kernelINS0_14default_configENS1_25partition_config_selectorILNS1_17partition_subalgoE8EiNS0_10empty_typeEbEEZZNS1_14partition_implILS5_8ELb0ES3_jN6thrust23THRUST_200600_302600_NS6detail15normal_iteratorINSA_10device_ptrIiEEEEPS6_PKS6_NS0_5tupleIJSF_S6_EEENSJ_IJSG_SG_EEENS0_18inequality_wrapperI22is_equal_div_10_uniqueIiEEEPmJS6_EEE10hipError_tPvRmT3_T4_T5_T6_T7_T9_mT8_P12ihipStream_tbDpT10_ENKUlT_T0_E_clISt17integral_constantIbLb1EES1A_EEDaS15_S16_EUlS15_E_NS1_11comp_targetILNS1_3genE5ELNS1_11target_archE942ELNS1_3gpuE9ELNS1_3repE0EEENS1_30default_config_static_selectorELNS0_4arch9wavefront6targetE1EEEvT1_.num_agpr, 0
	.set _ZN7rocprim17ROCPRIM_400000_NS6detail17trampoline_kernelINS0_14default_configENS1_25partition_config_selectorILNS1_17partition_subalgoE8EiNS0_10empty_typeEbEEZZNS1_14partition_implILS5_8ELb0ES3_jN6thrust23THRUST_200600_302600_NS6detail15normal_iteratorINSA_10device_ptrIiEEEEPS6_PKS6_NS0_5tupleIJSF_S6_EEENSJ_IJSG_SG_EEENS0_18inequality_wrapperI22is_equal_div_10_uniqueIiEEEPmJS6_EEE10hipError_tPvRmT3_T4_T5_T6_T7_T9_mT8_P12ihipStream_tbDpT10_ENKUlT_T0_E_clISt17integral_constantIbLb1EES1A_EEDaS15_S16_EUlS15_E_NS1_11comp_targetILNS1_3genE5ELNS1_11target_archE942ELNS1_3gpuE9ELNS1_3repE0EEENS1_30default_config_static_selectorELNS0_4arch9wavefront6targetE1EEEvT1_.numbered_sgpr, 0
	.set _ZN7rocprim17ROCPRIM_400000_NS6detail17trampoline_kernelINS0_14default_configENS1_25partition_config_selectorILNS1_17partition_subalgoE8EiNS0_10empty_typeEbEEZZNS1_14partition_implILS5_8ELb0ES3_jN6thrust23THRUST_200600_302600_NS6detail15normal_iteratorINSA_10device_ptrIiEEEEPS6_PKS6_NS0_5tupleIJSF_S6_EEENSJ_IJSG_SG_EEENS0_18inequality_wrapperI22is_equal_div_10_uniqueIiEEEPmJS6_EEE10hipError_tPvRmT3_T4_T5_T6_T7_T9_mT8_P12ihipStream_tbDpT10_ENKUlT_T0_E_clISt17integral_constantIbLb1EES1A_EEDaS15_S16_EUlS15_E_NS1_11comp_targetILNS1_3genE5ELNS1_11target_archE942ELNS1_3gpuE9ELNS1_3repE0EEENS1_30default_config_static_selectorELNS0_4arch9wavefront6targetE1EEEvT1_.num_named_barrier, 0
	.set _ZN7rocprim17ROCPRIM_400000_NS6detail17trampoline_kernelINS0_14default_configENS1_25partition_config_selectorILNS1_17partition_subalgoE8EiNS0_10empty_typeEbEEZZNS1_14partition_implILS5_8ELb0ES3_jN6thrust23THRUST_200600_302600_NS6detail15normal_iteratorINSA_10device_ptrIiEEEEPS6_PKS6_NS0_5tupleIJSF_S6_EEENSJ_IJSG_SG_EEENS0_18inequality_wrapperI22is_equal_div_10_uniqueIiEEEPmJS6_EEE10hipError_tPvRmT3_T4_T5_T6_T7_T9_mT8_P12ihipStream_tbDpT10_ENKUlT_T0_E_clISt17integral_constantIbLb1EES1A_EEDaS15_S16_EUlS15_E_NS1_11comp_targetILNS1_3genE5ELNS1_11target_archE942ELNS1_3gpuE9ELNS1_3repE0EEENS1_30default_config_static_selectorELNS0_4arch9wavefront6targetE1EEEvT1_.private_seg_size, 0
	.set _ZN7rocprim17ROCPRIM_400000_NS6detail17trampoline_kernelINS0_14default_configENS1_25partition_config_selectorILNS1_17partition_subalgoE8EiNS0_10empty_typeEbEEZZNS1_14partition_implILS5_8ELb0ES3_jN6thrust23THRUST_200600_302600_NS6detail15normal_iteratorINSA_10device_ptrIiEEEEPS6_PKS6_NS0_5tupleIJSF_S6_EEENSJ_IJSG_SG_EEENS0_18inequality_wrapperI22is_equal_div_10_uniqueIiEEEPmJS6_EEE10hipError_tPvRmT3_T4_T5_T6_T7_T9_mT8_P12ihipStream_tbDpT10_ENKUlT_T0_E_clISt17integral_constantIbLb1EES1A_EEDaS15_S16_EUlS15_E_NS1_11comp_targetILNS1_3genE5ELNS1_11target_archE942ELNS1_3gpuE9ELNS1_3repE0EEENS1_30default_config_static_selectorELNS0_4arch9wavefront6targetE1EEEvT1_.uses_vcc, 0
	.set _ZN7rocprim17ROCPRIM_400000_NS6detail17trampoline_kernelINS0_14default_configENS1_25partition_config_selectorILNS1_17partition_subalgoE8EiNS0_10empty_typeEbEEZZNS1_14partition_implILS5_8ELb0ES3_jN6thrust23THRUST_200600_302600_NS6detail15normal_iteratorINSA_10device_ptrIiEEEEPS6_PKS6_NS0_5tupleIJSF_S6_EEENSJ_IJSG_SG_EEENS0_18inequality_wrapperI22is_equal_div_10_uniqueIiEEEPmJS6_EEE10hipError_tPvRmT3_T4_T5_T6_T7_T9_mT8_P12ihipStream_tbDpT10_ENKUlT_T0_E_clISt17integral_constantIbLb1EES1A_EEDaS15_S16_EUlS15_E_NS1_11comp_targetILNS1_3genE5ELNS1_11target_archE942ELNS1_3gpuE9ELNS1_3repE0EEENS1_30default_config_static_selectorELNS0_4arch9wavefront6targetE1EEEvT1_.uses_flat_scratch, 0
	.set _ZN7rocprim17ROCPRIM_400000_NS6detail17trampoline_kernelINS0_14default_configENS1_25partition_config_selectorILNS1_17partition_subalgoE8EiNS0_10empty_typeEbEEZZNS1_14partition_implILS5_8ELb0ES3_jN6thrust23THRUST_200600_302600_NS6detail15normal_iteratorINSA_10device_ptrIiEEEEPS6_PKS6_NS0_5tupleIJSF_S6_EEENSJ_IJSG_SG_EEENS0_18inequality_wrapperI22is_equal_div_10_uniqueIiEEEPmJS6_EEE10hipError_tPvRmT3_T4_T5_T6_T7_T9_mT8_P12ihipStream_tbDpT10_ENKUlT_T0_E_clISt17integral_constantIbLb1EES1A_EEDaS15_S16_EUlS15_E_NS1_11comp_targetILNS1_3genE5ELNS1_11target_archE942ELNS1_3gpuE9ELNS1_3repE0EEENS1_30default_config_static_selectorELNS0_4arch9wavefront6targetE1EEEvT1_.has_dyn_sized_stack, 0
	.set _ZN7rocprim17ROCPRIM_400000_NS6detail17trampoline_kernelINS0_14default_configENS1_25partition_config_selectorILNS1_17partition_subalgoE8EiNS0_10empty_typeEbEEZZNS1_14partition_implILS5_8ELb0ES3_jN6thrust23THRUST_200600_302600_NS6detail15normal_iteratorINSA_10device_ptrIiEEEEPS6_PKS6_NS0_5tupleIJSF_S6_EEENSJ_IJSG_SG_EEENS0_18inequality_wrapperI22is_equal_div_10_uniqueIiEEEPmJS6_EEE10hipError_tPvRmT3_T4_T5_T6_T7_T9_mT8_P12ihipStream_tbDpT10_ENKUlT_T0_E_clISt17integral_constantIbLb1EES1A_EEDaS15_S16_EUlS15_E_NS1_11comp_targetILNS1_3genE5ELNS1_11target_archE942ELNS1_3gpuE9ELNS1_3repE0EEENS1_30default_config_static_selectorELNS0_4arch9wavefront6targetE1EEEvT1_.has_recursion, 0
	.set _ZN7rocprim17ROCPRIM_400000_NS6detail17trampoline_kernelINS0_14default_configENS1_25partition_config_selectorILNS1_17partition_subalgoE8EiNS0_10empty_typeEbEEZZNS1_14partition_implILS5_8ELb0ES3_jN6thrust23THRUST_200600_302600_NS6detail15normal_iteratorINSA_10device_ptrIiEEEEPS6_PKS6_NS0_5tupleIJSF_S6_EEENSJ_IJSG_SG_EEENS0_18inequality_wrapperI22is_equal_div_10_uniqueIiEEEPmJS6_EEE10hipError_tPvRmT3_T4_T5_T6_T7_T9_mT8_P12ihipStream_tbDpT10_ENKUlT_T0_E_clISt17integral_constantIbLb1EES1A_EEDaS15_S16_EUlS15_E_NS1_11comp_targetILNS1_3genE5ELNS1_11target_archE942ELNS1_3gpuE9ELNS1_3repE0EEENS1_30default_config_static_selectorELNS0_4arch9wavefront6targetE1EEEvT1_.has_indirect_call, 0
	.section	.AMDGPU.csdata,"",@progbits
; Kernel info:
; codeLenInByte = 0
; TotalNumSgprs: 4
; NumVgprs: 0
; ScratchSize: 0
; MemoryBound: 0
; FloatMode: 240
; IeeeMode: 1
; LDSByteSize: 0 bytes/workgroup (compile time only)
; SGPRBlocks: 0
; VGPRBlocks: 0
; NumSGPRsForWavesPerEU: 4
; NumVGPRsForWavesPerEU: 1
; Occupancy: 10
; WaveLimiterHint : 0
; COMPUTE_PGM_RSRC2:SCRATCH_EN: 0
; COMPUTE_PGM_RSRC2:USER_SGPR: 6
; COMPUTE_PGM_RSRC2:TRAP_HANDLER: 0
; COMPUTE_PGM_RSRC2:TGID_X_EN: 1
; COMPUTE_PGM_RSRC2:TGID_Y_EN: 0
; COMPUTE_PGM_RSRC2:TGID_Z_EN: 0
; COMPUTE_PGM_RSRC2:TIDIG_COMP_CNT: 0
	.section	.text._ZN7rocprim17ROCPRIM_400000_NS6detail17trampoline_kernelINS0_14default_configENS1_25partition_config_selectorILNS1_17partition_subalgoE8EiNS0_10empty_typeEbEEZZNS1_14partition_implILS5_8ELb0ES3_jN6thrust23THRUST_200600_302600_NS6detail15normal_iteratorINSA_10device_ptrIiEEEEPS6_PKS6_NS0_5tupleIJSF_S6_EEENSJ_IJSG_SG_EEENS0_18inequality_wrapperI22is_equal_div_10_uniqueIiEEEPmJS6_EEE10hipError_tPvRmT3_T4_T5_T6_T7_T9_mT8_P12ihipStream_tbDpT10_ENKUlT_T0_E_clISt17integral_constantIbLb1EES1A_EEDaS15_S16_EUlS15_E_NS1_11comp_targetILNS1_3genE4ELNS1_11target_archE910ELNS1_3gpuE8ELNS1_3repE0EEENS1_30default_config_static_selectorELNS0_4arch9wavefront6targetE1EEEvT1_,"axG",@progbits,_ZN7rocprim17ROCPRIM_400000_NS6detail17trampoline_kernelINS0_14default_configENS1_25partition_config_selectorILNS1_17partition_subalgoE8EiNS0_10empty_typeEbEEZZNS1_14partition_implILS5_8ELb0ES3_jN6thrust23THRUST_200600_302600_NS6detail15normal_iteratorINSA_10device_ptrIiEEEEPS6_PKS6_NS0_5tupleIJSF_S6_EEENSJ_IJSG_SG_EEENS0_18inequality_wrapperI22is_equal_div_10_uniqueIiEEEPmJS6_EEE10hipError_tPvRmT3_T4_T5_T6_T7_T9_mT8_P12ihipStream_tbDpT10_ENKUlT_T0_E_clISt17integral_constantIbLb1EES1A_EEDaS15_S16_EUlS15_E_NS1_11comp_targetILNS1_3genE4ELNS1_11target_archE910ELNS1_3gpuE8ELNS1_3repE0EEENS1_30default_config_static_selectorELNS0_4arch9wavefront6targetE1EEEvT1_,comdat
	.protected	_ZN7rocprim17ROCPRIM_400000_NS6detail17trampoline_kernelINS0_14default_configENS1_25partition_config_selectorILNS1_17partition_subalgoE8EiNS0_10empty_typeEbEEZZNS1_14partition_implILS5_8ELb0ES3_jN6thrust23THRUST_200600_302600_NS6detail15normal_iteratorINSA_10device_ptrIiEEEEPS6_PKS6_NS0_5tupleIJSF_S6_EEENSJ_IJSG_SG_EEENS0_18inequality_wrapperI22is_equal_div_10_uniqueIiEEEPmJS6_EEE10hipError_tPvRmT3_T4_T5_T6_T7_T9_mT8_P12ihipStream_tbDpT10_ENKUlT_T0_E_clISt17integral_constantIbLb1EES1A_EEDaS15_S16_EUlS15_E_NS1_11comp_targetILNS1_3genE4ELNS1_11target_archE910ELNS1_3gpuE8ELNS1_3repE0EEENS1_30default_config_static_selectorELNS0_4arch9wavefront6targetE1EEEvT1_ ; -- Begin function _ZN7rocprim17ROCPRIM_400000_NS6detail17trampoline_kernelINS0_14default_configENS1_25partition_config_selectorILNS1_17partition_subalgoE8EiNS0_10empty_typeEbEEZZNS1_14partition_implILS5_8ELb0ES3_jN6thrust23THRUST_200600_302600_NS6detail15normal_iteratorINSA_10device_ptrIiEEEEPS6_PKS6_NS0_5tupleIJSF_S6_EEENSJ_IJSG_SG_EEENS0_18inequality_wrapperI22is_equal_div_10_uniqueIiEEEPmJS6_EEE10hipError_tPvRmT3_T4_T5_T6_T7_T9_mT8_P12ihipStream_tbDpT10_ENKUlT_T0_E_clISt17integral_constantIbLb1EES1A_EEDaS15_S16_EUlS15_E_NS1_11comp_targetILNS1_3genE4ELNS1_11target_archE910ELNS1_3gpuE8ELNS1_3repE0EEENS1_30default_config_static_selectorELNS0_4arch9wavefront6targetE1EEEvT1_
	.globl	_ZN7rocprim17ROCPRIM_400000_NS6detail17trampoline_kernelINS0_14default_configENS1_25partition_config_selectorILNS1_17partition_subalgoE8EiNS0_10empty_typeEbEEZZNS1_14partition_implILS5_8ELb0ES3_jN6thrust23THRUST_200600_302600_NS6detail15normal_iteratorINSA_10device_ptrIiEEEEPS6_PKS6_NS0_5tupleIJSF_S6_EEENSJ_IJSG_SG_EEENS0_18inequality_wrapperI22is_equal_div_10_uniqueIiEEEPmJS6_EEE10hipError_tPvRmT3_T4_T5_T6_T7_T9_mT8_P12ihipStream_tbDpT10_ENKUlT_T0_E_clISt17integral_constantIbLb1EES1A_EEDaS15_S16_EUlS15_E_NS1_11comp_targetILNS1_3genE4ELNS1_11target_archE910ELNS1_3gpuE8ELNS1_3repE0EEENS1_30default_config_static_selectorELNS0_4arch9wavefront6targetE1EEEvT1_
	.p2align	8
	.type	_ZN7rocprim17ROCPRIM_400000_NS6detail17trampoline_kernelINS0_14default_configENS1_25partition_config_selectorILNS1_17partition_subalgoE8EiNS0_10empty_typeEbEEZZNS1_14partition_implILS5_8ELb0ES3_jN6thrust23THRUST_200600_302600_NS6detail15normal_iteratorINSA_10device_ptrIiEEEEPS6_PKS6_NS0_5tupleIJSF_S6_EEENSJ_IJSG_SG_EEENS0_18inequality_wrapperI22is_equal_div_10_uniqueIiEEEPmJS6_EEE10hipError_tPvRmT3_T4_T5_T6_T7_T9_mT8_P12ihipStream_tbDpT10_ENKUlT_T0_E_clISt17integral_constantIbLb1EES1A_EEDaS15_S16_EUlS15_E_NS1_11comp_targetILNS1_3genE4ELNS1_11target_archE910ELNS1_3gpuE8ELNS1_3repE0EEENS1_30default_config_static_selectorELNS0_4arch9wavefront6targetE1EEEvT1_,@function
_ZN7rocprim17ROCPRIM_400000_NS6detail17trampoline_kernelINS0_14default_configENS1_25partition_config_selectorILNS1_17partition_subalgoE8EiNS0_10empty_typeEbEEZZNS1_14partition_implILS5_8ELb0ES3_jN6thrust23THRUST_200600_302600_NS6detail15normal_iteratorINSA_10device_ptrIiEEEEPS6_PKS6_NS0_5tupleIJSF_S6_EEENSJ_IJSG_SG_EEENS0_18inequality_wrapperI22is_equal_div_10_uniqueIiEEEPmJS6_EEE10hipError_tPvRmT3_T4_T5_T6_T7_T9_mT8_P12ihipStream_tbDpT10_ENKUlT_T0_E_clISt17integral_constantIbLb1EES1A_EEDaS15_S16_EUlS15_E_NS1_11comp_targetILNS1_3genE4ELNS1_11target_archE910ELNS1_3gpuE8ELNS1_3repE0EEENS1_30default_config_static_selectorELNS0_4arch9wavefront6targetE1EEEvT1_: ; @_ZN7rocprim17ROCPRIM_400000_NS6detail17trampoline_kernelINS0_14default_configENS1_25partition_config_selectorILNS1_17partition_subalgoE8EiNS0_10empty_typeEbEEZZNS1_14partition_implILS5_8ELb0ES3_jN6thrust23THRUST_200600_302600_NS6detail15normal_iteratorINSA_10device_ptrIiEEEEPS6_PKS6_NS0_5tupleIJSF_S6_EEENSJ_IJSG_SG_EEENS0_18inequality_wrapperI22is_equal_div_10_uniqueIiEEEPmJS6_EEE10hipError_tPvRmT3_T4_T5_T6_T7_T9_mT8_P12ihipStream_tbDpT10_ENKUlT_T0_E_clISt17integral_constantIbLb1EES1A_EEDaS15_S16_EUlS15_E_NS1_11comp_targetILNS1_3genE4ELNS1_11target_archE910ELNS1_3gpuE8ELNS1_3repE0EEENS1_30default_config_static_selectorELNS0_4arch9wavefront6targetE1EEEvT1_
; %bb.0:
	.section	.rodata,"a",@progbits
	.p2align	6, 0x0
	.amdhsa_kernel _ZN7rocprim17ROCPRIM_400000_NS6detail17trampoline_kernelINS0_14default_configENS1_25partition_config_selectorILNS1_17partition_subalgoE8EiNS0_10empty_typeEbEEZZNS1_14partition_implILS5_8ELb0ES3_jN6thrust23THRUST_200600_302600_NS6detail15normal_iteratorINSA_10device_ptrIiEEEEPS6_PKS6_NS0_5tupleIJSF_S6_EEENSJ_IJSG_SG_EEENS0_18inequality_wrapperI22is_equal_div_10_uniqueIiEEEPmJS6_EEE10hipError_tPvRmT3_T4_T5_T6_T7_T9_mT8_P12ihipStream_tbDpT10_ENKUlT_T0_E_clISt17integral_constantIbLb1EES1A_EEDaS15_S16_EUlS15_E_NS1_11comp_targetILNS1_3genE4ELNS1_11target_archE910ELNS1_3gpuE8ELNS1_3repE0EEENS1_30default_config_static_selectorELNS0_4arch9wavefront6targetE1EEEvT1_
		.amdhsa_group_segment_fixed_size 0
		.amdhsa_private_segment_fixed_size 0
		.amdhsa_kernarg_size 128
		.amdhsa_user_sgpr_count 6
		.amdhsa_user_sgpr_private_segment_buffer 1
		.amdhsa_user_sgpr_dispatch_ptr 0
		.amdhsa_user_sgpr_queue_ptr 0
		.amdhsa_user_sgpr_kernarg_segment_ptr 1
		.amdhsa_user_sgpr_dispatch_id 0
		.amdhsa_user_sgpr_flat_scratch_init 0
		.amdhsa_user_sgpr_private_segment_size 0
		.amdhsa_uses_dynamic_stack 0
		.amdhsa_system_sgpr_private_segment_wavefront_offset 0
		.amdhsa_system_sgpr_workgroup_id_x 1
		.amdhsa_system_sgpr_workgroup_id_y 0
		.amdhsa_system_sgpr_workgroup_id_z 0
		.amdhsa_system_sgpr_workgroup_info 0
		.amdhsa_system_vgpr_workitem_id 0
		.amdhsa_next_free_vgpr 1
		.amdhsa_next_free_sgpr 0
		.amdhsa_reserve_vcc 0
		.amdhsa_reserve_flat_scratch 0
		.amdhsa_float_round_mode_32 0
		.amdhsa_float_round_mode_16_64 0
		.amdhsa_float_denorm_mode_32 3
		.amdhsa_float_denorm_mode_16_64 3
		.amdhsa_dx10_clamp 1
		.amdhsa_ieee_mode 1
		.amdhsa_fp16_overflow 0
		.amdhsa_exception_fp_ieee_invalid_op 0
		.amdhsa_exception_fp_denorm_src 0
		.amdhsa_exception_fp_ieee_div_zero 0
		.amdhsa_exception_fp_ieee_overflow 0
		.amdhsa_exception_fp_ieee_underflow 0
		.amdhsa_exception_fp_ieee_inexact 0
		.amdhsa_exception_int_div_zero 0
	.end_amdhsa_kernel
	.section	.text._ZN7rocprim17ROCPRIM_400000_NS6detail17trampoline_kernelINS0_14default_configENS1_25partition_config_selectorILNS1_17partition_subalgoE8EiNS0_10empty_typeEbEEZZNS1_14partition_implILS5_8ELb0ES3_jN6thrust23THRUST_200600_302600_NS6detail15normal_iteratorINSA_10device_ptrIiEEEEPS6_PKS6_NS0_5tupleIJSF_S6_EEENSJ_IJSG_SG_EEENS0_18inequality_wrapperI22is_equal_div_10_uniqueIiEEEPmJS6_EEE10hipError_tPvRmT3_T4_T5_T6_T7_T9_mT8_P12ihipStream_tbDpT10_ENKUlT_T0_E_clISt17integral_constantIbLb1EES1A_EEDaS15_S16_EUlS15_E_NS1_11comp_targetILNS1_3genE4ELNS1_11target_archE910ELNS1_3gpuE8ELNS1_3repE0EEENS1_30default_config_static_selectorELNS0_4arch9wavefront6targetE1EEEvT1_,"axG",@progbits,_ZN7rocprim17ROCPRIM_400000_NS6detail17trampoline_kernelINS0_14default_configENS1_25partition_config_selectorILNS1_17partition_subalgoE8EiNS0_10empty_typeEbEEZZNS1_14partition_implILS5_8ELb0ES3_jN6thrust23THRUST_200600_302600_NS6detail15normal_iteratorINSA_10device_ptrIiEEEEPS6_PKS6_NS0_5tupleIJSF_S6_EEENSJ_IJSG_SG_EEENS0_18inequality_wrapperI22is_equal_div_10_uniqueIiEEEPmJS6_EEE10hipError_tPvRmT3_T4_T5_T6_T7_T9_mT8_P12ihipStream_tbDpT10_ENKUlT_T0_E_clISt17integral_constantIbLb1EES1A_EEDaS15_S16_EUlS15_E_NS1_11comp_targetILNS1_3genE4ELNS1_11target_archE910ELNS1_3gpuE8ELNS1_3repE0EEENS1_30default_config_static_selectorELNS0_4arch9wavefront6targetE1EEEvT1_,comdat
.Lfunc_end446:
	.size	_ZN7rocprim17ROCPRIM_400000_NS6detail17trampoline_kernelINS0_14default_configENS1_25partition_config_selectorILNS1_17partition_subalgoE8EiNS0_10empty_typeEbEEZZNS1_14partition_implILS5_8ELb0ES3_jN6thrust23THRUST_200600_302600_NS6detail15normal_iteratorINSA_10device_ptrIiEEEEPS6_PKS6_NS0_5tupleIJSF_S6_EEENSJ_IJSG_SG_EEENS0_18inequality_wrapperI22is_equal_div_10_uniqueIiEEEPmJS6_EEE10hipError_tPvRmT3_T4_T5_T6_T7_T9_mT8_P12ihipStream_tbDpT10_ENKUlT_T0_E_clISt17integral_constantIbLb1EES1A_EEDaS15_S16_EUlS15_E_NS1_11comp_targetILNS1_3genE4ELNS1_11target_archE910ELNS1_3gpuE8ELNS1_3repE0EEENS1_30default_config_static_selectorELNS0_4arch9wavefront6targetE1EEEvT1_, .Lfunc_end446-_ZN7rocprim17ROCPRIM_400000_NS6detail17trampoline_kernelINS0_14default_configENS1_25partition_config_selectorILNS1_17partition_subalgoE8EiNS0_10empty_typeEbEEZZNS1_14partition_implILS5_8ELb0ES3_jN6thrust23THRUST_200600_302600_NS6detail15normal_iteratorINSA_10device_ptrIiEEEEPS6_PKS6_NS0_5tupleIJSF_S6_EEENSJ_IJSG_SG_EEENS0_18inequality_wrapperI22is_equal_div_10_uniqueIiEEEPmJS6_EEE10hipError_tPvRmT3_T4_T5_T6_T7_T9_mT8_P12ihipStream_tbDpT10_ENKUlT_T0_E_clISt17integral_constantIbLb1EES1A_EEDaS15_S16_EUlS15_E_NS1_11comp_targetILNS1_3genE4ELNS1_11target_archE910ELNS1_3gpuE8ELNS1_3repE0EEENS1_30default_config_static_selectorELNS0_4arch9wavefront6targetE1EEEvT1_
                                        ; -- End function
	.set _ZN7rocprim17ROCPRIM_400000_NS6detail17trampoline_kernelINS0_14default_configENS1_25partition_config_selectorILNS1_17partition_subalgoE8EiNS0_10empty_typeEbEEZZNS1_14partition_implILS5_8ELb0ES3_jN6thrust23THRUST_200600_302600_NS6detail15normal_iteratorINSA_10device_ptrIiEEEEPS6_PKS6_NS0_5tupleIJSF_S6_EEENSJ_IJSG_SG_EEENS0_18inequality_wrapperI22is_equal_div_10_uniqueIiEEEPmJS6_EEE10hipError_tPvRmT3_T4_T5_T6_T7_T9_mT8_P12ihipStream_tbDpT10_ENKUlT_T0_E_clISt17integral_constantIbLb1EES1A_EEDaS15_S16_EUlS15_E_NS1_11comp_targetILNS1_3genE4ELNS1_11target_archE910ELNS1_3gpuE8ELNS1_3repE0EEENS1_30default_config_static_selectorELNS0_4arch9wavefront6targetE1EEEvT1_.num_vgpr, 0
	.set _ZN7rocprim17ROCPRIM_400000_NS6detail17trampoline_kernelINS0_14default_configENS1_25partition_config_selectorILNS1_17partition_subalgoE8EiNS0_10empty_typeEbEEZZNS1_14partition_implILS5_8ELb0ES3_jN6thrust23THRUST_200600_302600_NS6detail15normal_iteratorINSA_10device_ptrIiEEEEPS6_PKS6_NS0_5tupleIJSF_S6_EEENSJ_IJSG_SG_EEENS0_18inequality_wrapperI22is_equal_div_10_uniqueIiEEEPmJS6_EEE10hipError_tPvRmT3_T4_T5_T6_T7_T9_mT8_P12ihipStream_tbDpT10_ENKUlT_T0_E_clISt17integral_constantIbLb1EES1A_EEDaS15_S16_EUlS15_E_NS1_11comp_targetILNS1_3genE4ELNS1_11target_archE910ELNS1_3gpuE8ELNS1_3repE0EEENS1_30default_config_static_selectorELNS0_4arch9wavefront6targetE1EEEvT1_.num_agpr, 0
	.set _ZN7rocprim17ROCPRIM_400000_NS6detail17trampoline_kernelINS0_14default_configENS1_25partition_config_selectorILNS1_17partition_subalgoE8EiNS0_10empty_typeEbEEZZNS1_14partition_implILS5_8ELb0ES3_jN6thrust23THRUST_200600_302600_NS6detail15normal_iteratorINSA_10device_ptrIiEEEEPS6_PKS6_NS0_5tupleIJSF_S6_EEENSJ_IJSG_SG_EEENS0_18inequality_wrapperI22is_equal_div_10_uniqueIiEEEPmJS6_EEE10hipError_tPvRmT3_T4_T5_T6_T7_T9_mT8_P12ihipStream_tbDpT10_ENKUlT_T0_E_clISt17integral_constantIbLb1EES1A_EEDaS15_S16_EUlS15_E_NS1_11comp_targetILNS1_3genE4ELNS1_11target_archE910ELNS1_3gpuE8ELNS1_3repE0EEENS1_30default_config_static_selectorELNS0_4arch9wavefront6targetE1EEEvT1_.numbered_sgpr, 0
	.set _ZN7rocprim17ROCPRIM_400000_NS6detail17trampoline_kernelINS0_14default_configENS1_25partition_config_selectorILNS1_17partition_subalgoE8EiNS0_10empty_typeEbEEZZNS1_14partition_implILS5_8ELb0ES3_jN6thrust23THRUST_200600_302600_NS6detail15normal_iteratorINSA_10device_ptrIiEEEEPS6_PKS6_NS0_5tupleIJSF_S6_EEENSJ_IJSG_SG_EEENS0_18inequality_wrapperI22is_equal_div_10_uniqueIiEEEPmJS6_EEE10hipError_tPvRmT3_T4_T5_T6_T7_T9_mT8_P12ihipStream_tbDpT10_ENKUlT_T0_E_clISt17integral_constantIbLb1EES1A_EEDaS15_S16_EUlS15_E_NS1_11comp_targetILNS1_3genE4ELNS1_11target_archE910ELNS1_3gpuE8ELNS1_3repE0EEENS1_30default_config_static_selectorELNS0_4arch9wavefront6targetE1EEEvT1_.num_named_barrier, 0
	.set _ZN7rocprim17ROCPRIM_400000_NS6detail17trampoline_kernelINS0_14default_configENS1_25partition_config_selectorILNS1_17partition_subalgoE8EiNS0_10empty_typeEbEEZZNS1_14partition_implILS5_8ELb0ES3_jN6thrust23THRUST_200600_302600_NS6detail15normal_iteratorINSA_10device_ptrIiEEEEPS6_PKS6_NS0_5tupleIJSF_S6_EEENSJ_IJSG_SG_EEENS0_18inequality_wrapperI22is_equal_div_10_uniqueIiEEEPmJS6_EEE10hipError_tPvRmT3_T4_T5_T6_T7_T9_mT8_P12ihipStream_tbDpT10_ENKUlT_T0_E_clISt17integral_constantIbLb1EES1A_EEDaS15_S16_EUlS15_E_NS1_11comp_targetILNS1_3genE4ELNS1_11target_archE910ELNS1_3gpuE8ELNS1_3repE0EEENS1_30default_config_static_selectorELNS0_4arch9wavefront6targetE1EEEvT1_.private_seg_size, 0
	.set _ZN7rocprim17ROCPRIM_400000_NS6detail17trampoline_kernelINS0_14default_configENS1_25partition_config_selectorILNS1_17partition_subalgoE8EiNS0_10empty_typeEbEEZZNS1_14partition_implILS5_8ELb0ES3_jN6thrust23THRUST_200600_302600_NS6detail15normal_iteratorINSA_10device_ptrIiEEEEPS6_PKS6_NS0_5tupleIJSF_S6_EEENSJ_IJSG_SG_EEENS0_18inequality_wrapperI22is_equal_div_10_uniqueIiEEEPmJS6_EEE10hipError_tPvRmT3_T4_T5_T6_T7_T9_mT8_P12ihipStream_tbDpT10_ENKUlT_T0_E_clISt17integral_constantIbLb1EES1A_EEDaS15_S16_EUlS15_E_NS1_11comp_targetILNS1_3genE4ELNS1_11target_archE910ELNS1_3gpuE8ELNS1_3repE0EEENS1_30default_config_static_selectorELNS0_4arch9wavefront6targetE1EEEvT1_.uses_vcc, 0
	.set _ZN7rocprim17ROCPRIM_400000_NS6detail17trampoline_kernelINS0_14default_configENS1_25partition_config_selectorILNS1_17partition_subalgoE8EiNS0_10empty_typeEbEEZZNS1_14partition_implILS5_8ELb0ES3_jN6thrust23THRUST_200600_302600_NS6detail15normal_iteratorINSA_10device_ptrIiEEEEPS6_PKS6_NS0_5tupleIJSF_S6_EEENSJ_IJSG_SG_EEENS0_18inequality_wrapperI22is_equal_div_10_uniqueIiEEEPmJS6_EEE10hipError_tPvRmT3_T4_T5_T6_T7_T9_mT8_P12ihipStream_tbDpT10_ENKUlT_T0_E_clISt17integral_constantIbLb1EES1A_EEDaS15_S16_EUlS15_E_NS1_11comp_targetILNS1_3genE4ELNS1_11target_archE910ELNS1_3gpuE8ELNS1_3repE0EEENS1_30default_config_static_selectorELNS0_4arch9wavefront6targetE1EEEvT1_.uses_flat_scratch, 0
	.set _ZN7rocprim17ROCPRIM_400000_NS6detail17trampoline_kernelINS0_14default_configENS1_25partition_config_selectorILNS1_17partition_subalgoE8EiNS0_10empty_typeEbEEZZNS1_14partition_implILS5_8ELb0ES3_jN6thrust23THRUST_200600_302600_NS6detail15normal_iteratorINSA_10device_ptrIiEEEEPS6_PKS6_NS0_5tupleIJSF_S6_EEENSJ_IJSG_SG_EEENS0_18inequality_wrapperI22is_equal_div_10_uniqueIiEEEPmJS6_EEE10hipError_tPvRmT3_T4_T5_T6_T7_T9_mT8_P12ihipStream_tbDpT10_ENKUlT_T0_E_clISt17integral_constantIbLb1EES1A_EEDaS15_S16_EUlS15_E_NS1_11comp_targetILNS1_3genE4ELNS1_11target_archE910ELNS1_3gpuE8ELNS1_3repE0EEENS1_30default_config_static_selectorELNS0_4arch9wavefront6targetE1EEEvT1_.has_dyn_sized_stack, 0
	.set _ZN7rocprim17ROCPRIM_400000_NS6detail17trampoline_kernelINS0_14default_configENS1_25partition_config_selectorILNS1_17partition_subalgoE8EiNS0_10empty_typeEbEEZZNS1_14partition_implILS5_8ELb0ES3_jN6thrust23THRUST_200600_302600_NS6detail15normal_iteratorINSA_10device_ptrIiEEEEPS6_PKS6_NS0_5tupleIJSF_S6_EEENSJ_IJSG_SG_EEENS0_18inequality_wrapperI22is_equal_div_10_uniqueIiEEEPmJS6_EEE10hipError_tPvRmT3_T4_T5_T6_T7_T9_mT8_P12ihipStream_tbDpT10_ENKUlT_T0_E_clISt17integral_constantIbLb1EES1A_EEDaS15_S16_EUlS15_E_NS1_11comp_targetILNS1_3genE4ELNS1_11target_archE910ELNS1_3gpuE8ELNS1_3repE0EEENS1_30default_config_static_selectorELNS0_4arch9wavefront6targetE1EEEvT1_.has_recursion, 0
	.set _ZN7rocprim17ROCPRIM_400000_NS6detail17trampoline_kernelINS0_14default_configENS1_25partition_config_selectorILNS1_17partition_subalgoE8EiNS0_10empty_typeEbEEZZNS1_14partition_implILS5_8ELb0ES3_jN6thrust23THRUST_200600_302600_NS6detail15normal_iteratorINSA_10device_ptrIiEEEEPS6_PKS6_NS0_5tupleIJSF_S6_EEENSJ_IJSG_SG_EEENS0_18inequality_wrapperI22is_equal_div_10_uniqueIiEEEPmJS6_EEE10hipError_tPvRmT3_T4_T5_T6_T7_T9_mT8_P12ihipStream_tbDpT10_ENKUlT_T0_E_clISt17integral_constantIbLb1EES1A_EEDaS15_S16_EUlS15_E_NS1_11comp_targetILNS1_3genE4ELNS1_11target_archE910ELNS1_3gpuE8ELNS1_3repE0EEENS1_30default_config_static_selectorELNS0_4arch9wavefront6targetE1EEEvT1_.has_indirect_call, 0
	.section	.AMDGPU.csdata,"",@progbits
; Kernel info:
; codeLenInByte = 0
; TotalNumSgprs: 4
; NumVgprs: 0
; ScratchSize: 0
; MemoryBound: 0
; FloatMode: 240
; IeeeMode: 1
; LDSByteSize: 0 bytes/workgroup (compile time only)
; SGPRBlocks: 0
; VGPRBlocks: 0
; NumSGPRsForWavesPerEU: 4
; NumVGPRsForWavesPerEU: 1
; Occupancy: 10
; WaveLimiterHint : 0
; COMPUTE_PGM_RSRC2:SCRATCH_EN: 0
; COMPUTE_PGM_RSRC2:USER_SGPR: 6
; COMPUTE_PGM_RSRC2:TRAP_HANDLER: 0
; COMPUTE_PGM_RSRC2:TGID_X_EN: 1
; COMPUTE_PGM_RSRC2:TGID_Y_EN: 0
; COMPUTE_PGM_RSRC2:TGID_Z_EN: 0
; COMPUTE_PGM_RSRC2:TIDIG_COMP_CNT: 0
	.section	.text._ZN7rocprim17ROCPRIM_400000_NS6detail17trampoline_kernelINS0_14default_configENS1_25partition_config_selectorILNS1_17partition_subalgoE8EiNS0_10empty_typeEbEEZZNS1_14partition_implILS5_8ELb0ES3_jN6thrust23THRUST_200600_302600_NS6detail15normal_iteratorINSA_10device_ptrIiEEEEPS6_PKS6_NS0_5tupleIJSF_S6_EEENSJ_IJSG_SG_EEENS0_18inequality_wrapperI22is_equal_div_10_uniqueIiEEEPmJS6_EEE10hipError_tPvRmT3_T4_T5_T6_T7_T9_mT8_P12ihipStream_tbDpT10_ENKUlT_T0_E_clISt17integral_constantIbLb1EES1A_EEDaS15_S16_EUlS15_E_NS1_11comp_targetILNS1_3genE3ELNS1_11target_archE908ELNS1_3gpuE7ELNS1_3repE0EEENS1_30default_config_static_selectorELNS0_4arch9wavefront6targetE1EEEvT1_,"axG",@progbits,_ZN7rocprim17ROCPRIM_400000_NS6detail17trampoline_kernelINS0_14default_configENS1_25partition_config_selectorILNS1_17partition_subalgoE8EiNS0_10empty_typeEbEEZZNS1_14partition_implILS5_8ELb0ES3_jN6thrust23THRUST_200600_302600_NS6detail15normal_iteratorINSA_10device_ptrIiEEEEPS6_PKS6_NS0_5tupleIJSF_S6_EEENSJ_IJSG_SG_EEENS0_18inequality_wrapperI22is_equal_div_10_uniqueIiEEEPmJS6_EEE10hipError_tPvRmT3_T4_T5_T6_T7_T9_mT8_P12ihipStream_tbDpT10_ENKUlT_T0_E_clISt17integral_constantIbLb1EES1A_EEDaS15_S16_EUlS15_E_NS1_11comp_targetILNS1_3genE3ELNS1_11target_archE908ELNS1_3gpuE7ELNS1_3repE0EEENS1_30default_config_static_selectorELNS0_4arch9wavefront6targetE1EEEvT1_,comdat
	.protected	_ZN7rocprim17ROCPRIM_400000_NS6detail17trampoline_kernelINS0_14default_configENS1_25partition_config_selectorILNS1_17partition_subalgoE8EiNS0_10empty_typeEbEEZZNS1_14partition_implILS5_8ELb0ES3_jN6thrust23THRUST_200600_302600_NS6detail15normal_iteratorINSA_10device_ptrIiEEEEPS6_PKS6_NS0_5tupleIJSF_S6_EEENSJ_IJSG_SG_EEENS0_18inequality_wrapperI22is_equal_div_10_uniqueIiEEEPmJS6_EEE10hipError_tPvRmT3_T4_T5_T6_T7_T9_mT8_P12ihipStream_tbDpT10_ENKUlT_T0_E_clISt17integral_constantIbLb1EES1A_EEDaS15_S16_EUlS15_E_NS1_11comp_targetILNS1_3genE3ELNS1_11target_archE908ELNS1_3gpuE7ELNS1_3repE0EEENS1_30default_config_static_selectorELNS0_4arch9wavefront6targetE1EEEvT1_ ; -- Begin function _ZN7rocprim17ROCPRIM_400000_NS6detail17trampoline_kernelINS0_14default_configENS1_25partition_config_selectorILNS1_17partition_subalgoE8EiNS0_10empty_typeEbEEZZNS1_14partition_implILS5_8ELb0ES3_jN6thrust23THRUST_200600_302600_NS6detail15normal_iteratorINSA_10device_ptrIiEEEEPS6_PKS6_NS0_5tupleIJSF_S6_EEENSJ_IJSG_SG_EEENS0_18inequality_wrapperI22is_equal_div_10_uniqueIiEEEPmJS6_EEE10hipError_tPvRmT3_T4_T5_T6_T7_T9_mT8_P12ihipStream_tbDpT10_ENKUlT_T0_E_clISt17integral_constantIbLb1EES1A_EEDaS15_S16_EUlS15_E_NS1_11comp_targetILNS1_3genE3ELNS1_11target_archE908ELNS1_3gpuE7ELNS1_3repE0EEENS1_30default_config_static_selectorELNS0_4arch9wavefront6targetE1EEEvT1_
	.globl	_ZN7rocprim17ROCPRIM_400000_NS6detail17trampoline_kernelINS0_14default_configENS1_25partition_config_selectorILNS1_17partition_subalgoE8EiNS0_10empty_typeEbEEZZNS1_14partition_implILS5_8ELb0ES3_jN6thrust23THRUST_200600_302600_NS6detail15normal_iteratorINSA_10device_ptrIiEEEEPS6_PKS6_NS0_5tupleIJSF_S6_EEENSJ_IJSG_SG_EEENS0_18inequality_wrapperI22is_equal_div_10_uniqueIiEEEPmJS6_EEE10hipError_tPvRmT3_T4_T5_T6_T7_T9_mT8_P12ihipStream_tbDpT10_ENKUlT_T0_E_clISt17integral_constantIbLb1EES1A_EEDaS15_S16_EUlS15_E_NS1_11comp_targetILNS1_3genE3ELNS1_11target_archE908ELNS1_3gpuE7ELNS1_3repE0EEENS1_30default_config_static_selectorELNS0_4arch9wavefront6targetE1EEEvT1_
	.p2align	8
	.type	_ZN7rocprim17ROCPRIM_400000_NS6detail17trampoline_kernelINS0_14default_configENS1_25partition_config_selectorILNS1_17partition_subalgoE8EiNS0_10empty_typeEbEEZZNS1_14partition_implILS5_8ELb0ES3_jN6thrust23THRUST_200600_302600_NS6detail15normal_iteratorINSA_10device_ptrIiEEEEPS6_PKS6_NS0_5tupleIJSF_S6_EEENSJ_IJSG_SG_EEENS0_18inequality_wrapperI22is_equal_div_10_uniqueIiEEEPmJS6_EEE10hipError_tPvRmT3_T4_T5_T6_T7_T9_mT8_P12ihipStream_tbDpT10_ENKUlT_T0_E_clISt17integral_constantIbLb1EES1A_EEDaS15_S16_EUlS15_E_NS1_11comp_targetILNS1_3genE3ELNS1_11target_archE908ELNS1_3gpuE7ELNS1_3repE0EEENS1_30default_config_static_selectorELNS0_4arch9wavefront6targetE1EEEvT1_,@function
_ZN7rocprim17ROCPRIM_400000_NS6detail17trampoline_kernelINS0_14default_configENS1_25partition_config_selectorILNS1_17partition_subalgoE8EiNS0_10empty_typeEbEEZZNS1_14partition_implILS5_8ELb0ES3_jN6thrust23THRUST_200600_302600_NS6detail15normal_iteratorINSA_10device_ptrIiEEEEPS6_PKS6_NS0_5tupleIJSF_S6_EEENSJ_IJSG_SG_EEENS0_18inequality_wrapperI22is_equal_div_10_uniqueIiEEEPmJS6_EEE10hipError_tPvRmT3_T4_T5_T6_T7_T9_mT8_P12ihipStream_tbDpT10_ENKUlT_T0_E_clISt17integral_constantIbLb1EES1A_EEDaS15_S16_EUlS15_E_NS1_11comp_targetILNS1_3genE3ELNS1_11target_archE908ELNS1_3gpuE7ELNS1_3repE0EEENS1_30default_config_static_selectorELNS0_4arch9wavefront6targetE1EEEvT1_: ; @_ZN7rocprim17ROCPRIM_400000_NS6detail17trampoline_kernelINS0_14default_configENS1_25partition_config_selectorILNS1_17partition_subalgoE8EiNS0_10empty_typeEbEEZZNS1_14partition_implILS5_8ELb0ES3_jN6thrust23THRUST_200600_302600_NS6detail15normal_iteratorINSA_10device_ptrIiEEEEPS6_PKS6_NS0_5tupleIJSF_S6_EEENSJ_IJSG_SG_EEENS0_18inequality_wrapperI22is_equal_div_10_uniqueIiEEEPmJS6_EEE10hipError_tPvRmT3_T4_T5_T6_T7_T9_mT8_P12ihipStream_tbDpT10_ENKUlT_T0_E_clISt17integral_constantIbLb1EES1A_EEDaS15_S16_EUlS15_E_NS1_11comp_targetILNS1_3genE3ELNS1_11target_archE908ELNS1_3gpuE7ELNS1_3repE0EEENS1_30default_config_static_selectorELNS0_4arch9wavefront6targetE1EEEvT1_
; %bb.0:
	.section	.rodata,"a",@progbits
	.p2align	6, 0x0
	.amdhsa_kernel _ZN7rocprim17ROCPRIM_400000_NS6detail17trampoline_kernelINS0_14default_configENS1_25partition_config_selectorILNS1_17partition_subalgoE8EiNS0_10empty_typeEbEEZZNS1_14partition_implILS5_8ELb0ES3_jN6thrust23THRUST_200600_302600_NS6detail15normal_iteratorINSA_10device_ptrIiEEEEPS6_PKS6_NS0_5tupleIJSF_S6_EEENSJ_IJSG_SG_EEENS0_18inequality_wrapperI22is_equal_div_10_uniqueIiEEEPmJS6_EEE10hipError_tPvRmT3_T4_T5_T6_T7_T9_mT8_P12ihipStream_tbDpT10_ENKUlT_T0_E_clISt17integral_constantIbLb1EES1A_EEDaS15_S16_EUlS15_E_NS1_11comp_targetILNS1_3genE3ELNS1_11target_archE908ELNS1_3gpuE7ELNS1_3repE0EEENS1_30default_config_static_selectorELNS0_4arch9wavefront6targetE1EEEvT1_
		.amdhsa_group_segment_fixed_size 0
		.amdhsa_private_segment_fixed_size 0
		.amdhsa_kernarg_size 128
		.amdhsa_user_sgpr_count 6
		.amdhsa_user_sgpr_private_segment_buffer 1
		.amdhsa_user_sgpr_dispatch_ptr 0
		.amdhsa_user_sgpr_queue_ptr 0
		.amdhsa_user_sgpr_kernarg_segment_ptr 1
		.amdhsa_user_sgpr_dispatch_id 0
		.amdhsa_user_sgpr_flat_scratch_init 0
		.amdhsa_user_sgpr_private_segment_size 0
		.amdhsa_uses_dynamic_stack 0
		.amdhsa_system_sgpr_private_segment_wavefront_offset 0
		.amdhsa_system_sgpr_workgroup_id_x 1
		.amdhsa_system_sgpr_workgroup_id_y 0
		.amdhsa_system_sgpr_workgroup_id_z 0
		.amdhsa_system_sgpr_workgroup_info 0
		.amdhsa_system_vgpr_workitem_id 0
		.amdhsa_next_free_vgpr 1
		.amdhsa_next_free_sgpr 0
		.amdhsa_reserve_vcc 0
		.amdhsa_reserve_flat_scratch 0
		.amdhsa_float_round_mode_32 0
		.amdhsa_float_round_mode_16_64 0
		.amdhsa_float_denorm_mode_32 3
		.amdhsa_float_denorm_mode_16_64 3
		.amdhsa_dx10_clamp 1
		.amdhsa_ieee_mode 1
		.amdhsa_fp16_overflow 0
		.amdhsa_exception_fp_ieee_invalid_op 0
		.amdhsa_exception_fp_denorm_src 0
		.amdhsa_exception_fp_ieee_div_zero 0
		.amdhsa_exception_fp_ieee_overflow 0
		.amdhsa_exception_fp_ieee_underflow 0
		.amdhsa_exception_fp_ieee_inexact 0
		.amdhsa_exception_int_div_zero 0
	.end_amdhsa_kernel
	.section	.text._ZN7rocprim17ROCPRIM_400000_NS6detail17trampoline_kernelINS0_14default_configENS1_25partition_config_selectorILNS1_17partition_subalgoE8EiNS0_10empty_typeEbEEZZNS1_14partition_implILS5_8ELb0ES3_jN6thrust23THRUST_200600_302600_NS6detail15normal_iteratorINSA_10device_ptrIiEEEEPS6_PKS6_NS0_5tupleIJSF_S6_EEENSJ_IJSG_SG_EEENS0_18inequality_wrapperI22is_equal_div_10_uniqueIiEEEPmJS6_EEE10hipError_tPvRmT3_T4_T5_T6_T7_T9_mT8_P12ihipStream_tbDpT10_ENKUlT_T0_E_clISt17integral_constantIbLb1EES1A_EEDaS15_S16_EUlS15_E_NS1_11comp_targetILNS1_3genE3ELNS1_11target_archE908ELNS1_3gpuE7ELNS1_3repE0EEENS1_30default_config_static_selectorELNS0_4arch9wavefront6targetE1EEEvT1_,"axG",@progbits,_ZN7rocprim17ROCPRIM_400000_NS6detail17trampoline_kernelINS0_14default_configENS1_25partition_config_selectorILNS1_17partition_subalgoE8EiNS0_10empty_typeEbEEZZNS1_14partition_implILS5_8ELb0ES3_jN6thrust23THRUST_200600_302600_NS6detail15normal_iteratorINSA_10device_ptrIiEEEEPS6_PKS6_NS0_5tupleIJSF_S6_EEENSJ_IJSG_SG_EEENS0_18inequality_wrapperI22is_equal_div_10_uniqueIiEEEPmJS6_EEE10hipError_tPvRmT3_T4_T5_T6_T7_T9_mT8_P12ihipStream_tbDpT10_ENKUlT_T0_E_clISt17integral_constantIbLb1EES1A_EEDaS15_S16_EUlS15_E_NS1_11comp_targetILNS1_3genE3ELNS1_11target_archE908ELNS1_3gpuE7ELNS1_3repE0EEENS1_30default_config_static_selectorELNS0_4arch9wavefront6targetE1EEEvT1_,comdat
.Lfunc_end447:
	.size	_ZN7rocprim17ROCPRIM_400000_NS6detail17trampoline_kernelINS0_14default_configENS1_25partition_config_selectorILNS1_17partition_subalgoE8EiNS0_10empty_typeEbEEZZNS1_14partition_implILS5_8ELb0ES3_jN6thrust23THRUST_200600_302600_NS6detail15normal_iteratorINSA_10device_ptrIiEEEEPS6_PKS6_NS0_5tupleIJSF_S6_EEENSJ_IJSG_SG_EEENS0_18inequality_wrapperI22is_equal_div_10_uniqueIiEEEPmJS6_EEE10hipError_tPvRmT3_T4_T5_T6_T7_T9_mT8_P12ihipStream_tbDpT10_ENKUlT_T0_E_clISt17integral_constantIbLb1EES1A_EEDaS15_S16_EUlS15_E_NS1_11comp_targetILNS1_3genE3ELNS1_11target_archE908ELNS1_3gpuE7ELNS1_3repE0EEENS1_30default_config_static_selectorELNS0_4arch9wavefront6targetE1EEEvT1_, .Lfunc_end447-_ZN7rocprim17ROCPRIM_400000_NS6detail17trampoline_kernelINS0_14default_configENS1_25partition_config_selectorILNS1_17partition_subalgoE8EiNS0_10empty_typeEbEEZZNS1_14partition_implILS5_8ELb0ES3_jN6thrust23THRUST_200600_302600_NS6detail15normal_iteratorINSA_10device_ptrIiEEEEPS6_PKS6_NS0_5tupleIJSF_S6_EEENSJ_IJSG_SG_EEENS0_18inequality_wrapperI22is_equal_div_10_uniqueIiEEEPmJS6_EEE10hipError_tPvRmT3_T4_T5_T6_T7_T9_mT8_P12ihipStream_tbDpT10_ENKUlT_T0_E_clISt17integral_constantIbLb1EES1A_EEDaS15_S16_EUlS15_E_NS1_11comp_targetILNS1_3genE3ELNS1_11target_archE908ELNS1_3gpuE7ELNS1_3repE0EEENS1_30default_config_static_selectorELNS0_4arch9wavefront6targetE1EEEvT1_
                                        ; -- End function
	.set _ZN7rocprim17ROCPRIM_400000_NS6detail17trampoline_kernelINS0_14default_configENS1_25partition_config_selectorILNS1_17partition_subalgoE8EiNS0_10empty_typeEbEEZZNS1_14partition_implILS5_8ELb0ES3_jN6thrust23THRUST_200600_302600_NS6detail15normal_iteratorINSA_10device_ptrIiEEEEPS6_PKS6_NS0_5tupleIJSF_S6_EEENSJ_IJSG_SG_EEENS0_18inequality_wrapperI22is_equal_div_10_uniqueIiEEEPmJS6_EEE10hipError_tPvRmT3_T4_T5_T6_T7_T9_mT8_P12ihipStream_tbDpT10_ENKUlT_T0_E_clISt17integral_constantIbLb1EES1A_EEDaS15_S16_EUlS15_E_NS1_11comp_targetILNS1_3genE3ELNS1_11target_archE908ELNS1_3gpuE7ELNS1_3repE0EEENS1_30default_config_static_selectorELNS0_4arch9wavefront6targetE1EEEvT1_.num_vgpr, 0
	.set _ZN7rocprim17ROCPRIM_400000_NS6detail17trampoline_kernelINS0_14default_configENS1_25partition_config_selectorILNS1_17partition_subalgoE8EiNS0_10empty_typeEbEEZZNS1_14partition_implILS5_8ELb0ES3_jN6thrust23THRUST_200600_302600_NS6detail15normal_iteratorINSA_10device_ptrIiEEEEPS6_PKS6_NS0_5tupleIJSF_S6_EEENSJ_IJSG_SG_EEENS0_18inequality_wrapperI22is_equal_div_10_uniqueIiEEEPmJS6_EEE10hipError_tPvRmT3_T4_T5_T6_T7_T9_mT8_P12ihipStream_tbDpT10_ENKUlT_T0_E_clISt17integral_constantIbLb1EES1A_EEDaS15_S16_EUlS15_E_NS1_11comp_targetILNS1_3genE3ELNS1_11target_archE908ELNS1_3gpuE7ELNS1_3repE0EEENS1_30default_config_static_selectorELNS0_4arch9wavefront6targetE1EEEvT1_.num_agpr, 0
	.set _ZN7rocprim17ROCPRIM_400000_NS6detail17trampoline_kernelINS0_14default_configENS1_25partition_config_selectorILNS1_17partition_subalgoE8EiNS0_10empty_typeEbEEZZNS1_14partition_implILS5_8ELb0ES3_jN6thrust23THRUST_200600_302600_NS6detail15normal_iteratorINSA_10device_ptrIiEEEEPS6_PKS6_NS0_5tupleIJSF_S6_EEENSJ_IJSG_SG_EEENS0_18inequality_wrapperI22is_equal_div_10_uniqueIiEEEPmJS6_EEE10hipError_tPvRmT3_T4_T5_T6_T7_T9_mT8_P12ihipStream_tbDpT10_ENKUlT_T0_E_clISt17integral_constantIbLb1EES1A_EEDaS15_S16_EUlS15_E_NS1_11comp_targetILNS1_3genE3ELNS1_11target_archE908ELNS1_3gpuE7ELNS1_3repE0EEENS1_30default_config_static_selectorELNS0_4arch9wavefront6targetE1EEEvT1_.numbered_sgpr, 0
	.set _ZN7rocprim17ROCPRIM_400000_NS6detail17trampoline_kernelINS0_14default_configENS1_25partition_config_selectorILNS1_17partition_subalgoE8EiNS0_10empty_typeEbEEZZNS1_14partition_implILS5_8ELb0ES3_jN6thrust23THRUST_200600_302600_NS6detail15normal_iteratorINSA_10device_ptrIiEEEEPS6_PKS6_NS0_5tupleIJSF_S6_EEENSJ_IJSG_SG_EEENS0_18inequality_wrapperI22is_equal_div_10_uniqueIiEEEPmJS6_EEE10hipError_tPvRmT3_T4_T5_T6_T7_T9_mT8_P12ihipStream_tbDpT10_ENKUlT_T0_E_clISt17integral_constantIbLb1EES1A_EEDaS15_S16_EUlS15_E_NS1_11comp_targetILNS1_3genE3ELNS1_11target_archE908ELNS1_3gpuE7ELNS1_3repE0EEENS1_30default_config_static_selectorELNS0_4arch9wavefront6targetE1EEEvT1_.num_named_barrier, 0
	.set _ZN7rocprim17ROCPRIM_400000_NS6detail17trampoline_kernelINS0_14default_configENS1_25partition_config_selectorILNS1_17partition_subalgoE8EiNS0_10empty_typeEbEEZZNS1_14partition_implILS5_8ELb0ES3_jN6thrust23THRUST_200600_302600_NS6detail15normal_iteratorINSA_10device_ptrIiEEEEPS6_PKS6_NS0_5tupleIJSF_S6_EEENSJ_IJSG_SG_EEENS0_18inequality_wrapperI22is_equal_div_10_uniqueIiEEEPmJS6_EEE10hipError_tPvRmT3_T4_T5_T6_T7_T9_mT8_P12ihipStream_tbDpT10_ENKUlT_T0_E_clISt17integral_constantIbLb1EES1A_EEDaS15_S16_EUlS15_E_NS1_11comp_targetILNS1_3genE3ELNS1_11target_archE908ELNS1_3gpuE7ELNS1_3repE0EEENS1_30default_config_static_selectorELNS0_4arch9wavefront6targetE1EEEvT1_.private_seg_size, 0
	.set _ZN7rocprim17ROCPRIM_400000_NS6detail17trampoline_kernelINS0_14default_configENS1_25partition_config_selectorILNS1_17partition_subalgoE8EiNS0_10empty_typeEbEEZZNS1_14partition_implILS5_8ELb0ES3_jN6thrust23THRUST_200600_302600_NS6detail15normal_iteratorINSA_10device_ptrIiEEEEPS6_PKS6_NS0_5tupleIJSF_S6_EEENSJ_IJSG_SG_EEENS0_18inequality_wrapperI22is_equal_div_10_uniqueIiEEEPmJS6_EEE10hipError_tPvRmT3_T4_T5_T6_T7_T9_mT8_P12ihipStream_tbDpT10_ENKUlT_T0_E_clISt17integral_constantIbLb1EES1A_EEDaS15_S16_EUlS15_E_NS1_11comp_targetILNS1_3genE3ELNS1_11target_archE908ELNS1_3gpuE7ELNS1_3repE0EEENS1_30default_config_static_selectorELNS0_4arch9wavefront6targetE1EEEvT1_.uses_vcc, 0
	.set _ZN7rocprim17ROCPRIM_400000_NS6detail17trampoline_kernelINS0_14default_configENS1_25partition_config_selectorILNS1_17partition_subalgoE8EiNS0_10empty_typeEbEEZZNS1_14partition_implILS5_8ELb0ES3_jN6thrust23THRUST_200600_302600_NS6detail15normal_iteratorINSA_10device_ptrIiEEEEPS6_PKS6_NS0_5tupleIJSF_S6_EEENSJ_IJSG_SG_EEENS0_18inequality_wrapperI22is_equal_div_10_uniqueIiEEEPmJS6_EEE10hipError_tPvRmT3_T4_T5_T6_T7_T9_mT8_P12ihipStream_tbDpT10_ENKUlT_T0_E_clISt17integral_constantIbLb1EES1A_EEDaS15_S16_EUlS15_E_NS1_11comp_targetILNS1_3genE3ELNS1_11target_archE908ELNS1_3gpuE7ELNS1_3repE0EEENS1_30default_config_static_selectorELNS0_4arch9wavefront6targetE1EEEvT1_.uses_flat_scratch, 0
	.set _ZN7rocprim17ROCPRIM_400000_NS6detail17trampoline_kernelINS0_14default_configENS1_25partition_config_selectorILNS1_17partition_subalgoE8EiNS0_10empty_typeEbEEZZNS1_14partition_implILS5_8ELb0ES3_jN6thrust23THRUST_200600_302600_NS6detail15normal_iteratorINSA_10device_ptrIiEEEEPS6_PKS6_NS0_5tupleIJSF_S6_EEENSJ_IJSG_SG_EEENS0_18inequality_wrapperI22is_equal_div_10_uniqueIiEEEPmJS6_EEE10hipError_tPvRmT3_T4_T5_T6_T7_T9_mT8_P12ihipStream_tbDpT10_ENKUlT_T0_E_clISt17integral_constantIbLb1EES1A_EEDaS15_S16_EUlS15_E_NS1_11comp_targetILNS1_3genE3ELNS1_11target_archE908ELNS1_3gpuE7ELNS1_3repE0EEENS1_30default_config_static_selectorELNS0_4arch9wavefront6targetE1EEEvT1_.has_dyn_sized_stack, 0
	.set _ZN7rocprim17ROCPRIM_400000_NS6detail17trampoline_kernelINS0_14default_configENS1_25partition_config_selectorILNS1_17partition_subalgoE8EiNS0_10empty_typeEbEEZZNS1_14partition_implILS5_8ELb0ES3_jN6thrust23THRUST_200600_302600_NS6detail15normal_iteratorINSA_10device_ptrIiEEEEPS6_PKS6_NS0_5tupleIJSF_S6_EEENSJ_IJSG_SG_EEENS0_18inequality_wrapperI22is_equal_div_10_uniqueIiEEEPmJS6_EEE10hipError_tPvRmT3_T4_T5_T6_T7_T9_mT8_P12ihipStream_tbDpT10_ENKUlT_T0_E_clISt17integral_constantIbLb1EES1A_EEDaS15_S16_EUlS15_E_NS1_11comp_targetILNS1_3genE3ELNS1_11target_archE908ELNS1_3gpuE7ELNS1_3repE0EEENS1_30default_config_static_selectorELNS0_4arch9wavefront6targetE1EEEvT1_.has_recursion, 0
	.set _ZN7rocprim17ROCPRIM_400000_NS6detail17trampoline_kernelINS0_14default_configENS1_25partition_config_selectorILNS1_17partition_subalgoE8EiNS0_10empty_typeEbEEZZNS1_14partition_implILS5_8ELb0ES3_jN6thrust23THRUST_200600_302600_NS6detail15normal_iteratorINSA_10device_ptrIiEEEEPS6_PKS6_NS0_5tupleIJSF_S6_EEENSJ_IJSG_SG_EEENS0_18inequality_wrapperI22is_equal_div_10_uniqueIiEEEPmJS6_EEE10hipError_tPvRmT3_T4_T5_T6_T7_T9_mT8_P12ihipStream_tbDpT10_ENKUlT_T0_E_clISt17integral_constantIbLb1EES1A_EEDaS15_S16_EUlS15_E_NS1_11comp_targetILNS1_3genE3ELNS1_11target_archE908ELNS1_3gpuE7ELNS1_3repE0EEENS1_30default_config_static_selectorELNS0_4arch9wavefront6targetE1EEEvT1_.has_indirect_call, 0
	.section	.AMDGPU.csdata,"",@progbits
; Kernel info:
; codeLenInByte = 0
; TotalNumSgprs: 4
; NumVgprs: 0
; ScratchSize: 0
; MemoryBound: 0
; FloatMode: 240
; IeeeMode: 1
; LDSByteSize: 0 bytes/workgroup (compile time only)
; SGPRBlocks: 0
; VGPRBlocks: 0
; NumSGPRsForWavesPerEU: 4
; NumVGPRsForWavesPerEU: 1
; Occupancy: 10
; WaveLimiterHint : 0
; COMPUTE_PGM_RSRC2:SCRATCH_EN: 0
; COMPUTE_PGM_RSRC2:USER_SGPR: 6
; COMPUTE_PGM_RSRC2:TRAP_HANDLER: 0
; COMPUTE_PGM_RSRC2:TGID_X_EN: 1
; COMPUTE_PGM_RSRC2:TGID_Y_EN: 0
; COMPUTE_PGM_RSRC2:TGID_Z_EN: 0
; COMPUTE_PGM_RSRC2:TIDIG_COMP_CNT: 0
	.section	.text._ZN7rocprim17ROCPRIM_400000_NS6detail17trampoline_kernelINS0_14default_configENS1_25partition_config_selectorILNS1_17partition_subalgoE8EiNS0_10empty_typeEbEEZZNS1_14partition_implILS5_8ELb0ES3_jN6thrust23THRUST_200600_302600_NS6detail15normal_iteratorINSA_10device_ptrIiEEEEPS6_PKS6_NS0_5tupleIJSF_S6_EEENSJ_IJSG_SG_EEENS0_18inequality_wrapperI22is_equal_div_10_uniqueIiEEEPmJS6_EEE10hipError_tPvRmT3_T4_T5_T6_T7_T9_mT8_P12ihipStream_tbDpT10_ENKUlT_T0_E_clISt17integral_constantIbLb1EES1A_EEDaS15_S16_EUlS15_E_NS1_11comp_targetILNS1_3genE2ELNS1_11target_archE906ELNS1_3gpuE6ELNS1_3repE0EEENS1_30default_config_static_selectorELNS0_4arch9wavefront6targetE1EEEvT1_,"axG",@progbits,_ZN7rocprim17ROCPRIM_400000_NS6detail17trampoline_kernelINS0_14default_configENS1_25partition_config_selectorILNS1_17partition_subalgoE8EiNS0_10empty_typeEbEEZZNS1_14partition_implILS5_8ELb0ES3_jN6thrust23THRUST_200600_302600_NS6detail15normal_iteratorINSA_10device_ptrIiEEEEPS6_PKS6_NS0_5tupleIJSF_S6_EEENSJ_IJSG_SG_EEENS0_18inequality_wrapperI22is_equal_div_10_uniqueIiEEEPmJS6_EEE10hipError_tPvRmT3_T4_T5_T6_T7_T9_mT8_P12ihipStream_tbDpT10_ENKUlT_T0_E_clISt17integral_constantIbLb1EES1A_EEDaS15_S16_EUlS15_E_NS1_11comp_targetILNS1_3genE2ELNS1_11target_archE906ELNS1_3gpuE6ELNS1_3repE0EEENS1_30default_config_static_selectorELNS0_4arch9wavefront6targetE1EEEvT1_,comdat
	.protected	_ZN7rocprim17ROCPRIM_400000_NS6detail17trampoline_kernelINS0_14default_configENS1_25partition_config_selectorILNS1_17partition_subalgoE8EiNS0_10empty_typeEbEEZZNS1_14partition_implILS5_8ELb0ES3_jN6thrust23THRUST_200600_302600_NS6detail15normal_iteratorINSA_10device_ptrIiEEEEPS6_PKS6_NS0_5tupleIJSF_S6_EEENSJ_IJSG_SG_EEENS0_18inequality_wrapperI22is_equal_div_10_uniqueIiEEEPmJS6_EEE10hipError_tPvRmT3_T4_T5_T6_T7_T9_mT8_P12ihipStream_tbDpT10_ENKUlT_T0_E_clISt17integral_constantIbLb1EES1A_EEDaS15_S16_EUlS15_E_NS1_11comp_targetILNS1_3genE2ELNS1_11target_archE906ELNS1_3gpuE6ELNS1_3repE0EEENS1_30default_config_static_selectorELNS0_4arch9wavefront6targetE1EEEvT1_ ; -- Begin function _ZN7rocprim17ROCPRIM_400000_NS6detail17trampoline_kernelINS0_14default_configENS1_25partition_config_selectorILNS1_17partition_subalgoE8EiNS0_10empty_typeEbEEZZNS1_14partition_implILS5_8ELb0ES3_jN6thrust23THRUST_200600_302600_NS6detail15normal_iteratorINSA_10device_ptrIiEEEEPS6_PKS6_NS0_5tupleIJSF_S6_EEENSJ_IJSG_SG_EEENS0_18inequality_wrapperI22is_equal_div_10_uniqueIiEEEPmJS6_EEE10hipError_tPvRmT3_T4_T5_T6_T7_T9_mT8_P12ihipStream_tbDpT10_ENKUlT_T0_E_clISt17integral_constantIbLb1EES1A_EEDaS15_S16_EUlS15_E_NS1_11comp_targetILNS1_3genE2ELNS1_11target_archE906ELNS1_3gpuE6ELNS1_3repE0EEENS1_30default_config_static_selectorELNS0_4arch9wavefront6targetE1EEEvT1_
	.globl	_ZN7rocprim17ROCPRIM_400000_NS6detail17trampoline_kernelINS0_14default_configENS1_25partition_config_selectorILNS1_17partition_subalgoE8EiNS0_10empty_typeEbEEZZNS1_14partition_implILS5_8ELb0ES3_jN6thrust23THRUST_200600_302600_NS6detail15normal_iteratorINSA_10device_ptrIiEEEEPS6_PKS6_NS0_5tupleIJSF_S6_EEENSJ_IJSG_SG_EEENS0_18inequality_wrapperI22is_equal_div_10_uniqueIiEEEPmJS6_EEE10hipError_tPvRmT3_T4_T5_T6_T7_T9_mT8_P12ihipStream_tbDpT10_ENKUlT_T0_E_clISt17integral_constantIbLb1EES1A_EEDaS15_S16_EUlS15_E_NS1_11comp_targetILNS1_3genE2ELNS1_11target_archE906ELNS1_3gpuE6ELNS1_3repE0EEENS1_30default_config_static_selectorELNS0_4arch9wavefront6targetE1EEEvT1_
	.p2align	8
	.type	_ZN7rocprim17ROCPRIM_400000_NS6detail17trampoline_kernelINS0_14default_configENS1_25partition_config_selectorILNS1_17partition_subalgoE8EiNS0_10empty_typeEbEEZZNS1_14partition_implILS5_8ELb0ES3_jN6thrust23THRUST_200600_302600_NS6detail15normal_iteratorINSA_10device_ptrIiEEEEPS6_PKS6_NS0_5tupleIJSF_S6_EEENSJ_IJSG_SG_EEENS0_18inequality_wrapperI22is_equal_div_10_uniqueIiEEEPmJS6_EEE10hipError_tPvRmT3_T4_T5_T6_T7_T9_mT8_P12ihipStream_tbDpT10_ENKUlT_T0_E_clISt17integral_constantIbLb1EES1A_EEDaS15_S16_EUlS15_E_NS1_11comp_targetILNS1_3genE2ELNS1_11target_archE906ELNS1_3gpuE6ELNS1_3repE0EEENS1_30default_config_static_selectorELNS0_4arch9wavefront6targetE1EEEvT1_,@function
_ZN7rocprim17ROCPRIM_400000_NS6detail17trampoline_kernelINS0_14default_configENS1_25partition_config_selectorILNS1_17partition_subalgoE8EiNS0_10empty_typeEbEEZZNS1_14partition_implILS5_8ELb0ES3_jN6thrust23THRUST_200600_302600_NS6detail15normal_iteratorINSA_10device_ptrIiEEEEPS6_PKS6_NS0_5tupleIJSF_S6_EEENSJ_IJSG_SG_EEENS0_18inequality_wrapperI22is_equal_div_10_uniqueIiEEEPmJS6_EEE10hipError_tPvRmT3_T4_T5_T6_T7_T9_mT8_P12ihipStream_tbDpT10_ENKUlT_T0_E_clISt17integral_constantIbLb1EES1A_EEDaS15_S16_EUlS15_E_NS1_11comp_targetILNS1_3genE2ELNS1_11target_archE906ELNS1_3gpuE6ELNS1_3repE0EEENS1_30default_config_static_selectorELNS0_4arch9wavefront6targetE1EEEvT1_: ; @_ZN7rocprim17ROCPRIM_400000_NS6detail17trampoline_kernelINS0_14default_configENS1_25partition_config_selectorILNS1_17partition_subalgoE8EiNS0_10empty_typeEbEEZZNS1_14partition_implILS5_8ELb0ES3_jN6thrust23THRUST_200600_302600_NS6detail15normal_iteratorINSA_10device_ptrIiEEEEPS6_PKS6_NS0_5tupleIJSF_S6_EEENSJ_IJSG_SG_EEENS0_18inequality_wrapperI22is_equal_div_10_uniqueIiEEEPmJS6_EEE10hipError_tPvRmT3_T4_T5_T6_T7_T9_mT8_P12ihipStream_tbDpT10_ENKUlT_T0_E_clISt17integral_constantIbLb1EES1A_EEDaS15_S16_EUlS15_E_NS1_11comp_targetILNS1_3genE2ELNS1_11target_archE906ELNS1_3gpuE6ELNS1_3repE0EEENS1_30default_config_static_selectorELNS0_4arch9wavefront6targetE1EEEvT1_
; %bb.0:
	s_endpgm
	.section	.rodata,"a",@progbits
	.p2align	6, 0x0
	.amdhsa_kernel _ZN7rocprim17ROCPRIM_400000_NS6detail17trampoline_kernelINS0_14default_configENS1_25partition_config_selectorILNS1_17partition_subalgoE8EiNS0_10empty_typeEbEEZZNS1_14partition_implILS5_8ELb0ES3_jN6thrust23THRUST_200600_302600_NS6detail15normal_iteratorINSA_10device_ptrIiEEEEPS6_PKS6_NS0_5tupleIJSF_S6_EEENSJ_IJSG_SG_EEENS0_18inequality_wrapperI22is_equal_div_10_uniqueIiEEEPmJS6_EEE10hipError_tPvRmT3_T4_T5_T6_T7_T9_mT8_P12ihipStream_tbDpT10_ENKUlT_T0_E_clISt17integral_constantIbLb1EES1A_EEDaS15_S16_EUlS15_E_NS1_11comp_targetILNS1_3genE2ELNS1_11target_archE906ELNS1_3gpuE6ELNS1_3repE0EEENS1_30default_config_static_selectorELNS0_4arch9wavefront6targetE1EEEvT1_
		.amdhsa_group_segment_fixed_size 0
		.amdhsa_private_segment_fixed_size 0
		.amdhsa_kernarg_size 128
		.amdhsa_user_sgpr_count 6
		.amdhsa_user_sgpr_private_segment_buffer 1
		.amdhsa_user_sgpr_dispatch_ptr 0
		.amdhsa_user_sgpr_queue_ptr 0
		.amdhsa_user_sgpr_kernarg_segment_ptr 1
		.amdhsa_user_sgpr_dispatch_id 0
		.amdhsa_user_sgpr_flat_scratch_init 0
		.amdhsa_user_sgpr_private_segment_size 0
		.amdhsa_uses_dynamic_stack 0
		.amdhsa_system_sgpr_private_segment_wavefront_offset 0
		.amdhsa_system_sgpr_workgroup_id_x 1
		.amdhsa_system_sgpr_workgroup_id_y 0
		.amdhsa_system_sgpr_workgroup_id_z 0
		.amdhsa_system_sgpr_workgroup_info 0
		.amdhsa_system_vgpr_workitem_id 0
		.amdhsa_next_free_vgpr 1
		.amdhsa_next_free_sgpr 0
		.amdhsa_reserve_vcc 0
		.amdhsa_reserve_flat_scratch 0
		.amdhsa_float_round_mode_32 0
		.amdhsa_float_round_mode_16_64 0
		.amdhsa_float_denorm_mode_32 3
		.amdhsa_float_denorm_mode_16_64 3
		.amdhsa_dx10_clamp 1
		.amdhsa_ieee_mode 1
		.amdhsa_fp16_overflow 0
		.amdhsa_exception_fp_ieee_invalid_op 0
		.amdhsa_exception_fp_denorm_src 0
		.amdhsa_exception_fp_ieee_div_zero 0
		.amdhsa_exception_fp_ieee_overflow 0
		.amdhsa_exception_fp_ieee_underflow 0
		.amdhsa_exception_fp_ieee_inexact 0
		.amdhsa_exception_int_div_zero 0
	.end_amdhsa_kernel
	.section	.text._ZN7rocprim17ROCPRIM_400000_NS6detail17trampoline_kernelINS0_14default_configENS1_25partition_config_selectorILNS1_17partition_subalgoE8EiNS0_10empty_typeEbEEZZNS1_14partition_implILS5_8ELb0ES3_jN6thrust23THRUST_200600_302600_NS6detail15normal_iteratorINSA_10device_ptrIiEEEEPS6_PKS6_NS0_5tupleIJSF_S6_EEENSJ_IJSG_SG_EEENS0_18inequality_wrapperI22is_equal_div_10_uniqueIiEEEPmJS6_EEE10hipError_tPvRmT3_T4_T5_T6_T7_T9_mT8_P12ihipStream_tbDpT10_ENKUlT_T0_E_clISt17integral_constantIbLb1EES1A_EEDaS15_S16_EUlS15_E_NS1_11comp_targetILNS1_3genE2ELNS1_11target_archE906ELNS1_3gpuE6ELNS1_3repE0EEENS1_30default_config_static_selectorELNS0_4arch9wavefront6targetE1EEEvT1_,"axG",@progbits,_ZN7rocprim17ROCPRIM_400000_NS6detail17trampoline_kernelINS0_14default_configENS1_25partition_config_selectorILNS1_17partition_subalgoE8EiNS0_10empty_typeEbEEZZNS1_14partition_implILS5_8ELb0ES3_jN6thrust23THRUST_200600_302600_NS6detail15normal_iteratorINSA_10device_ptrIiEEEEPS6_PKS6_NS0_5tupleIJSF_S6_EEENSJ_IJSG_SG_EEENS0_18inequality_wrapperI22is_equal_div_10_uniqueIiEEEPmJS6_EEE10hipError_tPvRmT3_T4_T5_T6_T7_T9_mT8_P12ihipStream_tbDpT10_ENKUlT_T0_E_clISt17integral_constantIbLb1EES1A_EEDaS15_S16_EUlS15_E_NS1_11comp_targetILNS1_3genE2ELNS1_11target_archE906ELNS1_3gpuE6ELNS1_3repE0EEENS1_30default_config_static_selectorELNS0_4arch9wavefront6targetE1EEEvT1_,comdat
.Lfunc_end448:
	.size	_ZN7rocprim17ROCPRIM_400000_NS6detail17trampoline_kernelINS0_14default_configENS1_25partition_config_selectorILNS1_17partition_subalgoE8EiNS0_10empty_typeEbEEZZNS1_14partition_implILS5_8ELb0ES3_jN6thrust23THRUST_200600_302600_NS6detail15normal_iteratorINSA_10device_ptrIiEEEEPS6_PKS6_NS0_5tupleIJSF_S6_EEENSJ_IJSG_SG_EEENS0_18inequality_wrapperI22is_equal_div_10_uniqueIiEEEPmJS6_EEE10hipError_tPvRmT3_T4_T5_T6_T7_T9_mT8_P12ihipStream_tbDpT10_ENKUlT_T0_E_clISt17integral_constantIbLb1EES1A_EEDaS15_S16_EUlS15_E_NS1_11comp_targetILNS1_3genE2ELNS1_11target_archE906ELNS1_3gpuE6ELNS1_3repE0EEENS1_30default_config_static_selectorELNS0_4arch9wavefront6targetE1EEEvT1_, .Lfunc_end448-_ZN7rocprim17ROCPRIM_400000_NS6detail17trampoline_kernelINS0_14default_configENS1_25partition_config_selectorILNS1_17partition_subalgoE8EiNS0_10empty_typeEbEEZZNS1_14partition_implILS5_8ELb0ES3_jN6thrust23THRUST_200600_302600_NS6detail15normal_iteratorINSA_10device_ptrIiEEEEPS6_PKS6_NS0_5tupleIJSF_S6_EEENSJ_IJSG_SG_EEENS0_18inequality_wrapperI22is_equal_div_10_uniqueIiEEEPmJS6_EEE10hipError_tPvRmT3_T4_T5_T6_T7_T9_mT8_P12ihipStream_tbDpT10_ENKUlT_T0_E_clISt17integral_constantIbLb1EES1A_EEDaS15_S16_EUlS15_E_NS1_11comp_targetILNS1_3genE2ELNS1_11target_archE906ELNS1_3gpuE6ELNS1_3repE0EEENS1_30default_config_static_selectorELNS0_4arch9wavefront6targetE1EEEvT1_
                                        ; -- End function
	.set _ZN7rocprim17ROCPRIM_400000_NS6detail17trampoline_kernelINS0_14default_configENS1_25partition_config_selectorILNS1_17partition_subalgoE8EiNS0_10empty_typeEbEEZZNS1_14partition_implILS5_8ELb0ES3_jN6thrust23THRUST_200600_302600_NS6detail15normal_iteratorINSA_10device_ptrIiEEEEPS6_PKS6_NS0_5tupleIJSF_S6_EEENSJ_IJSG_SG_EEENS0_18inequality_wrapperI22is_equal_div_10_uniqueIiEEEPmJS6_EEE10hipError_tPvRmT3_T4_T5_T6_T7_T9_mT8_P12ihipStream_tbDpT10_ENKUlT_T0_E_clISt17integral_constantIbLb1EES1A_EEDaS15_S16_EUlS15_E_NS1_11comp_targetILNS1_3genE2ELNS1_11target_archE906ELNS1_3gpuE6ELNS1_3repE0EEENS1_30default_config_static_selectorELNS0_4arch9wavefront6targetE1EEEvT1_.num_vgpr, 0
	.set _ZN7rocprim17ROCPRIM_400000_NS6detail17trampoline_kernelINS0_14default_configENS1_25partition_config_selectorILNS1_17partition_subalgoE8EiNS0_10empty_typeEbEEZZNS1_14partition_implILS5_8ELb0ES3_jN6thrust23THRUST_200600_302600_NS6detail15normal_iteratorINSA_10device_ptrIiEEEEPS6_PKS6_NS0_5tupleIJSF_S6_EEENSJ_IJSG_SG_EEENS0_18inequality_wrapperI22is_equal_div_10_uniqueIiEEEPmJS6_EEE10hipError_tPvRmT3_T4_T5_T6_T7_T9_mT8_P12ihipStream_tbDpT10_ENKUlT_T0_E_clISt17integral_constantIbLb1EES1A_EEDaS15_S16_EUlS15_E_NS1_11comp_targetILNS1_3genE2ELNS1_11target_archE906ELNS1_3gpuE6ELNS1_3repE0EEENS1_30default_config_static_selectorELNS0_4arch9wavefront6targetE1EEEvT1_.num_agpr, 0
	.set _ZN7rocprim17ROCPRIM_400000_NS6detail17trampoline_kernelINS0_14default_configENS1_25partition_config_selectorILNS1_17partition_subalgoE8EiNS0_10empty_typeEbEEZZNS1_14partition_implILS5_8ELb0ES3_jN6thrust23THRUST_200600_302600_NS6detail15normal_iteratorINSA_10device_ptrIiEEEEPS6_PKS6_NS0_5tupleIJSF_S6_EEENSJ_IJSG_SG_EEENS0_18inequality_wrapperI22is_equal_div_10_uniqueIiEEEPmJS6_EEE10hipError_tPvRmT3_T4_T5_T6_T7_T9_mT8_P12ihipStream_tbDpT10_ENKUlT_T0_E_clISt17integral_constantIbLb1EES1A_EEDaS15_S16_EUlS15_E_NS1_11comp_targetILNS1_3genE2ELNS1_11target_archE906ELNS1_3gpuE6ELNS1_3repE0EEENS1_30default_config_static_selectorELNS0_4arch9wavefront6targetE1EEEvT1_.numbered_sgpr, 0
	.set _ZN7rocprim17ROCPRIM_400000_NS6detail17trampoline_kernelINS0_14default_configENS1_25partition_config_selectorILNS1_17partition_subalgoE8EiNS0_10empty_typeEbEEZZNS1_14partition_implILS5_8ELb0ES3_jN6thrust23THRUST_200600_302600_NS6detail15normal_iteratorINSA_10device_ptrIiEEEEPS6_PKS6_NS0_5tupleIJSF_S6_EEENSJ_IJSG_SG_EEENS0_18inequality_wrapperI22is_equal_div_10_uniqueIiEEEPmJS6_EEE10hipError_tPvRmT3_T4_T5_T6_T7_T9_mT8_P12ihipStream_tbDpT10_ENKUlT_T0_E_clISt17integral_constantIbLb1EES1A_EEDaS15_S16_EUlS15_E_NS1_11comp_targetILNS1_3genE2ELNS1_11target_archE906ELNS1_3gpuE6ELNS1_3repE0EEENS1_30default_config_static_selectorELNS0_4arch9wavefront6targetE1EEEvT1_.num_named_barrier, 0
	.set _ZN7rocprim17ROCPRIM_400000_NS6detail17trampoline_kernelINS0_14default_configENS1_25partition_config_selectorILNS1_17partition_subalgoE8EiNS0_10empty_typeEbEEZZNS1_14partition_implILS5_8ELb0ES3_jN6thrust23THRUST_200600_302600_NS6detail15normal_iteratorINSA_10device_ptrIiEEEEPS6_PKS6_NS0_5tupleIJSF_S6_EEENSJ_IJSG_SG_EEENS0_18inequality_wrapperI22is_equal_div_10_uniqueIiEEEPmJS6_EEE10hipError_tPvRmT3_T4_T5_T6_T7_T9_mT8_P12ihipStream_tbDpT10_ENKUlT_T0_E_clISt17integral_constantIbLb1EES1A_EEDaS15_S16_EUlS15_E_NS1_11comp_targetILNS1_3genE2ELNS1_11target_archE906ELNS1_3gpuE6ELNS1_3repE0EEENS1_30default_config_static_selectorELNS0_4arch9wavefront6targetE1EEEvT1_.private_seg_size, 0
	.set _ZN7rocprim17ROCPRIM_400000_NS6detail17trampoline_kernelINS0_14default_configENS1_25partition_config_selectorILNS1_17partition_subalgoE8EiNS0_10empty_typeEbEEZZNS1_14partition_implILS5_8ELb0ES3_jN6thrust23THRUST_200600_302600_NS6detail15normal_iteratorINSA_10device_ptrIiEEEEPS6_PKS6_NS0_5tupleIJSF_S6_EEENSJ_IJSG_SG_EEENS0_18inequality_wrapperI22is_equal_div_10_uniqueIiEEEPmJS6_EEE10hipError_tPvRmT3_T4_T5_T6_T7_T9_mT8_P12ihipStream_tbDpT10_ENKUlT_T0_E_clISt17integral_constantIbLb1EES1A_EEDaS15_S16_EUlS15_E_NS1_11comp_targetILNS1_3genE2ELNS1_11target_archE906ELNS1_3gpuE6ELNS1_3repE0EEENS1_30default_config_static_selectorELNS0_4arch9wavefront6targetE1EEEvT1_.uses_vcc, 0
	.set _ZN7rocprim17ROCPRIM_400000_NS6detail17trampoline_kernelINS0_14default_configENS1_25partition_config_selectorILNS1_17partition_subalgoE8EiNS0_10empty_typeEbEEZZNS1_14partition_implILS5_8ELb0ES3_jN6thrust23THRUST_200600_302600_NS6detail15normal_iteratorINSA_10device_ptrIiEEEEPS6_PKS6_NS0_5tupleIJSF_S6_EEENSJ_IJSG_SG_EEENS0_18inequality_wrapperI22is_equal_div_10_uniqueIiEEEPmJS6_EEE10hipError_tPvRmT3_T4_T5_T6_T7_T9_mT8_P12ihipStream_tbDpT10_ENKUlT_T0_E_clISt17integral_constantIbLb1EES1A_EEDaS15_S16_EUlS15_E_NS1_11comp_targetILNS1_3genE2ELNS1_11target_archE906ELNS1_3gpuE6ELNS1_3repE0EEENS1_30default_config_static_selectorELNS0_4arch9wavefront6targetE1EEEvT1_.uses_flat_scratch, 0
	.set _ZN7rocprim17ROCPRIM_400000_NS6detail17trampoline_kernelINS0_14default_configENS1_25partition_config_selectorILNS1_17partition_subalgoE8EiNS0_10empty_typeEbEEZZNS1_14partition_implILS5_8ELb0ES3_jN6thrust23THRUST_200600_302600_NS6detail15normal_iteratorINSA_10device_ptrIiEEEEPS6_PKS6_NS0_5tupleIJSF_S6_EEENSJ_IJSG_SG_EEENS0_18inequality_wrapperI22is_equal_div_10_uniqueIiEEEPmJS6_EEE10hipError_tPvRmT3_T4_T5_T6_T7_T9_mT8_P12ihipStream_tbDpT10_ENKUlT_T0_E_clISt17integral_constantIbLb1EES1A_EEDaS15_S16_EUlS15_E_NS1_11comp_targetILNS1_3genE2ELNS1_11target_archE906ELNS1_3gpuE6ELNS1_3repE0EEENS1_30default_config_static_selectorELNS0_4arch9wavefront6targetE1EEEvT1_.has_dyn_sized_stack, 0
	.set _ZN7rocprim17ROCPRIM_400000_NS6detail17trampoline_kernelINS0_14default_configENS1_25partition_config_selectorILNS1_17partition_subalgoE8EiNS0_10empty_typeEbEEZZNS1_14partition_implILS5_8ELb0ES3_jN6thrust23THRUST_200600_302600_NS6detail15normal_iteratorINSA_10device_ptrIiEEEEPS6_PKS6_NS0_5tupleIJSF_S6_EEENSJ_IJSG_SG_EEENS0_18inequality_wrapperI22is_equal_div_10_uniqueIiEEEPmJS6_EEE10hipError_tPvRmT3_T4_T5_T6_T7_T9_mT8_P12ihipStream_tbDpT10_ENKUlT_T0_E_clISt17integral_constantIbLb1EES1A_EEDaS15_S16_EUlS15_E_NS1_11comp_targetILNS1_3genE2ELNS1_11target_archE906ELNS1_3gpuE6ELNS1_3repE0EEENS1_30default_config_static_selectorELNS0_4arch9wavefront6targetE1EEEvT1_.has_recursion, 0
	.set _ZN7rocprim17ROCPRIM_400000_NS6detail17trampoline_kernelINS0_14default_configENS1_25partition_config_selectorILNS1_17partition_subalgoE8EiNS0_10empty_typeEbEEZZNS1_14partition_implILS5_8ELb0ES3_jN6thrust23THRUST_200600_302600_NS6detail15normal_iteratorINSA_10device_ptrIiEEEEPS6_PKS6_NS0_5tupleIJSF_S6_EEENSJ_IJSG_SG_EEENS0_18inequality_wrapperI22is_equal_div_10_uniqueIiEEEPmJS6_EEE10hipError_tPvRmT3_T4_T5_T6_T7_T9_mT8_P12ihipStream_tbDpT10_ENKUlT_T0_E_clISt17integral_constantIbLb1EES1A_EEDaS15_S16_EUlS15_E_NS1_11comp_targetILNS1_3genE2ELNS1_11target_archE906ELNS1_3gpuE6ELNS1_3repE0EEENS1_30default_config_static_selectorELNS0_4arch9wavefront6targetE1EEEvT1_.has_indirect_call, 0
	.section	.AMDGPU.csdata,"",@progbits
; Kernel info:
; codeLenInByte = 4
; TotalNumSgprs: 4
; NumVgprs: 0
; ScratchSize: 0
; MemoryBound: 0
; FloatMode: 240
; IeeeMode: 1
; LDSByteSize: 0 bytes/workgroup (compile time only)
; SGPRBlocks: 0
; VGPRBlocks: 0
; NumSGPRsForWavesPerEU: 4
; NumVGPRsForWavesPerEU: 1
; Occupancy: 10
; WaveLimiterHint : 0
; COMPUTE_PGM_RSRC2:SCRATCH_EN: 0
; COMPUTE_PGM_RSRC2:USER_SGPR: 6
; COMPUTE_PGM_RSRC2:TRAP_HANDLER: 0
; COMPUTE_PGM_RSRC2:TGID_X_EN: 1
; COMPUTE_PGM_RSRC2:TGID_Y_EN: 0
; COMPUTE_PGM_RSRC2:TGID_Z_EN: 0
; COMPUTE_PGM_RSRC2:TIDIG_COMP_CNT: 0
	.section	.text._ZN7rocprim17ROCPRIM_400000_NS6detail17trampoline_kernelINS0_14default_configENS1_25partition_config_selectorILNS1_17partition_subalgoE8EiNS0_10empty_typeEbEEZZNS1_14partition_implILS5_8ELb0ES3_jN6thrust23THRUST_200600_302600_NS6detail15normal_iteratorINSA_10device_ptrIiEEEEPS6_PKS6_NS0_5tupleIJSF_S6_EEENSJ_IJSG_SG_EEENS0_18inequality_wrapperI22is_equal_div_10_uniqueIiEEEPmJS6_EEE10hipError_tPvRmT3_T4_T5_T6_T7_T9_mT8_P12ihipStream_tbDpT10_ENKUlT_T0_E_clISt17integral_constantIbLb1EES1A_EEDaS15_S16_EUlS15_E_NS1_11comp_targetILNS1_3genE10ELNS1_11target_archE1200ELNS1_3gpuE4ELNS1_3repE0EEENS1_30default_config_static_selectorELNS0_4arch9wavefront6targetE1EEEvT1_,"axG",@progbits,_ZN7rocprim17ROCPRIM_400000_NS6detail17trampoline_kernelINS0_14default_configENS1_25partition_config_selectorILNS1_17partition_subalgoE8EiNS0_10empty_typeEbEEZZNS1_14partition_implILS5_8ELb0ES3_jN6thrust23THRUST_200600_302600_NS6detail15normal_iteratorINSA_10device_ptrIiEEEEPS6_PKS6_NS0_5tupleIJSF_S6_EEENSJ_IJSG_SG_EEENS0_18inequality_wrapperI22is_equal_div_10_uniqueIiEEEPmJS6_EEE10hipError_tPvRmT3_T4_T5_T6_T7_T9_mT8_P12ihipStream_tbDpT10_ENKUlT_T0_E_clISt17integral_constantIbLb1EES1A_EEDaS15_S16_EUlS15_E_NS1_11comp_targetILNS1_3genE10ELNS1_11target_archE1200ELNS1_3gpuE4ELNS1_3repE0EEENS1_30default_config_static_selectorELNS0_4arch9wavefront6targetE1EEEvT1_,comdat
	.protected	_ZN7rocprim17ROCPRIM_400000_NS6detail17trampoline_kernelINS0_14default_configENS1_25partition_config_selectorILNS1_17partition_subalgoE8EiNS0_10empty_typeEbEEZZNS1_14partition_implILS5_8ELb0ES3_jN6thrust23THRUST_200600_302600_NS6detail15normal_iteratorINSA_10device_ptrIiEEEEPS6_PKS6_NS0_5tupleIJSF_S6_EEENSJ_IJSG_SG_EEENS0_18inequality_wrapperI22is_equal_div_10_uniqueIiEEEPmJS6_EEE10hipError_tPvRmT3_T4_T5_T6_T7_T9_mT8_P12ihipStream_tbDpT10_ENKUlT_T0_E_clISt17integral_constantIbLb1EES1A_EEDaS15_S16_EUlS15_E_NS1_11comp_targetILNS1_3genE10ELNS1_11target_archE1200ELNS1_3gpuE4ELNS1_3repE0EEENS1_30default_config_static_selectorELNS0_4arch9wavefront6targetE1EEEvT1_ ; -- Begin function _ZN7rocprim17ROCPRIM_400000_NS6detail17trampoline_kernelINS0_14default_configENS1_25partition_config_selectorILNS1_17partition_subalgoE8EiNS0_10empty_typeEbEEZZNS1_14partition_implILS5_8ELb0ES3_jN6thrust23THRUST_200600_302600_NS6detail15normal_iteratorINSA_10device_ptrIiEEEEPS6_PKS6_NS0_5tupleIJSF_S6_EEENSJ_IJSG_SG_EEENS0_18inequality_wrapperI22is_equal_div_10_uniqueIiEEEPmJS6_EEE10hipError_tPvRmT3_T4_T5_T6_T7_T9_mT8_P12ihipStream_tbDpT10_ENKUlT_T0_E_clISt17integral_constantIbLb1EES1A_EEDaS15_S16_EUlS15_E_NS1_11comp_targetILNS1_3genE10ELNS1_11target_archE1200ELNS1_3gpuE4ELNS1_3repE0EEENS1_30default_config_static_selectorELNS0_4arch9wavefront6targetE1EEEvT1_
	.globl	_ZN7rocprim17ROCPRIM_400000_NS6detail17trampoline_kernelINS0_14default_configENS1_25partition_config_selectorILNS1_17partition_subalgoE8EiNS0_10empty_typeEbEEZZNS1_14partition_implILS5_8ELb0ES3_jN6thrust23THRUST_200600_302600_NS6detail15normal_iteratorINSA_10device_ptrIiEEEEPS6_PKS6_NS0_5tupleIJSF_S6_EEENSJ_IJSG_SG_EEENS0_18inequality_wrapperI22is_equal_div_10_uniqueIiEEEPmJS6_EEE10hipError_tPvRmT3_T4_T5_T6_T7_T9_mT8_P12ihipStream_tbDpT10_ENKUlT_T0_E_clISt17integral_constantIbLb1EES1A_EEDaS15_S16_EUlS15_E_NS1_11comp_targetILNS1_3genE10ELNS1_11target_archE1200ELNS1_3gpuE4ELNS1_3repE0EEENS1_30default_config_static_selectorELNS0_4arch9wavefront6targetE1EEEvT1_
	.p2align	8
	.type	_ZN7rocprim17ROCPRIM_400000_NS6detail17trampoline_kernelINS0_14default_configENS1_25partition_config_selectorILNS1_17partition_subalgoE8EiNS0_10empty_typeEbEEZZNS1_14partition_implILS5_8ELb0ES3_jN6thrust23THRUST_200600_302600_NS6detail15normal_iteratorINSA_10device_ptrIiEEEEPS6_PKS6_NS0_5tupleIJSF_S6_EEENSJ_IJSG_SG_EEENS0_18inequality_wrapperI22is_equal_div_10_uniqueIiEEEPmJS6_EEE10hipError_tPvRmT3_T4_T5_T6_T7_T9_mT8_P12ihipStream_tbDpT10_ENKUlT_T0_E_clISt17integral_constantIbLb1EES1A_EEDaS15_S16_EUlS15_E_NS1_11comp_targetILNS1_3genE10ELNS1_11target_archE1200ELNS1_3gpuE4ELNS1_3repE0EEENS1_30default_config_static_selectorELNS0_4arch9wavefront6targetE1EEEvT1_,@function
_ZN7rocprim17ROCPRIM_400000_NS6detail17trampoline_kernelINS0_14default_configENS1_25partition_config_selectorILNS1_17partition_subalgoE8EiNS0_10empty_typeEbEEZZNS1_14partition_implILS5_8ELb0ES3_jN6thrust23THRUST_200600_302600_NS6detail15normal_iteratorINSA_10device_ptrIiEEEEPS6_PKS6_NS0_5tupleIJSF_S6_EEENSJ_IJSG_SG_EEENS0_18inequality_wrapperI22is_equal_div_10_uniqueIiEEEPmJS6_EEE10hipError_tPvRmT3_T4_T5_T6_T7_T9_mT8_P12ihipStream_tbDpT10_ENKUlT_T0_E_clISt17integral_constantIbLb1EES1A_EEDaS15_S16_EUlS15_E_NS1_11comp_targetILNS1_3genE10ELNS1_11target_archE1200ELNS1_3gpuE4ELNS1_3repE0EEENS1_30default_config_static_selectorELNS0_4arch9wavefront6targetE1EEEvT1_: ; @_ZN7rocprim17ROCPRIM_400000_NS6detail17trampoline_kernelINS0_14default_configENS1_25partition_config_selectorILNS1_17partition_subalgoE8EiNS0_10empty_typeEbEEZZNS1_14partition_implILS5_8ELb0ES3_jN6thrust23THRUST_200600_302600_NS6detail15normal_iteratorINSA_10device_ptrIiEEEEPS6_PKS6_NS0_5tupleIJSF_S6_EEENSJ_IJSG_SG_EEENS0_18inequality_wrapperI22is_equal_div_10_uniqueIiEEEPmJS6_EEE10hipError_tPvRmT3_T4_T5_T6_T7_T9_mT8_P12ihipStream_tbDpT10_ENKUlT_T0_E_clISt17integral_constantIbLb1EES1A_EEDaS15_S16_EUlS15_E_NS1_11comp_targetILNS1_3genE10ELNS1_11target_archE1200ELNS1_3gpuE4ELNS1_3repE0EEENS1_30default_config_static_selectorELNS0_4arch9wavefront6targetE1EEEvT1_
; %bb.0:
	.section	.rodata,"a",@progbits
	.p2align	6, 0x0
	.amdhsa_kernel _ZN7rocprim17ROCPRIM_400000_NS6detail17trampoline_kernelINS0_14default_configENS1_25partition_config_selectorILNS1_17partition_subalgoE8EiNS0_10empty_typeEbEEZZNS1_14partition_implILS5_8ELb0ES3_jN6thrust23THRUST_200600_302600_NS6detail15normal_iteratorINSA_10device_ptrIiEEEEPS6_PKS6_NS0_5tupleIJSF_S6_EEENSJ_IJSG_SG_EEENS0_18inequality_wrapperI22is_equal_div_10_uniqueIiEEEPmJS6_EEE10hipError_tPvRmT3_T4_T5_T6_T7_T9_mT8_P12ihipStream_tbDpT10_ENKUlT_T0_E_clISt17integral_constantIbLb1EES1A_EEDaS15_S16_EUlS15_E_NS1_11comp_targetILNS1_3genE10ELNS1_11target_archE1200ELNS1_3gpuE4ELNS1_3repE0EEENS1_30default_config_static_selectorELNS0_4arch9wavefront6targetE1EEEvT1_
		.amdhsa_group_segment_fixed_size 0
		.amdhsa_private_segment_fixed_size 0
		.amdhsa_kernarg_size 128
		.amdhsa_user_sgpr_count 6
		.amdhsa_user_sgpr_private_segment_buffer 1
		.amdhsa_user_sgpr_dispatch_ptr 0
		.amdhsa_user_sgpr_queue_ptr 0
		.amdhsa_user_sgpr_kernarg_segment_ptr 1
		.amdhsa_user_sgpr_dispatch_id 0
		.amdhsa_user_sgpr_flat_scratch_init 0
		.amdhsa_user_sgpr_private_segment_size 0
		.amdhsa_uses_dynamic_stack 0
		.amdhsa_system_sgpr_private_segment_wavefront_offset 0
		.amdhsa_system_sgpr_workgroup_id_x 1
		.amdhsa_system_sgpr_workgroup_id_y 0
		.amdhsa_system_sgpr_workgroup_id_z 0
		.amdhsa_system_sgpr_workgroup_info 0
		.amdhsa_system_vgpr_workitem_id 0
		.amdhsa_next_free_vgpr 1
		.amdhsa_next_free_sgpr 0
		.amdhsa_reserve_vcc 0
		.amdhsa_reserve_flat_scratch 0
		.amdhsa_float_round_mode_32 0
		.amdhsa_float_round_mode_16_64 0
		.amdhsa_float_denorm_mode_32 3
		.amdhsa_float_denorm_mode_16_64 3
		.amdhsa_dx10_clamp 1
		.amdhsa_ieee_mode 1
		.amdhsa_fp16_overflow 0
		.amdhsa_exception_fp_ieee_invalid_op 0
		.amdhsa_exception_fp_denorm_src 0
		.amdhsa_exception_fp_ieee_div_zero 0
		.amdhsa_exception_fp_ieee_overflow 0
		.amdhsa_exception_fp_ieee_underflow 0
		.amdhsa_exception_fp_ieee_inexact 0
		.amdhsa_exception_int_div_zero 0
	.end_amdhsa_kernel
	.section	.text._ZN7rocprim17ROCPRIM_400000_NS6detail17trampoline_kernelINS0_14default_configENS1_25partition_config_selectorILNS1_17partition_subalgoE8EiNS0_10empty_typeEbEEZZNS1_14partition_implILS5_8ELb0ES3_jN6thrust23THRUST_200600_302600_NS6detail15normal_iteratorINSA_10device_ptrIiEEEEPS6_PKS6_NS0_5tupleIJSF_S6_EEENSJ_IJSG_SG_EEENS0_18inequality_wrapperI22is_equal_div_10_uniqueIiEEEPmJS6_EEE10hipError_tPvRmT3_T4_T5_T6_T7_T9_mT8_P12ihipStream_tbDpT10_ENKUlT_T0_E_clISt17integral_constantIbLb1EES1A_EEDaS15_S16_EUlS15_E_NS1_11comp_targetILNS1_3genE10ELNS1_11target_archE1200ELNS1_3gpuE4ELNS1_3repE0EEENS1_30default_config_static_selectorELNS0_4arch9wavefront6targetE1EEEvT1_,"axG",@progbits,_ZN7rocprim17ROCPRIM_400000_NS6detail17trampoline_kernelINS0_14default_configENS1_25partition_config_selectorILNS1_17partition_subalgoE8EiNS0_10empty_typeEbEEZZNS1_14partition_implILS5_8ELb0ES3_jN6thrust23THRUST_200600_302600_NS6detail15normal_iteratorINSA_10device_ptrIiEEEEPS6_PKS6_NS0_5tupleIJSF_S6_EEENSJ_IJSG_SG_EEENS0_18inequality_wrapperI22is_equal_div_10_uniqueIiEEEPmJS6_EEE10hipError_tPvRmT3_T4_T5_T6_T7_T9_mT8_P12ihipStream_tbDpT10_ENKUlT_T0_E_clISt17integral_constantIbLb1EES1A_EEDaS15_S16_EUlS15_E_NS1_11comp_targetILNS1_3genE10ELNS1_11target_archE1200ELNS1_3gpuE4ELNS1_3repE0EEENS1_30default_config_static_selectorELNS0_4arch9wavefront6targetE1EEEvT1_,comdat
.Lfunc_end449:
	.size	_ZN7rocprim17ROCPRIM_400000_NS6detail17trampoline_kernelINS0_14default_configENS1_25partition_config_selectorILNS1_17partition_subalgoE8EiNS0_10empty_typeEbEEZZNS1_14partition_implILS5_8ELb0ES3_jN6thrust23THRUST_200600_302600_NS6detail15normal_iteratorINSA_10device_ptrIiEEEEPS6_PKS6_NS0_5tupleIJSF_S6_EEENSJ_IJSG_SG_EEENS0_18inequality_wrapperI22is_equal_div_10_uniqueIiEEEPmJS6_EEE10hipError_tPvRmT3_T4_T5_T6_T7_T9_mT8_P12ihipStream_tbDpT10_ENKUlT_T0_E_clISt17integral_constantIbLb1EES1A_EEDaS15_S16_EUlS15_E_NS1_11comp_targetILNS1_3genE10ELNS1_11target_archE1200ELNS1_3gpuE4ELNS1_3repE0EEENS1_30default_config_static_selectorELNS0_4arch9wavefront6targetE1EEEvT1_, .Lfunc_end449-_ZN7rocprim17ROCPRIM_400000_NS6detail17trampoline_kernelINS0_14default_configENS1_25partition_config_selectorILNS1_17partition_subalgoE8EiNS0_10empty_typeEbEEZZNS1_14partition_implILS5_8ELb0ES3_jN6thrust23THRUST_200600_302600_NS6detail15normal_iteratorINSA_10device_ptrIiEEEEPS6_PKS6_NS0_5tupleIJSF_S6_EEENSJ_IJSG_SG_EEENS0_18inequality_wrapperI22is_equal_div_10_uniqueIiEEEPmJS6_EEE10hipError_tPvRmT3_T4_T5_T6_T7_T9_mT8_P12ihipStream_tbDpT10_ENKUlT_T0_E_clISt17integral_constantIbLb1EES1A_EEDaS15_S16_EUlS15_E_NS1_11comp_targetILNS1_3genE10ELNS1_11target_archE1200ELNS1_3gpuE4ELNS1_3repE0EEENS1_30default_config_static_selectorELNS0_4arch9wavefront6targetE1EEEvT1_
                                        ; -- End function
	.set _ZN7rocprim17ROCPRIM_400000_NS6detail17trampoline_kernelINS0_14default_configENS1_25partition_config_selectorILNS1_17partition_subalgoE8EiNS0_10empty_typeEbEEZZNS1_14partition_implILS5_8ELb0ES3_jN6thrust23THRUST_200600_302600_NS6detail15normal_iteratorINSA_10device_ptrIiEEEEPS6_PKS6_NS0_5tupleIJSF_S6_EEENSJ_IJSG_SG_EEENS0_18inequality_wrapperI22is_equal_div_10_uniqueIiEEEPmJS6_EEE10hipError_tPvRmT3_T4_T5_T6_T7_T9_mT8_P12ihipStream_tbDpT10_ENKUlT_T0_E_clISt17integral_constantIbLb1EES1A_EEDaS15_S16_EUlS15_E_NS1_11comp_targetILNS1_3genE10ELNS1_11target_archE1200ELNS1_3gpuE4ELNS1_3repE0EEENS1_30default_config_static_selectorELNS0_4arch9wavefront6targetE1EEEvT1_.num_vgpr, 0
	.set _ZN7rocprim17ROCPRIM_400000_NS6detail17trampoline_kernelINS0_14default_configENS1_25partition_config_selectorILNS1_17partition_subalgoE8EiNS0_10empty_typeEbEEZZNS1_14partition_implILS5_8ELb0ES3_jN6thrust23THRUST_200600_302600_NS6detail15normal_iteratorINSA_10device_ptrIiEEEEPS6_PKS6_NS0_5tupleIJSF_S6_EEENSJ_IJSG_SG_EEENS0_18inequality_wrapperI22is_equal_div_10_uniqueIiEEEPmJS6_EEE10hipError_tPvRmT3_T4_T5_T6_T7_T9_mT8_P12ihipStream_tbDpT10_ENKUlT_T0_E_clISt17integral_constantIbLb1EES1A_EEDaS15_S16_EUlS15_E_NS1_11comp_targetILNS1_3genE10ELNS1_11target_archE1200ELNS1_3gpuE4ELNS1_3repE0EEENS1_30default_config_static_selectorELNS0_4arch9wavefront6targetE1EEEvT1_.num_agpr, 0
	.set _ZN7rocprim17ROCPRIM_400000_NS6detail17trampoline_kernelINS0_14default_configENS1_25partition_config_selectorILNS1_17partition_subalgoE8EiNS0_10empty_typeEbEEZZNS1_14partition_implILS5_8ELb0ES3_jN6thrust23THRUST_200600_302600_NS6detail15normal_iteratorINSA_10device_ptrIiEEEEPS6_PKS6_NS0_5tupleIJSF_S6_EEENSJ_IJSG_SG_EEENS0_18inequality_wrapperI22is_equal_div_10_uniqueIiEEEPmJS6_EEE10hipError_tPvRmT3_T4_T5_T6_T7_T9_mT8_P12ihipStream_tbDpT10_ENKUlT_T0_E_clISt17integral_constantIbLb1EES1A_EEDaS15_S16_EUlS15_E_NS1_11comp_targetILNS1_3genE10ELNS1_11target_archE1200ELNS1_3gpuE4ELNS1_3repE0EEENS1_30default_config_static_selectorELNS0_4arch9wavefront6targetE1EEEvT1_.numbered_sgpr, 0
	.set _ZN7rocprim17ROCPRIM_400000_NS6detail17trampoline_kernelINS0_14default_configENS1_25partition_config_selectorILNS1_17partition_subalgoE8EiNS0_10empty_typeEbEEZZNS1_14partition_implILS5_8ELb0ES3_jN6thrust23THRUST_200600_302600_NS6detail15normal_iteratorINSA_10device_ptrIiEEEEPS6_PKS6_NS0_5tupleIJSF_S6_EEENSJ_IJSG_SG_EEENS0_18inequality_wrapperI22is_equal_div_10_uniqueIiEEEPmJS6_EEE10hipError_tPvRmT3_T4_T5_T6_T7_T9_mT8_P12ihipStream_tbDpT10_ENKUlT_T0_E_clISt17integral_constantIbLb1EES1A_EEDaS15_S16_EUlS15_E_NS1_11comp_targetILNS1_3genE10ELNS1_11target_archE1200ELNS1_3gpuE4ELNS1_3repE0EEENS1_30default_config_static_selectorELNS0_4arch9wavefront6targetE1EEEvT1_.num_named_barrier, 0
	.set _ZN7rocprim17ROCPRIM_400000_NS6detail17trampoline_kernelINS0_14default_configENS1_25partition_config_selectorILNS1_17partition_subalgoE8EiNS0_10empty_typeEbEEZZNS1_14partition_implILS5_8ELb0ES3_jN6thrust23THRUST_200600_302600_NS6detail15normal_iteratorINSA_10device_ptrIiEEEEPS6_PKS6_NS0_5tupleIJSF_S6_EEENSJ_IJSG_SG_EEENS0_18inequality_wrapperI22is_equal_div_10_uniqueIiEEEPmJS6_EEE10hipError_tPvRmT3_T4_T5_T6_T7_T9_mT8_P12ihipStream_tbDpT10_ENKUlT_T0_E_clISt17integral_constantIbLb1EES1A_EEDaS15_S16_EUlS15_E_NS1_11comp_targetILNS1_3genE10ELNS1_11target_archE1200ELNS1_3gpuE4ELNS1_3repE0EEENS1_30default_config_static_selectorELNS0_4arch9wavefront6targetE1EEEvT1_.private_seg_size, 0
	.set _ZN7rocprim17ROCPRIM_400000_NS6detail17trampoline_kernelINS0_14default_configENS1_25partition_config_selectorILNS1_17partition_subalgoE8EiNS0_10empty_typeEbEEZZNS1_14partition_implILS5_8ELb0ES3_jN6thrust23THRUST_200600_302600_NS6detail15normal_iteratorINSA_10device_ptrIiEEEEPS6_PKS6_NS0_5tupleIJSF_S6_EEENSJ_IJSG_SG_EEENS0_18inequality_wrapperI22is_equal_div_10_uniqueIiEEEPmJS6_EEE10hipError_tPvRmT3_T4_T5_T6_T7_T9_mT8_P12ihipStream_tbDpT10_ENKUlT_T0_E_clISt17integral_constantIbLb1EES1A_EEDaS15_S16_EUlS15_E_NS1_11comp_targetILNS1_3genE10ELNS1_11target_archE1200ELNS1_3gpuE4ELNS1_3repE0EEENS1_30default_config_static_selectorELNS0_4arch9wavefront6targetE1EEEvT1_.uses_vcc, 0
	.set _ZN7rocprim17ROCPRIM_400000_NS6detail17trampoline_kernelINS0_14default_configENS1_25partition_config_selectorILNS1_17partition_subalgoE8EiNS0_10empty_typeEbEEZZNS1_14partition_implILS5_8ELb0ES3_jN6thrust23THRUST_200600_302600_NS6detail15normal_iteratorINSA_10device_ptrIiEEEEPS6_PKS6_NS0_5tupleIJSF_S6_EEENSJ_IJSG_SG_EEENS0_18inequality_wrapperI22is_equal_div_10_uniqueIiEEEPmJS6_EEE10hipError_tPvRmT3_T4_T5_T6_T7_T9_mT8_P12ihipStream_tbDpT10_ENKUlT_T0_E_clISt17integral_constantIbLb1EES1A_EEDaS15_S16_EUlS15_E_NS1_11comp_targetILNS1_3genE10ELNS1_11target_archE1200ELNS1_3gpuE4ELNS1_3repE0EEENS1_30default_config_static_selectorELNS0_4arch9wavefront6targetE1EEEvT1_.uses_flat_scratch, 0
	.set _ZN7rocprim17ROCPRIM_400000_NS6detail17trampoline_kernelINS0_14default_configENS1_25partition_config_selectorILNS1_17partition_subalgoE8EiNS0_10empty_typeEbEEZZNS1_14partition_implILS5_8ELb0ES3_jN6thrust23THRUST_200600_302600_NS6detail15normal_iteratorINSA_10device_ptrIiEEEEPS6_PKS6_NS0_5tupleIJSF_S6_EEENSJ_IJSG_SG_EEENS0_18inequality_wrapperI22is_equal_div_10_uniqueIiEEEPmJS6_EEE10hipError_tPvRmT3_T4_T5_T6_T7_T9_mT8_P12ihipStream_tbDpT10_ENKUlT_T0_E_clISt17integral_constantIbLb1EES1A_EEDaS15_S16_EUlS15_E_NS1_11comp_targetILNS1_3genE10ELNS1_11target_archE1200ELNS1_3gpuE4ELNS1_3repE0EEENS1_30default_config_static_selectorELNS0_4arch9wavefront6targetE1EEEvT1_.has_dyn_sized_stack, 0
	.set _ZN7rocprim17ROCPRIM_400000_NS6detail17trampoline_kernelINS0_14default_configENS1_25partition_config_selectorILNS1_17partition_subalgoE8EiNS0_10empty_typeEbEEZZNS1_14partition_implILS5_8ELb0ES3_jN6thrust23THRUST_200600_302600_NS6detail15normal_iteratorINSA_10device_ptrIiEEEEPS6_PKS6_NS0_5tupleIJSF_S6_EEENSJ_IJSG_SG_EEENS0_18inequality_wrapperI22is_equal_div_10_uniqueIiEEEPmJS6_EEE10hipError_tPvRmT3_T4_T5_T6_T7_T9_mT8_P12ihipStream_tbDpT10_ENKUlT_T0_E_clISt17integral_constantIbLb1EES1A_EEDaS15_S16_EUlS15_E_NS1_11comp_targetILNS1_3genE10ELNS1_11target_archE1200ELNS1_3gpuE4ELNS1_3repE0EEENS1_30default_config_static_selectorELNS0_4arch9wavefront6targetE1EEEvT1_.has_recursion, 0
	.set _ZN7rocprim17ROCPRIM_400000_NS6detail17trampoline_kernelINS0_14default_configENS1_25partition_config_selectorILNS1_17partition_subalgoE8EiNS0_10empty_typeEbEEZZNS1_14partition_implILS5_8ELb0ES3_jN6thrust23THRUST_200600_302600_NS6detail15normal_iteratorINSA_10device_ptrIiEEEEPS6_PKS6_NS0_5tupleIJSF_S6_EEENSJ_IJSG_SG_EEENS0_18inequality_wrapperI22is_equal_div_10_uniqueIiEEEPmJS6_EEE10hipError_tPvRmT3_T4_T5_T6_T7_T9_mT8_P12ihipStream_tbDpT10_ENKUlT_T0_E_clISt17integral_constantIbLb1EES1A_EEDaS15_S16_EUlS15_E_NS1_11comp_targetILNS1_3genE10ELNS1_11target_archE1200ELNS1_3gpuE4ELNS1_3repE0EEENS1_30default_config_static_selectorELNS0_4arch9wavefront6targetE1EEEvT1_.has_indirect_call, 0
	.section	.AMDGPU.csdata,"",@progbits
; Kernel info:
; codeLenInByte = 0
; TotalNumSgprs: 4
; NumVgprs: 0
; ScratchSize: 0
; MemoryBound: 0
; FloatMode: 240
; IeeeMode: 1
; LDSByteSize: 0 bytes/workgroup (compile time only)
; SGPRBlocks: 0
; VGPRBlocks: 0
; NumSGPRsForWavesPerEU: 4
; NumVGPRsForWavesPerEU: 1
; Occupancy: 10
; WaveLimiterHint : 0
; COMPUTE_PGM_RSRC2:SCRATCH_EN: 0
; COMPUTE_PGM_RSRC2:USER_SGPR: 6
; COMPUTE_PGM_RSRC2:TRAP_HANDLER: 0
; COMPUTE_PGM_RSRC2:TGID_X_EN: 1
; COMPUTE_PGM_RSRC2:TGID_Y_EN: 0
; COMPUTE_PGM_RSRC2:TGID_Z_EN: 0
; COMPUTE_PGM_RSRC2:TIDIG_COMP_CNT: 0
	.section	.text._ZN7rocprim17ROCPRIM_400000_NS6detail17trampoline_kernelINS0_14default_configENS1_25partition_config_selectorILNS1_17partition_subalgoE8EiNS0_10empty_typeEbEEZZNS1_14partition_implILS5_8ELb0ES3_jN6thrust23THRUST_200600_302600_NS6detail15normal_iteratorINSA_10device_ptrIiEEEEPS6_PKS6_NS0_5tupleIJSF_S6_EEENSJ_IJSG_SG_EEENS0_18inequality_wrapperI22is_equal_div_10_uniqueIiEEEPmJS6_EEE10hipError_tPvRmT3_T4_T5_T6_T7_T9_mT8_P12ihipStream_tbDpT10_ENKUlT_T0_E_clISt17integral_constantIbLb1EES1A_EEDaS15_S16_EUlS15_E_NS1_11comp_targetILNS1_3genE9ELNS1_11target_archE1100ELNS1_3gpuE3ELNS1_3repE0EEENS1_30default_config_static_selectorELNS0_4arch9wavefront6targetE1EEEvT1_,"axG",@progbits,_ZN7rocprim17ROCPRIM_400000_NS6detail17trampoline_kernelINS0_14default_configENS1_25partition_config_selectorILNS1_17partition_subalgoE8EiNS0_10empty_typeEbEEZZNS1_14partition_implILS5_8ELb0ES3_jN6thrust23THRUST_200600_302600_NS6detail15normal_iteratorINSA_10device_ptrIiEEEEPS6_PKS6_NS0_5tupleIJSF_S6_EEENSJ_IJSG_SG_EEENS0_18inequality_wrapperI22is_equal_div_10_uniqueIiEEEPmJS6_EEE10hipError_tPvRmT3_T4_T5_T6_T7_T9_mT8_P12ihipStream_tbDpT10_ENKUlT_T0_E_clISt17integral_constantIbLb1EES1A_EEDaS15_S16_EUlS15_E_NS1_11comp_targetILNS1_3genE9ELNS1_11target_archE1100ELNS1_3gpuE3ELNS1_3repE0EEENS1_30default_config_static_selectorELNS0_4arch9wavefront6targetE1EEEvT1_,comdat
	.protected	_ZN7rocprim17ROCPRIM_400000_NS6detail17trampoline_kernelINS0_14default_configENS1_25partition_config_selectorILNS1_17partition_subalgoE8EiNS0_10empty_typeEbEEZZNS1_14partition_implILS5_8ELb0ES3_jN6thrust23THRUST_200600_302600_NS6detail15normal_iteratorINSA_10device_ptrIiEEEEPS6_PKS6_NS0_5tupleIJSF_S6_EEENSJ_IJSG_SG_EEENS0_18inequality_wrapperI22is_equal_div_10_uniqueIiEEEPmJS6_EEE10hipError_tPvRmT3_T4_T5_T6_T7_T9_mT8_P12ihipStream_tbDpT10_ENKUlT_T0_E_clISt17integral_constantIbLb1EES1A_EEDaS15_S16_EUlS15_E_NS1_11comp_targetILNS1_3genE9ELNS1_11target_archE1100ELNS1_3gpuE3ELNS1_3repE0EEENS1_30default_config_static_selectorELNS0_4arch9wavefront6targetE1EEEvT1_ ; -- Begin function _ZN7rocprim17ROCPRIM_400000_NS6detail17trampoline_kernelINS0_14default_configENS1_25partition_config_selectorILNS1_17partition_subalgoE8EiNS0_10empty_typeEbEEZZNS1_14partition_implILS5_8ELb0ES3_jN6thrust23THRUST_200600_302600_NS6detail15normal_iteratorINSA_10device_ptrIiEEEEPS6_PKS6_NS0_5tupleIJSF_S6_EEENSJ_IJSG_SG_EEENS0_18inequality_wrapperI22is_equal_div_10_uniqueIiEEEPmJS6_EEE10hipError_tPvRmT3_T4_T5_T6_T7_T9_mT8_P12ihipStream_tbDpT10_ENKUlT_T0_E_clISt17integral_constantIbLb1EES1A_EEDaS15_S16_EUlS15_E_NS1_11comp_targetILNS1_3genE9ELNS1_11target_archE1100ELNS1_3gpuE3ELNS1_3repE0EEENS1_30default_config_static_selectorELNS0_4arch9wavefront6targetE1EEEvT1_
	.globl	_ZN7rocprim17ROCPRIM_400000_NS6detail17trampoline_kernelINS0_14default_configENS1_25partition_config_selectorILNS1_17partition_subalgoE8EiNS0_10empty_typeEbEEZZNS1_14partition_implILS5_8ELb0ES3_jN6thrust23THRUST_200600_302600_NS6detail15normal_iteratorINSA_10device_ptrIiEEEEPS6_PKS6_NS0_5tupleIJSF_S6_EEENSJ_IJSG_SG_EEENS0_18inequality_wrapperI22is_equal_div_10_uniqueIiEEEPmJS6_EEE10hipError_tPvRmT3_T4_T5_T6_T7_T9_mT8_P12ihipStream_tbDpT10_ENKUlT_T0_E_clISt17integral_constantIbLb1EES1A_EEDaS15_S16_EUlS15_E_NS1_11comp_targetILNS1_3genE9ELNS1_11target_archE1100ELNS1_3gpuE3ELNS1_3repE0EEENS1_30default_config_static_selectorELNS0_4arch9wavefront6targetE1EEEvT1_
	.p2align	8
	.type	_ZN7rocprim17ROCPRIM_400000_NS6detail17trampoline_kernelINS0_14default_configENS1_25partition_config_selectorILNS1_17partition_subalgoE8EiNS0_10empty_typeEbEEZZNS1_14partition_implILS5_8ELb0ES3_jN6thrust23THRUST_200600_302600_NS6detail15normal_iteratorINSA_10device_ptrIiEEEEPS6_PKS6_NS0_5tupleIJSF_S6_EEENSJ_IJSG_SG_EEENS0_18inequality_wrapperI22is_equal_div_10_uniqueIiEEEPmJS6_EEE10hipError_tPvRmT3_T4_T5_T6_T7_T9_mT8_P12ihipStream_tbDpT10_ENKUlT_T0_E_clISt17integral_constantIbLb1EES1A_EEDaS15_S16_EUlS15_E_NS1_11comp_targetILNS1_3genE9ELNS1_11target_archE1100ELNS1_3gpuE3ELNS1_3repE0EEENS1_30default_config_static_selectorELNS0_4arch9wavefront6targetE1EEEvT1_,@function
_ZN7rocprim17ROCPRIM_400000_NS6detail17trampoline_kernelINS0_14default_configENS1_25partition_config_selectorILNS1_17partition_subalgoE8EiNS0_10empty_typeEbEEZZNS1_14partition_implILS5_8ELb0ES3_jN6thrust23THRUST_200600_302600_NS6detail15normal_iteratorINSA_10device_ptrIiEEEEPS6_PKS6_NS0_5tupleIJSF_S6_EEENSJ_IJSG_SG_EEENS0_18inequality_wrapperI22is_equal_div_10_uniqueIiEEEPmJS6_EEE10hipError_tPvRmT3_T4_T5_T6_T7_T9_mT8_P12ihipStream_tbDpT10_ENKUlT_T0_E_clISt17integral_constantIbLb1EES1A_EEDaS15_S16_EUlS15_E_NS1_11comp_targetILNS1_3genE9ELNS1_11target_archE1100ELNS1_3gpuE3ELNS1_3repE0EEENS1_30default_config_static_selectorELNS0_4arch9wavefront6targetE1EEEvT1_: ; @_ZN7rocprim17ROCPRIM_400000_NS6detail17trampoline_kernelINS0_14default_configENS1_25partition_config_selectorILNS1_17partition_subalgoE8EiNS0_10empty_typeEbEEZZNS1_14partition_implILS5_8ELb0ES3_jN6thrust23THRUST_200600_302600_NS6detail15normal_iteratorINSA_10device_ptrIiEEEEPS6_PKS6_NS0_5tupleIJSF_S6_EEENSJ_IJSG_SG_EEENS0_18inequality_wrapperI22is_equal_div_10_uniqueIiEEEPmJS6_EEE10hipError_tPvRmT3_T4_T5_T6_T7_T9_mT8_P12ihipStream_tbDpT10_ENKUlT_T0_E_clISt17integral_constantIbLb1EES1A_EEDaS15_S16_EUlS15_E_NS1_11comp_targetILNS1_3genE9ELNS1_11target_archE1100ELNS1_3gpuE3ELNS1_3repE0EEENS1_30default_config_static_selectorELNS0_4arch9wavefront6targetE1EEEvT1_
; %bb.0:
	.section	.rodata,"a",@progbits
	.p2align	6, 0x0
	.amdhsa_kernel _ZN7rocprim17ROCPRIM_400000_NS6detail17trampoline_kernelINS0_14default_configENS1_25partition_config_selectorILNS1_17partition_subalgoE8EiNS0_10empty_typeEbEEZZNS1_14partition_implILS5_8ELb0ES3_jN6thrust23THRUST_200600_302600_NS6detail15normal_iteratorINSA_10device_ptrIiEEEEPS6_PKS6_NS0_5tupleIJSF_S6_EEENSJ_IJSG_SG_EEENS0_18inequality_wrapperI22is_equal_div_10_uniqueIiEEEPmJS6_EEE10hipError_tPvRmT3_T4_T5_T6_T7_T9_mT8_P12ihipStream_tbDpT10_ENKUlT_T0_E_clISt17integral_constantIbLb1EES1A_EEDaS15_S16_EUlS15_E_NS1_11comp_targetILNS1_3genE9ELNS1_11target_archE1100ELNS1_3gpuE3ELNS1_3repE0EEENS1_30default_config_static_selectorELNS0_4arch9wavefront6targetE1EEEvT1_
		.amdhsa_group_segment_fixed_size 0
		.amdhsa_private_segment_fixed_size 0
		.amdhsa_kernarg_size 128
		.amdhsa_user_sgpr_count 6
		.amdhsa_user_sgpr_private_segment_buffer 1
		.amdhsa_user_sgpr_dispatch_ptr 0
		.amdhsa_user_sgpr_queue_ptr 0
		.amdhsa_user_sgpr_kernarg_segment_ptr 1
		.amdhsa_user_sgpr_dispatch_id 0
		.amdhsa_user_sgpr_flat_scratch_init 0
		.amdhsa_user_sgpr_private_segment_size 0
		.amdhsa_uses_dynamic_stack 0
		.amdhsa_system_sgpr_private_segment_wavefront_offset 0
		.amdhsa_system_sgpr_workgroup_id_x 1
		.amdhsa_system_sgpr_workgroup_id_y 0
		.amdhsa_system_sgpr_workgroup_id_z 0
		.amdhsa_system_sgpr_workgroup_info 0
		.amdhsa_system_vgpr_workitem_id 0
		.amdhsa_next_free_vgpr 1
		.amdhsa_next_free_sgpr 0
		.amdhsa_reserve_vcc 0
		.amdhsa_reserve_flat_scratch 0
		.amdhsa_float_round_mode_32 0
		.amdhsa_float_round_mode_16_64 0
		.amdhsa_float_denorm_mode_32 3
		.amdhsa_float_denorm_mode_16_64 3
		.amdhsa_dx10_clamp 1
		.amdhsa_ieee_mode 1
		.amdhsa_fp16_overflow 0
		.amdhsa_exception_fp_ieee_invalid_op 0
		.amdhsa_exception_fp_denorm_src 0
		.amdhsa_exception_fp_ieee_div_zero 0
		.amdhsa_exception_fp_ieee_overflow 0
		.amdhsa_exception_fp_ieee_underflow 0
		.amdhsa_exception_fp_ieee_inexact 0
		.amdhsa_exception_int_div_zero 0
	.end_amdhsa_kernel
	.section	.text._ZN7rocprim17ROCPRIM_400000_NS6detail17trampoline_kernelINS0_14default_configENS1_25partition_config_selectorILNS1_17partition_subalgoE8EiNS0_10empty_typeEbEEZZNS1_14partition_implILS5_8ELb0ES3_jN6thrust23THRUST_200600_302600_NS6detail15normal_iteratorINSA_10device_ptrIiEEEEPS6_PKS6_NS0_5tupleIJSF_S6_EEENSJ_IJSG_SG_EEENS0_18inequality_wrapperI22is_equal_div_10_uniqueIiEEEPmJS6_EEE10hipError_tPvRmT3_T4_T5_T6_T7_T9_mT8_P12ihipStream_tbDpT10_ENKUlT_T0_E_clISt17integral_constantIbLb1EES1A_EEDaS15_S16_EUlS15_E_NS1_11comp_targetILNS1_3genE9ELNS1_11target_archE1100ELNS1_3gpuE3ELNS1_3repE0EEENS1_30default_config_static_selectorELNS0_4arch9wavefront6targetE1EEEvT1_,"axG",@progbits,_ZN7rocprim17ROCPRIM_400000_NS6detail17trampoline_kernelINS0_14default_configENS1_25partition_config_selectorILNS1_17partition_subalgoE8EiNS0_10empty_typeEbEEZZNS1_14partition_implILS5_8ELb0ES3_jN6thrust23THRUST_200600_302600_NS6detail15normal_iteratorINSA_10device_ptrIiEEEEPS6_PKS6_NS0_5tupleIJSF_S6_EEENSJ_IJSG_SG_EEENS0_18inequality_wrapperI22is_equal_div_10_uniqueIiEEEPmJS6_EEE10hipError_tPvRmT3_T4_T5_T6_T7_T9_mT8_P12ihipStream_tbDpT10_ENKUlT_T0_E_clISt17integral_constantIbLb1EES1A_EEDaS15_S16_EUlS15_E_NS1_11comp_targetILNS1_3genE9ELNS1_11target_archE1100ELNS1_3gpuE3ELNS1_3repE0EEENS1_30default_config_static_selectorELNS0_4arch9wavefront6targetE1EEEvT1_,comdat
.Lfunc_end450:
	.size	_ZN7rocprim17ROCPRIM_400000_NS6detail17trampoline_kernelINS0_14default_configENS1_25partition_config_selectorILNS1_17partition_subalgoE8EiNS0_10empty_typeEbEEZZNS1_14partition_implILS5_8ELb0ES3_jN6thrust23THRUST_200600_302600_NS6detail15normal_iteratorINSA_10device_ptrIiEEEEPS6_PKS6_NS0_5tupleIJSF_S6_EEENSJ_IJSG_SG_EEENS0_18inequality_wrapperI22is_equal_div_10_uniqueIiEEEPmJS6_EEE10hipError_tPvRmT3_T4_T5_T6_T7_T9_mT8_P12ihipStream_tbDpT10_ENKUlT_T0_E_clISt17integral_constantIbLb1EES1A_EEDaS15_S16_EUlS15_E_NS1_11comp_targetILNS1_3genE9ELNS1_11target_archE1100ELNS1_3gpuE3ELNS1_3repE0EEENS1_30default_config_static_selectorELNS0_4arch9wavefront6targetE1EEEvT1_, .Lfunc_end450-_ZN7rocprim17ROCPRIM_400000_NS6detail17trampoline_kernelINS0_14default_configENS1_25partition_config_selectorILNS1_17partition_subalgoE8EiNS0_10empty_typeEbEEZZNS1_14partition_implILS5_8ELb0ES3_jN6thrust23THRUST_200600_302600_NS6detail15normal_iteratorINSA_10device_ptrIiEEEEPS6_PKS6_NS0_5tupleIJSF_S6_EEENSJ_IJSG_SG_EEENS0_18inequality_wrapperI22is_equal_div_10_uniqueIiEEEPmJS6_EEE10hipError_tPvRmT3_T4_T5_T6_T7_T9_mT8_P12ihipStream_tbDpT10_ENKUlT_T0_E_clISt17integral_constantIbLb1EES1A_EEDaS15_S16_EUlS15_E_NS1_11comp_targetILNS1_3genE9ELNS1_11target_archE1100ELNS1_3gpuE3ELNS1_3repE0EEENS1_30default_config_static_selectorELNS0_4arch9wavefront6targetE1EEEvT1_
                                        ; -- End function
	.set _ZN7rocprim17ROCPRIM_400000_NS6detail17trampoline_kernelINS0_14default_configENS1_25partition_config_selectorILNS1_17partition_subalgoE8EiNS0_10empty_typeEbEEZZNS1_14partition_implILS5_8ELb0ES3_jN6thrust23THRUST_200600_302600_NS6detail15normal_iteratorINSA_10device_ptrIiEEEEPS6_PKS6_NS0_5tupleIJSF_S6_EEENSJ_IJSG_SG_EEENS0_18inequality_wrapperI22is_equal_div_10_uniqueIiEEEPmJS6_EEE10hipError_tPvRmT3_T4_T5_T6_T7_T9_mT8_P12ihipStream_tbDpT10_ENKUlT_T0_E_clISt17integral_constantIbLb1EES1A_EEDaS15_S16_EUlS15_E_NS1_11comp_targetILNS1_3genE9ELNS1_11target_archE1100ELNS1_3gpuE3ELNS1_3repE0EEENS1_30default_config_static_selectorELNS0_4arch9wavefront6targetE1EEEvT1_.num_vgpr, 0
	.set _ZN7rocprim17ROCPRIM_400000_NS6detail17trampoline_kernelINS0_14default_configENS1_25partition_config_selectorILNS1_17partition_subalgoE8EiNS0_10empty_typeEbEEZZNS1_14partition_implILS5_8ELb0ES3_jN6thrust23THRUST_200600_302600_NS6detail15normal_iteratorINSA_10device_ptrIiEEEEPS6_PKS6_NS0_5tupleIJSF_S6_EEENSJ_IJSG_SG_EEENS0_18inequality_wrapperI22is_equal_div_10_uniqueIiEEEPmJS6_EEE10hipError_tPvRmT3_T4_T5_T6_T7_T9_mT8_P12ihipStream_tbDpT10_ENKUlT_T0_E_clISt17integral_constantIbLb1EES1A_EEDaS15_S16_EUlS15_E_NS1_11comp_targetILNS1_3genE9ELNS1_11target_archE1100ELNS1_3gpuE3ELNS1_3repE0EEENS1_30default_config_static_selectorELNS0_4arch9wavefront6targetE1EEEvT1_.num_agpr, 0
	.set _ZN7rocprim17ROCPRIM_400000_NS6detail17trampoline_kernelINS0_14default_configENS1_25partition_config_selectorILNS1_17partition_subalgoE8EiNS0_10empty_typeEbEEZZNS1_14partition_implILS5_8ELb0ES3_jN6thrust23THRUST_200600_302600_NS6detail15normal_iteratorINSA_10device_ptrIiEEEEPS6_PKS6_NS0_5tupleIJSF_S6_EEENSJ_IJSG_SG_EEENS0_18inequality_wrapperI22is_equal_div_10_uniqueIiEEEPmJS6_EEE10hipError_tPvRmT3_T4_T5_T6_T7_T9_mT8_P12ihipStream_tbDpT10_ENKUlT_T0_E_clISt17integral_constantIbLb1EES1A_EEDaS15_S16_EUlS15_E_NS1_11comp_targetILNS1_3genE9ELNS1_11target_archE1100ELNS1_3gpuE3ELNS1_3repE0EEENS1_30default_config_static_selectorELNS0_4arch9wavefront6targetE1EEEvT1_.numbered_sgpr, 0
	.set _ZN7rocprim17ROCPRIM_400000_NS6detail17trampoline_kernelINS0_14default_configENS1_25partition_config_selectorILNS1_17partition_subalgoE8EiNS0_10empty_typeEbEEZZNS1_14partition_implILS5_8ELb0ES3_jN6thrust23THRUST_200600_302600_NS6detail15normal_iteratorINSA_10device_ptrIiEEEEPS6_PKS6_NS0_5tupleIJSF_S6_EEENSJ_IJSG_SG_EEENS0_18inequality_wrapperI22is_equal_div_10_uniqueIiEEEPmJS6_EEE10hipError_tPvRmT3_T4_T5_T6_T7_T9_mT8_P12ihipStream_tbDpT10_ENKUlT_T0_E_clISt17integral_constantIbLb1EES1A_EEDaS15_S16_EUlS15_E_NS1_11comp_targetILNS1_3genE9ELNS1_11target_archE1100ELNS1_3gpuE3ELNS1_3repE0EEENS1_30default_config_static_selectorELNS0_4arch9wavefront6targetE1EEEvT1_.num_named_barrier, 0
	.set _ZN7rocprim17ROCPRIM_400000_NS6detail17trampoline_kernelINS0_14default_configENS1_25partition_config_selectorILNS1_17partition_subalgoE8EiNS0_10empty_typeEbEEZZNS1_14partition_implILS5_8ELb0ES3_jN6thrust23THRUST_200600_302600_NS6detail15normal_iteratorINSA_10device_ptrIiEEEEPS6_PKS6_NS0_5tupleIJSF_S6_EEENSJ_IJSG_SG_EEENS0_18inequality_wrapperI22is_equal_div_10_uniqueIiEEEPmJS6_EEE10hipError_tPvRmT3_T4_T5_T6_T7_T9_mT8_P12ihipStream_tbDpT10_ENKUlT_T0_E_clISt17integral_constantIbLb1EES1A_EEDaS15_S16_EUlS15_E_NS1_11comp_targetILNS1_3genE9ELNS1_11target_archE1100ELNS1_3gpuE3ELNS1_3repE0EEENS1_30default_config_static_selectorELNS0_4arch9wavefront6targetE1EEEvT1_.private_seg_size, 0
	.set _ZN7rocprim17ROCPRIM_400000_NS6detail17trampoline_kernelINS0_14default_configENS1_25partition_config_selectorILNS1_17partition_subalgoE8EiNS0_10empty_typeEbEEZZNS1_14partition_implILS5_8ELb0ES3_jN6thrust23THRUST_200600_302600_NS6detail15normal_iteratorINSA_10device_ptrIiEEEEPS6_PKS6_NS0_5tupleIJSF_S6_EEENSJ_IJSG_SG_EEENS0_18inequality_wrapperI22is_equal_div_10_uniqueIiEEEPmJS6_EEE10hipError_tPvRmT3_T4_T5_T6_T7_T9_mT8_P12ihipStream_tbDpT10_ENKUlT_T0_E_clISt17integral_constantIbLb1EES1A_EEDaS15_S16_EUlS15_E_NS1_11comp_targetILNS1_3genE9ELNS1_11target_archE1100ELNS1_3gpuE3ELNS1_3repE0EEENS1_30default_config_static_selectorELNS0_4arch9wavefront6targetE1EEEvT1_.uses_vcc, 0
	.set _ZN7rocprim17ROCPRIM_400000_NS6detail17trampoline_kernelINS0_14default_configENS1_25partition_config_selectorILNS1_17partition_subalgoE8EiNS0_10empty_typeEbEEZZNS1_14partition_implILS5_8ELb0ES3_jN6thrust23THRUST_200600_302600_NS6detail15normal_iteratorINSA_10device_ptrIiEEEEPS6_PKS6_NS0_5tupleIJSF_S6_EEENSJ_IJSG_SG_EEENS0_18inequality_wrapperI22is_equal_div_10_uniqueIiEEEPmJS6_EEE10hipError_tPvRmT3_T4_T5_T6_T7_T9_mT8_P12ihipStream_tbDpT10_ENKUlT_T0_E_clISt17integral_constantIbLb1EES1A_EEDaS15_S16_EUlS15_E_NS1_11comp_targetILNS1_3genE9ELNS1_11target_archE1100ELNS1_3gpuE3ELNS1_3repE0EEENS1_30default_config_static_selectorELNS0_4arch9wavefront6targetE1EEEvT1_.uses_flat_scratch, 0
	.set _ZN7rocprim17ROCPRIM_400000_NS6detail17trampoline_kernelINS0_14default_configENS1_25partition_config_selectorILNS1_17partition_subalgoE8EiNS0_10empty_typeEbEEZZNS1_14partition_implILS5_8ELb0ES3_jN6thrust23THRUST_200600_302600_NS6detail15normal_iteratorINSA_10device_ptrIiEEEEPS6_PKS6_NS0_5tupleIJSF_S6_EEENSJ_IJSG_SG_EEENS0_18inequality_wrapperI22is_equal_div_10_uniqueIiEEEPmJS6_EEE10hipError_tPvRmT3_T4_T5_T6_T7_T9_mT8_P12ihipStream_tbDpT10_ENKUlT_T0_E_clISt17integral_constantIbLb1EES1A_EEDaS15_S16_EUlS15_E_NS1_11comp_targetILNS1_3genE9ELNS1_11target_archE1100ELNS1_3gpuE3ELNS1_3repE0EEENS1_30default_config_static_selectorELNS0_4arch9wavefront6targetE1EEEvT1_.has_dyn_sized_stack, 0
	.set _ZN7rocprim17ROCPRIM_400000_NS6detail17trampoline_kernelINS0_14default_configENS1_25partition_config_selectorILNS1_17partition_subalgoE8EiNS0_10empty_typeEbEEZZNS1_14partition_implILS5_8ELb0ES3_jN6thrust23THRUST_200600_302600_NS6detail15normal_iteratorINSA_10device_ptrIiEEEEPS6_PKS6_NS0_5tupleIJSF_S6_EEENSJ_IJSG_SG_EEENS0_18inequality_wrapperI22is_equal_div_10_uniqueIiEEEPmJS6_EEE10hipError_tPvRmT3_T4_T5_T6_T7_T9_mT8_P12ihipStream_tbDpT10_ENKUlT_T0_E_clISt17integral_constantIbLb1EES1A_EEDaS15_S16_EUlS15_E_NS1_11comp_targetILNS1_3genE9ELNS1_11target_archE1100ELNS1_3gpuE3ELNS1_3repE0EEENS1_30default_config_static_selectorELNS0_4arch9wavefront6targetE1EEEvT1_.has_recursion, 0
	.set _ZN7rocprim17ROCPRIM_400000_NS6detail17trampoline_kernelINS0_14default_configENS1_25partition_config_selectorILNS1_17partition_subalgoE8EiNS0_10empty_typeEbEEZZNS1_14partition_implILS5_8ELb0ES3_jN6thrust23THRUST_200600_302600_NS6detail15normal_iteratorINSA_10device_ptrIiEEEEPS6_PKS6_NS0_5tupleIJSF_S6_EEENSJ_IJSG_SG_EEENS0_18inequality_wrapperI22is_equal_div_10_uniqueIiEEEPmJS6_EEE10hipError_tPvRmT3_T4_T5_T6_T7_T9_mT8_P12ihipStream_tbDpT10_ENKUlT_T0_E_clISt17integral_constantIbLb1EES1A_EEDaS15_S16_EUlS15_E_NS1_11comp_targetILNS1_3genE9ELNS1_11target_archE1100ELNS1_3gpuE3ELNS1_3repE0EEENS1_30default_config_static_selectorELNS0_4arch9wavefront6targetE1EEEvT1_.has_indirect_call, 0
	.section	.AMDGPU.csdata,"",@progbits
; Kernel info:
; codeLenInByte = 0
; TotalNumSgprs: 4
; NumVgprs: 0
; ScratchSize: 0
; MemoryBound: 0
; FloatMode: 240
; IeeeMode: 1
; LDSByteSize: 0 bytes/workgroup (compile time only)
; SGPRBlocks: 0
; VGPRBlocks: 0
; NumSGPRsForWavesPerEU: 4
; NumVGPRsForWavesPerEU: 1
; Occupancy: 10
; WaveLimiterHint : 0
; COMPUTE_PGM_RSRC2:SCRATCH_EN: 0
; COMPUTE_PGM_RSRC2:USER_SGPR: 6
; COMPUTE_PGM_RSRC2:TRAP_HANDLER: 0
; COMPUTE_PGM_RSRC2:TGID_X_EN: 1
; COMPUTE_PGM_RSRC2:TGID_Y_EN: 0
; COMPUTE_PGM_RSRC2:TGID_Z_EN: 0
; COMPUTE_PGM_RSRC2:TIDIG_COMP_CNT: 0
	.section	.text._ZN7rocprim17ROCPRIM_400000_NS6detail17trampoline_kernelINS0_14default_configENS1_25partition_config_selectorILNS1_17partition_subalgoE8EiNS0_10empty_typeEbEEZZNS1_14partition_implILS5_8ELb0ES3_jN6thrust23THRUST_200600_302600_NS6detail15normal_iteratorINSA_10device_ptrIiEEEEPS6_PKS6_NS0_5tupleIJSF_S6_EEENSJ_IJSG_SG_EEENS0_18inequality_wrapperI22is_equal_div_10_uniqueIiEEEPmJS6_EEE10hipError_tPvRmT3_T4_T5_T6_T7_T9_mT8_P12ihipStream_tbDpT10_ENKUlT_T0_E_clISt17integral_constantIbLb1EES1A_EEDaS15_S16_EUlS15_E_NS1_11comp_targetILNS1_3genE8ELNS1_11target_archE1030ELNS1_3gpuE2ELNS1_3repE0EEENS1_30default_config_static_selectorELNS0_4arch9wavefront6targetE1EEEvT1_,"axG",@progbits,_ZN7rocprim17ROCPRIM_400000_NS6detail17trampoline_kernelINS0_14default_configENS1_25partition_config_selectorILNS1_17partition_subalgoE8EiNS0_10empty_typeEbEEZZNS1_14partition_implILS5_8ELb0ES3_jN6thrust23THRUST_200600_302600_NS6detail15normal_iteratorINSA_10device_ptrIiEEEEPS6_PKS6_NS0_5tupleIJSF_S6_EEENSJ_IJSG_SG_EEENS0_18inequality_wrapperI22is_equal_div_10_uniqueIiEEEPmJS6_EEE10hipError_tPvRmT3_T4_T5_T6_T7_T9_mT8_P12ihipStream_tbDpT10_ENKUlT_T0_E_clISt17integral_constantIbLb1EES1A_EEDaS15_S16_EUlS15_E_NS1_11comp_targetILNS1_3genE8ELNS1_11target_archE1030ELNS1_3gpuE2ELNS1_3repE0EEENS1_30default_config_static_selectorELNS0_4arch9wavefront6targetE1EEEvT1_,comdat
	.protected	_ZN7rocprim17ROCPRIM_400000_NS6detail17trampoline_kernelINS0_14default_configENS1_25partition_config_selectorILNS1_17partition_subalgoE8EiNS0_10empty_typeEbEEZZNS1_14partition_implILS5_8ELb0ES3_jN6thrust23THRUST_200600_302600_NS6detail15normal_iteratorINSA_10device_ptrIiEEEEPS6_PKS6_NS0_5tupleIJSF_S6_EEENSJ_IJSG_SG_EEENS0_18inequality_wrapperI22is_equal_div_10_uniqueIiEEEPmJS6_EEE10hipError_tPvRmT3_T4_T5_T6_T7_T9_mT8_P12ihipStream_tbDpT10_ENKUlT_T0_E_clISt17integral_constantIbLb1EES1A_EEDaS15_S16_EUlS15_E_NS1_11comp_targetILNS1_3genE8ELNS1_11target_archE1030ELNS1_3gpuE2ELNS1_3repE0EEENS1_30default_config_static_selectorELNS0_4arch9wavefront6targetE1EEEvT1_ ; -- Begin function _ZN7rocprim17ROCPRIM_400000_NS6detail17trampoline_kernelINS0_14default_configENS1_25partition_config_selectorILNS1_17partition_subalgoE8EiNS0_10empty_typeEbEEZZNS1_14partition_implILS5_8ELb0ES3_jN6thrust23THRUST_200600_302600_NS6detail15normal_iteratorINSA_10device_ptrIiEEEEPS6_PKS6_NS0_5tupleIJSF_S6_EEENSJ_IJSG_SG_EEENS0_18inequality_wrapperI22is_equal_div_10_uniqueIiEEEPmJS6_EEE10hipError_tPvRmT3_T4_T5_T6_T7_T9_mT8_P12ihipStream_tbDpT10_ENKUlT_T0_E_clISt17integral_constantIbLb1EES1A_EEDaS15_S16_EUlS15_E_NS1_11comp_targetILNS1_3genE8ELNS1_11target_archE1030ELNS1_3gpuE2ELNS1_3repE0EEENS1_30default_config_static_selectorELNS0_4arch9wavefront6targetE1EEEvT1_
	.globl	_ZN7rocprim17ROCPRIM_400000_NS6detail17trampoline_kernelINS0_14default_configENS1_25partition_config_selectorILNS1_17partition_subalgoE8EiNS0_10empty_typeEbEEZZNS1_14partition_implILS5_8ELb0ES3_jN6thrust23THRUST_200600_302600_NS6detail15normal_iteratorINSA_10device_ptrIiEEEEPS6_PKS6_NS0_5tupleIJSF_S6_EEENSJ_IJSG_SG_EEENS0_18inequality_wrapperI22is_equal_div_10_uniqueIiEEEPmJS6_EEE10hipError_tPvRmT3_T4_T5_T6_T7_T9_mT8_P12ihipStream_tbDpT10_ENKUlT_T0_E_clISt17integral_constantIbLb1EES1A_EEDaS15_S16_EUlS15_E_NS1_11comp_targetILNS1_3genE8ELNS1_11target_archE1030ELNS1_3gpuE2ELNS1_3repE0EEENS1_30default_config_static_selectorELNS0_4arch9wavefront6targetE1EEEvT1_
	.p2align	8
	.type	_ZN7rocprim17ROCPRIM_400000_NS6detail17trampoline_kernelINS0_14default_configENS1_25partition_config_selectorILNS1_17partition_subalgoE8EiNS0_10empty_typeEbEEZZNS1_14partition_implILS5_8ELb0ES3_jN6thrust23THRUST_200600_302600_NS6detail15normal_iteratorINSA_10device_ptrIiEEEEPS6_PKS6_NS0_5tupleIJSF_S6_EEENSJ_IJSG_SG_EEENS0_18inequality_wrapperI22is_equal_div_10_uniqueIiEEEPmJS6_EEE10hipError_tPvRmT3_T4_T5_T6_T7_T9_mT8_P12ihipStream_tbDpT10_ENKUlT_T0_E_clISt17integral_constantIbLb1EES1A_EEDaS15_S16_EUlS15_E_NS1_11comp_targetILNS1_3genE8ELNS1_11target_archE1030ELNS1_3gpuE2ELNS1_3repE0EEENS1_30default_config_static_selectorELNS0_4arch9wavefront6targetE1EEEvT1_,@function
_ZN7rocprim17ROCPRIM_400000_NS6detail17trampoline_kernelINS0_14default_configENS1_25partition_config_selectorILNS1_17partition_subalgoE8EiNS0_10empty_typeEbEEZZNS1_14partition_implILS5_8ELb0ES3_jN6thrust23THRUST_200600_302600_NS6detail15normal_iteratorINSA_10device_ptrIiEEEEPS6_PKS6_NS0_5tupleIJSF_S6_EEENSJ_IJSG_SG_EEENS0_18inequality_wrapperI22is_equal_div_10_uniqueIiEEEPmJS6_EEE10hipError_tPvRmT3_T4_T5_T6_T7_T9_mT8_P12ihipStream_tbDpT10_ENKUlT_T0_E_clISt17integral_constantIbLb1EES1A_EEDaS15_S16_EUlS15_E_NS1_11comp_targetILNS1_3genE8ELNS1_11target_archE1030ELNS1_3gpuE2ELNS1_3repE0EEENS1_30default_config_static_selectorELNS0_4arch9wavefront6targetE1EEEvT1_: ; @_ZN7rocprim17ROCPRIM_400000_NS6detail17trampoline_kernelINS0_14default_configENS1_25partition_config_selectorILNS1_17partition_subalgoE8EiNS0_10empty_typeEbEEZZNS1_14partition_implILS5_8ELb0ES3_jN6thrust23THRUST_200600_302600_NS6detail15normal_iteratorINSA_10device_ptrIiEEEEPS6_PKS6_NS0_5tupleIJSF_S6_EEENSJ_IJSG_SG_EEENS0_18inequality_wrapperI22is_equal_div_10_uniqueIiEEEPmJS6_EEE10hipError_tPvRmT3_T4_T5_T6_T7_T9_mT8_P12ihipStream_tbDpT10_ENKUlT_T0_E_clISt17integral_constantIbLb1EES1A_EEDaS15_S16_EUlS15_E_NS1_11comp_targetILNS1_3genE8ELNS1_11target_archE1030ELNS1_3gpuE2ELNS1_3repE0EEENS1_30default_config_static_selectorELNS0_4arch9wavefront6targetE1EEEvT1_
; %bb.0:
	.section	.rodata,"a",@progbits
	.p2align	6, 0x0
	.amdhsa_kernel _ZN7rocprim17ROCPRIM_400000_NS6detail17trampoline_kernelINS0_14default_configENS1_25partition_config_selectorILNS1_17partition_subalgoE8EiNS0_10empty_typeEbEEZZNS1_14partition_implILS5_8ELb0ES3_jN6thrust23THRUST_200600_302600_NS6detail15normal_iteratorINSA_10device_ptrIiEEEEPS6_PKS6_NS0_5tupleIJSF_S6_EEENSJ_IJSG_SG_EEENS0_18inequality_wrapperI22is_equal_div_10_uniqueIiEEEPmJS6_EEE10hipError_tPvRmT3_T4_T5_T6_T7_T9_mT8_P12ihipStream_tbDpT10_ENKUlT_T0_E_clISt17integral_constantIbLb1EES1A_EEDaS15_S16_EUlS15_E_NS1_11comp_targetILNS1_3genE8ELNS1_11target_archE1030ELNS1_3gpuE2ELNS1_3repE0EEENS1_30default_config_static_selectorELNS0_4arch9wavefront6targetE1EEEvT1_
		.amdhsa_group_segment_fixed_size 0
		.amdhsa_private_segment_fixed_size 0
		.amdhsa_kernarg_size 128
		.amdhsa_user_sgpr_count 6
		.amdhsa_user_sgpr_private_segment_buffer 1
		.amdhsa_user_sgpr_dispatch_ptr 0
		.amdhsa_user_sgpr_queue_ptr 0
		.amdhsa_user_sgpr_kernarg_segment_ptr 1
		.amdhsa_user_sgpr_dispatch_id 0
		.amdhsa_user_sgpr_flat_scratch_init 0
		.amdhsa_user_sgpr_private_segment_size 0
		.amdhsa_uses_dynamic_stack 0
		.amdhsa_system_sgpr_private_segment_wavefront_offset 0
		.amdhsa_system_sgpr_workgroup_id_x 1
		.amdhsa_system_sgpr_workgroup_id_y 0
		.amdhsa_system_sgpr_workgroup_id_z 0
		.amdhsa_system_sgpr_workgroup_info 0
		.amdhsa_system_vgpr_workitem_id 0
		.amdhsa_next_free_vgpr 1
		.amdhsa_next_free_sgpr 0
		.amdhsa_reserve_vcc 0
		.amdhsa_reserve_flat_scratch 0
		.amdhsa_float_round_mode_32 0
		.amdhsa_float_round_mode_16_64 0
		.amdhsa_float_denorm_mode_32 3
		.amdhsa_float_denorm_mode_16_64 3
		.amdhsa_dx10_clamp 1
		.amdhsa_ieee_mode 1
		.amdhsa_fp16_overflow 0
		.amdhsa_exception_fp_ieee_invalid_op 0
		.amdhsa_exception_fp_denorm_src 0
		.amdhsa_exception_fp_ieee_div_zero 0
		.amdhsa_exception_fp_ieee_overflow 0
		.amdhsa_exception_fp_ieee_underflow 0
		.amdhsa_exception_fp_ieee_inexact 0
		.amdhsa_exception_int_div_zero 0
	.end_amdhsa_kernel
	.section	.text._ZN7rocprim17ROCPRIM_400000_NS6detail17trampoline_kernelINS0_14default_configENS1_25partition_config_selectorILNS1_17partition_subalgoE8EiNS0_10empty_typeEbEEZZNS1_14partition_implILS5_8ELb0ES3_jN6thrust23THRUST_200600_302600_NS6detail15normal_iteratorINSA_10device_ptrIiEEEEPS6_PKS6_NS0_5tupleIJSF_S6_EEENSJ_IJSG_SG_EEENS0_18inequality_wrapperI22is_equal_div_10_uniqueIiEEEPmJS6_EEE10hipError_tPvRmT3_T4_T5_T6_T7_T9_mT8_P12ihipStream_tbDpT10_ENKUlT_T0_E_clISt17integral_constantIbLb1EES1A_EEDaS15_S16_EUlS15_E_NS1_11comp_targetILNS1_3genE8ELNS1_11target_archE1030ELNS1_3gpuE2ELNS1_3repE0EEENS1_30default_config_static_selectorELNS0_4arch9wavefront6targetE1EEEvT1_,"axG",@progbits,_ZN7rocprim17ROCPRIM_400000_NS6detail17trampoline_kernelINS0_14default_configENS1_25partition_config_selectorILNS1_17partition_subalgoE8EiNS0_10empty_typeEbEEZZNS1_14partition_implILS5_8ELb0ES3_jN6thrust23THRUST_200600_302600_NS6detail15normal_iteratorINSA_10device_ptrIiEEEEPS6_PKS6_NS0_5tupleIJSF_S6_EEENSJ_IJSG_SG_EEENS0_18inequality_wrapperI22is_equal_div_10_uniqueIiEEEPmJS6_EEE10hipError_tPvRmT3_T4_T5_T6_T7_T9_mT8_P12ihipStream_tbDpT10_ENKUlT_T0_E_clISt17integral_constantIbLb1EES1A_EEDaS15_S16_EUlS15_E_NS1_11comp_targetILNS1_3genE8ELNS1_11target_archE1030ELNS1_3gpuE2ELNS1_3repE0EEENS1_30default_config_static_selectorELNS0_4arch9wavefront6targetE1EEEvT1_,comdat
.Lfunc_end451:
	.size	_ZN7rocprim17ROCPRIM_400000_NS6detail17trampoline_kernelINS0_14default_configENS1_25partition_config_selectorILNS1_17partition_subalgoE8EiNS0_10empty_typeEbEEZZNS1_14partition_implILS5_8ELb0ES3_jN6thrust23THRUST_200600_302600_NS6detail15normal_iteratorINSA_10device_ptrIiEEEEPS6_PKS6_NS0_5tupleIJSF_S6_EEENSJ_IJSG_SG_EEENS0_18inequality_wrapperI22is_equal_div_10_uniqueIiEEEPmJS6_EEE10hipError_tPvRmT3_T4_T5_T6_T7_T9_mT8_P12ihipStream_tbDpT10_ENKUlT_T0_E_clISt17integral_constantIbLb1EES1A_EEDaS15_S16_EUlS15_E_NS1_11comp_targetILNS1_3genE8ELNS1_11target_archE1030ELNS1_3gpuE2ELNS1_3repE0EEENS1_30default_config_static_selectorELNS0_4arch9wavefront6targetE1EEEvT1_, .Lfunc_end451-_ZN7rocprim17ROCPRIM_400000_NS6detail17trampoline_kernelINS0_14default_configENS1_25partition_config_selectorILNS1_17partition_subalgoE8EiNS0_10empty_typeEbEEZZNS1_14partition_implILS5_8ELb0ES3_jN6thrust23THRUST_200600_302600_NS6detail15normal_iteratorINSA_10device_ptrIiEEEEPS6_PKS6_NS0_5tupleIJSF_S6_EEENSJ_IJSG_SG_EEENS0_18inequality_wrapperI22is_equal_div_10_uniqueIiEEEPmJS6_EEE10hipError_tPvRmT3_T4_T5_T6_T7_T9_mT8_P12ihipStream_tbDpT10_ENKUlT_T0_E_clISt17integral_constantIbLb1EES1A_EEDaS15_S16_EUlS15_E_NS1_11comp_targetILNS1_3genE8ELNS1_11target_archE1030ELNS1_3gpuE2ELNS1_3repE0EEENS1_30default_config_static_selectorELNS0_4arch9wavefront6targetE1EEEvT1_
                                        ; -- End function
	.set _ZN7rocprim17ROCPRIM_400000_NS6detail17trampoline_kernelINS0_14default_configENS1_25partition_config_selectorILNS1_17partition_subalgoE8EiNS0_10empty_typeEbEEZZNS1_14partition_implILS5_8ELb0ES3_jN6thrust23THRUST_200600_302600_NS6detail15normal_iteratorINSA_10device_ptrIiEEEEPS6_PKS6_NS0_5tupleIJSF_S6_EEENSJ_IJSG_SG_EEENS0_18inequality_wrapperI22is_equal_div_10_uniqueIiEEEPmJS6_EEE10hipError_tPvRmT3_T4_T5_T6_T7_T9_mT8_P12ihipStream_tbDpT10_ENKUlT_T0_E_clISt17integral_constantIbLb1EES1A_EEDaS15_S16_EUlS15_E_NS1_11comp_targetILNS1_3genE8ELNS1_11target_archE1030ELNS1_3gpuE2ELNS1_3repE0EEENS1_30default_config_static_selectorELNS0_4arch9wavefront6targetE1EEEvT1_.num_vgpr, 0
	.set _ZN7rocprim17ROCPRIM_400000_NS6detail17trampoline_kernelINS0_14default_configENS1_25partition_config_selectorILNS1_17partition_subalgoE8EiNS0_10empty_typeEbEEZZNS1_14partition_implILS5_8ELb0ES3_jN6thrust23THRUST_200600_302600_NS6detail15normal_iteratorINSA_10device_ptrIiEEEEPS6_PKS6_NS0_5tupleIJSF_S6_EEENSJ_IJSG_SG_EEENS0_18inequality_wrapperI22is_equal_div_10_uniqueIiEEEPmJS6_EEE10hipError_tPvRmT3_T4_T5_T6_T7_T9_mT8_P12ihipStream_tbDpT10_ENKUlT_T0_E_clISt17integral_constantIbLb1EES1A_EEDaS15_S16_EUlS15_E_NS1_11comp_targetILNS1_3genE8ELNS1_11target_archE1030ELNS1_3gpuE2ELNS1_3repE0EEENS1_30default_config_static_selectorELNS0_4arch9wavefront6targetE1EEEvT1_.num_agpr, 0
	.set _ZN7rocprim17ROCPRIM_400000_NS6detail17trampoline_kernelINS0_14default_configENS1_25partition_config_selectorILNS1_17partition_subalgoE8EiNS0_10empty_typeEbEEZZNS1_14partition_implILS5_8ELb0ES3_jN6thrust23THRUST_200600_302600_NS6detail15normal_iteratorINSA_10device_ptrIiEEEEPS6_PKS6_NS0_5tupleIJSF_S6_EEENSJ_IJSG_SG_EEENS0_18inequality_wrapperI22is_equal_div_10_uniqueIiEEEPmJS6_EEE10hipError_tPvRmT3_T4_T5_T6_T7_T9_mT8_P12ihipStream_tbDpT10_ENKUlT_T0_E_clISt17integral_constantIbLb1EES1A_EEDaS15_S16_EUlS15_E_NS1_11comp_targetILNS1_3genE8ELNS1_11target_archE1030ELNS1_3gpuE2ELNS1_3repE0EEENS1_30default_config_static_selectorELNS0_4arch9wavefront6targetE1EEEvT1_.numbered_sgpr, 0
	.set _ZN7rocprim17ROCPRIM_400000_NS6detail17trampoline_kernelINS0_14default_configENS1_25partition_config_selectorILNS1_17partition_subalgoE8EiNS0_10empty_typeEbEEZZNS1_14partition_implILS5_8ELb0ES3_jN6thrust23THRUST_200600_302600_NS6detail15normal_iteratorINSA_10device_ptrIiEEEEPS6_PKS6_NS0_5tupleIJSF_S6_EEENSJ_IJSG_SG_EEENS0_18inequality_wrapperI22is_equal_div_10_uniqueIiEEEPmJS6_EEE10hipError_tPvRmT3_T4_T5_T6_T7_T9_mT8_P12ihipStream_tbDpT10_ENKUlT_T0_E_clISt17integral_constantIbLb1EES1A_EEDaS15_S16_EUlS15_E_NS1_11comp_targetILNS1_3genE8ELNS1_11target_archE1030ELNS1_3gpuE2ELNS1_3repE0EEENS1_30default_config_static_selectorELNS0_4arch9wavefront6targetE1EEEvT1_.num_named_barrier, 0
	.set _ZN7rocprim17ROCPRIM_400000_NS6detail17trampoline_kernelINS0_14default_configENS1_25partition_config_selectorILNS1_17partition_subalgoE8EiNS0_10empty_typeEbEEZZNS1_14partition_implILS5_8ELb0ES3_jN6thrust23THRUST_200600_302600_NS6detail15normal_iteratorINSA_10device_ptrIiEEEEPS6_PKS6_NS0_5tupleIJSF_S6_EEENSJ_IJSG_SG_EEENS0_18inequality_wrapperI22is_equal_div_10_uniqueIiEEEPmJS6_EEE10hipError_tPvRmT3_T4_T5_T6_T7_T9_mT8_P12ihipStream_tbDpT10_ENKUlT_T0_E_clISt17integral_constantIbLb1EES1A_EEDaS15_S16_EUlS15_E_NS1_11comp_targetILNS1_3genE8ELNS1_11target_archE1030ELNS1_3gpuE2ELNS1_3repE0EEENS1_30default_config_static_selectorELNS0_4arch9wavefront6targetE1EEEvT1_.private_seg_size, 0
	.set _ZN7rocprim17ROCPRIM_400000_NS6detail17trampoline_kernelINS0_14default_configENS1_25partition_config_selectorILNS1_17partition_subalgoE8EiNS0_10empty_typeEbEEZZNS1_14partition_implILS5_8ELb0ES3_jN6thrust23THRUST_200600_302600_NS6detail15normal_iteratorINSA_10device_ptrIiEEEEPS6_PKS6_NS0_5tupleIJSF_S6_EEENSJ_IJSG_SG_EEENS0_18inequality_wrapperI22is_equal_div_10_uniqueIiEEEPmJS6_EEE10hipError_tPvRmT3_T4_T5_T6_T7_T9_mT8_P12ihipStream_tbDpT10_ENKUlT_T0_E_clISt17integral_constantIbLb1EES1A_EEDaS15_S16_EUlS15_E_NS1_11comp_targetILNS1_3genE8ELNS1_11target_archE1030ELNS1_3gpuE2ELNS1_3repE0EEENS1_30default_config_static_selectorELNS0_4arch9wavefront6targetE1EEEvT1_.uses_vcc, 0
	.set _ZN7rocprim17ROCPRIM_400000_NS6detail17trampoline_kernelINS0_14default_configENS1_25partition_config_selectorILNS1_17partition_subalgoE8EiNS0_10empty_typeEbEEZZNS1_14partition_implILS5_8ELb0ES3_jN6thrust23THRUST_200600_302600_NS6detail15normal_iteratorINSA_10device_ptrIiEEEEPS6_PKS6_NS0_5tupleIJSF_S6_EEENSJ_IJSG_SG_EEENS0_18inequality_wrapperI22is_equal_div_10_uniqueIiEEEPmJS6_EEE10hipError_tPvRmT3_T4_T5_T6_T7_T9_mT8_P12ihipStream_tbDpT10_ENKUlT_T0_E_clISt17integral_constantIbLb1EES1A_EEDaS15_S16_EUlS15_E_NS1_11comp_targetILNS1_3genE8ELNS1_11target_archE1030ELNS1_3gpuE2ELNS1_3repE0EEENS1_30default_config_static_selectorELNS0_4arch9wavefront6targetE1EEEvT1_.uses_flat_scratch, 0
	.set _ZN7rocprim17ROCPRIM_400000_NS6detail17trampoline_kernelINS0_14default_configENS1_25partition_config_selectorILNS1_17partition_subalgoE8EiNS0_10empty_typeEbEEZZNS1_14partition_implILS5_8ELb0ES3_jN6thrust23THRUST_200600_302600_NS6detail15normal_iteratorINSA_10device_ptrIiEEEEPS6_PKS6_NS0_5tupleIJSF_S6_EEENSJ_IJSG_SG_EEENS0_18inequality_wrapperI22is_equal_div_10_uniqueIiEEEPmJS6_EEE10hipError_tPvRmT3_T4_T5_T6_T7_T9_mT8_P12ihipStream_tbDpT10_ENKUlT_T0_E_clISt17integral_constantIbLb1EES1A_EEDaS15_S16_EUlS15_E_NS1_11comp_targetILNS1_3genE8ELNS1_11target_archE1030ELNS1_3gpuE2ELNS1_3repE0EEENS1_30default_config_static_selectorELNS0_4arch9wavefront6targetE1EEEvT1_.has_dyn_sized_stack, 0
	.set _ZN7rocprim17ROCPRIM_400000_NS6detail17trampoline_kernelINS0_14default_configENS1_25partition_config_selectorILNS1_17partition_subalgoE8EiNS0_10empty_typeEbEEZZNS1_14partition_implILS5_8ELb0ES3_jN6thrust23THRUST_200600_302600_NS6detail15normal_iteratorINSA_10device_ptrIiEEEEPS6_PKS6_NS0_5tupleIJSF_S6_EEENSJ_IJSG_SG_EEENS0_18inequality_wrapperI22is_equal_div_10_uniqueIiEEEPmJS6_EEE10hipError_tPvRmT3_T4_T5_T6_T7_T9_mT8_P12ihipStream_tbDpT10_ENKUlT_T0_E_clISt17integral_constantIbLb1EES1A_EEDaS15_S16_EUlS15_E_NS1_11comp_targetILNS1_3genE8ELNS1_11target_archE1030ELNS1_3gpuE2ELNS1_3repE0EEENS1_30default_config_static_selectorELNS0_4arch9wavefront6targetE1EEEvT1_.has_recursion, 0
	.set _ZN7rocprim17ROCPRIM_400000_NS6detail17trampoline_kernelINS0_14default_configENS1_25partition_config_selectorILNS1_17partition_subalgoE8EiNS0_10empty_typeEbEEZZNS1_14partition_implILS5_8ELb0ES3_jN6thrust23THRUST_200600_302600_NS6detail15normal_iteratorINSA_10device_ptrIiEEEEPS6_PKS6_NS0_5tupleIJSF_S6_EEENSJ_IJSG_SG_EEENS0_18inequality_wrapperI22is_equal_div_10_uniqueIiEEEPmJS6_EEE10hipError_tPvRmT3_T4_T5_T6_T7_T9_mT8_P12ihipStream_tbDpT10_ENKUlT_T0_E_clISt17integral_constantIbLb1EES1A_EEDaS15_S16_EUlS15_E_NS1_11comp_targetILNS1_3genE8ELNS1_11target_archE1030ELNS1_3gpuE2ELNS1_3repE0EEENS1_30default_config_static_selectorELNS0_4arch9wavefront6targetE1EEEvT1_.has_indirect_call, 0
	.section	.AMDGPU.csdata,"",@progbits
; Kernel info:
; codeLenInByte = 0
; TotalNumSgprs: 4
; NumVgprs: 0
; ScratchSize: 0
; MemoryBound: 0
; FloatMode: 240
; IeeeMode: 1
; LDSByteSize: 0 bytes/workgroup (compile time only)
; SGPRBlocks: 0
; VGPRBlocks: 0
; NumSGPRsForWavesPerEU: 4
; NumVGPRsForWavesPerEU: 1
; Occupancy: 10
; WaveLimiterHint : 0
; COMPUTE_PGM_RSRC2:SCRATCH_EN: 0
; COMPUTE_PGM_RSRC2:USER_SGPR: 6
; COMPUTE_PGM_RSRC2:TRAP_HANDLER: 0
; COMPUTE_PGM_RSRC2:TGID_X_EN: 1
; COMPUTE_PGM_RSRC2:TGID_Y_EN: 0
; COMPUTE_PGM_RSRC2:TGID_Z_EN: 0
; COMPUTE_PGM_RSRC2:TIDIG_COMP_CNT: 0
	.section	.text._ZN7rocprim17ROCPRIM_400000_NS6detail17trampoline_kernelINS0_14default_configENS1_25partition_config_selectorILNS1_17partition_subalgoE8EiNS0_10empty_typeEbEEZZNS1_14partition_implILS5_8ELb0ES3_jN6thrust23THRUST_200600_302600_NS6detail15normal_iteratorINSA_10device_ptrIiEEEEPS6_PKS6_NS0_5tupleIJSF_S6_EEENSJ_IJSG_SG_EEENS0_18inequality_wrapperI22is_equal_div_10_uniqueIiEEEPmJS6_EEE10hipError_tPvRmT3_T4_T5_T6_T7_T9_mT8_P12ihipStream_tbDpT10_ENKUlT_T0_E_clISt17integral_constantIbLb1EES19_IbLb0EEEEDaS15_S16_EUlS15_E_NS1_11comp_targetILNS1_3genE0ELNS1_11target_archE4294967295ELNS1_3gpuE0ELNS1_3repE0EEENS1_30default_config_static_selectorELNS0_4arch9wavefront6targetE1EEEvT1_,"axG",@progbits,_ZN7rocprim17ROCPRIM_400000_NS6detail17trampoline_kernelINS0_14default_configENS1_25partition_config_selectorILNS1_17partition_subalgoE8EiNS0_10empty_typeEbEEZZNS1_14partition_implILS5_8ELb0ES3_jN6thrust23THRUST_200600_302600_NS6detail15normal_iteratorINSA_10device_ptrIiEEEEPS6_PKS6_NS0_5tupleIJSF_S6_EEENSJ_IJSG_SG_EEENS0_18inequality_wrapperI22is_equal_div_10_uniqueIiEEEPmJS6_EEE10hipError_tPvRmT3_T4_T5_T6_T7_T9_mT8_P12ihipStream_tbDpT10_ENKUlT_T0_E_clISt17integral_constantIbLb1EES19_IbLb0EEEEDaS15_S16_EUlS15_E_NS1_11comp_targetILNS1_3genE0ELNS1_11target_archE4294967295ELNS1_3gpuE0ELNS1_3repE0EEENS1_30default_config_static_selectorELNS0_4arch9wavefront6targetE1EEEvT1_,comdat
	.protected	_ZN7rocprim17ROCPRIM_400000_NS6detail17trampoline_kernelINS0_14default_configENS1_25partition_config_selectorILNS1_17partition_subalgoE8EiNS0_10empty_typeEbEEZZNS1_14partition_implILS5_8ELb0ES3_jN6thrust23THRUST_200600_302600_NS6detail15normal_iteratorINSA_10device_ptrIiEEEEPS6_PKS6_NS0_5tupleIJSF_S6_EEENSJ_IJSG_SG_EEENS0_18inequality_wrapperI22is_equal_div_10_uniqueIiEEEPmJS6_EEE10hipError_tPvRmT3_T4_T5_T6_T7_T9_mT8_P12ihipStream_tbDpT10_ENKUlT_T0_E_clISt17integral_constantIbLb1EES19_IbLb0EEEEDaS15_S16_EUlS15_E_NS1_11comp_targetILNS1_3genE0ELNS1_11target_archE4294967295ELNS1_3gpuE0ELNS1_3repE0EEENS1_30default_config_static_selectorELNS0_4arch9wavefront6targetE1EEEvT1_ ; -- Begin function _ZN7rocprim17ROCPRIM_400000_NS6detail17trampoline_kernelINS0_14default_configENS1_25partition_config_selectorILNS1_17partition_subalgoE8EiNS0_10empty_typeEbEEZZNS1_14partition_implILS5_8ELb0ES3_jN6thrust23THRUST_200600_302600_NS6detail15normal_iteratorINSA_10device_ptrIiEEEEPS6_PKS6_NS0_5tupleIJSF_S6_EEENSJ_IJSG_SG_EEENS0_18inequality_wrapperI22is_equal_div_10_uniqueIiEEEPmJS6_EEE10hipError_tPvRmT3_T4_T5_T6_T7_T9_mT8_P12ihipStream_tbDpT10_ENKUlT_T0_E_clISt17integral_constantIbLb1EES19_IbLb0EEEEDaS15_S16_EUlS15_E_NS1_11comp_targetILNS1_3genE0ELNS1_11target_archE4294967295ELNS1_3gpuE0ELNS1_3repE0EEENS1_30default_config_static_selectorELNS0_4arch9wavefront6targetE1EEEvT1_
	.globl	_ZN7rocprim17ROCPRIM_400000_NS6detail17trampoline_kernelINS0_14default_configENS1_25partition_config_selectorILNS1_17partition_subalgoE8EiNS0_10empty_typeEbEEZZNS1_14partition_implILS5_8ELb0ES3_jN6thrust23THRUST_200600_302600_NS6detail15normal_iteratorINSA_10device_ptrIiEEEEPS6_PKS6_NS0_5tupleIJSF_S6_EEENSJ_IJSG_SG_EEENS0_18inequality_wrapperI22is_equal_div_10_uniqueIiEEEPmJS6_EEE10hipError_tPvRmT3_T4_T5_T6_T7_T9_mT8_P12ihipStream_tbDpT10_ENKUlT_T0_E_clISt17integral_constantIbLb1EES19_IbLb0EEEEDaS15_S16_EUlS15_E_NS1_11comp_targetILNS1_3genE0ELNS1_11target_archE4294967295ELNS1_3gpuE0ELNS1_3repE0EEENS1_30default_config_static_selectorELNS0_4arch9wavefront6targetE1EEEvT1_
	.p2align	8
	.type	_ZN7rocprim17ROCPRIM_400000_NS6detail17trampoline_kernelINS0_14default_configENS1_25partition_config_selectorILNS1_17partition_subalgoE8EiNS0_10empty_typeEbEEZZNS1_14partition_implILS5_8ELb0ES3_jN6thrust23THRUST_200600_302600_NS6detail15normal_iteratorINSA_10device_ptrIiEEEEPS6_PKS6_NS0_5tupleIJSF_S6_EEENSJ_IJSG_SG_EEENS0_18inequality_wrapperI22is_equal_div_10_uniqueIiEEEPmJS6_EEE10hipError_tPvRmT3_T4_T5_T6_T7_T9_mT8_P12ihipStream_tbDpT10_ENKUlT_T0_E_clISt17integral_constantIbLb1EES19_IbLb0EEEEDaS15_S16_EUlS15_E_NS1_11comp_targetILNS1_3genE0ELNS1_11target_archE4294967295ELNS1_3gpuE0ELNS1_3repE0EEENS1_30default_config_static_selectorELNS0_4arch9wavefront6targetE1EEEvT1_,@function
_ZN7rocprim17ROCPRIM_400000_NS6detail17trampoline_kernelINS0_14default_configENS1_25partition_config_selectorILNS1_17partition_subalgoE8EiNS0_10empty_typeEbEEZZNS1_14partition_implILS5_8ELb0ES3_jN6thrust23THRUST_200600_302600_NS6detail15normal_iteratorINSA_10device_ptrIiEEEEPS6_PKS6_NS0_5tupleIJSF_S6_EEENSJ_IJSG_SG_EEENS0_18inequality_wrapperI22is_equal_div_10_uniqueIiEEEPmJS6_EEE10hipError_tPvRmT3_T4_T5_T6_T7_T9_mT8_P12ihipStream_tbDpT10_ENKUlT_T0_E_clISt17integral_constantIbLb1EES19_IbLb0EEEEDaS15_S16_EUlS15_E_NS1_11comp_targetILNS1_3genE0ELNS1_11target_archE4294967295ELNS1_3gpuE0ELNS1_3repE0EEENS1_30default_config_static_selectorELNS0_4arch9wavefront6targetE1EEEvT1_: ; @_ZN7rocprim17ROCPRIM_400000_NS6detail17trampoline_kernelINS0_14default_configENS1_25partition_config_selectorILNS1_17partition_subalgoE8EiNS0_10empty_typeEbEEZZNS1_14partition_implILS5_8ELb0ES3_jN6thrust23THRUST_200600_302600_NS6detail15normal_iteratorINSA_10device_ptrIiEEEEPS6_PKS6_NS0_5tupleIJSF_S6_EEENSJ_IJSG_SG_EEENS0_18inequality_wrapperI22is_equal_div_10_uniqueIiEEEPmJS6_EEE10hipError_tPvRmT3_T4_T5_T6_T7_T9_mT8_P12ihipStream_tbDpT10_ENKUlT_T0_E_clISt17integral_constantIbLb1EES19_IbLb0EEEEDaS15_S16_EUlS15_E_NS1_11comp_targetILNS1_3genE0ELNS1_11target_archE4294967295ELNS1_3gpuE0ELNS1_3repE0EEENS1_30default_config_static_selectorELNS0_4arch9wavefront6targetE1EEEvT1_
; %bb.0:
	.section	.rodata,"a",@progbits
	.p2align	6, 0x0
	.amdhsa_kernel _ZN7rocprim17ROCPRIM_400000_NS6detail17trampoline_kernelINS0_14default_configENS1_25partition_config_selectorILNS1_17partition_subalgoE8EiNS0_10empty_typeEbEEZZNS1_14partition_implILS5_8ELb0ES3_jN6thrust23THRUST_200600_302600_NS6detail15normal_iteratorINSA_10device_ptrIiEEEEPS6_PKS6_NS0_5tupleIJSF_S6_EEENSJ_IJSG_SG_EEENS0_18inequality_wrapperI22is_equal_div_10_uniqueIiEEEPmJS6_EEE10hipError_tPvRmT3_T4_T5_T6_T7_T9_mT8_P12ihipStream_tbDpT10_ENKUlT_T0_E_clISt17integral_constantIbLb1EES19_IbLb0EEEEDaS15_S16_EUlS15_E_NS1_11comp_targetILNS1_3genE0ELNS1_11target_archE4294967295ELNS1_3gpuE0ELNS1_3repE0EEENS1_30default_config_static_selectorELNS0_4arch9wavefront6targetE1EEEvT1_
		.amdhsa_group_segment_fixed_size 0
		.amdhsa_private_segment_fixed_size 0
		.amdhsa_kernarg_size 112
		.amdhsa_user_sgpr_count 6
		.amdhsa_user_sgpr_private_segment_buffer 1
		.amdhsa_user_sgpr_dispatch_ptr 0
		.amdhsa_user_sgpr_queue_ptr 0
		.amdhsa_user_sgpr_kernarg_segment_ptr 1
		.amdhsa_user_sgpr_dispatch_id 0
		.amdhsa_user_sgpr_flat_scratch_init 0
		.amdhsa_user_sgpr_private_segment_size 0
		.amdhsa_uses_dynamic_stack 0
		.amdhsa_system_sgpr_private_segment_wavefront_offset 0
		.amdhsa_system_sgpr_workgroup_id_x 1
		.amdhsa_system_sgpr_workgroup_id_y 0
		.amdhsa_system_sgpr_workgroup_id_z 0
		.amdhsa_system_sgpr_workgroup_info 0
		.amdhsa_system_vgpr_workitem_id 0
		.amdhsa_next_free_vgpr 1
		.amdhsa_next_free_sgpr 0
		.amdhsa_reserve_vcc 0
		.amdhsa_reserve_flat_scratch 0
		.amdhsa_float_round_mode_32 0
		.amdhsa_float_round_mode_16_64 0
		.amdhsa_float_denorm_mode_32 3
		.amdhsa_float_denorm_mode_16_64 3
		.amdhsa_dx10_clamp 1
		.amdhsa_ieee_mode 1
		.amdhsa_fp16_overflow 0
		.amdhsa_exception_fp_ieee_invalid_op 0
		.amdhsa_exception_fp_denorm_src 0
		.amdhsa_exception_fp_ieee_div_zero 0
		.amdhsa_exception_fp_ieee_overflow 0
		.amdhsa_exception_fp_ieee_underflow 0
		.amdhsa_exception_fp_ieee_inexact 0
		.amdhsa_exception_int_div_zero 0
	.end_amdhsa_kernel
	.section	.text._ZN7rocprim17ROCPRIM_400000_NS6detail17trampoline_kernelINS0_14default_configENS1_25partition_config_selectorILNS1_17partition_subalgoE8EiNS0_10empty_typeEbEEZZNS1_14partition_implILS5_8ELb0ES3_jN6thrust23THRUST_200600_302600_NS6detail15normal_iteratorINSA_10device_ptrIiEEEEPS6_PKS6_NS0_5tupleIJSF_S6_EEENSJ_IJSG_SG_EEENS0_18inequality_wrapperI22is_equal_div_10_uniqueIiEEEPmJS6_EEE10hipError_tPvRmT3_T4_T5_T6_T7_T9_mT8_P12ihipStream_tbDpT10_ENKUlT_T0_E_clISt17integral_constantIbLb1EES19_IbLb0EEEEDaS15_S16_EUlS15_E_NS1_11comp_targetILNS1_3genE0ELNS1_11target_archE4294967295ELNS1_3gpuE0ELNS1_3repE0EEENS1_30default_config_static_selectorELNS0_4arch9wavefront6targetE1EEEvT1_,"axG",@progbits,_ZN7rocprim17ROCPRIM_400000_NS6detail17trampoline_kernelINS0_14default_configENS1_25partition_config_selectorILNS1_17partition_subalgoE8EiNS0_10empty_typeEbEEZZNS1_14partition_implILS5_8ELb0ES3_jN6thrust23THRUST_200600_302600_NS6detail15normal_iteratorINSA_10device_ptrIiEEEEPS6_PKS6_NS0_5tupleIJSF_S6_EEENSJ_IJSG_SG_EEENS0_18inequality_wrapperI22is_equal_div_10_uniqueIiEEEPmJS6_EEE10hipError_tPvRmT3_T4_T5_T6_T7_T9_mT8_P12ihipStream_tbDpT10_ENKUlT_T0_E_clISt17integral_constantIbLb1EES19_IbLb0EEEEDaS15_S16_EUlS15_E_NS1_11comp_targetILNS1_3genE0ELNS1_11target_archE4294967295ELNS1_3gpuE0ELNS1_3repE0EEENS1_30default_config_static_selectorELNS0_4arch9wavefront6targetE1EEEvT1_,comdat
.Lfunc_end452:
	.size	_ZN7rocprim17ROCPRIM_400000_NS6detail17trampoline_kernelINS0_14default_configENS1_25partition_config_selectorILNS1_17partition_subalgoE8EiNS0_10empty_typeEbEEZZNS1_14partition_implILS5_8ELb0ES3_jN6thrust23THRUST_200600_302600_NS6detail15normal_iteratorINSA_10device_ptrIiEEEEPS6_PKS6_NS0_5tupleIJSF_S6_EEENSJ_IJSG_SG_EEENS0_18inequality_wrapperI22is_equal_div_10_uniqueIiEEEPmJS6_EEE10hipError_tPvRmT3_T4_T5_T6_T7_T9_mT8_P12ihipStream_tbDpT10_ENKUlT_T0_E_clISt17integral_constantIbLb1EES19_IbLb0EEEEDaS15_S16_EUlS15_E_NS1_11comp_targetILNS1_3genE0ELNS1_11target_archE4294967295ELNS1_3gpuE0ELNS1_3repE0EEENS1_30default_config_static_selectorELNS0_4arch9wavefront6targetE1EEEvT1_, .Lfunc_end452-_ZN7rocprim17ROCPRIM_400000_NS6detail17trampoline_kernelINS0_14default_configENS1_25partition_config_selectorILNS1_17partition_subalgoE8EiNS0_10empty_typeEbEEZZNS1_14partition_implILS5_8ELb0ES3_jN6thrust23THRUST_200600_302600_NS6detail15normal_iteratorINSA_10device_ptrIiEEEEPS6_PKS6_NS0_5tupleIJSF_S6_EEENSJ_IJSG_SG_EEENS0_18inequality_wrapperI22is_equal_div_10_uniqueIiEEEPmJS6_EEE10hipError_tPvRmT3_T4_T5_T6_T7_T9_mT8_P12ihipStream_tbDpT10_ENKUlT_T0_E_clISt17integral_constantIbLb1EES19_IbLb0EEEEDaS15_S16_EUlS15_E_NS1_11comp_targetILNS1_3genE0ELNS1_11target_archE4294967295ELNS1_3gpuE0ELNS1_3repE0EEENS1_30default_config_static_selectorELNS0_4arch9wavefront6targetE1EEEvT1_
                                        ; -- End function
	.set _ZN7rocprim17ROCPRIM_400000_NS6detail17trampoline_kernelINS0_14default_configENS1_25partition_config_selectorILNS1_17partition_subalgoE8EiNS0_10empty_typeEbEEZZNS1_14partition_implILS5_8ELb0ES3_jN6thrust23THRUST_200600_302600_NS6detail15normal_iteratorINSA_10device_ptrIiEEEEPS6_PKS6_NS0_5tupleIJSF_S6_EEENSJ_IJSG_SG_EEENS0_18inequality_wrapperI22is_equal_div_10_uniqueIiEEEPmJS6_EEE10hipError_tPvRmT3_T4_T5_T6_T7_T9_mT8_P12ihipStream_tbDpT10_ENKUlT_T0_E_clISt17integral_constantIbLb1EES19_IbLb0EEEEDaS15_S16_EUlS15_E_NS1_11comp_targetILNS1_3genE0ELNS1_11target_archE4294967295ELNS1_3gpuE0ELNS1_3repE0EEENS1_30default_config_static_selectorELNS0_4arch9wavefront6targetE1EEEvT1_.num_vgpr, 0
	.set _ZN7rocprim17ROCPRIM_400000_NS6detail17trampoline_kernelINS0_14default_configENS1_25partition_config_selectorILNS1_17partition_subalgoE8EiNS0_10empty_typeEbEEZZNS1_14partition_implILS5_8ELb0ES3_jN6thrust23THRUST_200600_302600_NS6detail15normal_iteratorINSA_10device_ptrIiEEEEPS6_PKS6_NS0_5tupleIJSF_S6_EEENSJ_IJSG_SG_EEENS0_18inequality_wrapperI22is_equal_div_10_uniqueIiEEEPmJS6_EEE10hipError_tPvRmT3_T4_T5_T6_T7_T9_mT8_P12ihipStream_tbDpT10_ENKUlT_T0_E_clISt17integral_constantIbLb1EES19_IbLb0EEEEDaS15_S16_EUlS15_E_NS1_11comp_targetILNS1_3genE0ELNS1_11target_archE4294967295ELNS1_3gpuE0ELNS1_3repE0EEENS1_30default_config_static_selectorELNS0_4arch9wavefront6targetE1EEEvT1_.num_agpr, 0
	.set _ZN7rocprim17ROCPRIM_400000_NS6detail17trampoline_kernelINS0_14default_configENS1_25partition_config_selectorILNS1_17partition_subalgoE8EiNS0_10empty_typeEbEEZZNS1_14partition_implILS5_8ELb0ES3_jN6thrust23THRUST_200600_302600_NS6detail15normal_iteratorINSA_10device_ptrIiEEEEPS6_PKS6_NS0_5tupleIJSF_S6_EEENSJ_IJSG_SG_EEENS0_18inequality_wrapperI22is_equal_div_10_uniqueIiEEEPmJS6_EEE10hipError_tPvRmT3_T4_T5_T6_T7_T9_mT8_P12ihipStream_tbDpT10_ENKUlT_T0_E_clISt17integral_constantIbLb1EES19_IbLb0EEEEDaS15_S16_EUlS15_E_NS1_11comp_targetILNS1_3genE0ELNS1_11target_archE4294967295ELNS1_3gpuE0ELNS1_3repE0EEENS1_30default_config_static_selectorELNS0_4arch9wavefront6targetE1EEEvT1_.numbered_sgpr, 0
	.set _ZN7rocprim17ROCPRIM_400000_NS6detail17trampoline_kernelINS0_14default_configENS1_25partition_config_selectorILNS1_17partition_subalgoE8EiNS0_10empty_typeEbEEZZNS1_14partition_implILS5_8ELb0ES3_jN6thrust23THRUST_200600_302600_NS6detail15normal_iteratorINSA_10device_ptrIiEEEEPS6_PKS6_NS0_5tupleIJSF_S6_EEENSJ_IJSG_SG_EEENS0_18inequality_wrapperI22is_equal_div_10_uniqueIiEEEPmJS6_EEE10hipError_tPvRmT3_T4_T5_T6_T7_T9_mT8_P12ihipStream_tbDpT10_ENKUlT_T0_E_clISt17integral_constantIbLb1EES19_IbLb0EEEEDaS15_S16_EUlS15_E_NS1_11comp_targetILNS1_3genE0ELNS1_11target_archE4294967295ELNS1_3gpuE0ELNS1_3repE0EEENS1_30default_config_static_selectorELNS0_4arch9wavefront6targetE1EEEvT1_.num_named_barrier, 0
	.set _ZN7rocprim17ROCPRIM_400000_NS6detail17trampoline_kernelINS0_14default_configENS1_25partition_config_selectorILNS1_17partition_subalgoE8EiNS0_10empty_typeEbEEZZNS1_14partition_implILS5_8ELb0ES3_jN6thrust23THRUST_200600_302600_NS6detail15normal_iteratorINSA_10device_ptrIiEEEEPS6_PKS6_NS0_5tupleIJSF_S6_EEENSJ_IJSG_SG_EEENS0_18inequality_wrapperI22is_equal_div_10_uniqueIiEEEPmJS6_EEE10hipError_tPvRmT3_T4_T5_T6_T7_T9_mT8_P12ihipStream_tbDpT10_ENKUlT_T0_E_clISt17integral_constantIbLb1EES19_IbLb0EEEEDaS15_S16_EUlS15_E_NS1_11comp_targetILNS1_3genE0ELNS1_11target_archE4294967295ELNS1_3gpuE0ELNS1_3repE0EEENS1_30default_config_static_selectorELNS0_4arch9wavefront6targetE1EEEvT1_.private_seg_size, 0
	.set _ZN7rocprim17ROCPRIM_400000_NS6detail17trampoline_kernelINS0_14default_configENS1_25partition_config_selectorILNS1_17partition_subalgoE8EiNS0_10empty_typeEbEEZZNS1_14partition_implILS5_8ELb0ES3_jN6thrust23THRUST_200600_302600_NS6detail15normal_iteratorINSA_10device_ptrIiEEEEPS6_PKS6_NS0_5tupleIJSF_S6_EEENSJ_IJSG_SG_EEENS0_18inequality_wrapperI22is_equal_div_10_uniqueIiEEEPmJS6_EEE10hipError_tPvRmT3_T4_T5_T6_T7_T9_mT8_P12ihipStream_tbDpT10_ENKUlT_T0_E_clISt17integral_constantIbLb1EES19_IbLb0EEEEDaS15_S16_EUlS15_E_NS1_11comp_targetILNS1_3genE0ELNS1_11target_archE4294967295ELNS1_3gpuE0ELNS1_3repE0EEENS1_30default_config_static_selectorELNS0_4arch9wavefront6targetE1EEEvT1_.uses_vcc, 0
	.set _ZN7rocprim17ROCPRIM_400000_NS6detail17trampoline_kernelINS0_14default_configENS1_25partition_config_selectorILNS1_17partition_subalgoE8EiNS0_10empty_typeEbEEZZNS1_14partition_implILS5_8ELb0ES3_jN6thrust23THRUST_200600_302600_NS6detail15normal_iteratorINSA_10device_ptrIiEEEEPS6_PKS6_NS0_5tupleIJSF_S6_EEENSJ_IJSG_SG_EEENS0_18inequality_wrapperI22is_equal_div_10_uniqueIiEEEPmJS6_EEE10hipError_tPvRmT3_T4_T5_T6_T7_T9_mT8_P12ihipStream_tbDpT10_ENKUlT_T0_E_clISt17integral_constantIbLb1EES19_IbLb0EEEEDaS15_S16_EUlS15_E_NS1_11comp_targetILNS1_3genE0ELNS1_11target_archE4294967295ELNS1_3gpuE0ELNS1_3repE0EEENS1_30default_config_static_selectorELNS0_4arch9wavefront6targetE1EEEvT1_.uses_flat_scratch, 0
	.set _ZN7rocprim17ROCPRIM_400000_NS6detail17trampoline_kernelINS0_14default_configENS1_25partition_config_selectorILNS1_17partition_subalgoE8EiNS0_10empty_typeEbEEZZNS1_14partition_implILS5_8ELb0ES3_jN6thrust23THRUST_200600_302600_NS6detail15normal_iteratorINSA_10device_ptrIiEEEEPS6_PKS6_NS0_5tupleIJSF_S6_EEENSJ_IJSG_SG_EEENS0_18inequality_wrapperI22is_equal_div_10_uniqueIiEEEPmJS6_EEE10hipError_tPvRmT3_T4_T5_T6_T7_T9_mT8_P12ihipStream_tbDpT10_ENKUlT_T0_E_clISt17integral_constantIbLb1EES19_IbLb0EEEEDaS15_S16_EUlS15_E_NS1_11comp_targetILNS1_3genE0ELNS1_11target_archE4294967295ELNS1_3gpuE0ELNS1_3repE0EEENS1_30default_config_static_selectorELNS0_4arch9wavefront6targetE1EEEvT1_.has_dyn_sized_stack, 0
	.set _ZN7rocprim17ROCPRIM_400000_NS6detail17trampoline_kernelINS0_14default_configENS1_25partition_config_selectorILNS1_17partition_subalgoE8EiNS0_10empty_typeEbEEZZNS1_14partition_implILS5_8ELb0ES3_jN6thrust23THRUST_200600_302600_NS6detail15normal_iteratorINSA_10device_ptrIiEEEEPS6_PKS6_NS0_5tupleIJSF_S6_EEENSJ_IJSG_SG_EEENS0_18inequality_wrapperI22is_equal_div_10_uniqueIiEEEPmJS6_EEE10hipError_tPvRmT3_T4_T5_T6_T7_T9_mT8_P12ihipStream_tbDpT10_ENKUlT_T0_E_clISt17integral_constantIbLb1EES19_IbLb0EEEEDaS15_S16_EUlS15_E_NS1_11comp_targetILNS1_3genE0ELNS1_11target_archE4294967295ELNS1_3gpuE0ELNS1_3repE0EEENS1_30default_config_static_selectorELNS0_4arch9wavefront6targetE1EEEvT1_.has_recursion, 0
	.set _ZN7rocprim17ROCPRIM_400000_NS6detail17trampoline_kernelINS0_14default_configENS1_25partition_config_selectorILNS1_17partition_subalgoE8EiNS0_10empty_typeEbEEZZNS1_14partition_implILS5_8ELb0ES3_jN6thrust23THRUST_200600_302600_NS6detail15normal_iteratorINSA_10device_ptrIiEEEEPS6_PKS6_NS0_5tupleIJSF_S6_EEENSJ_IJSG_SG_EEENS0_18inequality_wrapperI22is_equal_div_10_uniqueIiEEEPmJS6_EEE10hipError_tPvRmT3_T4_T5_T6_T7_T9_mT8_P12ihipStream_tbDpT10_ENKUlT_T0_E_clISt17integral_constantIbLb1EES19_IbLb0EEEEDaS15_S16_EUlS15_E_NS1_11comp_targetILNS1_3genE0ELNS1_11target_archE4294967295ELNS1_3gpuE0ELNS1_3repE0EEENS1_30default_config_static_selectorELNS0_4arch9wavefront6targetE1EEEvT1_.has_indirect_call, 0
	.section	.AMDGPU.csdata,"",@progbits
; Kernel info:
; codeLenInByte = 0
; TotalNumSgprs: 4
; NumVgprs: 0
; ScratchSize: 0
; MemoryBound: 0
; FloatMode: 240
; IeeeMode: 1
; LDSByteSize: 0 bytes/workgroup (compile time only)
; SGPRBlocks: 0
; VGPRBlocks: 0
; NumSGPRsForWavesPerEU: 4
; NumVGPRsForWavesPerEU: 1
; Occupancy: 10
; WaveLimiterHint : 0
; COMPUTE_PGM_RSRC2:SCRATCH_EN: 0
; COMPUTE_PGM_RSRC2:USER_SGPR: 6
; COMPUTE_PGM_RSRC2:TRAP_HANDLER: 0
; COMPUTE_PGM_RSRC2:TGID_X_EN: 1
; COMPUTE_PGM_RSRC2:TGID_Y_EN: 0
; COMPUTE_PGM_RSRC2:TGID_Z_EN: 0
; COMPUTE_PGM_RSRC2:TIDIG_COMP_CNT: 0
	.section	.text._ZN7rocprim17ROCPRIM_400000_NS6detail17trampoline_kernelINS0_14default_configENS1_25partition_config_selectorILNS1_17partition_subalgoE8EiNS0_10empty_typeEbEEZZNS1_14partition_implILS5_8ELb0ES3_jN6thrust23THRUST_200600_302600_NS6detail15normal_iteratorINSA_10device_ptrIiEEEEPS6_PKS6_NS0_5tupleIJSF_S6_EEENSJ_IJSG_SG_EEENS0_18inequality_wrapperI22is_equal_div_10_uniqueIiEEEPmJS6_EEE10hipError_tPvRmT3_T4_T5_T6_T7_T9_mT8_P12ihipStream_tbDpT10_ENKUlT_T0_E_clISt17integral_constantIbLb1EES19_IbLb0EEEEDaS15_S16_EUlS15_E_NS1_11comp_targetILNS1_3genE5ELNS1_11target_archE942ELNS1_3gpuE9ELNS1_3repE0EEENS1_30default_config_static_selectorELNS0_4arch9wavefront6targetE1EEEvT1_,"axG",@progbits,_ZN7rocprim17ROCPRIM_400000_NS6detail17trampoline_kernelINS0_14default_configENS1_25partition_config_selectorILNS1_17partition_subalgoE8EiNS0_10empty_typeEbEEZZNS1_14partition_implILS5_8ELb0ES3_jN6thrust23THRUST_200600_302600_NS6detail15normal_iteratorINSA_10device_ptrIiEEEEPS6_PKS6_NS0_5tupleIJSF_S6_EEENSJ_IJSG_SG_EEENS0_18inequality_wrapperI22is_equal_div_10_uniqueIiEEEPmJS6_EEE10hipError_tPvRmT3_T4_T5_T6_T7_T9_mT8_P12ihipStream_tbDpT10_ENKUlT_T0_E_clISt17integral_constantIbLb1EES19_IbLb0EEEEDaS15_S16_EUlS15_E_NS1_11comp_targetILNS1_3genE5ELNS1_11target_archE942ELNS1_3gpuE9ELNS1_3repE0EEENS1_30default_config_static_selectorELNS0_4arch9wavefront6targetE1EEEvT1_,comdat
	.protected	_ZN7rocprim17ROCPRIM_400000_NS6detail17trampoline_kernelINS0_14default_configENS1_25partition_config_selectorILNS1_17partition_subalgoE8EiNS0_10empty_typeEbEEZZNS1_14partition_implILS5_8ELb0ES3_jN6thrust23THRUST_200600_302600_NS6detail15normal_iteratorINSA_10device_ptrIiEEEEPS6_PKS6_NS0_5tupleIJSF_S6_EEENSJ_IJSG_SG_EEENS0_18inequality_wrapperI22is_equal_div_10_uniqueIiEEEPmJS6_EEE10hipError_tPvRmT3_T4_T5_T6_T7_T9_mT8_P12ihipStream_tbDpT10_ENKUlT_T0_E_clISt17integral_constantIbLb1EES19_IbLb0EEEEDaS15_S16_EUlS15_E_NS1_11comp_targetILNS1_3genE5ELNS1_11target_archE942ELNS1_3gpuE9ELNS1_3repE0EEENS1_30default_config_static_selectorELNS0_4arch9wavefront6targetE1EEEvT1_ ; -- Begin function _ZN7rocprim17ROCPRIM_400000_NS6detail17trampoline_kernelINS0_14default_configENS1_25partition_config_selectorILNS1_17partition_subalgoE8EiNS0_10empty_typeEbEEZZNS1_14partition_implILS5_8ELb0ES3_jN6thrust23THRUST_200600_302600_NS6detail15normal_iteratorINSA_10device_ptrIiEEEEPS6_PKS6_NS0_5tupleIJSF_S6_EEENSJ_IJSG_SG_EEENS0_18inequality_wrapperI22is_equal_div_10_uniqueIiEEEPmJS6_EEE10hipError_tPvRmT3_T4_T5_T6_T7_T9_mT8_P12ihipStream_tbDpT10_ENKUlT_T0_E_clISt17integral_constantIbLb1EES19_IbLb0EEEEDaS15_S16_EUlS15_E_NS1_11comp_targetILNS1_3genE5ELNS1_11target_archE942ELNS1_3gpuE9ELNS1_3repE0EEENS1_30default_config_static_selectorELNS0_4arch9wavefront6targetE1EEEvT1_
	.globl	_ZN7rocprim17ROCPRIM_400000_NS6detail17trampoline_kernelINS0_14default_configENS1_25partition_config_selectorILNS1_17partition_subalgoE8EiNS0_10empty_typeEbEEZZNS1_14partition_implILS5_8ELb0ES3_jN6thrust23THRUST_200600_302600_NS6detail15normal_iteratorINSA_10device_ptrIiEEEEPS6_PKS6_NS0_5tupleIJSF_S6_EEENSJ_IJSG_SG_EEENS0_18inequality_wrapperI22is_equal_div_10_uniqueIiEEEPmJS6_EEE10hipError_tPvRmT3_T4_T5_T6_T7_T9_mT8_P12ihipStream_tbDpT10_ENKUlT_T0_E_clISt17integral_constantIbLb1EES19_IbLb0EEEEDaS15_S16_EUlS15_E_NS1_11comp_targetILNS1_3genE5ELNS1_11target_archE942ELNS1_3gpuE9ELNS1_3repE0EEENS1_30default_config_static_selectorELNS0_4arch9wavefront6targetE1EEEvT1_
	.p2align	8
	.type	_ZN7rocprim17ROCPRIM_400000_NS6detail17trampoline_kernelINS0_14default_configENS1_25partition_config_selectorILNS1_17partition_subalgoE8EiNS0_10empty_typeEbEEZZNS1_14partition_implILS5_8ELb0ES3_jN6thrust23THRUST_200600_302600_NS6detail15normal_iteratorINSA_10device_ptrIiEEEEPS6_PKS6_NS0_5tupleIJSF_S6_EEENSJ_IJSG_SG_EEENS0_18inequality_wrapperI22is_equal_div_10_uniqueIiEEEPmJS6_EEE10hipError_tPvRmT3_T4_T5_T6_T7_T9_mT8_P12ihipStream_tbDpT10_ENKUlT_T0_E_clISt17integral_constantIbLb1EES19_IbLb0EEEEDaS15_S16_EUlS15_E_NS1_11comp_targetILNS1_3genE5ELNS1_11target_archE942ELNS1_3gpuE9ELNS1_3repE0EEENS1_30default_config_static_selectorELNS0_4arch9wavefront6targetE1EEEvT1_,@function
_ZN7rocprim17ROCPRIM_400000_NS6detail17trampoline_kernelINS0_14default_configENS1_25partition_config_selectorILNS1_17partition_subalgoE8EiNS0_10empty_typeEbEEZZNS1_14partition_implILS5_8ELb0ES3_jN6thrust23THRUST_200600_302600_NS6detail15normal_iteratorINSA_10device_ptrIiEEEEPS6_PKS6_NS0_5tupleIJSF_S6_EEENSJ_IJSG_SG_EEENS0_18inequality_wrapperI22is_equal_div_10_uniqueIiEEEPmJS6_EEE10hipError_tPvRmT3_T4_T5_T6_T7_T9_mT8_P12ihipStream_tbDpT10_ENKUlT_T0_E_clISt17integral_constantIbLb1EES19_IbLb0EEEEDaS15_S16_EUlS15_E_NS1_11comp_targetILNS1_3genE5ELNS1_11target_archE942ELNS1_3gpuE9ELNS1_3repE0EEENS1_30default_config_static_selectorELNS0_4arch9wavefront6targetE1EEEvT1_: ; @_ZN7rocprim17ROCPRIM_400000_NS6detail17trampoline_kernelINS0_14default_configENS1_25partition_config_selectorILNS1_17partition_subalgoE8EiNS0_10empty_typeEbEEZZNS1_14partition_implILS5_8ELb0ES3_jN6thrust23THRUST_200600_302600_NS6detail15normal_iteratorINSA_10device_ptrIiEEEEPS6_PKS6_NS0_5tupleIJSF_S6_EEENSJ_IJSG_SG_EEENS0_18inequality_wrapperI22is_equal_div_10_uniqueIiEEEPmJS6_EEE10hipError_tPvRmT3_T4_T5_T6_T7_T9_mT8_P12ihipStream_tbDpT10_ENKUlT_T0_E_clISt17integral_constantIbLb1EES19_IbLb0EEEEDaS15_S16_EUlS15_E_NS1_11comp_targetILNS1_3genE5ELNS1_11target_archE942ELNS1_3gpuE9ELNS1_3repE0EEENS1_30default_config_static_selectorELNS0_4arch9wavefront6targetE1EEEvT1_
; %bb.0:
	.section	.rodata,"a",@progbits
	.p2align	6, 0x0
	.amdhsa_kernel _ZN7rocprim17ROCPRIM_400000_NS6detail17trampoline_kernelINS0_14default_configENS1_25partition_config_selectorILNS1_17partition_subalgoE8EiNS0_10empty_typeEbEEZZNS1_14partition_implILS5_8ELb0ES3_jN6thrust23THRUST_200600_302600_NS6detail15normal_iteratorINSA_10device_ptrIiEEEEPS6_PKS6_NS0_5tupleIJSF_S6_EEENSJ_IJSG_SG_EEENS0_18inequality_wrapperI22is_equal_div_10_uniqueIiEEEPmJS6_EEE10hipError_tPvRmT3_T4_T5_T6_T7_T9_mT8_P12ihipStream_tbDpT10_ENKUlT_T0_E_clISt17integral_constantIbLb1EES19_IbLb0EEEEDaS15_S16_EUlS15_E_NS1_11comp_targetILNS1_3genE5ELNS1_11target_archE942ELNS1_3gpuE9ELNS1_3repE0EEENS1_30default_config_static_selectorELNS0_4arch9wavefront6targetE1EEEvT1_
		.amdhsa_group_segment_fixed_size 0
		.amdhsa_private_segment_fixed_size 0
		.amdhsa_kernarg_size 112
		.amdhsa_user_sgpr_count 6
		.amdhsa_user_sgpr_private_segment_buffer 1
		.amdhsa_user_sgpr_dispatch_ptr 0
		.amdhsa_user_sgpr_queue_ptr 0
		.amdhsa_user_sgpr_kernarg_segment_ptr 1
		.amdhsa_user_sgpr_dispatch_id 0
		.amdhsa_user_sgpr_flat_scratch_init 0
		.amdhsa_user_sgpr_private_segment_size 0
		.amdhsa_uses_dynamic_stack 0
		.amdhsa_system_sgpr_private_segment_wavefront_offset 0
		.amdhsa_system_sgpr_workgroup_id_x 1
		.amdhsa_system_sgpr_workgroup_id_y 0
		.amdhsa_system_sgpr_workgroup_id_z 0
		.amdhsa_system_sgpr_workgroup_info 0
		.amdhsa_system_vgpr_workitem_id 0
		.amdhsa_next_free_vgpr 1
		.amdhsa_next_free_sgpr 0
		.amdhsa_reserve_vcc 0
		.amdhsa_reserve_flat_scratch 0
		.amdhsa_float_round_mode_32 0
		.amdhsa_float_round_mode_16_64 0
		.amdhsa_float_denorm_mode_32 3
		.amdhsa_float_denorm_mode_16_64 3
		.amdhsa_dx10_clamp 1
		.amdhsa_ieee_mode 1
		.amdhsa_fp16_overflow 0
		.amdhsa_exception_fp_ieee_invalid_op 0
		.amdhsa_exception_fp_denorm_src 0
		.amdhsa_exception_fp_ieee_div_zero 0
		.amdhsa_exception_fp_ieee_overflow 0
		.amdhsa_exception_fp_ieee_underflow 0
		.amdhsa_exception_fp_ieee_inexact 0
		.amdhsa_exception_int_div_zero 0
	.end_amdhsa_kernel
	.section	.text._ZN7rocprim17ROCPRIM_400000_NS6detail17trampoline_kernelINS0_14default_configENS1_25partition_config_selectorILNS1_17partition_subalgoE8EiNS0_10empty_typeEbEEZZNS1_14partition_implILS5_8ELb0ES3_jN6thrust23THRUST_200600_302600_NS6detail15normal_iteratorINSA_10device_ptrIiEEEEPS6_PKS6_NS0_5tupleIJSF_S6_EEENSJ_IJSG_SG_EEENS0_18inequality_wrapperI22is_equal_div_10_uniqueIiEEEPmJS6_EEE10hipError_tPvRmT3_T4_T5_T6_T7_T9_mT8_P12ihipStream_tbDpT10_ENKUlT_T0_E_clISt17integral_constantIbLb1EES19_IbLb0EEEEDaS15_S16_EUlS15_E_NS1_11comp_targetILNS1_3genE5ELNS1_11target_archE942ELNS1_3gpuE9ELNS1_3repE0EEENS1_30default_config_static_selectorELNS0_4arch9wavefront6targetE1EEEvT1_,"axG",@progbits,_ZN7rocprim17ROCPRIM_400000_NS6detail17trampoline_kernelINS0_14default_configENS1_25partition_config_selectorILNS1_17partition_subalgoE8EiNS0_10empty_typeEbEEZZNS1_14partition_implILS5_8ELb0ES3_jN6thrust23THRUST_200600_302600_NS6detail15normal_iteratorINSA_10device_ptrIiEEEEPS6_PKS6_NS0_5tupleIJSF_S6_EEENSJ_IJSG_SG_EEENS0_18inequality_wrapperI22is_equal_div_10_uniqueIiEEEPmJS6_EEE10hipError_tPvRmT3_T4_T5_T6_T7_T9_mT8_P12ihipStream_tbDpT10_ENKUlT_T0_E_clISt17integral_constantIbLb1EES19_IbLb0EEEEDaS15_S16_EUlS15_E_NS1_11comp_targetILNS1_3genE5ELNS1_11target_archE942ELNS1_3gpuE9ELNS1_3repE0EEENS1_30default_config_static_selectorELNS0_4arch9wavefront6targetE1EEEvT1_,comdat
.Lfunc_end453:
	.size	_ZN7rocprim17ROCPRIM_400000_NS6detail17trampoline_kernelINS0_14default_configENS1_25partition_config_selectorILNS1_17partition_subalgoE8EiNS0_10empty_typeEbEEZZNS1_14partition_implILS5_8ELb0ES3_jN6thrust23THRUST_200600_302600_NS6detail15normal_iteratorINSA_10device_ptrIiEEEEPS6_PKS6_NS0_5tupleIJSF_S6_EEENSJ_IJSG_SG_EEENS0_18inequality_wrapperI22is_equal_div_10_uniqueIiEEEPmJS6_EEE10hipError_tPvRmT3_T4_T5_T6_T7_T9_mT8_P12ihipStream_tbDpT10_ENKUlT_T0_E_clISt17integral_constantIbLb1EES19_IbLb0EEEEDaS15_S16_EUlS15_E_NS1_11comp_targetILNS1_3genE5ELNS1_11target_archE942ELNS1_3gpuE9ELNS1_3repE0EEENS1_30default_config_static_selectorELNS0_4arch9wavefront6targetE1EEEvT1_, .Lfunc_end453-_ZN7rocprim17ROCPRIM_400000_NS6detail17trampoline_kernelINS0_14default_configENS1_25partition_config_selectorILNS1_17partition_subalgoE8EiNS0_10empty_typeEbEEZZNS1_14partition_implILS5_8ELb0ES3_jN6thrust23THRUST_200600_302600_NS6detail15normal_iteratorINSA_10device_ptrIiEEEEPS6_PKS6_NS0_5tupleIJSF_S6_EEENSJ_IJSG_SG_EEENS0_18inequality_wrapperI22is_equal_div_10_uniqueIiEEEPmJS6_EEE10hipError_tPvRmT3_T4_T5_T6_T7_T9_mT8_P12ihipStream_tbDpT10_ENKUlT_T0_E_clISt17integral_constantIbLb1EES19_IbLb0EEEEDaS15_S16_EUlS15_E_NS1_11comp_targetILNS1_3genE5ELNS1_11target_archE942ELNS1_3gpuE9ELNS1_3repE0EEENS1_30default_config_static_selectorELNS0_4arch9wavefront6targetE1EEEvT1_
                                        ; -- End function
	.set _ZN7rocprim17ROCPRIM_400000_NS6detail17trampoline_kernelINS0_14default_configENS1_25partition_config_selectorILNS1_17partition_subalgoE8EiNS0_10empty_typeEbEEZZNS1_14partition_implILS5_8ELb0ES3_jN6thrust23THRUST_200600_302600_NS6detail15normal_iteratorINSA_10device_ptrIiEEEEPS6_PKS6_NS0_5tupleIJSF_S6_EEENSJ_IJSG_SG_EEENS0_18inequality_wrapperI22is_equal_div_10_uniqueIiEEEPmJS6_EEE10hipError_tPvRmT3_T4_T5_T6_T7_T9_mT8_P12ihipStream_tbDpT10_ENKUlT_T0_E_clISt17integral_constantIbLb1EES19_IbLb0EEEEDaS15_S16_EUlS15_E_NS1_11comp_targetILNS1_3genE5ELNS1_11target_archE942ELNS1_3gpuE9ELNS1_3repE0EEENS1_30default_config_static_selectorELNS0_4arch9wavefront6targetE1EEEvT1_.num_vgpr, 0
	.set _ZN7rocprim17ROCPRIM_400000_NS6detail17trampoline_kernelINS0_14default_configENS1_25partition_config_selectorILNS1_17partition_subalgoE8EiNS0_10empty_typeEbEEZZNS1_14partition_implILS5_8ELb0ES3_jN6thrust23THRUST_200600_302600_NS6detail15normal_iteratorINSA_10device_ptrIiEEEEPS6_PKS6_NS0_5tupleIJSF_S6_EEENSJ_IJSG_SG_EEENS0_18inequality_wrapperI22is_equal_div_10_uniqueIiEEEPmJS6_EEE10hipError_tPvRmT3_T4_T5_T6_T7_T9_mT8_P12ihipStream_tbDpT10_ENKUlT_T0_E_clISt17integral_constantIbLb1EES19_IbLb0EEEEDaS15_S16_EUlS15_E_NS1_11comp_targetILNS1_3genE5ELNS1_11target_archE942ELNS1_3gpuE9ELNS1_3repE0EEENS1_30default_config_static_selectorELNS0_4arch9wavefront6targetE1EEEvT1_.num_agpr, 0
	.set _ZN7rocprim17ROCPRIM_400000_NS6detail17trampoline_kernelINS0_14default_configENS1_25partition_config_selectorILNS1_17partition_subalgoE8EiNS0_10empty_typeEbEEZZNS1_14partition_implILS5_8ELb0ES3_jN6thrust23THRUST_200600_302600_NS6detail15normal_iteratorINSA_10device_ptrIiEEEEPS6_PKS6_NS0_5tupleIJSF_S6_EEENSJ_IJSG_SG_EEENS0_18inequality_wrapperI22is_equal_div_10_uniqueIiEEEPmJS6_EEE10hipError_tPvRmT3_T4_T5_T6_T7_T9_mT8_P12ihipStream_tbDpT10_ENKUlT_T0_E_clISt17integral_constantIbLb1EES19_IbLb0EEEEDaS15_S16_EUlS15_E_NS1_11comp_targetILNS1_3genE5ELNS1_11target_archE942ELNS1_3gpuE9ELNS1_3repE0EEENS1_30default_config_static_selectorELNS0_4arch9wavefront6targetE1EEEvT1_.numbered_sgpr, 0
	.set _ZN7rocprim17ROCPRIM_400000_NS6detail17trampoline_kernelINS0_14default_configENS1_25partition_config_selectorILNS1_17partition_subalgoE8EiNS0_10empty_typeEbEEZZNS1_14partition_implILS5_8ELb0ES3_jN6thrust23THRUST_200600_302600_NS6detail15normal_iteratorINSA_10device_ptrIiEEEEPS6_PKS6_NS0_5tupleIJSF_S6_EEENSJ_IJSG_SG_EEENS0_18inequality_wrapperI22is_equal_div_10_uniqueIiEEEPmJS6_EEE10hipError_tPvRmT3_T4_T5_T6_T7_T9_mT8_P12ihipStream_tbDpT10_ENKUlT_T0_E_clISt17integral_constantIbLb1EES19_IbLb0EEEEDaS15_S16_EUlS15_E_NS1_11comp_targetILNS1_3genE5ELNS1_11target_archE942ELNS1_3gpuE9ELNS1_3repE0EEENS1_30default_config_static_selectorELNS0_4arch9wavefront6targetE1EEEvT1_.num_named_barrier, 0
	.set _ZN7rocprim17ROCPRIM_400000_NS6detail17trampoline_kernelINS0_14default_configENS1_25partition_config_selectorILNS1_17partition_subalgoE8EiNS0_10empty_typeEbEEZZNS1_14partition_implILS5_8ELb0ES3_jN6thrust23THRUST_200600_302600_NS6detail15normal_iteratorINSA_10device_ptrIiEEEEPS6_PKS6_NS0_5tupleIJSF_S6_EEENSJ_IJSG_SG_EEENS0_18inequality_wrapperI22is_equal_div_10_uniqueIiEEEPmJS6_EEE10hipError_tPvRmT3_T4_T5_T6_T7_T9_mT8_P12ihipStream_tbDpT10_ENKUlT_T0_E_clISt17integral_constantIbLb1EES19_IbLb0EEEEDaS15_S16_EUlS15_E_NS1_11comp_targetILNS1_3genE5ELNS1_11target_archE942ELNS1_3gpuE9ELNS1_3repE0EEENS1_30default_config_static_selectorELNS0_4arch9wavefront6targetE1EEEvT1_.private_seg_size, 0
	.set _ZN7rocprim17ROCPRIM_400000_NS6detail17trampoline_kernelINS0_14default_configENS1_25partition_config_selectorILNS1_17partition_subalgoE8EiNS0_10empty_typeEbEEZZNS1_14partition_implILS5_8ELb0ES3_jN6thrust23THRUST_200600_302600_NS6detail15normal_iteratorINSA_10device_ptrIiEEEEPS6_PKS6_NS0_5tupleIJSF_S6_EEENSJ_IJSG_SG_EEENS0_18inequality_wrapperI22is_equal_div_10_uniqueIiEEEPmJS6_EEE10hipError_tPvRmT3_T4_T5_T6_T7_T9_mT8_P12ihipStream_tbDpT10_ENKUlT_T0_E_clISt17integral_constantIbLb1EES19_IbLb0EEEEDaS15_S16_EUlS15_E_NS1_11comp_targetILNS1_3genE5ELNS1_11target_archE942ELNS1_3gpuE9ELNS1_3repE0EEENS1_30default_config_static_selectorELNS0_4arch9wavefront6targetE1EEEvT1_.uses_vcc, 0
	.set _ZN7rocprim17ROCPRIM_400000_NS6detail17trampoline_kernelINS0_14default_configENS1_25partition_config_selectorILNS1_17partition_subalgoE8EiNS0_10empty_typeEbEEZZNS1_14partition_implILS5_8ELb0ES3_jN6thrust23THRUST_200600_302600_NS6detail15normal_iteratorINSA_10device_ptrIiEEEEPS6_PKS6_NS0_5tupleIJSF_S6_EEENSJ_IJSG_SG_EEENS0_18inequality_wrapperI22is_equal_div_10_uniqueIiEEEPmJS6_EEE10hipError_tPvRmT3_T4_T5_T6_T7_T9_mT8_P12ihipStream_tbDpT10_ENKUlT_T0_E_clISt17integral_constantIbLb1EES19_IbLb0EEEEDaS15_S16_EUlS15_E_NS1_11comp_targetILNS1_3genE5ELNS1_11target_archE942ELNS1_3gpuE9ELNS1_3repE0EEENS1_30default_config_static_selectorELNS0_4arch9wavefront6targetE1EEEvT1_.uses_flat_scratch, 0
	.set _ZN7rocprim17ROCPRIM_400000_NS6detail17trampoline_kernelINS0_14default_configENS1_25partition_config_selectorILNS1_17partition_subalgoE8EiNS0_10empty_typeEbEEZZNS1_14partition_implILS5_8ELb0ES3_jN6thrust23THRUST_200600_302600_NS6detail15normal_iteratorINSA_10device_ptrIiEEEEPS6_PKS6_NS0_5tupleIJSF_S6_EEENSJ_IJSG_SG_EEENS0_18inequality_wrapperI22is_equal_div_10_uniqueIiEEEPmJS6_EEE10hipError_tPvRmT3_T4_T5_T6_T7_T9_mT8_P12ihipStream_tbDpT10_ENKUlT_T0_E_clISt17integral_constantIbLb1EES19_IbLb0EEEEDaS15_S16_EUlS15_E_NS1_11comp_targetILNS1_3genE5ELNS1_11target_archE942ELNS1_3gpuE9ELNS1_3repE0EEENS1_30default_config_static_selectorELNS0_4arch9wavefront6targetE1EEEvT1_.has_dyn_sized_stack, 0
	.set _ZN7rocprim17ROCPRIM_400000_NS6detail17trampoline_kernelINS0_14default_configENS1_25partition_config_selectorILNS1_17partition_subalgoE8EiNS0_10empty_typeEbEEZZNS1_14partition_implILS5_8ELb0ES3_jN6thrust23THRUST_200600_302600_NS6detail15normal_iteratorINSA_10device_ptrIiEEEEPS6_PKS6_NS0_5tupleIJSF_S6_EEENSJ_IJSG_SG_EEENS0_18inequality_wrapperI22is_equal_div_10_uniqueIiEEEPmJS6_EEE10hipError_tPvRmT3_T4_T5_T6_T7_T9_mT8_P12ihipStream_tbDpT10_ENKUlT_T0_E_clISt17integral_constantIbLb1EES19_IbLb0EEEEDaS15_S16_EUlS15_E_NS1_11comp_targetILNS1_3genE5ELNS1_11target_archE942ELNS1_3gpuE9ELNS1_3repE0EEENS1_30default_config_static_selectorELNS0_4arch9wavefront6targetE1EEEvT1_.has_recursion, 0
	.set _ZN7rocprim17ROCPRIM_400000_NS6detail17trampoline_kernelINS0_14default_configENS1_25partition_config_selectorILNS1_17partition_subalgoE8EiNS0_10empty_typeEbEEZZNS1_14partition_implILS5_8ELb0ES3_jN6thrust23THRUST_200600_302600_NS6detail15normal_iteratorINSA_10device_ptrIiEEEEPS6_PKS6_NS0_5tupleIJSF_S6_EEENSJ_IJSG_SG_EEENS0_18inequality_wrapperI22is_equal_div_10_uniqueIiEEEPmJS6_EEE10hipError_tPvRmT3_T4_T5_T6_T7_T9_mT8_P12ihipStream_tbDpT10_ENKUlT_T0_E_clISt17integral_constantIbLb1EES19_IbLb0EEEEDaS15_S16_EUlS15_E_NS1_11comp_targetILNS1_3genE5ELNS1_11target_archE942ELNS1_3gpuE9ELNS1_3repE0EEENS1_30default_config_static_selectorELNS0_4arch9wavefront6targetE1EEEvT1_.has_indirect_call, 0
	.section	.AMDGPU.csdata,"",@progbits
; Kernel info:
; codeLenInByte = 0
; TotalNumSgprs: 4
; NumVgprs: 0
; ScratchSize: 0
; MemoryBound: 0
; FloatMode: 240
; IeeeMode: 1
; LDSByteSize: 0 bytes/workgroup (compile time only)
; SGPRBlocks: 0
; VGPRBlocks: 0
; NumSGPRsForWavesPerEU: 4
; NumVGPRsForWavesPerEU: 1
; Occupancy: 10
; WaveLimiterHint : 0
; COMPUTE_PGM_RSRC2:SCRATCH_EN: 0
; COMPUTE_PGM_RSRC2:USER_SGPR: 6
; COMPUTE_PGM_RSRC2:TRAP_HANDLER: 0
; COMPUTE_PGM_RSRC2:TGID_X_EN: 1
; COMPUTE_PGM_RSRC2:TGID_Y_EN: 0
; COMPUTE_PGM_RSRC2:TGID_Z_EN: 0
; COMPUTE_PGM_RSRC2:TIDIG_COMP_CNT: 0
	.section	.text._ZN7rocprim17ROCPRIM_400000_NS6detail17trampoline_kernelINS0_14default_configENS1_25partition_config_selectorILNS1_17partition_subalgoE8EiNS0_10empty_typeEbEEZZNS1_14partition_implILS5_8ELb0ES3_jN6thrust23THRUST_200600_302600_NS6detail15normal_iteratorINSA_10device_ptrIiEEEEPS6_PKS6_NS0_5tupleIJSF_S6_EEENSJ_IJSG_SG_EEENS0_18inequality_wrapperI22is_equal_div_10_uniqueIiEEEPmJS6_EEE10hipError_tPvRmT3_T4_T5_T6_T7_T9_mT8_P12ihipStream_tbDpT10_ENKUlT_T0_E_clISt17integral_constantIbLb1EES19_IbLb0EEEEDaS15_S16_EUlS15_E_NS1_11comp_targetILNS1_3genE4ELNS1_11target_archE910ELNS1_3gpuE8ELNS1_3repE0EEENS1_30default_config_static_selectorELNS0_4arch9wavefront6targetE1EEEvT1_,"axG",@progbits,_ZN7rocprim17ROCPRIM_400000_NS6detail17trampoline_kernelINS0_14default_configENS1_25partition_config_selectorILNS1_17partition_subalgoE8EiNS0_10empty_typeEbEEZZNS1_14partition_implILS5_8ELb0ES3_jN6thrust23THRUST_200600_302600_NS6detail15normal_iteratorINSA_10device_ptrIiEEEEPS6_PKS6_NS0_5tupleIJSF_S6_EEENSJ_IJSG_SG_EEENS0_18inequality_wrapperI22is_equal_div_10_uniqueIiEEEPmJS6_EEE10hipError_tPvRmT3_T4_T5_T6_T7_T9_mT8_P12ihipStream_tbDpT10_ENKUlT_T0_E_clISt17integral_constantIbLb1EES19_IbLb0EEEEDaS15_S16_EUlS15_E_NS1_11comp_targetILNS1_3genE4ELNS1_11target_archE910ELNS1_3gpuE8ELNS1_3repE0EEENS1_30default_config_static_selectorELNS0_4arch9wavefront6targetE1EEEvT1_,comdat
	.protected	_ZN7rocprim17ROCPRIM_400000_NS6detail17trampoline_kernelINS0_14default_configENS1_25partition_config_selectorILNS1_17partition_subalgoE8EiNS0_10empty_typeEbEEZZNS1_14partition_implILS5_8ELb0ES3_jN6thrust23THRUST_200600_302600_NS6detail15normal_iteratorINSA_10device_ptrIiEEEEPS6_PKS6_NS0_5tupleIJSF_S6_EEENSJ_IJSG_SG_EEENS0_18inequality_wrapperI22is_equal_div_10_uniqueIiEEEPmJS6_EEE10hipError_tPvRmT3_T4_T5_T6_T7_T9_mT8_P12ihipStream_tbDpT10_ENKUlT_T0_E_clISt17integral_constantIbLb1EES19_IbLb0EEEEDaS15_S16_EUlS15_E_NS1_11comp_targetILNS1_3genE4ELNS1_11target_archE910ELNS1_3gpuE8ELNS1_3repE0EEENS1_30default_config_static_selectorELNS0_4arch9wavefront6targetE1EEEvT1_ ; -- Begin function _ZN7rocprim17ROCPRIM_400000_NS6detail17trampoline_kernelINS0_14default_configENS1_25partition_config_selectorILNS1_17partition_subalgoE8EiNS0_10empty_typeEbEEZZNS1_14partition_implILS5_8ELb0ES3_jN6thrust23THRUST_200600_302600_NS6detail15normal_iteratorINSA_10device_ptrIiEEEEPS6_PKS6_NS0_5tupleIJSF_S6_EEENSJ_IJSG_SG_EEENS0_18inequality_wrapperI22is_equal_div_10_uniqueIiEEEPmJS6_EEE10hipError_tPvRmT3_T4_T5_T6_T7_T9_mT8_P12ihipStream_tbDpT10_ENKUlT_T0_E_clISt17integral_constantIbLb1EES19_IbLb0EEEEDaS15_S16_EUlS15_E_NS1_11comp_targetILNS1_3genE4ELNS1_11target_archE910ELNS1_3gpuE8ELNS1_3repE0EEENS1_30default_config_static_selectorELNS0_4arch9wavefront6targetE1EEEvT1_
	.globl	_ZN7rocprim17ROCPRIM_400000_NS6detail17trampoline_kernelINS0_14default_configENS1_25partition_config_selectorILNS1_17partition_subalgoE8EiNS0_10empty_typeEbEEZZNS1_14partition_implILS5_8ELb0ES3_jN6thrust23THRUST_200600_302600_NS6detail15normal_iteratorINSA_10device_ptrIiEEEEPS6_PKS6_NS0_5tupleIJSF_S6_EEENSJ_IJSG_SG_EEENS0_18inequality_wrapperI22is_equal_div_10_uniqueIiEEEPmJS6_EEE10hipError_tPvRmT3_T4_T5_T6_T7_T9_mT8_P12ihipStream_tbDpT10_ENKUlT_T0_E_clISt17integral_constantIbLb1EES19_IbLb0EEEEDaS15_S16_EUlS15_E_NS1_11comp_targetILNS1_3genE4ELNS1_11target_archE910ELNS1_3gpuE8ELNS1_3repE0EEENS1_30default_config_static_selectorELNS0_4arch9wavefront6targetE1EEEvT1_
	.p2align	8
	.type	_ZN7rocprim17ROCPRIM_400000_NS6detail17trampoline_kernelINS0_14default_configENS1_25partition_config_selectorILNS1_17partition_subalgoE8EiNS0_10empty_typeEbEEZZNS1_14partition_implILS5_8ELb0ES3_jN6thrust23THRUST_200600_302600_NS6detail15normal_iteratorINSA_10device_ptrIiEEEEPS6_PKS6_NS0_5tupleIJSF_S6_EEENSJ_IJSG_SG_EEENS0_18inequality_wrapperI22is_equal_div_10_uniqueIiEEEPmJS6_EEE10hipError_tPvRmT3_T4_T5_T6_T7_T9_mT8_P12ihipStream_tbDpT10_ENKUlT_T0_E_clISt17integral_constantIbLb1EES19_IbLb0EEEEDaS15_S16_EUlS15_E_NS1_11comp_targetILNS1_3genE4ELNS1_11target_archE910ELNS1_3gpuE8ELNS1_3repE0EEENS1_30default_config_static_selectorELNS0_4arch9wavefront6targetE1EEEvT1_,@function
_ZN7rocprim17ROCPRIM_400000_NS6detail17trampoline_kernelINS0_14default_configENS1_25partition_config_selectorILNS1_17partition_subalgoE8EiNS0_10empty_typeEbEEZZNS1_14partition_implILS5_8ELb0ES3_jN6thrust23THRUST_200600_302600_NS6detail15normal_iteratorINSA_10device_ptrIiEEEEPS6_PKS6_NS0_5tupleIJSF_S6_EEENSJ_IJSG_SG_EEENS0_18inequality_wrapperI22is_equal_div_10_uniqueIiEEEPmJS6_EEE10hipError_tPvRmT3_T4_T5_T6_T7_T9_mT8_P12ihipStream_tbDpT10_ENKUlT_T0_E_clISt17integral_constantIbLb1EES19_IbLb0EEEEDaS15_S16_EUlS15_E_NS1_11comp_targetILNS1_3genE4ELNS1_11target_archE910ELNS1_3gpuE8ELNS1_3repE0EEENS1_30default_config_static_selectorELNS0_4arch9wavefront6targetE1EEEvT1_: ; @_ZN7rocprim17ROCPRIM_400000_NS6detail17trampoline_kernelINS0_14default_configENS1_25partition_config_selectorILNS1_17partition_subalgoE8EiNS0_10empty_typeEbEEZZNS1_14partition_implILS5_8ELb0ES3_jN6thrust23THRUST_200600_302600_NS6detail15normal_iteratorINSA_10device_ptrIiEEEEPS6_PKS6_NS0_5tupleIJSF_S6_EEENSJ_IJSG_SG_EEENS0_18inequality_wrapperI22is_equal_div_10_uniqueIiEEEPmJS6_EEE10hipError_tPvRmT3_T4_T5_T6_T7_T9_mT8_P12ihipStream_tbDpT10_ENKUlT_T0_E_clISt17integral_constantIbLb1EES19_IbLb0EEEEDaS15_S16_EUlS15_E_NS1_11comp_targetILNS1_3genE4ELNS1_11target_archE910ELNS1_3gpuE8ELNS1_3repE0EEENS1_30default_config_static_selectorELNS0_4arch9wavefront6targetE1EEEvT1_
; %bb.0:
	.section	.rodata,"a",@progbits
	.p2align	6, 0x0
	.amdhsa_kernel _ZN7rocprim17ROCPRIM_400000_NS6detail17trampoline_kernelINS0_14default_configENS1_25partition_config_selectorILNS1_17partition_subalgoE8EiNS0_10empty_typeEbEEZZNS1_14partition_implILS5_8ELb0ES3_jN6thrust23THRUST_200600_302600_NS6detail15normal_iteratorINSA_10device_ptrIiEEEEPS6_PKS6_NS0_5tupleIJSF_S6_EEENSJ_IJSG_SG_EEENS0_18inequality_wrapperI22is_equal_div_10_uniqueIiEEEPmJS6_EEE10hipError_tPvRmT3_T4_T5_T6_T7_T9_mT8_P12ihipStream_tbDpT10_ENKUlT_T0_E_clISt17integral_constantIbLb1EES19_IbLb0EEEEDaS15_S16_EUlS15_E_NS1_11comp_targetILNS1_3genE4ELNS1_11target_archE910ELNS1_3gpuE8ELNS1_3repE0EEENS1_30default_config_static_selectorELNS0_4arch9wavefront6targetE1EEEvT1_
		.amdhsa_group_segment_fixed_size 0
		.amdhsa_private_segment_fixed_size 0
		.amdhsa_kernarg_size 112
		.amdhsa_user_sgpr_count 6
		.amdhsa_user_sgpr_private_segment_buffer 1
		.amdhsa_user_sgpr_dispatch_ptr 0
		.amdhsa_user_sgpr_queue_ptr 0
		.amdhsa_user_sgpr_kernarg_segment_ptr 1
		.amdhsa_user_sgpr_dispatch_id 0
		.amdhsa_user_sgpr_flat_scratch_init 0
		.amdhsa_user_sgpr_private_segment_size 0
		.amdhsa_uses_dynamic_stack 0
		.amdhsa_system_sgpr_private_segment_wavefront_offset 0
		.amdhsa_system_sgpr_workgroup_id_x 1
		.amdhsa_system_sgpr_workgroup_id_y 0
		.amdhsa_system_sgpr_workgroup_id_z 0
		.amdhsa_system_sgpr_workgroup_info 0
		.amdhsa_system_vgpr_workitem_id 0
		.amdhsa_next_free_vgpr 1
		.amdhsa_next_free_sgpr 0
		.amdhsa_reserve_vcc 0
		.amdhsa_reserve_flat_scratch 0
		.amdhsa_float_round_mode_32 0
		.amdhsa_float_round_mode_16_64 0
		.amdhsa_float_denorm_mode_32 3
		.amdhsa_float_denorm_mode_16_64 3
		.amdhsa_dx10_clamp 1
		.amdhsa_ieee_mode 1
		.amdhsa_fp16_overflow 0
		.amdhsa_exception_fp_ieee_invalid_op 0
		.amdhsa_exception_fp_denorm_src 0
		.amdhsa_exception_fp_ieee_div_zero 0
		.amdhsa_exception_fp_ieee_overflow 0
		.amdhsa_exception_fp_ieee_underflow 0
		.amdhsa_exception_fp_ieee_inexact 0
		.amdhsa_exception_int_div_zero 0
	.end_amdhsa_kernel
	.section	.text._ZN7rocprim17ROCPRIM_400000_NS6detail17trampoline_kernelINS0_14default_configENS1_25partition_config_selectorILNS1_17partition_subalgoE8EiNS0_10empty_typeEbEEZZNS1_14partition_implILS5_8ELb0ES3_jN6thrust23THRUST_200600_302600_NS6detail15normal_iteratorINSA_10device_ptrIiEEEEPS6_PKS6_NS0_5tupleIJSF_S6_EEENSJ_IJSG_SG_EEENS0_18inequality_wrapperI22is_equal_div_10_uniqueIiEEEPmJS6_EEE10hipError_tPvRmT3_T4_T5_T6_T7_T9_mT8_P12ihipStream_tbDpT10_ENKUlT_T0_E_clISt17integral_constantIbLb1EES19_IbLb0EEEEDaS15_S16_EUlS15_E_NS1_11comp_targetILNS1_3genE4ELNS1_11target_archE910ELNS1_3gpuE8ELNS1_3repE0EEENS1_30default_config_static_selectorELNS0_4arch9wavefront6targetE1EEEvT1_,"axG",@progbits,_ZN7rocprim17ROCPRIM_400000_NS6detail17trampoline_kernelINS0_14default_configENS1_25partition_config_selectorILNS1_17partition_subalgoE8EiNS0_10empty_typeEbEEZZNS1_14partition_implILS5_8ELb0ES3_jN6thrust23THRUST_200600_302600_NS6detail15normal_iteratorINSA_10device_ptrIiEEEEPS6_PKS6_NS0_5tupleIJSF_S6_EEENSJ_IJSG_SG_EEENS0_18inequality_wrapperI22is_equal_div_10_uniqueIiEEEPmJS6_EEE10hipError_tPvRmT3_T4_T5_T6_T7_T9_mT8_P12ihipStream_tbDpT10_ENKUlT_T0_E_clISt17integral_constantIbLb1EES19_IbLb0EEEEDaS15_S16_EUlS15_E_NS1_11comp_targetILNS1_3genE4ELNS1_11target_archE910ELNS1_3gpuE8ELNS1_3repE0EEENS1_30default_config_static_selectorELNS0_4arch9wavefront6targetE1EEEvT1_,comdat
.Lfunc_end454:
	.size	_ZN7rocprim17ROCPRIM_400000_NS6detail17trampoline_kernelINS0_14default_configENS1_25partition_config_selectorILNS1_17partition_subalgoE8EiNS0_10empty_typeEbEEZZNS1_14partition_implILS5_8ELb0ES3_jN6thrust23THRUST_200600_302600_NS6detail15normal_iteratorINSA_10device_ptrIiEEEEPS6_PKS6_NS0_5tupleIJSF_S6_EEENSJ_IJSG_SG_EEENS0_18inequality_wrapperI22is_equal_div_10_uniqueIiEEEPmJS6_EEE10hipError_tPvRmT3_T4_T5_T6_T7_T9_mT8_P12ihipStream_tbDpT10_ENKUlT_T0_E_clISt17integral_constantIbLb1EES19_IbLb0EEEEDaS15_S16_EUlS15_E_NS1_11comp_targetILNS1_3genE4ELNS1_11target_archE910ELNS1_3gpuE8ELNS1_3repE0EEENS1_30default_config_static_selectorELNS0_4arch9wavefront6targetE1EEEvT1_, .Lfunc_end454-_ZN7rocprim17ROCPRIM_400000_NS6detail17trampoline_kernelINS0_14default_configENS1_25partition_config_selectorILNS1_17partition_subalgoE8EiNS0_10empty_typeEbEEZZNS1_14partition_implILS5_8ELb0ES3_jN6thrust23THRUST_200600_302600_NS6detail15normal_iteratorINSA_10device_ptrIiEEEEPS6_PKS6_NS0_5tupleIJSF_S6_EEENSJ_IJSG_SG_EEENS0_18inequality_wrapperI22is_equal_div_10_uniqueIiEEEPmJS6_EEE10hipError_tPvRmT3_T4_T5_T6_T7_T9_mT8_P12ihipStream_tbDpT10_ENKUlT_T0_E_clISt17integral_constantIbLb1EES19_IbLb0EEEEDaS15_S16_EUlS15_E_NS1_11comp_targetILNS1_3genE4ELNS1_11target_archE910ELNS1_3gpuE8ELNS1_3repE0EEENS1_30default_config_static_selectorELNS0_4arch9wavefront6targetE1EEEvT1_
                                        ; -- End function
	.set _ZN7rocprim17ROCPRIM_400000_NS6detail17trampoline_kernelINS0_14default_configENS1_25partition_config_selectorILNS1_17partition_subalgoE8EiNS0_10empty_typeEbEEZZNS1_14partition_implILS5_8ELb0ES3_jN6thrust23THRUST_200600_302600_NS6detail15normal_iteratorINSA_10device_ptrIiEEEEPS6_PKS6_NS0_5tupleIJSF_S6_EEENSJ_IJSG_SG_EEENS0_18inequality_wrapperI22is_equal_div_10_uniqueIiEEEPmJS6_EEE10hipError_tPvRmT3_T4_T5_T6_T7_T9_mT8_P12ihipStream_tbDpT10_ENKUlT_T0_E_clISt17integral_constantIbLb1EES19_IbLb0EEEEDaS15_S16_EUlS15_E_NS1_11comp_targetILNS1_3genE4ELNS1_11target_archE910ELNS1_3gpuE8ELNS1_3repE0EEENS1_30default_config_static_selectorELNS0_4arch9wavefront6targetE1EEEvT1_.num_vgpr, 0
	.set _ZN7rocprim17ROCPRIM_400000_NS6detail17trampoline_kernelINS0_14default_configENS1_25partition_config_selectorILNS1_17partition_subalgoE8EiNS0_10empty_typeEbEEZZNS1_14partition_implILS5_8ELb0ES3_jN6thrust23THRUST_200600_302600_NS6detail15normal_iteratorINSA_10device_ptrIiEEEEPS6_PKS6_NS0_5tupleIJSF_S6_EEENSJ_IJSG_SG_EEENS0_18inequality_wrapperI22is_equal_div_10_uniqueIiEEEPmJS6_EEE10hipError_tPvRmT3_T4_T5_T6_T7_T9_mT8_P12ihipStream_tbDpT10_ENKUlT_T0_E_clISt17integral_constantIbLb1EES19_IbLb0EEEEDaS15_S16_EUlS15_E_NS1_11comp_targetILNS1_3genE4ELNS1_11target_archE910ELNS1_3gpuE8ELNS1_3repE0EEENS1_30default_config_static_selectorELNS0_4arch9wavefront6targetE1EEEvT1_.num_agpr, 0
	.set _ZN7rocprim17ROCPRIM_400000_NS6detail17trampoline_kernelINS0_14default_configENS1_25partition_config_selectorILNS1_17partition_subalgoE8EiNS0_10empty_typeEbEEZZNS1_14partition_implILS5_8ELb0ES3_jN6thrust23THRUST_200600_302600_NS6detail15normal_iteratorINSA_10device_ptrIiEEEEPS6_PKS6_NS0_5tupleIJSF_S6_EEENSJ_IJSG_SG_EEENS0_18inequality_wrapperI22is_equal_div_10_uniqueIiEEEPmJS6_EEE10hipError_tPvRmT3_T4_T5_T6_T7_T9_mT8_P12ihipStream_tbDpT10_ENKUlT_T0_E_clISt17integral_constantIbLb1EES19_IbLb0EEEEDaS15_S16_EUlS15_E_NS1_11comp_targetILNS1_3genE4ELNS1_11target_archE910ELNS1_3gpuE8ELNS1_3repE0EEENS1_30default_config_static_selectorELNS0_4arch9wavefront6targetE1EEEvT1_.numbered_sgpr, 0
	.set _ZN7rocprim17ROCPRIM_400000_NS6detail17trampoline_kernelINS0_14default_configENS1_25partition_config_selectorILNS1_17partition_subalgoE8EiNS0_10empty_typeEbEEZZNS1_14partition_implILS5_8ELb0ES3_jN6thrust23THRUST_200600_302600_NS6detail15normal_iteratorINSA_10device_ptrIiEEEEPS6_PKS6_NS0_5tupleIJSF_S6_EEENSJ_IJSG_SG_EEENS0_18inequality_wrapperI22is_equal_div_10_uniqueIiEEEPmJS6_EEE10hipError_tPvRmT3_T4_T5_T6_T7_T9_mT8_P12ihipStream_tbDpT10_ENKUlT_T0_E_clISt17integral_constantIbLb1EES19_IbLb0EEEEDaS15_S16_EUlS15_E_NS1_11comp_targetILNS1_3genE4ELNS1_11target_archE910ELNS1_3gpuE8ELNS1_3repE0EEENS1_30default_config_static_selectorELNS0_4arch9wavefront6targetE1EEEvT1_.num_named_barrier, 0
	.set _ZN7rocprim17ROCPRIM_400000_NS6detail17trampoline_kernelINS0_14default_configENS1_25partition_config_selectorILNS1_17partition_subalgoE8EiNS0_10empty_typeEbEEZZNS1_14partition_implILS5_8ELb0ES3_jN6thrust23THRUST_200600_302600_NS6detail15normal_iteratorINSA_10device_ptrIiEEEEPS6_PKS6_NS0_5tupleIJSF_S6_EEENSJ_IJSG_SG_EEENS0_18inequality_wrapperI22is_equal_div_10_uniqueIiEEEPmJS6_EEE10hipError_tPvRmT3_T4_T5_T6_T7_T9_mT8_P12ihipStream_tbDpT10_ENKUlT_T0_E_clISt17integral_constantIbLb1EES19_IbLb0EEEEDaS15_S16_EUlS15_E_NS1_11comp_targetILNS1_3genE4ELNS1_11target_archE910ELNS1_3gpuE8ELNS1_3repE0EEENS1_30default_config_static_selectorELNS0_4arch9wavefront6targetE1EEEvT1_.private_seg_size, 0
	.set _ZN7rocprim17ROCPRIM_400000_NS6detail17trampoline_kernelINS0_14default_configENS1_25partition_config_selectorILNS1_17partition_subalgoE8EiNS0_10empty_typeEbEEZZNS1_14partition_implILS5_8ELb0ES3_jN6thrust23THRUST_200600_302600_NS6detail15normal_iteratorINSA_10device_ptrIiEEEEPS6_PKS6_NS0_5tupleIJSF_S6_EEENSJ_IJSG_SG_EEENS0_18inequality_wrapperI22is_equal_div_10_uniqueIiEEEPmJS6_EEE10hipError_tPvRmT3_T4_T5_T6_T7_T9_mT8_P12ihipStream_tbDpT10_ENKUlT_T0_E_clISt17integral_constantIbLb1EES19_IbLb0EEEEDaS15_S16_EUlS15_E_NS1_11comp_targetILNS1_3genE4ELNS1_11target_archE910ELNS1_3gpuE8ELNS1_3repE0EEENS1_30default_config_static_selectorELNS0_4arch9wavefront6targetE1EEEvT1_.uses_vcc, 0
	.set _ZN7rocprim17ROCPRIM_400000_NS6detail17trampoline_kernelINS0_14default_configENS1_25partition_config_selectorILNS1_17partition_subalgoE8EiNS0_10empty_typeEbEEZZNS1_14partition_implILS5_8ELb0ES3_jN6thrust23THRUST_200600_302600_NS6detail15normal_iteratorINSA_10device_ptrIiEEEEPS6_PKS6_NS0_5tupleIJSF_S6_EEENSJ_IJSG_SG_EEENS0_18inequality_wrapperI22is_equal_div_10_uniqueIiEEEPmJS6_EEE10hipError_tPvRmT3_T4_T5_T6_T7_T9_mT8_P12ihipStream_tbDpT10_ENKUlT_T0_E_clISt17integral_constantIbLb1EES19_IbLb0EEEEDaS15_S16_EUlS15_E_NS1_11comp_targetILNS1_3genE4ELNS1_11target_archE910ELNS1_3gpuE8ELNS1_3repE0EEENS1_30default_config_static_selectorELNS0_4arch9wavefront6targetE1EEEvT1_.uses_flat_scratch, 0
	.set _ZN7rocprim17ROCPRIM_400000_NS6detail17trampoline_kernelINS0_14default_configENS1_25partition_config_selectorILNS1_17partition_subalgoE8EiNS0_10empty_typeEbEEZZNS1_14partition_implILS5_8ELb0ES3_jN6thrust23THRUST_200600_302600_NS6detail15normal_iteratorINSA_10device_ptrIiEEEEPS6_PKS6_NS0_5tupleIJSF_S6_EEENSJ_IJSG_SG_EEENS0_18inequality_wrapperI22is_equal_div_10_uniqueIiEEEPmJS6_EEE10hipError_tPvRmT3_T4_T5_T6_T7_T9_mT8_P12ihipStream_tbDpT10_ENKUlT_T0_E_clISt17integral_constantIbLb1EES19_IbLb0EEEEDaS15_S16_EUlS15_E_NS1_11comp_targetILNS1_3genE4ELNS1_11target_archE910ELNS1_3gpuE8ELNS1_3repE0EEENS1_30default_config_static_selectorELNS0_4arch9wavefront6targetE1EEEvT1_.has_dyn_sized_stack, 0
	.set _ZN7rocprim17ROCPRIM_400000_NS6detail17trampoline_kernelINS0_14default_configENS1_25partition_config_selectorILNS1_17partition_subalgoE8EiNS0_10empty_typeEbEEZZNS1_14partition_implILS5_8ELb0ES3_jN6thrust23THRUST_200600_302600_NS6detail15normal_iteratorINSA_10device_ptrIiEEEEPS6_PKS6_NS0_5tupleIJSF_S6_EEENSJ_IJSG_SG_EEENS0_18inequality_wrapperI22is_equal_div_10_uniqueIiEEEPmJS6_EEE10hipError_tPvRmT3_T4_T5_T6_T7_T9_mT8_P12ihipStream_tbDpT10_ENKUlT_T0_E_clISt17integral_constantIbLb1EES19_IbLb0EEEEDaS15_S16_EUlS15_E_NS1_11comp_targetILNS1_3genE4ELNS1_11target_archE910ELNS1_3gpuE8ELNS1_3repE0EEENS1_30default_config_static_selectorELNS0_4arch9wavefront6targetE1EEEvT1_.has_recursion, 0
	.set _ZN7rocprim17ROCPRIM_400000_NS6detail17trampoline_kernelINS0_14default_configENS1_25partition_config_selectorILNS1_17partition_subalgoE8EiNS0_10empty_typeEbEEZZNS1_14partition_implILS5_8ELb0ES3_jN6thrust23THRUST_200600_302600_NS6detail15normal_iteratorINSA_10device_ptrIiEEEEPS6_PKS6_NS0_5tupleIJSF_S6_EEENSJ_IJSG_SG_EEENS0_18inequality_wrapperI22is_equal_div_10_uniqueIiEEEPmJS6_EEE10hipError_tPvRmT3_T4_T5_T6_T7_T9_mT8_P12ihipStream_tbDpT10_ENKUlT_T0_E_clISt17integral_constantIbLb1EES19_IbLb0EEEEDaS15_S16_EUlS15_E_NS1_11comp_targetILNS1_3genE4ELNS1_11target_archE910ELNS1_3gpuE8ELNS1_3repE0EEENS1_30default_config_static_selectorELNS0_4arch9wavefront6targetE1EEEvT1_.has_indirect_call, 0
	.section	.AMDGPU.csdata,"",@progbits
; Kernel info:
; codeLenInByte = 0
; TotalNumSgprs: 4
; NumVgprs: 0
; ScratchSize: 0
; MemoryBound: 0
; FloatMode: 240
; IeeeMode: 1
; LDSByteSize: 0 bytes/workgroup (compile time only)
; SGPRBlocks: 0
; VGPRBlocks: 0
; NumSGPRsForWavesPerEU: 4
; NumVGPRsForWavesPerEU: 1
; Occupancy: 10
; WaveLimiterHint : 0
; COMPUTE_PGM_RSRC2:SCRATCH_EN: 0
; COMPUTE_PGM_RSRC2:USER_SGPR: 6
; COMPUTE_PGM_RSRC2:TRAP_HANDLER: 0
; COMPUTE_PGM_RSRC2:TGID_X_EN: 1
; COMPUTE_PGM_RSRC2:TGID_Y_EN: 0
; COMPUTE_PGM_RSRC2:TGID_Z_EN: 0
; COMPUTE_PGM_RSRC2:TIDIG_COMP_CNT: 0
	.section	.text._ZN7rocprim17ROCPRIM_400000_NS6detail17trampoline_kernelINS0_14default_configENS1_25partition_config_selectorILNS1_17partition_subalgoE8EiNS0_10empty_typeEbEEZZNS1_14partition_implILS5_8ELb0ES3_jN6thrust23THRUST_200600_302600_NS6detail15normal_iteratorINSA_10device_ptrIiEEEEPS6_PKS6_NS0_5tupleIJSF_S6_EEENSJ_IJSG_SG_EEENS0_18inequality_wrapperI22is_equal_div_10_uniqueIiEEEPmJS6_EEE10hipError_tPvRmT3_T4_T5_T6_T7_T9_mT8_P12ihipStream_tbDpT10_ENKUlT_T0_E_clISt17integral_constantIbLb1EES19_IbLb0EEEEDaS15_S16_EUlS15_E_NS1_11comp_targetILNS1_3genE3ELNS1_11target_archE908ELNS1_3gpuE7ELNS1_3repE0EEENS1_30default_config_static_selectorELNS0_4arch9wavefront6targetE1EEEvT1_,"axG",@progbits,_ZN7rocprim17ROCPRIM_400000_NS6detail17trampoline_kernelINS0_14default_configENS1_25partition_config_selectorILNS1_17partition_subalgoE8EiNS0_10empty_typeEbEEZZNS1_14partition_implILS5_8ELb0ES3_jN6thrust23THRUST_200600_302600_NS6detail15normal_iteratorINSA_10device_ptrIiEEEEPS6_PKS6_NS0_5tupleIJSF_S6_EEENSJ_IJSG_SG_EEENS0_18inequality_wrapperI22is_equal_div_10_uniqueIiEEEPmJS6_EEE10hipError_tPvRmT3_T4_T5_T6_T7_T9_mT8_P12ihipStream_tbDpT10_ENKUlT_T0_E_clISt17integral_constantIbLb1EES19_IbLb0EEEEDaS15_S16_EUlS15_E_NS1_11comp_targetILNS1_3genE3ELNS1_11target_archE908ELNS1_3gpuE7ELNS1_3repE0EEENS1_30default_config_static_selectorELNS0_4arch9wavefront6targetE1EEEvT1_,comdat
	.protected	_ZN7rocprim17ROCPRIM_400000_NS6detail17trampoline_kernelINS0_14default_configENS1_25partition_config_selectorILNS1_17partition_subalgoE8EiNS0_10empty_typeEbEEZZNS1_14partition_implILS5_8ELb0ES3_jN6thrust23THRUST_200600_302600_NS6detail15normal_iteratorINSA_10device_ptrIiEEEEPS6_PKS6_NS0_5tupleIJSF_S6_EEENSJ_IJSG_SG_EEENS0_18inequality_wrapperI22is_equal_div_10_uniqueIiEEEPmJS6_EEE10hipError_tPvRmT3_T4_T5_T6_T7_T9_mT8_P12ihipStream_tbDpT10_ENKUlT_T0_E_clISt17integral_constantIbLb1EES19_IbLb0EEEEDaS15_S16_EUlS15_E_NS1_11comp_targetILNS1_3genE3ELNS1_11target_archE908ELNS1_3gpuE7ELNS1_3repE0EEENS1_30default_config_static_selectorELNS0_4arch9wavefront6targetE1EEEvT1_ ; -- Begin function _ZN7rocprim17ROCPRIM_400000_NS6detail17trampoline_kernelINS0_14default_configENS1_25partition_config_selectorILNS1_17partition_subalgoE8EiNS0_10empty_typeEbEEZZNS1_14partition_implILS5_8ELb0ES3_jN6thrust23THRUST_200600_302600_NS6detail15normal_iteratorINSA_10device_ptrIiEEEEPS6_PKS6_NS0_5tupleIJSF_S6_EEENSJ_IJSG_SG_EEENS0_18inequality_wrapperI22is_equal_div_10_uniqueIiEEEPmJS6_EEE10hipError_tPvRmT3_T4_T5_T6_T7_T9_mT8_P12ihipStream_tbDpT10_ENKUlT_T0_E_clISt17integral_constantIbLb1EES19_IbLb0EEEEDaS15_S16_EUlS15_E_NS1_11comp_targetILNS1_3genE3ELNS1_11target_archE908ELNS1_3gpuE7ELNS1_3repE0EEENS1_30default_config_static_selectorELNS0_4arch9wavefront6targetE1EEEvT1_
	.globl	_ZN7rocprim17ROCPRIM_400000_NS6detail17trampoline_kernelINS0_14default_configENS1_25partition_config_selectorILNS1_17partition_subalgoE8EiNS0_10empty_typeEbEEZZNS1_14partition_implILS5_8ELb0ES3_jN6thrust23THRUST_200600_302600_NS6detail15normal_iteratorINSA_10device_ptrIiEEEEPS6_PKS6_NS0_5tupleIJSF_S6_EEENSJ_IJSG_SG_EEENS0_18inequality_wrapperI22is_equal_div_10_uniqueIiEEEPmJS6_EEE10hipError_tPvRmT3_T4_T5_T6_T7_T9_mT8_P12ihipStream_tbDpT10_ENKUlT_T0_E_clISt17integral_constantIbLb1EES19_IbLb0EEEEDaS15_S16_EUlS15_E_NS1_11comp_targetILNS1_3genE3ELNS1_11target_archE908ELNS1_3gpuE7ELNS1_3repE0EEENS1_30default_config_static_selectorELNS0_4arch9wavefront6targetE1EEEvT1_
	.p2align	8
	.type	_ZN7rocprim17ROCPRIM_400000_NS6detail17trampoline_kernelINS0_14default_configENS1_25partition_config_selectorILNS1_17partition_subalgoE8EiNS0_10empty_typeEbEEZZNS1_14partition_implILS5_8ELb0ES3_jN6thrust23THRUST_200600_302600_NS6detail15normal_iteratorINSA_10device_ptrIiEEEEPS6_PKS6_NS0_5tupleIJSF_S6_EEENSJ_IJSG_SG_EEENS0_18inequality_wrapperI22is_equal_div_10_uniqueIiEEEPmJS6_EEE10hipError_tPvRmT3_T4_T5_T6_T7_T9_mT8_P12ihipStream_tbDpT10_ENKUlT_T0_E_clISt17integral_constantIbLb1EES19_IbLb0EEEEDaS15_S16_EUlS15_E_NS1_11comp_targetILNS1_3genE3ELNS1_11target_archE908ELNS1_3gpuE7ELNS1_3repE0EEENS1_30default_config_static_selectorELNS0_4arch9wavefront6targetE1EEEvT1_,@function
_ZN7rocprim17ROCPRIM_400000_NS6detail17trampoline_kernelINS0_14default_configENS1_25partition_config_selectorILNS1_17partition_subalgoE8EiNS0_10empty_typeEbEEZZNS1_14partition_implILS5_8ELb0ES3_jN6thrust23THRUST_200600_302600_NS6detail15normal_iteratorINSA_10device_ptrIiEEEEPS6_PKS6_NS0_5tupleIJSF_S6_EEENSJ_IJSG_SG_EEENS0_18inequality_wrapperI22is_equal_div_10_uniqueIiEEEPmJS6_EEE10hipError_tPvRmT3_T4_T5_T6_T7_T9_mT8_P12ihipStream_tbDpT10_ENKUlT_T0_E_clISt17integral_constantIbLb1EES19_IbLb0EEEEDaS15_S16_EUlS15_E_NS1_11comp_targetILNS1_3genE3ELNS1_11target_archE908ELNS1_3gpuE7ELNS1_3repE0EEENS1_30default_config_static_selectorELNS0_4arch9wavefront6targetE1EEEvT1_: ; @_ZN7rocprim17ROCPRIM_400000_NS6detail17trampoline_kernelINS0_14default_configENS1_25partition_config_selectorILNS1_17partition_subalgoE8EiNS0_10empty_typeEbEEZZNS1_14partition_implILS5_8ELb0ES3_jN6thrust23THRUST_200600_302600_NS6detail15normal_iteratorINSA_10device_ptrIiEEEEPS6_PKS6_NS0_5tupleIJSF_S6_EEENSJ_IJSG_SG_EEENS0_18inequality_wrapperI22is_equal_div_10_uniqueIiEEEPmJS6_EEE10hipError_tPvRmT3_T4_T5_T6_T7_T9_mT8_P12ihipStream_tbDpT10_ENKUlT_T0_E_clISt17integral_constantIbLb1EES19_IbLb0EEEEDaS15_S16_EUlS15_E_NS1_11comp_targetILNS1_3genE3ELNS1_11target_archE908ELNS1_3gpuE7ELNS1_3repE0EEENS1_30default_config_static_selectorELNS0_4arch9wavefront6targetE1EEEvT1_
; %bb.0:
	.section	.rodata,"a",@progbits
	.p2align	6, 0x0
	.amdhsa_kernel _ZN7rocprim17ROCPRIM_400000_NS6detail17trampoline_kernelINS0_14default_configENS1_25partition_config_selectorILNS1_17partition_subalgoE8EiNS0_10empty_typeEbEEZZNS1_14partition_implILS5_8ELb0ES3_jN6thrust23THRUST_200600_302600_NS6detail15normal_iteratorINSA_10device_ptrIiEEEEPS6_PKS6_NS0_5tupleIJSF_S6_EEENSJ_IJSG_SG_EEENS0_18inequality_wrapperI22is_equal_div_10_uniqueIiEEEPmJS6_EEE10hipError_tPvRmT3_T4_T5_T6_T7_T9_mT8_P12ihipStream_tbDpT10_ENKUlT_T0_E_clISt17integral_constantIbLb1EES19_IbLb0EEEEDaS15_S16_EUlS15_E_NS1_11comp_targetILNS1_3genE3ELNS1_11target_archE908ELNS1_3gpuE7ELNS1_3repE0EEENS1_30default_config_static_selectorELNS0_4arch9wavefront6targetE1EEEvT1_
		.amdhsa_group_segment_fixed_size 0
		.amdhsa_private_segment_fixed_size 0
		.amdhsa_kernarg_size 112
		.amdhsa_user_sgpr_count 6
		.amdhsa_user_sgpr_private_segment_buffer 1
		.amdhsa_user_sgpr_dispatch_ptr 0
		.amdhsa_user_sgpr_queue_ptr 0
		.amdhsa_user_sgpr_kernarg_segment_ptr 1
		.amdhsa_user_sgpr_dispatch_id 0
		.amdhsa_user_sgpr_flat_scratch_init 0
		.amdhsa_user_sgpr_private_segment_size 0
		.amdhsa_uses_dynamic_stack 0
		.amdhsa_system_sgpr_private_segment_wavefront_offset 0
		.amdhsa_system_sgpr_workgroup_id_x 1
		.amdhsa_system_sgpr_workgroup_id_y 0
		.amdhsa_system_sgpr_workgroup_id_z 0
		.amdhsa_system_sgpr_workgroup_info 0
		.amdhsa_system_vgpr_workitem_id 0
		.amdhsa_next_free_vgpr 1
		.amdhsa_next_free_sgpr 0
		.amdhsa_reserve_vcc 0
		.amdhsa_reserve_flat_scratch 0
		.amdhsa_float_round_mode_32 0
		.amdhsa_float_round_mode_16_64 0
		.amdhsa_float_denorm_mode_32 3
		.amdhsa_float_denorm_mode_16_64 3
		.amdhsa_dx10_clamp 1
		.amdhsa_ieee_mode 1
		.amdhsa_fp16_overflow 0
		.amdhsa_exception_fp_ieee_invalid_op 0
		.amdhsa_exception_fp_denorm_src 0
		.amdhsa_exception_fp_ieee_div_zero 0
		.amdhsa_exception_fp_ieee_overflow 0
		.amdhsa_exception_fp_ieee_underflow 0
		.amdhsa_exception_fp_ieee_inexact 0
		.amdhsa_exception_int_div_zero 0
	.end_amdhsa_kernel
	.section	.text._ZN7rocprim17ROCPRIM_400000_NS6detail17trampoline_kernelINS0_14default_configENS1_25partition_config_selectorILNS1_17partition_subalgoE8EiNS0_10empty_typeEbEEZZNS1_14partition_implILS5_8ELb0ES3_jN6thrust23THRUST_200600_302600_NS6detail15normal_iteratorINSA_10device_ptrIiEEEEPS6_PKS6_NS0_5tupleIJSF_S6_EEENSJ_IJSG_SG_EEENS0_18inequality_wrapperI22is_equal_div_10_uniqueIiEEEPmJS6_EEE10hipError_tPvRmT3_T4_T5_T6_T7_T9_mT8_P12ihipStream_tbDpT10_ENKUlT_T0_E_clISt17integral_constantIbLb1EES19_IbLb0EEEEDaS15_S16_EUlS15_E_NS1_11comp_targetILNS1_3genE3ELNS1_11target_archE908ELNS1_3gpuE7ELNS1_3repE0EEENS1_30default_config_static_selectorELNS0_4arch9wavefront6targetE1EEEvT1_,"axG",@progbits,_ZN7rocprim17ROCPRIM_400000_NS6detail17trampoline_kernelINS0_14default_configENS1_25partition_config_selectorILNS1_17partition_subalgoE8EiNS0_10empty_typeEbEEZZNS1_14partition_implILS5_8ELb0ES3_jN6thrust23THRUST_200600_302600_NS6detail15normal_iteratorINSA_10device_ptrIiEEEEPS6_PKS6_NS0_5tupleIJSF_S6_EEENSJ_IJSG_SG_EEENS0_18inequality_wrapperI22is_equal_div_10_uniqueIiEEEPmJS6_EEE10hipError_tPvRmT3_T4_T5_T6_T7_T9_mT8_P12ihipStream_tbDpT10_ENKUlT_T0_E_clISt17integral_constantIbLb1EES19_IbLb0EEEEDaS15_S16_EUlS15_E_NS1_11comp_targetILNS1_3genE3ELNS1_11target_archE908ELNS1_3gpuE7ELNS1_3repE0EEENS1_30default_config_static_selectorELNS0_4arch9wavefront6targetE1EEEvT1_,comdat
.Lfunc_end455:
	.size	_ZN7rocprim17ROCPRIM_400000_NS6detail17trampoline_kernelINS0_14default_configENS1_25partition_config_selectorILNS1_17partition_subalgoE8EiNS0_10empty_typeEbEEZZNS1_14partition_implILS5_8ELb0ES3_jN6thrust23THRUST_200600_302600_NS6detail15normal_iteratorINSA_10device_ptrIiEEEEPS6_PKS6_NS0_5tupleIJSF_S6_EEENSJ_IJSG_SG_EEENS0_18inequality_wrapperI22is_equal_div_10_uniqueIiEEEPmJS6_EEE10hipError_tPvRmT3_T4_T5_T6_T7_T9_mT8_P12ihipStream_tbDpT10_ENKUlT_T0_E_clISt17integral_constantIbLb1EES19_IbLb0EEEEDaS15_S16_EUlS15_E_NS1_11comp_targetILNS1_3genE3ELNS1_11target_archE908ELNS1_3gpuE7ELNS1_3repE0EEENS1_30default_config_static_selectorELNS0_4arch9wavefront6targetE1EEEvT1_, .Lfunc_end455-_ZN7rocprim17ROCPRIM_400000_NS6detail17trampoline_kernelINS0_14default_configENS1_25partition_config_selectorILNS1_17partition_subalgoE8EiNS0_10empty_typeEbEEZZNS1_14partition_implILS5_8ELb0ES3_jN6thrust23THRUST_200600_302600_NS6detail15normal_iteratorINSA_10device_ptrIiEEEEPS6_PKS6_NS0_5tupleIJSF_S6_EEENSJ_IJSG_SG_EEENS0_18inequality_wrapperI22is_equal_div_10_uniqueIiEEEPmJS6_EEE10hipError_tPvRmT3_T4_T5_T6_T7_T9_mT8_P12ihipStream_tbDpT10_ENKUlT_T0_E_clISt17integral_constantIbLb1EES19_IbLb0EEEEDaS15_S16_EUlS15_E_NS1_11comp_targetILNS1_3genE3ELNS1_11target_archE908ELNS1_3gpuE7ELNS1_3repE0EEENS1_30default_config_static_selectorELNS0_4arch9wavefront6targetE1EEEvT1_
                                        ; -- End function
	.set _ZN7rocprim17ROCPRIM_400000_NS6detail17trampoline_kernelINS0_14default_configENS1_25partition_config_selectorILNS1_17partition_subalgoE8EiNS0_10empty_typeEbEEZZNS1_14partition_implILS5_8ELb0ES3_jN6thrust23THRUST_200600_302600_NS6detail15normal_iteratorINSA_10device_ptrIiEEEEPS6_PKS6_NS0_5tupleIJSF_S6_EEENSJ_IJSG_SG_EEENS0_18inequality_wrapperI22is_equal_div_10_uniqueIiEEEPmJS6_EEE10hipError_tPvRmT3_T4_T5_T6_T7_T9_mT8_P12ihipStream_tbDpT10_ENKUlT_T0_E_clISt17integral_constantIbLb1EES19_IbLb0EEEEDaS15_S16_EUlS15_E_NS1_11comp_targetILNS1_3genE3ELNS1_11target_archE908ELNS1_3gpuE7ELNS1_3repE0EEENS1_30default_config_static_selectorELNS0_4arch9wavefront6targetE1EEEvT1_.num_vgpr, 0
	.set _ZN7rocprim17ROCPRIM_400000_NS6detail17trampoline_kernelINS0_14default_configENS1_25partition_config_selectorILNS1_17partition_subalgoE8EiNS0_10empty_typeEbEEZZNS1_14partition_implILS5_8ELb0ES3_jN6thrust23THRUST_200600_302600_NS6detail15normal_iteratorINSA_10device_ptrIiEEEEPS6_PKS6_NS0_5tupleIJSF_S6_EEENSJ_IJSG_SG_EEENS0_18inequality_wrapperI22is_equal_div_10_uniqueIiEEEPmJS6_EEE10hipError_tPvRmT3_T4_T5_T6_T7_T9_mT8_P12ihipStream_tbDpT10_ENKUlT_T0_E_clISt17integral_constantIbLb1EES19_IbLb0EEEEDaS15_S16_EUlS15_E_NS1_11comp_targetILNS1_3genE3ELNS1_11target_archE908ELNS1_3gpuE7ELNS1_3repE0EEENS1_30default_config_static_selectorELNS0_4arch9wavefront6targetE1EEEvT1_.num_agpr, 0
	.set _ZN7rocprim17ROCPRIM_400000_NS6detail17trampoline_kernelINS0_14default_configENS1_25partition_config_selectorILNS1_17partition_subalgoE8EiNS0_10empty_typeEbEEZZNS1_14partition_implILS5_8ELb0ES3_jN6thrust23THRUST_200600_302600_NS6detail15normal_iteratorINSA_10device_ptrIiEEEEPS6_PKS6_NS0_5tupleIJSF_S6_EEENSJ_IJSG_SG_EEENS0_18inequality_wrapperI22is_equal_div_10_uniqueIiEEEPmJS6_EEE10hipError_tPvRmT3_T4_T5_T6_T7_T9_mT8_P12ihipStream_tbDpT10_ENKUlT_T0_E_clISt17integral_constantIbLb1EES19_IbLb0EEEEDaS15_S16_EUlS15_E_NS1_11comp_targetILNS1_3genE3ELNS1_11target_archE908ELNS1_3gpuE7ELNS1_3repE0EEENS1_30default_config_static_selectorELNS0_4arch9wavefront6targetE1EEEvT1_.numbered_sgpr, 0
	.set _ZN7rocprim17ROCPRIM_400000_NS6detail17trampoline_kernelINS0_14default_configENS1_25partition_config_selectorILNS1_17partition_subalgoE8EiNS0_10empty_typeEbEEZZNS1_14partition_implILS5_8ELb0ES3_jN6thrust23THRUST_200600_302600_NS6detail15normal_iteratorINSA_10device_ptrIiEEEEPS6_PKS6_NS0_5tupleIJSF_S6_EEENSJ_IJSG_SG_EEENS0_18inequality_wrapperI22is_equal_div_10_uniqueIiEEEPmJS6_EEE10hipError_tPvRmT3_T4_T5_T6_T7_T9_mT8_P12ihipStream_tbDpT10_ENKUlT_T0_E_clISt17integral_constantIbLb1EES19_IbLb0EEEEDaS15_S16_EUlS15_E_NS1_11comp_targetILNS1_3genE3ELNS1_11target_archE908ELNS1_3gpuE7ELNS1_3repE0EEENS1_30default_config_static_selectorELNS0_4arch9wavefront6targetE1EEEvT1_.num_named_barrier, 0
	.set _ZN7rocprim17ROCPRIM_400000_NS6detail17trampoline_kernelINS0_14default_configENS1_25partition_config_selectorILNS1_17partition_subalgoE8EiNS0_10empty_typeEbEEZZNS1_14partition_implILS5_8ELb0ES3_jN6thrust23THRUST_200600_302600_NS6detail15normal_iteratorINSA_10device_ptrIiEEEEPS6_PKS6_NS0_5tupleIJSF_S6_EEENSJ_IJSG_SG_EEENS0_18inequality_wrapperI22is_equal_div_10_uniqueIiEEEPmJS6_EEE10hipError_tPvRmT3_T4_T5_T6_T7_T9_mT8_P12ihipStream_tbDpT10_ENKUlT_T0_E_clISt17integral_constantIbLb1EES19_IbLb0EEEEDaS15_S16_EUlS15_E_NS1_11comp_targetILNS1_3genE3ELNS1_11target_archE908ELNS1_3gpuE7ELNS1_3repE0EEENS1_30default_config_static_selectorELNS0_4arch9wavefront6targetE1EEEvT1_.private_seg_size, 0
	.set _ZN7rocprim17ROCPRIM_400000_NS6detail17trampoline_kernelINS0_14default_configENS1_25partition_config_selectorILNS1_17partition_subalgoE8EiNS0_10empty_typeEbEEZZNS1_14partition_implILS5_8ELb0ES3_jN6thrust23THRUST_200600_302600_NS6detail15normal_iteratorINSA_10device_ptrIiEEEEPS6_PKS6_NS0_5tupleIJSF_S6_EEENSJ_IJSG_SG_EEENS0_18inequality_wrapperI22is_equal_div_10_uniqueIiEEEPmJS6_EEE10hipError_tPvRmT3_T4_T5_T6_T7_T9_mT8_P12ihipStream_tbDpT10_ENKUlT_T0_E_clISt17integral_constantIbLb1EES19_IbLb0EEEEDaS15_S16_EUlS15_E_NS1_11comp_targetILNS1_3genE3ELNS1_11target_archE908ELNS1_3gpuE7ELNS1_3repE0EEENS1_30default_config_static_selectorELNS0_4arch9wavefront6targetE1EEEvT1_.uses_vcc, 0
	.set _ZN7rocprim17ROCPRIM_400000_NS6detail17trampoline_kernelINS0_14default_configENS1_25partition_config_selectorILNS1_17partition_subalgoE8EiNS0_10empty_typeEbEEZZNS1_14partition_implILS5_8ELb0ES3_jN6thrust23THRUST_200600_302600_NS6detail15normal_iteratorINSA_10device_ptrIiEEEEPS6_PKS6_NS0_5tupleIJSF_S6_EEENSJ_IJSG_SG_EEENS0_18inequality_wrapperI22is_equal_div_10_uniqueIiEEEPmJS6_EEE10hipError_tPvRmT3_T4_T5_T6_T7_T9_mT8_P12ihipStream_tbDpT10_ENKUlT_T0_E_clISt17integral_constantIbLb1EES19_IbLb0EEEEDaS15_S16_EUlS15_E_NS1_11comp_targetILNS1_3genE3ELNS1_11target_archE908ELNS1_3gpuE7ELNS1_3repE0EEENS1_30default_config_static_selectorELNS0_4arch9wavefront6targetE1EEEvT1_.uses_flat_scratch, 0
	.set _ZN7rocprim17ROCPRIM_400000_NS6detail17trampoline_kernelINS0_14default_configENS1_25partition_config_selectorILNS1_17partition_subalgoE8EiNS0_10empty_typeEbEEZZNS1_14partition_implILS5_8ELb0ES3_jN6thrust23THRUST_200600_302600_NS6detail15normal_iteratorINSA_10device_ptrIiEEEEPS6_PKS6_NS0_5tupleIJSF_S6_EEENSJ_IJSG_SG_EEENS0_18inequality_wrapperI22is_equal_div_10_uniqueIiEEEPmJS6_EEE10hipError_tPvRmT3_T4_T5_T6_T7_T9_mT8_P12ihipStream_tbDpT10_ENKUlT_T0_E_clISt17integral_constantIbLb1EES19_IbLb0EEEEDaS15_S16_EUlS15_E_NS1_11comp_targetILNS1_3genE3ELNS1_11target_archE908ELNS1_3gpuE7ELNS1_3repE0EEENS1_30default_config_static_selectorELNS0_4arch9wavefront6targetE1EEEvT1_.has_dyn_sized_stack, 0
	.set _ZN7rocprim17ROCPRIM_400000_NS6detail17trampoline_kernelINS0_14default_configENS1_25partition_config_selectorILNS1_17partition_subalgoE8EiNS0_10empty_typeEbEEZZNS1_14partition_implILS5_8ELb0ES3_jN6thrust23THRUST_200600_302600_NS6detail15normal_iteratorINSA_10device_ptrIiEEEEPS6_PKS6_NS0_5tupleIJSF_S6_EEENSJ_IJSG_SG_EEENS0_18inequality_wrapperI22is_equal_div_10_uniqueIiEEEPmJS6_EEE10hipError_tPvRmT3_T4_T5_T6_T7_T9_mT8_P12ihipStream_tbDpT10_ENKUlT_T0_E_clISt17integral_constantIbLb1EES19_IbLb0EEEEDaS15_S16_EUlS15_E_NS1_11comp_targetILNS1_3genE3ELNS1_11target_archE908ELNS1_3gpuE7ELNS1_3repE0EEENS1_30default_config_static_selectorELNS0_4arch9wavefront6targetE1EEEvT1_.has_recursion, 0
	.set _ZN7rocprim17ROCPRIM_400000_NS6detail17trampoline_kernelINS0_14default_configENS1_25partition_config_selectorILNS1_17partition_subalgoE8EiNS0_10empty_typeEbEEZZNS1_14partition_implILS5_8ELb0ES3_jN6thrust23THRUST_200600_302600_NS6detail15normal_iteratorINSA_10device_ptrIiEEEEPS6_PKS6_NS0_5tupleIJSF_S6_EEENSJ_IJSG_SG_EEENS0_18inequality_wrapperI22is_equal_div_10_uniqueIiEEEPmJS6_EEE10hipError_tPvRmT3_T4_T5_T6_T7_T9_mT8_P12ihipStream_tbDpT10_ENKUlT_T0_E_clISt17integral_constantIbLb1EES19_IbLb0EEEEDaS15_S16_EUlS15_E_NS1_11comp_targetILNS1_3genE3ELNS1_11target_archE908ELNS1_3gpuE7ELNS1_3repE0EEENS1_30default_config_static_selectorELNS0_4arch9wavefront6targetE1EEEvT1_.has_indirect_call, 0
	.section	.AMDGPU.csdata,"",@progbits
; Kernel info:
; codeLenInByte = 0
; TotalNumSgprs: 4
; NumVgprs: 0
; ScratchSize: 0
; MemoryBound: 0
; FloatMode: 240
; IeeeMode: 1
; LDSByteSize: 0 bytes/workgroup (compile time only)
; SGPRBlocks: 0
; VGPRBlocks: 0
; NumSGPRsForWavesPerEU: 4
; NumVGPRsForWavesPerEU: 1
; Occupancy: 10
; WaveLimiterHint : 0
; COMPUTE_PGM_RSRC2:SCRATCH_EN: 0
; COMPUTE_PGM_RSRC2:USER_SGPR: 6
; COMPUTE_PGM_RSRC2:TRAP_HANDLER: 0
; COMPUTE_PGM_RSRC2:TGID_X_EN: 1
; COMPUTE_PGM_RSRC2:TGID_Y_EN: 0
; COMPUTE_PGM_RSRC2:TGID_Z_EN: 0
; COMPUTE_PGM_RSRC2:TIDIG_COMP_CNT: 0
	.section	.text._ZN7rocprim17ROCPRIM_400000_NS6detail17trampoline_kernelINS0_14default_configENS1_25partition_config_selectorILNS1_17partition_subalgoE8EiNS0_10empty_typeEbEEZZNS1_14partition_implILS5_8ELb0ES3_jN6thrust23THRUST_200600_302600_NS6detail15normal_iteratorINSA_10device_ptrIiEEEEPS6_PKS6_NS0_5tupleIJSF_S6_EEENSJ_IJSG_SG_EEENS0_18inequality_wrapperI22is_equal_div_10_uniqueIiEEEPmJS6_EEE10hipError_tPvRmT3_T4_T5_T6_T7_T9_mT8_P12ihipStream_tbDpT10_ENKUlT_T0_E_clISt17integral_constantIbLb1EES19_IbLb0EEEEDaS15_S16_EUlS15_E_NS1_11comp_targetILNS1_3genE2ELNS1_11target_archE906ELNS1_3gpuE6ELNS1_3repE0EEENS1_30default_config_static_selectorELNS0_4arch9wavefront6targetE1EEEvT1_,"axG",@progbits,_ZN7rocprim17ROCPRIM_400000_NS6detail17trampoline_kernelINS0_14default_configENS1_25partition_config_selectorILNS1_17partition_subalgoE8EiNS0_10empty_typeEbEEZZNS1_14partition_implILS5_8ELb0ES3_jN6thrust23THRUST_200600_302600_NS6detail15normal_iteratorINSA_10device_ptrIiEEEEPS6_PKS6_NS0_5tupleIJSF_S6_EEENSJ_IJSG_SG_EEENS0_18inequality_wrapperI22is_equal_div_10_uniqueIiEEEPmJS6_EEE10hipError_tPvRmT3_T4_T5_T6_T7_T9_mT8_P12ihipStream_tbDpT10_ENKUlT_T0_E_clISt17integral_constantIbLb1EES19_IbLb0EEEEDaS15_S16_EUlS15_E_NS1_11comp_targetILNS1_3genE2ELNS1_11target_archE906ELNS1_3gpuE6ELNS1_3repE0EEENS1_30default_config_static_selectorELNS0_4arch9wavefront6targetE1EEEvT1_,comdat
	.protected	_ZN7rocprim17ROCPRIM_400000_NS6detail17trampoline_kernelINS0_14default_configENS1_25partition_config_selectorILNS1_17partition_subalgoE8EiNS0_10empty_typeEbEEZZNS1_14partition_implILS5_8ELb0ES3_jN6thrust23THRUST_200600_302600_NS6detail15normal_iteratorINSA_10device_ptrIiEEEEPS6_PKS6_NS0_5tupleIJSF_S6_EEENSJ_IJSG_SG_EEENS0_18inequality_wrapperI22is_equal_div_10_uniqueIiEEEPmJS6_EEE10hipError_tPvRmT3_T4_T5_T6_T7_T9_mT8_P12ihipStream_tbDpT10_ENKUlT_T0_E_clISt17integral_constantIbLb1EES19_IbLb0EEEEDaS15_S16_EUlS15_E_NS1_11comp_targetILNS1_3genE2ELNS1_11target_archE906ELNS1_3gpuE6ELNS1_3repE0EEENS1_30default_config_static_selectorELNS0_4arch9wavefront6targetE1EEEvT1_ ; -- Begin function _ZN7rocprim17ROCPRIM_400000_NS6detail17trampoline_kernelINS0_14default_configENS1_25partition_config_selectorILNS1_17partition_subalgoE8EiNS0_10empty_typeEbEEZZNS1_14partition_implILS5_8ELb0ES3_jN6thrust23THRUST_200600_302600_NS6detail15normal_iteratorINSA_10device_ptrIiEEEEPS6_PKS6_NS0_5tupleIJSF_S6_EEENSJ_IJSG_SG_EEENS0_18inequality_wrapperI22is_equal_div_10_uniqueIiEEEPmJS6_EEE10hipError_tPvRmT3_T4_T5_T6_T7_T9_mT8_P12ihipStream_tbDpT10_ENKUlT_T0_E_clISt17integral_constantIbLb1EES19_IbLb0EEEEDaS15_S16_EUlS15_E_NS1_11comp_targetILNS1_3genE2ELNS1_11target_archE906ELNS1_3gpuE6ELNS1_3repE0EEENS1_30default_config_static_selectorELNS0_4arch9wavefront6targetE1EEEvT1_
	.globl	_ZN7rocprim17ROCPRIM_400000_NS6detail17trampoline_kernelINS0_14default_configENS1_25partition_config_selectorILNS1_17partition_subalgoE8EiNS0_10empty_typeEbEEZZNS1_14partition_implILS5_8ELb0ES3_jN6thrust23THRUST_200600_302600_NS6detail15normal_iteratorINSA_10device_ptrIiEEEEPS6_PKS6_NS0_5tupleIJSF_S6_EEENSJ_IJSG_SG_EEENS0_18inequality_wrapperI22is_equal_div_10_uniqueIiEEEPmJS6_EEE10hipError_tPvRmT3_T4_T5_T6_T7_T9_mT8_P12ihipStream_tbDpT10_ENKUlT_T0_E_clISt17integral_constantIbLb1EES19_IbLb0EEEEDaS15_S16_EUlS15_E_NS1_11comp_targetILNS1_3genE2ELNS1_11target_archE906ELNS1_3gpuE6ELNS1_3repE0EEENS1_30default_config_static_selectorELNS0_4arch9wavefront6targetE1EEEvT1_
	.p2align	8
	.type	_ZN7rocprim17ROCPRIM_400000_NS6detail17trampoline_kernelINS0_14default_configENS1_25partition_config_selectorILNS1_17partition_subalgoE8EiNS0_10empty_typeEbEEZZNS1_14partition_implILS5_8ELb0ES3_jN6thrust23THRUST_200600_302600_NS6detail15normal_iteratorINSA_10device_ptrIiEEEEPS6_PKS6_NS0_5tupleIJSF_S6_EEENSJ_IJSG_SG_EEENS0_18inequality_wrapperI22is_equal_div_10_uniqueIiEEEPmJS6_EEE10hipError_tPvRmT3_T4_T5_T6_T7_T9_mT8_P12ihipStream_tbDpT10_ENKUlT_T0_E_clISt17integral_constantIbLb1EES19_IbLb0EEEEDaS15_S16_EUlS15_E_NS1_11comp_targetILNS1_3genE2ELNS1_11target_archE906ELNS1_3gpuE6ELNS1_3repE0EEENS1_30default_config_static_selectorELNS0_4arch9wavefront6targetE1EEEvT1_,@function
_ZN7rocprim17ROCPRIM_400000_NS6detail17trampoline_kernelINS0_14default_configENS1_25partition_config_selectorILNS1_17partition_subalgoE8EiNS0_10empty_typeEbEEZZNS1_14partition_implILS5_8ELb0ES3_jN6thrust23THRUST_200600_302600_NS6detail15normal_iteratorINSA_10device_ptrIiEEEEPS6_PKS6_NS0_5tupleIJSF_S6_EEENSJ_IJSG_SG_EEENS0_18inequality_wrapperI22is_equal_div_10_uniqueIiEEEPmJS6_EEE10hipError_tPvRmT3_T4_T5_T6_T7_T9_mT8_P12ihipStream_tbDpT10_ENKUlT_T0_E_clISt17integral_constantIbLb1EES19_IbLb0EEEEDaS15_S16_EUlS15_E_NS1_11comp_targetILNS1_3genE2ELNS1_11target_archE906ELNS1_3gpuE6ELNS1_3repE0EEENS1_30default_config_static_selectorELNS0_4arch9wavefront6targetE1EEEvT1_: ; @_ZN7rocprim17ROCPRIM_400000_NS6detail17trampoline_kernelINS0_14default_configENS1_25partition_config_selectorILNS1_17partition_subalgoE8EiNS0_10empty_typeEbEEZZNS1_14partition_implILS5_8ELb0ES3_jN6thrust23THRUST_200600_302600_NS6detail15normal_iteratorINSA_10device_ptrIiEEEEPS6_PKS6_NS0_5tupleIJSF_S6_EEENSJ_IJSG_SG_EEENS0_18inequality_wrapperI22is_equal_div_10_uniqueIiEEEPmJS6_EEE10hipError_tPvRmT3_T4_T5_T6_T7_T9_mT8_P12ihipStream_tbDpT10_ENKUlT_T0_E_clISt17integral_constantIbLb1EES19_IbLb0EEEEDaS15_S16_EUlS15_E_NS1_11comp_targetILNS1_3genE2ELNS1_11target_archE906ELNS1_3gpuE6ELNS1_3repE0EEENS1_30default_config_static_selectorELNS0_4arch9wavefront6targetE1EEEvT1_
; %bb.0:
	s_endpgm
	.section	.rodata,"a",@progbits
	.p2align	6, 0x0
	.amdhsa_kernel _ZN7rocprim17ROCPRIM_400000_NS6detail17trampoline_kernelINS0_14default_configENS1_25partition_config_selectorILNS1_17partition_subalgoE8EiNS0_10empty_typeEbEEZZNS1_14partition_implILS5_8ELb0ES3_jN6thrust23THRUST_200600_302600_NS6detail15normal_iteratorINSA_10device_ptrIiEEEEPS6_PKS6_NS0_5tupleIJSF_S6_EEENSJ_IJSG_SG_EEENS0_18inequality_wrapperI22is_equal_div_10_uniqueIiEEEPmJS6_EEE10hipError_tPvRmT3_T4_T5_T6_T7_T9_mT8_P12ihipStream_tbDpT10_ENKUlT_T0_E_clISt17integral_constantIbLb1EES19_IbLb0EEEEDaS15_S16_EUlS15_E_NS1_11comp_targetILNS1_3genE2ELNS1_11target_archE906ELNS1_3gpuE6ELNS1_3repE0EEENS1_30default_config_static_selectorELNS0_4arch9wavefront6targetE1EEEvT1_
		.amdhsa_group_segment_fixed_size 0
		.amdhsa_private_segment_fixed_size 0
		.amdhsa_kernarg_size 112
		.amdhsa_user_sgpr_count 6
		.amdhsa_user_sgpr_private_segment_buffer 1
		.amdhsa_user_sgpr_dispatch_ptr 0
		.amdhsa_user_sgpr_queue_ptr 0
		.amdhsa_user_sgpr_kernarg_segment_ptr 1
		.amdhsa_user_sgpr_dispatch_id 0
		.amdhsa_user_sgpr_flat_scratch_init 0
		.amdhsa_user_sgpr_private_segment_size 0
		.amdhsa_uses_dynamic_stack 0
		.amdhsa_system_sgpr_private_segment_wavefront_offset 0
		.amdhsa_system_sgpr_workgroup_id_x 1
		.amdhsa_system_sgpr_workgroup_id_y 0
		.amdhsa_system_sgpr_workgroup_id_z 0
		.amdhsa_system_sgpr_workgroup_info 0
		.amdhsa_system_vgpr_workitem_id 0
		.amdhsa_next_free_vgpr 1
		.amdhsa_next_free_sgpr 0
		.amdhsa_reserve_vcc 0
		.amdhsa_reserve_flat_scratch 0
		.amdhsa_float_round_mode_32 0
		.amdhsa_float_round_mode_16_64 0
		.amdhsa_float_denorm_mode_32 3
		.amdhsa_float_denorm_mode_16_64 3
		.amdhsa_dx10_clamp 1
		.amdhsa_ieee_mode 1
		.amdhsa_fp16_overflow 0
		.amdhsa_exception_fp_ieee_invalid_op 0
		.amdhsa_exception_fp_denorm_src 0
		.amdhsa_exception_fp_ieee_div_zero 0
		.amdhsa_exception_fp_ieee_overflow 0
		.amdhsa_exception_fp_ieee_underflow 0
		.amdhsa_exception_fp_ieee_inexact 0
		.amdhsa_exception_int_div_zero 0
	.end_amdhsa_kernel
	.section	.text._ZN7rocprim17ROCPRIM_400000_NS6detail17trampoline_kernelINS0_14default_configENS1_25partition_config_selectorILNS1_17partition_subalgoE8EiNS0_10empty_typeEbEEZZNS1_14partition_implILS5_8ELb0ES3_jN6thrust23THRUST_200600_302600_NS6detail15normal_iteratorINSA_10device_ptrIiEEEEPS6_PKS6_NS0_5tupleIJSF_S6_EEENSJ_IJSG_SG_EEENS0_18inequality_wrapperI22is_equal_div_10_uniqueIiEEEPmJS6_EEE10hipError_tPvRmT3_T4_T5_T6_T7_T9_mT8_P12ihipStream_tbDpT10_ENKUlT_T0_E_clISt17integral_constantIbLb1EES19_IbLb0EEEEDaS15_S16_EUlS15_E_NS1_11comp_targetILNS1_3genE2ELNS1_11target_archE906ELNS1_3gpuE6ELNS1_3repE0EEENS1_30default_config_static_selectorELNS0_4arch9wavefront6targetE1EEEvT1_,"axG",@progbits,_ZN7rocprim17ROCPRIM_400000_NS6detail17trampoline_kernelINS0_14default_configENS1_25partition_config_selectorILNS1_17partition_subalgoE8EiNS0_10empty_typeEbEEZZNS1_14partition_implILS5_8ELb0ES3_jN6thrust23THRUST_200600_302600_NS6detail15normal_iteratorINSA_10device_ptrIiEEEEPS6_PKS6_NS0_5tupleIJSF_S6_EEENSJ_IJSG_SG_EEENS0_18inequality_wrapperI22is_equal_div_10_uniqueIiEEEPmJS6_EEE10hipError_tPvRmT3_T4_T5_T6_T7_T9_mT8_P12ihipStream_tbDpT10_ENKUlT_T0_E_clISt17integral_constantIbLb1EES19_IbLb0EEEEDaS15_S16_EUlS15_E_NS1_11comp_targetILNS1_3genE2ELNS1_11target_archE906ELNS1_3gpuE6ELNS1_3repE0EEENS1_30default_config_static_selectorELNS0_4arch9wavefront6targetE1EEEvT1_,comdat
.Lfunc_end456:
	.size	_ZN7rocprim17ROCPRIM_400000_NS6detail17trampoline_kernelINS0_14default_configENS1_25partition_config_selectorILNS1_17partition_subalgoE8EiNS0_10empty_typeEbEEZZNS1_14partition_implILS5_8ELb0ES3_jN6thrust23THRUST_200600_302600_NS6detail15normal_iteratorINSA_10device_ptrIiEEEEPS6_PKS6_NS0_5tupleIJSF_S6_EEENSJ_IJSG_SG_EEENS0_18inequality_wrapperI22is_equal_div_10_uniqueIiEEEPmJS6_EEE10hipError_tPvRmT3_T4_T5_T6_T7_T9_mT8_P12ihipStream_tbDpT10_ENKUlT_T0_E_clISt17integral_constantIbLb1EES19_IbLb0EEEEDaS15_S16_EUlS15_E_NS1_11comp_targetILNS1_3genE2ELNS1_11target_archE906ELNS1_3gpuE6ELNS1_3repE0EEENS1_30default_config_static_selectorELNS0_4arch9wavefront6targetE1EEEvT1_, .Lfunc_end456-_ZN7rocprim17ROCPRIM_400000_NS6detail17trampoline_kernelINS0_14default_configENS1_25partition_config_selectorILNS1_17partition_subalgoE8EiNS0_10empty_typeEbEEZZNS1_14partition_implILS5_8ELb0ES3_jN6thrust23THRUST_200600_302600_NS6detail15normal_iteratorINSA_10device_ptrIiEEEEPS6_PKS6_NS0_5tupleIJSF_S6_EEENSJ_IJSG_SG_EEENS0_18inequality_wrapperI22is_equal_div_10_uniqueIiEEEPmJS6_EEE10hipError_tPvRmT3_T4_T5_T6_T7_T9_mT8_P12ihipStream_tbDpT10_ENKUlT_T0_E_clISt17integral_constantIbLb1EES19_IbLb0EEEEDaS15_S16_EUlS15_E_NS1_11comp_targetILNS1_3genE2ELNS1_11target_archE906ELNS1_3gpuE6ELNS1_3repE0EEENS1_30default_config_static_selectorELNS0_4arch9wavefront6targetE1EEEvT1_
                                        ; -- End function
	.set _ZN7rocprim17ROCPRIM_400000_NS6detail17trampoline_kernelINS0_14default_configENS1_25partition_config_selectorILNS1_17partition_subalgoE8EiNS0_10empty_typeEbEEZZNS1_14partition_implILS5_8ELb0ES3_jN6thrust23THRUST_200600_302600_NS6detail15normal_iteratorINSA_10device_ptrIiEEEEPS6_PKS6_NS0_5tupleIJSF_S6_EEENSJ_IJSG_SG_EEENS0_18inequality_wrapperI22is_equal_div_10_uniqueIiEEEPmJS6_EEE10hipError_tPvRmT3_T4_T5_T6_T7_T9_mT8_P12ihipStream_tbDpT10_ENKUlT_T0_E_clISt17integral_constantIbLb1EES19_IbLb0EEEEDaS15_S16_EUlS15_E_NS1_11comp_targetILNS1_3genE2ELNS1_11target_archE906ELNS1_3gpuE6ELNS1_3repE0EEENS1_30default_config_static_selectorELNS0_4arch9wavefront6targetE1EEEvT1_.num_vgpr, 0
	.set _ZN7rocprim17ROCPRIM_400000_NS6detail17trampoline_kernelINS0_14default_configENS1_25partition_config_selectorILNS1_17partition_subalgoE8EiNS0_10empty_typeEbEEZZNS1_14partition_implILS5_8ELb0ES3_jN6thrust23THRUST_200600_302600_NS6detail15normal_iteratorINSA_10device_ptrIiEEEEPS6_PKS6_NS0_5tupleIJSF_S6_EEENSJ_IJSG_SG_EEENS0_18inequality_wrapperI22is_equal_div_10_uniqueIiEEEPmJS6_EEE10hipError_tPvRmT3_T4_T5_T6_T7_T9_mT8_P12ihipStream_tbDpT10_ENKUlT_T0_E_clISt17integral_constantIbLb1EES19_IbLb0EEEEDaS15_S16_EUlS15_E_NS1_11comp_targetILNS1_3genE2ELNS1_11target_archE906ELNS1_3gpuE6ELNS1_3repE0EEENS1_30default_config_static_selectorELNS0_4arch9wavefront6targetE1EEEvT1_.num_agpr, 0
	.set _ZN7rocprim17ROCPRIM_400000_NS6detail17trampoline_kernelINS0_14default_configENS1_25partition_config_selectorILNS1_17partition_subalgoE8EiNS0_10empty_typeEbEEZZNS1_14partition_implILS5_8ELb0ES3_jN6thrust23THRUST_200600_302600_NS6detail15normal_iteratorINSA_10device_ptrIiEEEEPS6_PKS6_NS0_5tupleIJSF_S6_EEENSJ_IJSG_SG_EEENS0_18inequality_wrapperI22is_equal_div_10_uniqueIiEEEPmJS6_EEE10hipError_tPvRmT3_T4_T5_T6_T7_T9_mT8_P12ihipStream_tbDpT10_ENKUlT_T0_E_clISt17integral_constantIbLb1EES19_IbLb0EEEEDaS15_S16_EUlS15_E_NS1_11comp_targetILNS1_3genE2ELNS1_11target_archE906ELNS1_3gpuE6ELNS1_3repE0EEENS1_30default_config_static_selectorELNS0_4arch9wavefront6targetE1EEEvT1_.numbered_sgpr, 0
	.set _ZN7rocprim17ROCPRIM_400000_NS6detail17trampoline_kernelINS0_14default_configENS1_25partition_config_selectorILNS1_17partition_subalgoE8EiNS0_10empty_typeEbEEZZNS1_14partition_implILS5_8ELb0ES3_jN6thrust23THRUST_200600_302600_NS6detail15normal_iteratorINSA_10device_ptrIiEEEEPS6_PKS6_NS0_5tupleIJSF_S6_EEENSJ_IJSG_SG_EEENS0_18inequality_wrapperI22is_equal_div_10_uniqueIiEEEPmJS6_EEE10hipError_tPvRmT3_T4_T5_T6_T7_T9_mT8_P12ihipStream_tbDpT10_ENKUlT_T0_E_clISt17integral_constantIbLb1EES19_IbLb0EEEEDaS15_S16_EUlS15_E_NS1_11comp_targetILNS1_3genE2ELNS1_11target_archE906ELNS1_3gpuE6ELNS1_3repE0EEENS1_30default_config_static_selectorELNS0_4arch9wavefront6targetE1EEEvT1_.num_named_barrier, 0
	.set _ZN7rocprim17ROCPRIM_400000_NS6detail17trampoline_kernelINS0_14default_configENS1_25partition_config_selectorILNS1_17partition_subalgoE8EiNS0_10empty_typeEbEEZZNS1_14partition_implILS5_8ELb0ES3_jN6thrust23THRUST_200600_302600_NS6detail15normal_iteratorINSA_10device_ptrIiEEEEPS6_PKS6_NS0_5tupleIJSF_S6_EEENSJ_IJSG_SG_EEENS0_18inequality_wrapperI22is_equal_div_10_uniqueIiEEEPmJS6_EEE10hipError_tPvRmT3_T4_T5_T6_T7_T9_mT8_P12ihipStream_tbDpT10_ENKUlT_T0_E_clISt17integral_constantIbLb1EES19_IbLb0EEEEDaS15_S16_EUlS15_E_NS1_11comp_targetILNS1_3genE2ELNS1_11target_archE906ELNS1_3gpuE6ELNS1_3repE0EEENS1_30default_config_static_selectorELNS0_4arch9wavefront6targetE1EEEvT1_.private_seg_size, 0
	.set _ZN7rocprim17ROCPRIM_400000_NS6detail17trampoline_kernelINS0_14default_configENS1_25partition_config_selectorILNS1_17partition_subalgoE8EiNS0_10empty_typeEbEEZZNS1_14partition_implILS5_8ELb0ES3_jN6thrust23THRUST_200600_302600_NS6detail15normal_iteratorINSA_10device_ptrIiEEEEPS6_PKS6_NS0_5tupleIJSF_S6_EEENSJ_IJSG_SG_EEENS0_18inequality_wrapperI22is_equal_div_10_uniqueIiEEEPmJS6_EEE10hipError_tPvRmT3_T4_T5_T6_T7_T9_mT8_P12ihipStream_tbDpT10_ENKUlT_T0_E_clISt17integral_constantIbLb1EES19_IbLb0EEEEDaS15_S16_EUlS15_E_NS1_11comp_targetILNS1_3genE2ELNS1_11target_archE906ELNS1_3gpuE6ELNS1_3repE0EEENS1_30default_config_static_selectorELNS0_4arch9wavefront6targetE1EEEvT1_.uses_vcc, 0
	.set _ZN7rocprim17ROCPRIM_400000_NS6detail17trampoline_kernelINS0_14default_configENS1_25partition_config_selectorILNS1_17partition_subalgoE8EiNS0_10empty_typeEbEEZZNS1_14partition_implILS5_8ELb0ES3_jN6thrust23THRUST_200600_302600_NS6detail15normal_iteratorINSA_10device_ptrIiEEEEPS6_PKS6_NS0_5tupleIJSF_S6_EEENSJ_IJSG_SG_EEENS0_18inequality_wrapperI22is_equal_div_10_uniqueIiEEEPmJS6_EEE10hipError_tPvRmT3_T4_T5_T6_T7_T9_mT8_P12ihipStream_tbDpT10_ENKUlT_T0_E_clISt17integral_constantIbLb1EES19_IbLb0EEEEDaS15_S16_EUlS15_E_NS1_11comp_targetILNS1_3genE2ELNS1_11target_archE906ELNS1_3gpuE6ELNS1_3repE0EEENS1_30default_config_static_selectorELNS0_4arch9wavefront6targetE1EEEvT1_.uses_flat_scratch, 0
	.set _ZN7rocprim17ROCPRIM_400000_NS6detail17trampoline_kernelINS0_14default_configENS1_25partition_config_selectorILNS1_17partition_subalgoE8EiNS0_10empty_typeEbEEZZNS1_14partition_implILS5_8ELb0ES3_jN6thrust23THRUST_200600_302600_NS6detail15normal_iteratorINSA_10device_ptrIiEEEEPS6_PKS6_NS0_5tupleIJSF_S6_EEENSJ_IJSG_SG_EEENS0_18inequality_wrapperI22is_equal_div_10_uniqueIiEEEPmJS6_EEE10hipError_tPvRmT3_T4_T5_T6_T7_T9_mT8_P12ihipStream_tbDpT10_ENKUlT_T0_E_clISt17integral_constantIbLb1EES19_IbLb0EEEEDaS15_S16_EUlS15_E_NS1_11comp_targetILNS1_3genE2ELNS1_11target_archE906ELNS1_3gpuE6ELNS1_3repE0EEENS1_30default_config_static_selectorELNS0_4arch9wavefront6targetE1EEEvT1_.has_dyn_sized_stack, 0
	.set _ZN7rocprim17ROCPRIM_400000_NS6detail17trampoline_kernelINS0_14default_configENS1_25partition_config_selectorILNS1_17partition_subalgoE8EiNS0_10empty_typeEbEEZZNS1_14partition_implILS5_8ELb0ES3_jN6thrust23THRUST_200600_302600_NS6detail15normal_iteratorINSA_10device_ptrIiEEEEPS6_PKS6_NS0_5tupleIJSF_S6_EEENSJ_IJSG_SG_EEENS0_18inequality_wrapperI22is_equal_div_10_uniqueIiEEEPmJS6_EEE10hipError_tPvRmT3_T4_T5_T6_T7_T9_mT8_P12ihipStream_tbDpT10_ENKUlT_T0_E_clISt17integral_constantIbLb1EES19_IbLb0EEEEDaS15_S16_EUlS15_E_NS1_11comp_targetILNS1_3genE2ELNS1_11target_archE906ELNS1_3gpuE6ELNS1_3repE0EEENS1_30default_config_static_selectorELNS0_4arch9wavefront6targetE1EEEvT1_.has_recursion, 0
	.set _ZN7rocprim17ROCPRIM_400000_NS6detail17trampoline_kernelINS0_14default_configENS1_25partition_config_selectorILNS1_17partition_subalgoE8EiNS0_10empty_typeEbEEZZNS1_14partition_implILS5_8ELb0ES3_jN6thrust23THRUST_200600_302600_NS6detail15normal_iteratorINSA_10device_ptrIiEEEEPS6_PKS6_NS0_5tupleIJSF_S6_EEENSJ_IJSG_SG_EEENS0_18inequality_wrapperI22is_equal_div_10_uniqueIiEEEPmJS6_EEE10hipError_tPvRmT3_T4_T5_T6_T7_T9_mT8_P12ihipStream_tbDpT10_ENKUlT_T0_E_clISt17integral_constantIbLb1EES19_IbLb0EEEEDaS15_S16_EUlS15_E_NS1_11comp_targetILNS1_3genE2ELNS1_11target_archE906ELNS1_3gpuE6ELNS1_3repE0EEENS1_30default_config_static_selectorELNS0_4arch9wavefront6targetE1EEEvT1_.has_indirect_call, 0
	.section	.AMDGPU.csdata,"",@progbits
; Kernel info:
; codeLenInByte = 4
; TotalNumSgprs: 4
; NumVgprs: 0
; ScratchSize: 0
; MemoryBound: 0
; FloatMode: 240
; IeeeMode: 1
; LDSByteSize: 0 bytes/workgroup (compile time only)
; SGPRBlocks: 0
; VGPRBlocks: 0
; NumSGPRsForWavesPerEU: 4
; NumVGPRsForWavesPerEU: 1
; Occupancy: 10
; WaveLimiterHint : 0
; COMPUTE_PGM_RSRC2:SCRATCH_EN: 0
; COMPUTE_PGM_RSRC2:USER_SGPR: 6
; COMPUTE_PGM_RSRC2:TRAP_HANDLER: 0
; COMPUTE_PGM_RSRC2:TGID_X_EN: 1
; COMPUTE_PGM_RSRC2:TGID_Y_EN: 0
; COMPUTE_PGM_RSRC2:TGID_Z_EN: 0
; COMPUTE_PGM_RSRC2:TIDIG_COMP_CNT: 0
	.section	.text._ZN7rocprim17ROCPRIM_400000_NS6detail17trampoline_kernelINS0_14default_configENS1_25partition_config_selectorILNS1_17partition_subalgoE8EiNS0_10empty_typeEbEEZZNS1_14partition_implILS5_8ELb0ES3_jN6thrust23THRUST_200600_302600_NS6detail15normal_iteratorINSA_10device_ptrIiEEEEPS6_PKS6_NS0_5tupleIJSF_S6_EEENSJ_IJSG_SG_EEENS0_18inequality_wrapperI22is_equal_div_10_uniqueIiEEEPmJS6_EEE10hipError_tPvRmT3_T4_T5_T6_T7_T9_mT8_P12ihipStream_tbDpT10_ENKUlT_T0_E_clISt17integral_constantIbLb1EES19_IbLb0EEEEDaS15_S16_EUlS15_E_NS1_11comp_targetILNS1_3genE10ELNS1_11target_archE1200ELNS1_3gpuE4ELNS1_3repE0EEENS1_30default_config_static_selectorELNS0_4arch9wavefront6targetE1EEEvT1_,"axG",@progbits,_ZN7rocprim17ROCPRIM_400000_NS6detail17trampoline_kernelINS0_14default_configENS1_25partition_config_selectorILNS1_17partition_subalgoE8EiNS0_10empty_typeEbEEZZNS1_14partition_implILS5_8ELb0ES3_jN6thrust23THRUST_200600_302600_NS6detail15normal_iteratorINSA_10device_ptrIiEEEEPS6_PKS6_NS0_5tupleIJSF_S6_EEENSJ_IJSG_SG_EEENS0_18inequality_wrapperI22is_equal_div_10_uniqueIiEEEPmJS6_EEE10hipError_tPvRmT3_T4_T5_T6_T7_T9_mT8_P12ihipStream_tbDpT10_ENKUlT_T0_E_clISt17integral_constantIbLb1EES19_IbLb0EEEEDaS15_S16_EUlS15_E_NS1_11comp_targetILNS1_3genE10ELNS1_11target_archE1200ELNS1_3gpuE4ELNS1_3repE0EEENS1_30default_config_static_selectorELNS0_4arch9wavefront6targetE1EEEvT1_,comdat
	.protected	_ZN7rocprim17ROCPRIM_400000_NS6detail17trampoline_kernelINS0_14default_configENS1_25partition_config_selectorILNS1_17partition_subalgoE8EiNS0_10empty_typeEbEEZZNS1_14partition_implILS5_8ELb0ES3_jN6thrust23THRUST_200600_302600_NS6detail15normal_iteratorINSA_10device_ptrIiEEEEPS6_PKS6_NS0_5tupleIJSF_S6_EEENSJ_IJSG_SG_EEENS0_18inequality_wrapperI22is_equal_div_10_uniqueIiEEEPmJS6_EEE10hipError_tPvRmT3_T4_T5_T6_T7_T9_mT8_P12ihipStream_tbDpT10_ENKUlT_T0_E_clISt17integral_constantIbLb1EES19_IbLb0EEEEDaS15_S16_EUlS15_E_NS1_11comp_targetILNS1_3genE10ELNS1_11target_archE1200ELNS1_3gpuE4ELNS1_3repE0EEENS1_30default_config_static_selectorELNS0_4arch9wavefront6targetE1EEEvT1_ ; -- Begin function _ZN7rocprim17ROCPRIM_400000_NS6detail17trampoline_kernelINS0_14default_configENS1_25partition_config_selectorILNS1_17partition_subalgoE8EiNS0_10empty_typeEbEEZZNS1_14partition_implILS5_8ELb0ES3_jN6thrust23THRUST_200600_302600_NS6detail15normal_iteratorINSA_10device_ptrIiEEEEPS6_PKS6_NS0_5tupleIJSF_S6_EEENSJ_IJSG_SG_EEENS0_18inequality_wrapperI22is_equal_div_10_uniqueIiEEEPmJS6_EEE10hipError_tPvRmT3_T4_T5_T6_T7_T9_mT8_P12ihipStream_tbDpT10_ENKUlT_T0_E_clISt17integral_constantIbLb1EES19_IbLb0EEEEDaS15_S16_EUlS15_E_NS1_11comp_targetILNS1_3genE10ELNS1_11target_archE1200ELNS1_3gpuE4ELNS1_3repE0EEENS1_30default_config_static_selectorELNS0_4arch9wavefront6targetE1EEEvT1_
	.globl	_ZN7rocprim17ROCPRIM_400000_NS6detail17trampoline_kernelINS0_14default_configENS1_25partition_config_selectorILNS1_17partition_subalgoE8EiNS0_10empty_typeEbEEZZNS1_14partition_implILS5_8ELb0ES3_jN6thrust23THRUST_200600_302600_NS6detail15normal_iteratorINSA_10device_ptrIiEEEEPS6_PKS6_NS0_5tupleIJSF_S6_EEENSJ_IJSG_SG_EEENS0_18inequality_wrapperI22is_equal_div_10_uniqueIiEEEPmJS6_EEE10hipError_tPvRmT3_T4_T5_T6_T7_T9_mT8_P12ihipStream_tbDpT10_ENKUlT_T0_E_clISt17integral_constantIbLb1EES19_IbLb0EEEEDaS15_S16_EUlS15_E_NS1_11comp_targetILNS1_3genE10ELNS1_11target_archE1200ELNS1_3gpuE4ELNS1_3repE0EEENS1_30default_config_static_selectorELNS0_4arch9wavefront6targetE1EEEvT1_
	.p2align	8
	.type	_ZN7rocprim17ROCPRIM_400000_NS6detail17trampoline_kernelINS0_14default_configENS1_25partition_config_selectorILNS1_17partition_subalgoE8EiNS0_10empty_typeEbEEZZNS1_14partition_implILS5_8ELb0ES3_jN6thrust23THRUST_200600_302600_NS6detail15normal_iteratorINSA_10device_ptrIiEEEEPS6_PKS6_NS0_5tupleIJSF_S6_EEENSJ_IJSG_SG_EEENS0_18inequality_wrapperI22is_equal_div_10_uniqueIiEEEPmJS6_EEE10hipError_tPvRmT3_T4_T5_T6_T7_T9_mT8_P12ihipStream_tbDpT10_ENKUlT_T0_E_clISt17integral_constantIbLb1EES19_IbLb0EEEEDaS15_S16_EUlS15_E_NS1_11comp_targetILNS1_3genE10ELNS1_11target_archE1200ELNS1_3gpuE4ELNS1_3repE0EEENS1_30default_config_static_selectorELNS0_4arch9wavefront6targetE1EEEvT1_,@function
_ZN7rocprim17ROCPRIM_400000_NS6detail17trampoline_kernelINS0_14default_configENS1_25partition_config_selectorILNS1_17partition_subalgoE8EiNS0_10empty_typeEbEEZZNS1_14partition_implILS5_8ELb0ES3_jN6thrust23THRUST_200600_302600_NS6detail15normal_iteratorINSA_10device_ptrIiEEEEPS6_PKS6_NS0_5tupleIJSF_S6_EEENSJ_IJSG_SG_EEENS0_18inequality_wrapperI22is_equal_div_10_uniqueIiEEEPmJS6_EEE10hipError_tPvRmT3_T4_T5_T6_T7_T9_mT8_P12ihipStream_tbDpT10_ENKUlT_T0_E_clISt17integral_constantIbLb1EES19_IbLb0EEEEDaS15_S16_EUlS15_E_NS1_11comp_targetILNS1_3genE10ELNS1_11target_archE1200ELNS1_3gpuE4ELNS1_3repE0EEENS1_30default_config_static_selectorELNS0_4arch9wavefront6targetE1EEEvT1_: ; @_ZN7rocprim17ROCPRIM_400000_NS6detail17trampoline_kernelINS0_14default_configENS1_25partition_config_selectorILNS1_17partition_subalgoE8EiNS0_10empty_typeEbEEZZNS1_14partition_implILS5_8ELb0ES3_jN6thrust23THRUST_200600_302600_NS6detail15normal_iteratorINSA_10device_ptrIiEEEEPS6_PKS6_NS0_5tupleIJSF_S6_EEENSJ_IJSG_SG_EEENS0_18inequality_wrapperI22is_equal_div_10_uniqueIiEEEPmJS6_EEE10hipError_tPvRmT3_T4_T5_T6_T7_T9_mT8_P12ihipStream_tbDpT10_ENKUlT_T0_E_clISt17integral_constantIbLb1EES19_IbLb0EEEEDaS15_S16_EUlS15_E_NS1_11comp_targetILNS1_3genE10ELNS1_11target_archE1200ELNS1_3gpuE4ELNS1_3repE0EEENS1_30default_config_static_selectorELNS0_4arch9wavefront6targetE1EEEvT1_
; %bb.0:
	.section	.rodata,"a",@progbits
	.p2align	6, 0x0
	.amdhsa_kernel _ZN7rocprim17ROCPRIM_400000_NS6detail17trampoline_kernelINS0_14default_configENS1_25partition_config_selectorILNS1_17partition_subalgoE8EiNS0_10empty_typeEbEEZZNS1_14partition_implILS5_8ELb0ES3_jN6thrust23THRUST_200600_302600_NS6detail15normal_iteratorINSA_10device_ptrIiEEEEPS6_PKS6_NS0_5tupleIJSF_S6_EEENSJ_IJSG_SG_EEENS0_18inequality_wrapperI22is_equal_div_10_uniqueIiEEEPmJS6_EEE10hipError_tPvRmT3_T4_T5_T6_T7_T9_mT8_P12ihipStream_tbDpT10_ENKUlT_T0_E_clISt17integral_constantIbLb1EES19_IbLb0EEEEDaS15_S16_EUlS15_E_NS1_11comp_targetILNS1_3genE10ELNS1_11target_archE1200ELNS1_3gpuE4ELNS1_3repE0EEENS1_30default_config_static_selectorELNS0_4arch9wavefront6targetE1EEEvT1_
		.amdhsa_group_segment_fixed_size 0
		.amdhsa_private_segment_fixed_size 0
		.amdhsa_kernarg_size 112
		.amdhsa_user_sgpr_count 6
		.amdhsa_user_sgpr_private_segment_buffer 1
		.amdhsa_user_sgpr_dispatch_ptr 0
		.amdhsa_user_sgpr_queue_ptr 0
		.amdhsa_user_sgpr_kernarg_segment_ptr 1
		.amdhsa_user_sgpr_dispatch_id 0
		.amdhsa_user_sgpr_flat_scratch_init 0
		.amdhsa_user_sgpr_private_segment_size 0
		.amdhsa_uses_dynamic_stack 0
		.amdhsa_system_sgpr_private_segment_wavefront_offset 0
		.amdhsa_system_sgpr_workgroup_id_x 1
		.amdhsa_system_sgpr_workgroup_id_y 0
		.amdhsa_system_sgpr_workgroup_id_z 0
		.amdhsa_system_sgpr_workgroup_info 0
		.amdhsa_system_vgpr_workitem_id 0
		.amdhsa_next_free_vgpr 1
		.amdhsa_next_free_sgpr 0
		.amdhsa_reserve_vcc 0
		.amdhsa_reserve_flat_scratch 0
		.amdhsa_float_round_mode_32 0
		.amdhsa_float_round_mode_16_64 0
		.amdhsa_float_denorm_mode_32 3
		.amdhsa_float_denorm_mode_16_64 3
		.amdhsa_dx10_clamp 1
		.amdhsa_ieee_mode 1
		.amdhsa_fp16_overflow 0
		.amdhsa_exception_fp_ieee_invalid_op 0
		.amdhsa_exception_fp_denorm_src 0
		.amdhsa_exception_fp_ieee_div_zero 0
		.amdhsa_exception_fp_ieee_overflow 0
		.amdhsa_exception_fp_ieee_underflow 0
		.amdhsa_exception_fp_ieee_inexact 0
		.amdhsa_exception_int_div_zero 0
	.end_amdhsa_kernel
	.section	.text._ZN7rocprim17ROCPRIM_400000_NS6detail17trampoline_kernelINS0_14default_configENS1_25partition_config_selectorILNS1_17partition_subalgoE8EiNS0_10empty_typeEbEEZZNS1_14partition_implILS5_8ELb0ES3_jN6thrust23THRUST_200600_302600_NS6detail15normal_iteratorINSA_10device_ptrIiEEEEPS6_PKS6_NS0_5tupleIJSF_S6_EEENSJ_IJSG_SG_EEENS0_18inequality_wrapperI22is_equal_div_10_uniqueIiEEEPmJS6_EEE10hipError_tPvRmT3_T4_T5_T6_T7_T9_mT8_P12ihipStream_tbDpT10_ENKUlT_T0_E_clISt17integral_constantIbLb1EES19_IbLb0EEEEDaS15_S16_EUlS15_E_NS1_11comp_targetILNS1_3genE10ELNS1_11target_archE1200ELNS1_3gpuE4ELNS1_3repE0EEENS1_30default_config_static_selectorELNS0_4arch9wavefront6targetE1EEEvT1_,"axG",@progbits,_ZN7rocprim17ROCPRIM_400000_NS6detail17trampoline_kernelINS0_14default_configENS1_25partition_config_selectorILNS1_17partition_subalgoE8EiNS0_10empty_typeEbEEZZNS1_14partition_implILS5_8ELb0ES3_jN6thrust23THRUST_200600_302600_NS6detail15normal_iteratorINSA_10device_ptrIiEEEEPS6_PKS6_NS0_5tupleIJSF_S6_EEENSJ_IJSG_SG_EEENS0_18inequality_wrapperI22is_equal_div_10_uniqueIiEEEPmJS6_EEE10hipError_tPvRmT3_T4_T5_T6_T7_T9_mT8_P12ihipStream_tbDpT10_ENKUlT_T0_E_clISt17integral_constantIbLb1EES19_IbLb0EEEEDaS15_S16_EUlS15_E_NS1_11comp_targetILNS1_3genE10ELNS1_11target_archE1200ELNS1_3gpuE4ELNS1_3repE0EEENS1_30default_config_static_selectorELNS0_4arch9wavefront6targetE1EEEvT1_,comdat
.Lfunc_end457:
	.size	_ZN7rocprim17ROCPRIM_400000_NS6detail17trampoline_kernelINS0_14default_configENS1_25partition_config_selectorILNS1_17partition_subalgoE8EiNS0_10empty_typeEbEEZZNS1_14partition_implILS5_8ELb0ES3_jN6thrust23THRUST_200600_302600_NS6detail15normal_iteratorINSA_10device_ptrIiEEEEPS6_PKS6_NS0_5tupleIJSF_S6_EEENSJ_IJSG_SG_EEENS0_18inequality_wrapperI22is_equal_div_10_uniqueIiEEEPmJS6_EEE10hipError_tPvRmT3_T4_T5_T6_T7_T9_mT8_P12ihipStream_tbDpT10_ENKUlT_T0_E_clISt17integral_constantIbLb1EES19_IbLb0EEEEDaS15_S16_EUlS15_E_NS1_11comp_targetILNS1_3genE10ELNS1_11target_archE1200ELNS1_3gpuE4ELNS1_3repE0EEENS1_30default_config_static_selectorELNS0_4arch9wavefront6targetE1EEEvT1_, .Lfunc_end457-_ZN7rocprim17ROCPRIM_400000_NS6detail17trampoline_kernelINS0_14default_configENS1_25partition_config_selectorILNS1_17partition_subalgoE8EiNS0_10empty_typeEbEEZZNS1_14partition_implILS5_8ELb0ES3_jN6thrust23THRUST_200600_302600_NS6detail15normal_iteratorINSA_10device_ptrIiEEEEPS6_PKS6_NS0_5tupleIJSF_S6_EEENSJ_IJSG_SG_EEENS0_18inequality_wrapperI22is_equal_div_10_uniqueIiEEEPmJS6_EEE10hipError_tPvRmT3_T4_T5_T6_T7_T9_mT8_P12ihipStream_tbDpT10_ENKUlT_T0_E_clISt17integral_constantIbLb1EES19_IbLb0EEEEDaS15_S16_EUlS15_E_NS1_11comp_targetILNS1_3genE10ELNS1_11target_archE1200ELNS1_3gpuE4ELNS1_3repE0EEENS1_30default_config_static_selectorELNS0_4arch9wavefront6targetE1EEEvT1_
                                        ; -- End function
	.set _ZN7rocprim17ROCPRIM_400000_NS6detail17trampoline_kernelINS0_14default_configENS1_25partition_config_selectorILNS1_17partition_subalgoE8EiNS0_10empty_typeEbEEZZNS1_14partition_implILS5_8ELb0ES3_jN6thrust23THRUST_200600_302600_NS6detail15normal_iteratorINSA_10device_ptrIiEEEEPS6_PKS6_NS0_5tupleIJSF_S6_EEENSJ_IJSG_SG_EEENS0_18inequality_wrapperI22is_equal_div_10_uniqueIiEEEPmJS6_EEE10hipError_tPvRmT3_T4_T5_T6_T7_T9_mT8_P12ihipStream_tbDpT10_ENKUlT_T0_E_clISt17integral_constantIbLb1EES19_IbLb0EEEEDaS15_S16_EUlS15_E_NS1_11comp_targetILNS1_3genE10ELNS1_11target_archE1200ELNS1_3gpuE4ELNS1_3repE0EEENS1_30default_config_static_selectorELNS0_4arch9wavefront6targetE1EEEvT1_.num_vgpr, 0
	.set _ZN7rocprim17ROCPRIM_400000_NS6detail17trampoline_kernelINS0_14default_configENS1_25partition_config_selectorILNS1_17partition_subalgoE8EiNS0_10empty_typeEbEEZZNS1_14partition_implILS5_8ELb0ES3_jN6thrust23THRUST_200600_302600_NS6detail15normal_iteratorINSA_10device_ptrIiEEEEPS6_PKS6_NS0_5tupleIJSF_S6_EEENSJ_IJSG_SG_EEENS0_18inequality_wrapperI22is_equal_div_10_uniqueIiEEEPmJS6_EEE10hipError_tPvRmT3_T4_T5_T6_T7_T9_mT8_P12ihipStream_tbDpT10_ENKUlT_T0_E_clISt17integral_constantIbLb1EES19_IbLb0EEEEDaS15_S16_EUlS15_E_NS1_11comp_targetILNS1_3genE10ELNS1_11target_archE1200ELNS1_3gpuE4ELNS1_3repE0EEENS1_30default_config_static_selectorELNS0_4arch9wavefront6targetE1EEEvT1_.num_agpr, 0
	.set _ZN7rocprim17ROCPRIM_400000_NS6detail17trampoline_kernelINS0_14default_configENS1_25partition_config_selectorILNS1_17partition_subalgoE8EiNS0_10empty_typeEbEEZZNS1_14partition_implILS5_8ELb0ES3_jN6thrust23THRUST_200600_302600_NS6detail15normal_iteratorINSA_10device_ptrIiEEEEPS6_PKS6_NS0_5tupleIJSF_S6_EEENSJ_IJSG_SG_EEENS0_18inequality_wrapperI22is_equal_div_10_uniqueIiEEEPmJS6_EEE10hipError_tPvRmT3_T4_T5_T6_T7_T9_mT8_P12ihipStream_tbDpT10_ENKUlT_T0_E_clISt17integral_constantIbLb1EES19_IbLb0EEEEDaS15_S16_EUlS15_E_NS1_11comp_targetILNS1_3genE10ELNS1_11target_archE1200ELNS1_3gpuE4ELNS1_3repE0EEENS1_30default_config_static_selectorELNS0_4arch9wavefront6targetE1EEEvT1_.numbered_sgpr, 0
	.set _ZN7rocprim17ROCPRIM_400000_NS6detail17trampoline_kernelINS0_14default_configENS1_25partition_config_selectorILNS1_17partition_subalgoE8EiNS0_10empty_typeEbEEZZNS1_14partition_implILS5_8ELb0ES3_jN6thrust23THRUST_200600_302600_NS6detail15normal_iteratorINSA_10device_ptrIiEEEEPS6_PKS6_NS0_5tupleIJSF_S6_EEENSJ_IJSG_SG_EEENS0_18inequality_wrapperI22is_equal_div_10_uniqueIiEEEPmJS6_EEE10hipError_tPvRmT3_T4_T5_T6_T7_T9_mT8_P12ihipStream_tbDpT10_ENKUlT_T0_E_clISt17integral_constantIbLb1EES19_IbLb0EEEEDaS15_S16_EUlS15_E_NS1_11comp_targetILNS1_3genE10ELNS1_11target_archE1200ELNS1_3gpuE4ELNS1_3repE0EEENS1_30default_config_static_selectorELNS0_4arch9wavefront6targetE1EEEvT1_.num_named_barrier, 0
	.set _ZN7rocprim17ROCPRIM_400000_NS6detail17trampoline_kernelINS0_14default_configENS1_25partition_config_selectorILNS1_17partition_subalgoE8EiNS0_10empty_typeEbEEZZNS1_14partition_implILS5_8ELb0ES3_jN6thrust23THRUST_200600_302600_NS6detail15normal_iteratorINSA_10device_ptrIiEEEEPS6_PKS6_NS0_5tupleIJSF_S6_EEENSJ_IJSG_SG_EEENS0_18inequality_wrapperI22is_equal_div_10_uniqueIiEEEPmJS6_EEE10hipError_tPvRmT3_T4_T5_T6_T7_T9_mT8_P12ihipStream_tbDpT10_ENKUlT_T0_E_clISt17integral_constantIbLb1EES19_IbLb0EEEEDaS15_S16_EUlS15_E_NS1_11comp_targetILNS1_3genE10ELNS1_11target_archE1200ELNS1_3gpuE4ELNS1_3repE0EEENS1_30default_config_static_selectorELNS0_4arch9wavefront6targetE1EEEvT1_.private_seg_size, 0
	.set _ZN7rocprim17ROCPRIM_400000_NS6detail17trampoline_kernelINS0_14default_configENS1_25partition_config_selectorILNS1_17partition_subalgoE8EiNS0_10empty_typeEbEEZZNS1_14partition_implILS5_8ELb0ES3_jN6thrust23THRUST_200600_302600_NS6detail15normal_iteratorINSA_10device_ptrIiEEEEPS6_PKS6_NS0_5tupleIJSF_S6_EEENSJ_IJSG_SG_EEENS0_18inequality_wrapperI22is_equal_div_10_uniqueIiEEEPmJS6_EEE10hipError_tPvRmT3_T4_T5_T6_T7_T9_mT8_P12ihipStream_tbDpT10_ENKUlT_T0_E_clISt17integral_constantIbLb1EES19_IbLb0EEEEDaS15_S16_EUlS15_E_NS1_11comp_targetILNS1_3genE10ELNS1_11target_archE1200ELNS1_3gpuE4ELNS1_3repE0EEENS1_30default_config_static_selectorELNS0_4arch9wavefront6targetE1EEEvT1_.uses_vcc, 0
	.set _ZN7rocprim17ROCPRIM_400000_NS6detail17trampoline_kernelINS0_14default_configENS1_25partition_config_selectorILNS1_17partition_subalgoE8EiNS0_10empty_typeEbEEZZNS1_14partition_implILS5_8ELb0ES3_jN6thrust23THRUST_200600_302600_NS6detail15normal_iteratorINSA_10device_ptrIiEEEEPS6_PKS6_NS0_5tupleIJSF_S6_EEENSJ_IJSG_SG_EEENS0_18inequality_wrapperI22is_equal_div_10_uniqueIiEEEPmJS6_EEE10hipError_tPvRmT3_T4_T5_T6_T7_T9_mT8_P12ihipStream_tbDpT10_ENKUlT_T0_E_clISt17integral_constantIbLb1EES19_IbLb0EEEEDaS15_S16_EUlS15_E_NS1_11comp_targetILNS1_3genE10ELNS1_11target_archE1200ELNS1_3gpuE4ELNS1_3repE0EEENS1_30default_config_static_selectorELNS0_4arch9wavefront6targetE1EEEvT1_.uses_flat_scratch, 0
	.set _ZN7rocprim17ROCPRIM_400000_NS6detail17trampoline_kernelINS0_14default_configENS1_25partition_config_selectorILNS1_17partition_subalgoE8EiNS0_10empty_typeEbEEZZNS1_14partition_implILS5_8ELb0ES3_jN6thrust23THRUST_200600_302600_NS6detail15normal_iteratorINSA_10device_ptrIiEEEEPS6_PKS6_NS0_5tupleIJSF_S6_EEENSJ_IJSG_SG_EEENS0_18inequality_wrapperI22is_equal_div_10_uniqueIiEEEPmJS6_EEE10hipError_tPvRmT3_T4_T5_T6_T7_T9_mT8_P12ihipStream_tbDpT10_ENKUlT_T0_E_clISt17integral_constantIbLb1EES19_IbLb0EEEEDaS15_S16_EUlS15_E_NS1_11comp_targetILNS1_3genE10ELNS1_11target_archE1200ELNS1_3gpuE4ELNS1_3repE0EEENS1_30default_config_static_selectorELNS0_4arch9wavefront6targetE1EEEvT1_.has_dyn_sized_stack, 0
	.set _ZN7rocprim17ROCPRIM_400000_NS6detail17trampoline_kernelINS0_14default_configENS1_25partition_config_selectorILNS1_17partition_subalgoE8EiNS0_10empty_typeEbEEZZNS1_14partition_implILS5_8ELb0ES3_jN6thrust23THRUST_200600_302600_NS6detail15normal_iteratorINSA_10device_ptrIiEEEEPS6_PKS6_NS0_5tupleIJSF_S6_EEENSJ_IJSG_SG_EEENS0_18inequality_wrapperI22is_equal_div_10_uniqueIiEEEPmJS6_EEE10hipError_tPvRmT3_T4_T5_T6_T7_T9_mT8_P12ihipStream_tbDpT10_ENKUlT_T0_E_clISt17integral_constantIbLb1EES19_IbLb0EEEEDaS15_S16_EUlS15_E_NS1_11comp_targetILNS1_3genE10ELNS1_11target_archE1200ELNS1_3gpuE4ELNS1_3repE0EEENS1_30default_config_static_selectorELNS0_4arch9wavefront6targetE1EEEvT1_.has_recursion, 0
	.set _ZN7rocprim17ROCPRIM_400000_NS6detail17trampoline_kernelINS0_14default_configENS1_25partition_config_selectorILNS1_17partition_subalgoE8EiNS0_10empty_typeEbEEZZNS1_14partition_implILS5_8ELb0ES3_jN6thrust23THRUST_200600_302600_NS6detail15normal_iteratorINSA_10device_ptrIiEEEEPS6_PKS6_NS0_5tupleIJSF_S6_EEENSJ_IJSG_SG_EEENS0_18inequality_wrapperI22is_equal_div_10_uniqueIiEEEPmJS6_EEE10hipError_tPvRmT3_T4_T5_T6_T7_T9_mT8_P12ihipStream_tbDpT10_ENKUlT_T0_E_clISt17integral_constantIbLb1EES19_IbLb0EEEEDaS15_S16_EUlS15_E_NS1_11comp_targetILNS1_3genE10ELNS1_11target_archE1200ELNS1_3gpuE4ELNS1_3repE0EEENS1_30default_config_static_selectorELNS0_4arch9wavefront6targetE1EEEvT1_.has_indirect_call, 0
	.section	.AMDGPU.csdata,"",@progbits
; Kernel info:
; codeLenInByte = 0
; TotalNumSgprs: 4
; NumVgprs: 0
; ScratchSize: 0
; MemoryBound: 0
; FloatMode: 240
; IeeeMode: 1
; LDSByteSize: 0 bytes/workgroup (compile time only)
; SGPRBlocks: 0
; VGPRBlocks: 0
; NumSGPRsForWavesPerEU: 4
; NumVGPRsForWavesPerEU: 1
; Occupancy: 10
; WaveLimiterHint : 0
; COMPUTE_PGM_RSRC2:SCRATCH_EN: 0
; COMPUTE_PGM_RSRC2:USER_SGPR: 6
; COMPUTE_PGM_RSRC2:TRAP_HANDLER: 0
; COMPUTE_PGM_RSRC2:TGID_X_EN: 1
; COMPUTE_PGM_RSRC2:TGID_Y_EN: 0
; COMPUTE_PGM_RSRC2:TGID_Z_EN: 0
; COMPUTE_PGM_RSRC2:TIDIG_COMP_CNT: 0
	.section	.text._ZN7rocprim17ROCPRIM_400000_NS6detail17trampoline_kernelINS0_14default_configENS1_25partition_config_selectorILNS1_17partition_subalgoE8EiNS0_10empty_typeEbEEZZNS1_14partition_implILS5_8ELb0ES3_jN6thrust23THRUST_200600_302600_NS6detail15normal_iteratorINSA_10device_ptrIiEEEEPS6_PKS6_NS0_5tupleIJSF_S6_EEENSJ_IJSG_SG_EEENS0_18inequality_wrapperI22is_equal_div_10_uniqueIiEEEPmJS6_EEE10hipError_tPvRmT3_T4_T5_T6_T7_T9_mT8_P12ihipStream_tbDpT10_ENKUlT_T0_E_clISt17integral_constantIbLb1EES19_IbLb0EEEEDaS15_S16_EUlS15_E_NS1_11comp_targetILNS1_3genE9ELNS1_11target_archE1100ELNS1_3gpuE3ELNS1_3repE0EEENS1_30default_config_static_selectorELNS0_4arch9wavefront6targetE1EEEvT1_,"axG",@progbits,_ZN7rocprim17ROCPRIM_400000_NS6detail17trampoline_kernelINS0_14default_configENS1_25partition_config_selectorILNS1_17partition_subalgoE8EiNS0_10empty_typeEbEEZZNS1_14partition_implILS5_8ELb0ES3_jN6thrust23THRUST_200600_302600_NS6detail15normal_iteratorINSA_10device_ptrIiEEEEPS6_PKS6_NS0_5tupleIJSF_S6_EEENSJ_IJSG_SG_EEENS0_18inequality_wrapperI22is_equal_div_10_uniqueIiEEEPmJS6_EEE10hipError_tPvRmT3_T4_T5_T6_T7_T9_mT8_P12ihipStream_tbDpT10_ENKUlT_T0_E_clISt17integral_constantIbLb1EES19_IbLb0EEEEDaS15_S16_EUlS15_E_NS1_11comp_targetILNS1_3genE9ELNS1_11target_archE1100ELNS1_3gpuE3ELNS1_3repE0EEENS1_30default_config_static_selectorELNS0_4arch9wavefront6targetE1EEEvT1_,comdat
	.protected	_ZN7rocprim17ROCPRIM_400000_NS6detail17trampoline_kernelINS0_14default_configENS1_25partition_config_selectorILNS1_17partition_subalgoE8EiNS0_10empty_typeEbEEZZNS1_14partition_implILS5_8ELb0ES3_jN6thrust23THRUST_200600_302600_NS6detail15normal_iteratorINSA_10device_ptrIiEEEEPS6_PKS6_NS0_5tupleIJSF_S6_EEENSJ_IJSG_SG_EEENS0_18inequality_wrapperI22is_equal_div_10_uniqueIiEEEPmJS6_EEE10hipError_tPvRmT3_T4_T5_T6_T7_T9_mT8_P12ihipStream_tbDpT10_ENKUlT_T0_E_clISt17integral_constantIbLb1EES19_IbLb0EEEEDaS15_S16_EUlS15_E_NS1_11comp_targetILNS1_3genE9ELNS1_11target_archE1100ELNS1_3gpuE3ELNS1_3repE0EEENS1_30default_config_static_selectorELNS0_4arch9wavefront6targetE1EEEvT1_ ; -- Begin function _ZN7rocprim17ROCPRIM_400000_NS6detail17trampoline_kernelINS0_14default_configENS1_25partition_config_selectorILNS1_17partition_subalgoE8EiNS0_10empty_typeEbEEZZNS1_14partition_implILS5_8ELb0ES3_jN6thrust23THRUST_200600_302600_NS6detail15normal_iteratorINSA_10device_ptrIiEEEEPS6_PKS6_NS0_5tupleIJSF_S6_EEENSJ_IJSG_SG_EEENS0_18inequality_wrapperI22is_equal_div_10_uniqueIiEEEPmJS6_EEE10hipError_tPvRmT3_T4_T5_T6_T7_T9_mT8_P12ihipStream_tbDpT10_ENKUlT_T0_E_clISt17integral_constantIbLb1EES19_IbLb0EEEEDaS15_S16_EUlS15_E_NS1_11comp_targetILNS1_3genE9ELNS1_11target_archE1100ELNS1_3gpuE3ELNS1_3repE0EEENS1_30default_config_static_selectorELNS0_4arch9wavefront6targetE1EEEvT1_
	.globl	_ZN7rocprim17ROCPRIM_400000_NS6detail17trampoline_kernelINS0_14default_configENS1_25partition_config_selectorILNS1_17partition_subalgoE8EiNS0_10empty_typeEbEEZZNS1_14partition_implILS5_8ELb0ES3_jN6thrust23THRUST_200600_302600_NS6detail15normal_iteratorINSA_10device_ptrIiEEEEPS6_PKS6_NS0_5tupleIJSF_S6_EEENSJ_IJSG_SG_EEENS0_18inequality_wrapperI22is_equal_div_10_uniqueIiEEEPmJS6_EEE10hipError_tPvRmT3_T4_T5_T6_T7_T9_mT8_P12ihipStream_tbDpT10_ENKUlT_T0_E_clISt17integral_constantIbLb1EES19_IbLb0EEEEDaS15_S16_EUlS15_E_NS1_11comp_targetILNS1_3genE9ELNS1_11target_archE1100ELNS1_3gpuE3ELNS1_3repE0EEENS1_30default_config_static_selectorELNS0_4arch9wavefront6targetE1EEEvT1_
	.p2align	8
	.type	_ZN7rocprim17ROCPRIM_400000_NS6detail17trampoline_kernelINS0_14default_configENS1_25partition_config_selectorILNS1_17partition_subalgoE8EiNS0_10empty_typeEbEEZZNS1_14partition_implILS5_8ELb0ES3_jN6thrust23THRUST_200600_302600_NS6detail15normal_iteratorINSA_10device_ptrIiEEEEPS6_PKS6_NS0_5tupleIJSF_S6_EEENSJ_IJSG_SG_EEENS0_18inequality_wrapperI22is_equal_div_10_uniqueIiEEEPmJS6_EEE10hipError_tPvRmT3_T4_T5_T6_T7_T9_mT8_P12ihipStream_tbDpT10_ENKUlT_T0_E_clISt17integral_constantIbLb1EES19_IbLb0EEEEDaS15_S16_EUlS15_E_NS1_11comp_targetILNS1_3genE9ELNS1_11target_archE1100ELNS1_3gpuE3ELNS1_3repE0EEENS1_30default_config_static_selectorELNS0_4arch9wavefront6targetE1EEEvT1_,@function
_ZN7rocprim17ROCPRIM_400000_NS6detail17trampoline_kernelINS0_14default_configENS1_25partition_config_selectorILNS1_17partition_subalgoE8EiNS0_10empty_typeEbEEZZNS1_14partition_implILS5_8ELb0ES3_jN6thrust23THRUST_200600_302600_NS6detail15normal_iteratorINSA_10device_ptrIiEEEEPS6_PKS6_NS0_5tupleIJSF_S6_EEENSJ_IJSG_SG_EEENS0_18inequality_wrapperI22is_equal_div_10_uniqueIiEEEPmJS6_EEE10hipError_tPvRmT3_T4_T5_T6_T7_T9_mT8_P12ihipStream_tbDpT10_ENKUlT_T0_E_clISt17integral_constantIbLb1EES19_IbLb0EEEEDaS15_S16_EUlS15_E_NS1_11comp_targetILNS1_3genE9ELNS1_11target_archE1100ELNS1_3gpuE3ELNS1_3repE0EEENS1_30default_config_static_selectorELNS0_4arch9wavefront6targetE1EEEvT1_: ; @_ZN7rocprim17ROCPRIM_400000_NS6detail17trampoline_kernelINS0_14default_configENS1_25partition_config_selectorILNS1_17partition_subalgoE8EiNS0_10empty_typeEbEEZZNS1_14partition_implILS5_8ELb0ES3_jN6thrust23THRUST_200600_302600_NS6detail15normal_iteratorINSA_10device_ptrIiEEEEPS6_PKS6_NS0_5tupleIJSF_S6_EEENSJ_IJSG_SG_EEENS0_18inequality_wrapperI22is_equal_div_10_uniqueIiEEEPmJS6_EEE10hipError_tPvRmT3_T4_T5_T6_T7_T9_mT8_P12ihipStream_tbDpT10_ENKUlT_T0_E_clISt17integral_constantIbLb1EES19_IbLb0EEEEDaS15_S16_EUlS15_E_NS1_11comp_targetILNS1_3genE9ELNS1_11target_archE1100ELNS1_3gpuE3ELNS1_3repE0EEENS1_30default_config_static_selectorELNS0_4arch9wavefront6targetE1EEEvT1_
; %bb.0:
	.section	.rodata,"a",@progbits
	.p2align	6, 0x0
	.amdhsa_kernel _ZN7rocprim17ROCPRIM_400000_NS6detail17trampoline_kernelINS0_14default_configENS1_25partition_config_selectorILNS1_17partition_subalgoE8EiNS0_10empty_typeEbEEZZNS1_14partition_implILS5_8ELb0ES3_jN6thrust23THRUST_200600_302600_NS6detail15normal_iteratorINSA_10device_ptrIiEEEEPS6_PKS6_NS0_5tupleIJSF_S6_EEENSJ_IJSG_SG_EEENS0_18inequality_wrapperI22is_equal_div_10_uniqueIiEEEPmJS6_EEE10hipError_tPvRmT3_T4_T5_T6_T7_T9_mT8_P12ihipStream_tbDpT10_ENKUlT_T0_E_clISt17integral_constantIbLb1EES19_IbLb0EEEEDaS15_S16_EUlS15_E_NS1_11comp_targetILNS1_3genE9ELNS1_11target_archE1100ELNS1_3gpuE3ELNS1_3repE0EEENS1_30default_config_static_selectorELNS0_4arch9wavefront6targetE1EEEvT1_
		.amdhsa_group_segment_fixed_size 0
		.amdhsa_private_segment_fixed_size 0
		.amdhsa_kernarg_size 112
		.amdhsa_user_sgpr_count 6
		.amdhsa_user_sgpr_private_segment_buffer 1
		.amdhsa_user_sgpr_dispatch_ptr 0
		.amdhsa_user_sgpr_queue_ptr 0
		.amdhsa_user_sgpr_kernarg_segment_ptr 1
		.amdhsa_user_sgpr_dispatch_id 0
		.amdhsa_user_sgpr_flat_scratch_init 0
		.amdhsa_user_sgpr_private_segment_size 0
		.amdhsa_uses_dynamic_stack 0
		.amdhsa_system_sgpr_private_segment_wavefront_offset 0
		.amdhsa_system_sgpr_workgroup_id_x 1
		.amdhsa_system_sgpr_workgroup_id_y 0
		.amdhsa_system_sgpr_workgroup_id_z 0
		.amdhsa_system_sgpr_workgroup_info 0
		.amdhsa_system_vgpr_workitem_id 0
		.amdhsa_next_free_vgpr 1
		.amdhsa_next_free_sgpr 0
		.amdhsa_reserve_vcc 0
		.amdhsa_reserve_flat_scratch 0
		.amdhsa_float_round_mode_32 0
		.amdhsa_float_round_mode_16_64 0
		.amdhsa_float_denorm_mode_32 3
		.amdhsa_float_denorm_mode_16_64 3
		.amdhsa_dx10_clamp 1
		.amdhsa_ieee_mode 1
		.amdhsa_fp16_overflow 0
		.amdhsa_exception_fp_ieee_invalid_op 0
		.amdhsa_exception_fp_denorm_src 0
		.amdhsa_exception_fp_ieee_div_zero 0
		.amdhsa_exception_fp_ieee_overflow 0
		.amdhsa_exception_fp_ieee_underflow 0
		.amdhsa_exception_fp_ieee_inexact 0
		.amdhsa_exception_int_div_zero 0
	.end_amdhsa_kernel
	.section	.text._ZN7rocprim17ROCPRIM_400000_NS6detail17trampoline_kernelINS0_14default_configENS1_25partition_config_selectorILNS1_17partition_subalgoE8EiNS0_10empty_typeEbEEZZNS1_14partition_implILS5_8ELb0ES3_jN6thrust23THRUST_200600_302600_NS6detail15normal_iteratorINSA_10device_ptrIiEEEEPS6_PKS6_NS0_5tupleIJSF_S6_EEENSJ_IJSG_SG_EEENS0_18inequality_wrapperI22is_equal_div_10_uniqueIiEEEPmJS6_EEE10hipError_tPvRmT3_T4_T5_T6_T7_T9_mT8_P12ihipStream_tbDpT10_ENKUlT_T0_E_clISt17integral_constantIbLb1EES19_IbLb0EEEEDaS15_S16_EUlS15_E_NS1_11comp_targetILNS1_3genE9ELNS1_11target_archE1100ELNS1_3gpuE3ELNS1_3repE0EEENS1_30default_config_static_selectorELNS0_4arch9wavefront6targetE1EEEvT1_,"axG",@progbits,_ZN7rocprim17ROCPRIM_400000_NS6detail17trampoline_kernelINS0_14default_configENS1_25partition_config_selectorILNS1_17partition_subalgoE8EiNS0_10empty_typeEbEEZZNS1_14partition_implILS5_8ELb0ES3_jN6thrust23THRUST_200600_302600_NS6detail15normal_iteratorINSA_10device_ptrIiEEEEPS6_PKS6_NS0_5tupleIJSF_S6_EEENSJ_IJSG_SG_EEENS0_18inequality_wrapperI22is_equal_div_10_uniqueIiEEEPmJS6_EEE10hipError_tPvRmT3_T4_T5_T6_T7_T9_mT8_P12ihipStream_tbDpT10_ENKUlT_T0_E_clISt17integral_constantIbLb1EES19_IbLb0EEEEDaS15_S16_EUlS15_E_NS1_11comp_targetILNS1_3genE9ELNS1_11target_archE1100ELNS1_3gpuE3ELNS1_3repE0EEENS1_30default_config_static_selectorELNS0_4arch9wavefront6targetE1EEEvT1_,comdat
.Lfunc_end458:
	.size	_ZN7rocprim17ROCPRIM_400000_NS6detail17trampoline_kernelINS0_14default_configENS1_25partition_config_selectorILNS1_17partition_subalgoE8EiNS0_10empty_typeEbEEZZNS1_14partition_implILS5_8ELb0ES3_jN6thrust23THRUST_200600_302600_NS6detail15normal_iteratorINSA_10device_ptrIiEEEEPS6_PKS6_NS0_5tupleIJSF_S6_EEENSJ_IJSG_SG_EEENS0_18inequality_wrapperI22is_equal_div_10_uniqueIiEEEPmJS6_EEE10hipError_tPvRmT3_T4_T5_T6_T7_T9_mT8_P12ihipStream_tbDpT10_ENKUlT_T0_E_clISt17integral_constantIbLb1EES19_IbLb0EEEEDaS15_S16_EUlS15_E_NS1_11comp_targetILNS1_3genE9ELNS1_11target_archE1100ELNS1_3gpuE3ELNS1_3repE0EEENS1_30default_config_static_selectorELNS0_4arch9wavefront6targetE1EEEvT1_, .Lfunc_end458-_ZN7rocprim17ROCPRIM_400000_NS6detail17trampoline_kernelINS0_14default_configENS1_25partition_config_selectorILNS1_17partition_subalgoE8EiNS0_10empty_typeEbEEZZNS1_14partition_implILS5_8ELb0ES3_jN6thrust23THRUST_200600_302600_NS6detail15normal_iteratorINSA_10device_ptrIiEEEEPS6_PKS6_NS0_5tupleIJSF_S6_EEENSJ_IJSG_SG_EEENS0_18inequality_wrapperI22is_equal_div_10_uniqueIiEEEPmJS6_EEE10hipError_tPvRmT3_T4_T5_T6_T7_T9_mT8_P12ihipStream_tbDpT10_ENKUlT_T0_E_clISt17integral_constantIbLb1EES19_IbLb0EEEEDaS15_S16_EUlS15_E_NS1_11comp_targetILNS1_3genE9ELNS1_11target_archE1100ELNS1_3gpuE3ELNS1_3repE0EEENS1_30default_config_static_selectorELNS0_4arch9wavefront6targetE1EEEvT1_
                                        ; -- End function
	.set _ZN7rocprim17ROCPRIM_400000_NS6detail17trampoline_kernelINS0_14default_configENS1_25partition_config_selectorILNS1_17partition_subalgoE8EiNS0_10empty_typeEbEEZZNS1_14partition_implILS5_8ELb0ES3_jN6thrust23THRUST_200600_302600_NS6detail15normal_iteratorINSA_10device_ptrIiEEEEPS6_PKS6_NS0_5tupleIJSF_S6_EEENSJ_IJSG_SG_EEENS0_18inequality_wrapperI22is_equal_div_10_uniqueIiEEEPmJS6_EEE10hipError_tPvRmT3_T4_T5_T6_T7_T9_mT8_P12ihipStream_tbDpT10_ENKUlT_T0_E_clISt17integral_constantIbLb1EES19_IbLb0EEEEDaS15_S16_EUlS15_E_NS1_11comp_targetILNS1_3genE9ELNS1_11target_archE1100ELNS1_3gpuE3ELNS1_3repE0EEENS1_30default_config_static_selectorELNS0_4arch9wavefront6targetE1EEEvT1_.num_vgpr, 0
	.set _ZN7rocprim17ROCPRIM_400000_NS6detail17trampoline_kernelINS0_14default_configENS1_25partition_config_selectorILNS1_17partition_subalgoE8EiNS0_10empty_typeEbEEZZNS1_14partition_implILS5_8ELb0ES3_jN6thrust23THRUST_200600_302600_NS6detail15normal_iteratorINSA_10device_ptrIiEEEEPS6_PKS6_NS0_5tupleIJSF_S6_EEENSJ_IJSG_SG_EEENS0_18inequality_wrapperI22is_equal_div_10_uniqueIiEEEPmJS6_EEE10hipError_tPvRmT3_T4_T5_T6_T7_T9_mT8_P12ihipStream_tbDpT10_ENKUlT_T0_E_clISt17integral_constantIbLb1EES19_IbLb0EEEEDaS15_S16_EUlS15_E_NS1_11comp_targetILNS1_3genE9ELNS1_11target_archE1100ELNS1_3gpuE3ELNS1_3repE0EEENS1_30default_config_static_selectorELNS0_4arch9wavefront6targetE1EEEvT1_.num_agpr, 0
	.set _ZN7rocprim17ROCPRIM_400000_NS6detail17trampoline_kernelINS0_14default_configENS1_25partition_config_selectorILNS1_17partition_subalgoE8EiNS0_10empty_typeEbEEZZNS1_14partition_implILS5_8ELb0ES3_jN6thrust23THRUST_200600_302600_NS6detail15normal_iteratorINSA_10device_ptrIiEEEEPS6_PKS6_NS0_5tupleIJSF_S6_EEENSJ_IJSG_SG_EEENS0_18inequality_wrapperI22is_equal_div_10_uniqueIiEEEPmJS6_EEE10hipError_tPvRmT3_T4_T5_T6_T7_T9_mT8_P12ihipStream_tbDpT10_ENKUlT_T0_E_clISt17integral_constantIbLb1EES19_IbLb0EEEEDaS15_S16_EUlS15_E_NS1_11comp_targetILNS1_3genE9ELNS1_11target_archE1100ELNS1_3gpuE3ELNS1_3repE0EEENS1_30default_config_static_selectorELNS0_4arch9wavefront6targetE1EEEvT1_.numbered_sgpr, 0
	.set _ZN7rocprim17ROCPRIM_400000_NS6detail17trampoline_kernelINS0_14default_configENS1_25partition_config_selectorILNS1_17partition_subalgoE8EiNS0_10empty_typeEbEEZZNS1_14partition_implILS5_8ELb0ES3_jN6thrust23THRUST_200600_302600_NS6detail15normal_iteratorINSA_10device_ptrIiEEEEPS6_PKS6_NS0_5tupleIJSF_S6_EEENSJ_IJSG_SG_EEENS0_18inequality_wrapperI22is_equal_div_10_uniqueIiEEEPmJS6_EEE10hipError_tPvRmT3_T4_T5_T6_T7_T9_mT8_P12ihipStream_tbDpT10_ENKUlT_T0_E_clISt17integral_constantIbLb1EES19_IbLb0EEEEDaS15_S16_EUlS15_E_NS1_11comp_targetILNS1_3genE9ELNS1_11target_archE1100ELNS1_3gpuE3ELNS1_3repE0EEENS1_30default_config_static_selectorELNS0_4arch9wavefront6targetE1EEEvT1_.num_named_barrier, 0
	.set _ZN7rocprim17ROCPRIM_400000_NS6detail17trampoline_kernelINS0_14default_configENS1_25partition_config_selectorILNS1_17partition_subalgoE8EiNS0_10empty_typeEbEEZZNS1_14partition_implILS5_8ELb0ES3_jN6thrust23THRUST_200600_302600_NS6detail15normal_iteratorINSA_10device_ptrIiEEEEPS6_PKS6_NS0_5tupleIJSF_S6_EEENSJ_IJSG_SG_EEENS0_18inequality_wrapperI22is_equal_div_10_uniqueIiEEEPmJS6_EEE10hipError_tPvRmT3_T4_T5_T6_T7_T9_mT8_P12ihipStream_tbDpT10_ENKUlT_T0_E_clISt17integral_constantIbLb1EES19_IbLb0EEEEDaS15_S16_EUlS15_E_NS1_11comp_targetILNS1_3genE9ELNS1_11target_archE1100ELNS1_3gpuE3ELNS1_3repE0EEENS1_30default_config_static_selectorELNS0_4arch9wavefront6targetE1EEEvT1_.private_seg_size, 0
	.set _ZN7rocprim17ROCPRIM_400000_NS6detail17trampoline_kernelINS0_14default_configENS1_25partition_config_selectorILNS1_17partition_subalgoE8EiNS0_10empty_typeEbEEZZNS1_14partition_implILS5_8ELb0ES3_jN6thrust23THRUST_200600_302600_NS6detail15normal_iteratorINSA_10device_ptrIiEEEEPS6_PKS6_NS0_5tupleIJSF_S6_EEENSJ_IJSG_SG_EEENS0_18inequality_wrapperI22is_equal_div_10_uniqueIiEEEPmJS6_EEE10hipError_tPvRmT3_T4_T5_T6_T7_T9_mT8_P12ihipStream_tbDpT10_ENKUlT_T0_E_clISt17integral_constantIbLb1EES19_IbLb0EEEEDaS15_S16_EUlS15_E_NS1_11comp_targetILNS1_3genE9ELNS1_11target_archE1100ELNS1_3gpuE3ELNS1_3repE0EEENS1_30default_config_static_selectorELNS0_4arch9wavefront6targetE1EEEvT1_.uses_vcc, 0
	.set _ZN7rocprim17ROCPRIM_400000_NS6detail17trampoline_kernelINS0_14default_configENS1_25partition_config_selectorILNS1_17partition_subalgoE8EiNS0_10empty_typeEbEEZZNS1_14partition_implILS5_8ELb0ES3_jN6thrust23THRUST_200600_302600_NS6detail15normal_iteratorINSA_10device_ptrIiEEEEPS6_PKS6_NS0_5tupleIJSF_S6_EEENSJ_IJSG_SG_EEENS0_18inequality_wrapperI22is_equal_div_10_uniqueIiEEEPmJS6_EEE10hipError_tPvRmT3_T4_T5_T6_T7_T9_mT8_P12ihipStream_tbDpT10_ENKUlT_T0_E_clISt17integral_constantIbLb1EES19_IbLb0EEEEDaS15_S16_EUlS15_E_NS1_11comp_targetILNS1_3genE9ELNS1_11target_archE1100ELNS1_3gpuE3ELNS1_3repE0EEENS1_30default_config_static_selectorELNS0_4arch9wavefront6targetE1EEEvT1_.uses_flat_scratch, 0
	.set _ZN7rocprim17ROCPRIM_400000_NS6detail17trampoline_kernelINS0_14default_configENS1_25partition_config_selectorILNS1_17partition_subalgoE8EiNS0_10empty_typeEbEEZZNS1_14partition_implILS5_8ELb0ES3_jN6thrust23THRUST_200600_302600_NS6detail15normal_iteratorINSA_10device_ptrIiEEEEPS6_PKS6_NS0_5tupleIJSF_S6_EEENSJ_IJSG_SG_EEENS0_18inequality_wrapperI22is_equal_div_10_uniqueIiEEEPmJS6_EEE10hipError_tPvRmT3_T4_T5_T6_T7_T9_mT8_P12ihipStream_tbDpT10_ENKUlT_T0_E_clISt17integral_constantIbLb1EES19_IbLb0EEEEDaS15_S16_EUlS15_E_NS1_11comp_targetILNS1_3genE9ELNS1_11target_archE1100ELNS1_3gpuE3ELNS1_3repE0EEENS1_30default_config_static_selectorELNS0_4arch9wavefront6targetE1EEEvT1_.has_dyn_sized_stack, 0
	.set _ZN7rocprim17ROCPRIM_400000_NS6detail17trampoline_kernelINS0_14default_configENS1_25partition_config_selectorILNS1_17partition_subalgoE8EiNS0_10empty_typeEbEEZZNS1_14partition_implILS5_8ELb0ES3_jN6thrust23THRUST_200600_302600_NS6detail15normal_iteratorINSA_10device_ptrIiEEEEPS6_PKS6_NS0_5tupleIJSF_S6_EEENSJ_IJSG_SG_EEENS0_18inequality_wrapperI22is_equal_div_10_uniqueIiEEEPmJS6_EEE10hipError_tPvRmT3_T4_T5_T6_T7_T9_mT8_P12ihipStream_tbDpT10_ENKUlT_T0_E_clISt17integral_constantIbLb1EES19_IbLb0EEEEDaS15_S16_EUlS15_E_NS1_11comp_targetILNS1_3genE9ELNS1_11target_archE1100ELNS1_3gpuE3ELNS1_3repE0EEENS1_30default_config_static_selectorELNS0_4arch9wavefront6targetE1EEEvT1_.has_recursion, 0
	.set _ZN7rocprim17ROCPRIM_400000_NS6detail17trampoline_kernelINS0_14default_configENS1_25partition_config_selectorILNS1_17partition_subalgoE8EiNS0_10empty_typeEbEEZZNS1_14partition_implILS5_8ELb0ES3_jN6thrust23THRUST_200600_302600_NS6detail15normal_iteratorINSA_10device_ptrIiEEEEPS6_PKS6_NS0_5tupleIJSF_S6_EEENSJ_IJSG_SG_EEENS0_18inequality_wrapperI22is_equal_div_10_uniqueIiEEEPmJS6_EEE10hipError_tPvRmT3_T4_T5_T6_T7_T9_mT8_P12ihipStream_tbDpT10_ENKUlT_T0_E_clISt17integral_constantIbLb1EES19_IbLb0EEEEDaS15_S16_EUlS15_E_NS1_11comp_targetILNS1_3genE9ELNS1_11target_archE1100ELNS1_3gpuE3ELNS1_3repE0EEENS1_30default_config_static_selectorELNS0_4arch9wavefront6targetE1EEEvT1_.has_indirect_call, 0
	.section	.AMDGPU.csdata,"",@progbits
; Kernel info:
; codeLenInByte = 0
; TotalNumSgprs: 4
; NumVgprs: 0
; ScratchSize: 0
; MemoryBound: 0
; FloatMode: 240
; IeeeMode: 1
; LDSByteSize: 0 bytes/workgroup (compile time only)
; SGPRBlocks: 0
; VGPRBlocks: 0
; NumSGPRsForWavesPerEU: 4
; NumVGPRsForWavesPerEU: 1
; Occupancy: 10
; WaveLimiterHint : 0
; COMPUTE_PGM_RSRC2:SCRATCH_EN: 0
; COMPUTE_PGM_RSRC2:USER_SGPR: 6
; COMPUTE_PGM_RSRC2:TRAP_HANDLER: 0
; COMPUTE_PGM_RSRC2:TGID_X_EN: 1
; COMPUTE_PGM_RSRC2:TGID_Y_EN: 0
; COMPUTE_PGM_RSRC2:TGID_Z_EN: 0
; COMPUTE_PGM_RSRC2:TIDIG_COMP_CNT: 0
	.section	.text._ZN7rocprim17ROCPRIM_400000_NS6detail17trampoline_kernelINS0_14default_configENS1_25partition_config_selectorILNS1_17partition_subalgoE8EiNS0_10empty_typeEbEEZZNS1_14partition_implILS5_8ELb0ES3_jN6thrust23THRUST_200600_302600_NS6detail15normal_iteratorINSA_10device_ptrIiEEEEPS6_PKS6_NS0_5tupleIJSF_S6_EEENSJ_IJSG_SG_EEENS0_18inequality_wrapperI22is_equal_div_10_uniqueIiEEEPmJS6_EEE10hipError_tPvRmT3_T4_T5_T6_T7_T9_mT8_P12ihipStream_tbDpT10_ENKUlT_T0_E_clISt17integral_constantIbLb1EES19_IbLb0EEEEDaS15_S16_EUlS15_E_NS1_11comp_targetILNS1_3genE8ELNS1_11target_archE1030ELNS1_3gpuE2ELNS1_3repE0EEENS1_30default_config_static_selectorELNS0_4arch9wavefront6targetE1EEEvT1_,"axG",@progbits,_ZN7rocprim17ROCPRIM_400000_NS6detail17trampoline_kernelINS0_14default_configENS1_25partition_config_selectorILNS1_17partition_subalgoE8EiNS0_10empty_typeEbEEZZNS1_14partition_implILS5_8ELb0ES3_jN6thrust23THRUST_200600_302600_NS6detail15normal_iteratorINSA_10device_ptrIiEEEEPS6_PKS6_NS0_5tupleIJSF_S6_EEENSJ_IJSG_SG_EEENS0_18inequality_wrapperI22is_equal_div_10_uniqueIiEEEPmJS6_EEE10hipError_tPvRmT3_T4_T5_T6_T7_T9_mT8_P12ihipStream_tbDpT10_ENKUlT_T0_E_clISt17integral_constantIbLb1EES19_IbLb0EEEEDaS15_S16_EUlS15_E_NS1_11comp_targetILNS1_3genE8ELNS1_11target_archE1030ELNS1_3gpuE2ELNS1_3repE0EEENS1_30default_config_static_selectorELNS0_4arch9wavefront6targetE1EEEvT1_,comdat
	.protected	_ZN7rocprim17ROCPRIM_400000_NS6detail17trampoline_kernelINS0_14default_configENS1_25partition_config_selectorILNS1_17partition_subalgoE8EiNS0_10empty_typeEbEEZZNS1_14partition_implILS5_8ELb0ES3_jN6thrust23THRUST_200600_302600_NS6detail15normal_iteratorINSA_10device_ptrIiEEEEPS6_PKS6_NS0_5tupleIJSF_S6_EEENSJ_IJSG_SG_EEENS0_18inequality_wrapperI22is_equal_div_10_uniqueIiEEEPmJS6_EEE10hipError_tPvRmT3_T4_T5_T6_T7_T9_mT8_P12ihipStream_tbDpT10_ENKUlT_T0_E_clISt17integral_constantIbLb1EES19_IbLb0EEEEDaS15_S16_EUlS15_E_NS1_11comp_targetILNS1_3genE8ELNS1_11target_archE1030ELNS1_3gpuE2ELNS1_3repE0EEENS1_30default_config_static_selectorELNS0_4arch9wavefront6targetE1EEEvT1_ ; -- Begin function _ZN7rocprim17ROCPRIM_400000_NS6detail17trampoline_kernelINS0_14default_configENS1_25partition_config_selectorILNS1_17partition_subalgoE8EiNS0_10empty_typeEbEEZZNS1_14partition_implILS5_8ELb0ES3_jN6thrust23THRUST_200600_302600_NS6detail15normal_iteratorINSA_10device_ptrIiEEEEPS6_PKS6_NS0_5tupleIJSF_S6_EEENSJ_IJSG_SG_EEENS0_18inequality_wrapperI22is_equal_div_10_uniqueIiEEEPmJS6_EEE10hipError_tPvRmT3_T4_T5_T6_T7_T9_mT8_P12ihipStream_tbDpT10_ENKUlT_T0_E_clISt17integral_constantIbLb1EES19_IbLb0EEEEDaS15_S16_EUlS15_E_NS1_11comp_targetILNS1_3genE8ELNS1_11target_archE1030ELNS1_3gpuE2ELNS1_3repE0EEENS1_30default_config_static_selectorELNS0_4arch9wavefront6targetE1EEEvT1_
	.globl	_ZN7rocprim17ROCPRIM_400000_NS6detail17trampoline_kernelINS0_14default_configENS1_25partition_config_selectorILNS1_17partition_subalgoE8EiNS0_10empty_typeEbEEZZNS1_14partition_implILS5_8ELb0ES3_jN6thrust23THRUST_200600_302600_NS6detail15normal_iteratorINSA_10device_ptrIiEEEEPS6_PKS6_NS0_5tupleIJSF_S6_EEENSJ_IJSG_SG_EEENS0_18inequality_wrapperI22is_equal_div_10_uniqueIiEEEPmJS6_EEE10hipError_tPvRmT3_T4_T5_T6_T7_T9_mT8_P12ihipStream_tbDpT10_ENKUlT_T0_E_clISt17integral_constantIbLb1EES19_IbLb0EEEEDaS15_S16_EUlS15_E_NS1_11comp_targetILNS1_3genE8ELNS1_11target_archE1030ELNS1_3gpuE2ELNS1_3repE0EEENS1_30default_config_static_selectorELNS0_4arch9wavefront6targetE1EEEvT1_
	.p2align	8
	.type	_ZN7rocprim17ROCPRIM_400000_NS6detail17trampoline_kernelINS0_14default_configENS1_25partition_config_selectorILNS1_17partition_subalgoE8EiNS0_10empty_typeEbEEZZNS1_14partition_implILS5_8ELb0ES3_jN6thrust23THRUST_200600_302600_NS6detail15normal_iteratorINSA_10device_ptrIiEEEEPS6_PKS6_NS0_5tupleIJSF_S6_EEENSJ_IJSG_SG_EEENS0_18inequality_wrapperI22is_equal_div_10_uniqueIiEEEPmJS6_EEE10hipError_tPvRmT3_T4_T5_T6_T7_T9_mT8_P12ihipStream_tbDpT10_ENKUlT_T0_E_clISt17integral_constantIbLb1EES19_IbLb0EEEEDaS15_S16_EUlS15_E_NS1_11comp_targetILNS1_3genE8ELNS1_11target_archE1030ELNS1_3gpuE2ELNS1_3repE0EEENS1_30default_config_static_selectorELNS0_4arch9wavefront6targetE1EEEvT1_,@function
_ZN7rocprim17ROCPRIM_400000_NS6detail17trampoline_kernelINS0_14default_configENS1_25partition_config_selectorILNS1_17partition_subalgoE8EiNS0_10empty_typeEbEEZZNS1_14partition_implILS5_8ELb0ES3_jN6thrust23THRUST_200600_302600_NS6detail15normal_iteratorINSA_10device_ptrIiEEEEPS6_PKS6_NS0_5tupleIJSF_S6_EEENSJ_IJSG_SG_EEENS0_18inequality_wrapperI22is_equal_div_10_uniqueIiEEEPmJS6_EEE10hipError_tPvRmT3_T4_T5_T6_T7_T9_mT8_P12ihipStream_tbDpT10_ENKUlT_T0_E_clISt17integral_constantIbLb1EES19_IbLb0EEEEDaS15_S16_EUlS15_E_NS1_11comp_targetILNS1_3genE8ELNS1_11target_archE1030ELNS1_3gpuE2ELNS1_3repE0EEENS1_30default_config_static_selectorELNS0_4arch9wavefront6targetE1EEEvT1_: ; @_ZN7rocprim17ROCPRIM_400000_NS6detail17trampoline_kernelINS0_14default_configENS1_25partition_config_selectorILNS1_17partition_subalgoE8EiNS0_10empty_typeEbEEZZNS1_14partition_implILS5_8ELb0ES3_jN6thrust23THRUST_200600_302600_NS6detail15normal_iteratorINSA_10device_ptrIiEEEEPS6_PKS6_NS0_5tupleIJSF_S6_EEENSJ_IJSG_SG_EEENS0_18inequality_wrapperI22is_equal_div_10_uniqueIiEEEPmJS6_EEE10hipError_tPvRmT3_T4_T5_T6_T7_T9_mT8_P12ihipStream_tbDpT10_ENKUlT_T0_E_clISt17integral_constantIbLb1EES19_IbLb0EEEEDaS15_S16_EUlS15_E_NS1_11comp_targetILNS1_3genE8ELNS1_11target_archE1030ELNS1_3gpuE2ELNS1_3repE0EEENS1_30default_config_static_selectorELNS0_4arch9wavefront6targetE1EEEvT1_
; %bb.0:
	.section	.rodata,"a",@progbits
	.p2align	6, 0x0
	.amdhsa_kernel _ZN7rocprim17ROCPRIM_400000_NS6detail17trampoline_kernelINS0_14default_configENS1_25partition_config_selectorILNS1_17partition_subalgoE8EiNS0_10empty_typeEbEEZZNS1_14partition_implILS5_8ELb0ES3_jN6thrust23THRUST_200600_302600_NS6detail15normal_iteratorINSA_10device_ptrIiEEEEPS6_PKS6_NS0_5tupleIJSF_S6_EEENSJ_IJSG_SG_EEENS0_18inequality_wrapperI22is_equal_div_10_uniqueIiEEEPmJS6_EEE10hipError_tPvRmT3_T4_T5_T6_T7_T9_mT8_P12ihipStream_tbDpT10_ENKUlT_T0_E_clISt17integral_constantIbLb1EES19_IbLb0EEEEDaS15_S16_EUlS15_E_NS1_11comp_targetILNS1_3genE8ELNS1_11target_archE1030ELNS1_3gpuE2ELNS1_3repE0EEENS1_30default_config_static_selectorELNS0_4arch9wavefront6targetE1EEEvT1_
		.amdhsa_group_segment_fixed_size 0
		.amdhsa_private_segment_fixed_size 0
		.amdhsa_kernarg_size 112
		.amdhsa_user_sgpr_count 6
		.amdhsa_user_sgpr_private_segment_buffer 1
		.amdhsa_user_sgpr_dispatch_ptr 0
		.amdhsa_user_sgpr_queue_ptr 0
		.amdhsa_user_sgpr_kernarg_segment_ptr 1
		.amdhsa_user_sgpr_dispatch_id 0
		.amdhsa_user_sgpr_flat_scratch_init 0
		.amdhsa_user_sgpr_private_segment_size 0
		.amdhsa_uses_dynamic_stack 0
		.amdhsa_system_sgpr_private_segment_wavefront_offset 0
		.amdhsa_system_sgpr_workgroup_id_x 1
		.amdhsa_system_sgpr_workgroup_id_y 0
		.amdhsa_system_sgpr_workgroup_id_z 0
		.amdhsa_system_sgpr_workgroup_info 0
		.amdhsa_system_vgpr_workitem_id 0
		.amdhsa_next_free_vgpr 1
		.amdhsa_next_free_sgpr 0
		.amdhsa_reserve_vcc 0
		.amdhsa_reserve_flat_scratch 0
		.amdhsa_float_round_mode_32 0
		.amdhsa_float_round_mode_16_64 0
		.amdhsa_float_denorm_mode_32 3
		.amdhsa_float_denorm_mode_16_64 3
		.amdhsa_dx10_clamp 1
		.amdhsa_ieee_mode 1
		.amdhsa_fp16_overflow 0
		.amdhsa_exception_fp_ieee_invalid_op 0
		.amdhsa_exception_fp_denorm_src 0
		.amdhsa_exception_fp_ieee_div_zero 0
		.amdhsa_exception_fp_ieee_overflow 0
		.amdhsa_exception_fp_ieee_underflow 0
		.amdhsa_exception_fp_ieee_inexact 0
		.amdhsa_exception_int_div_zero 0
	.end_amdhsa_kernel
	.section	.text._ZN7rocprim17ROCPRIM_400000_NS6detail17trampoline_kernelINS0_14default_configENS1_25partition_config_selectorILNS1_17partition_subalgoE8EiNS0_10empty_typeEbEEZZNS1_14partition_implILS5_8ELb0ES3_jN6thrust23THRUST_200600_302600_NS6detail15normal_iteratorINSA_10device_ptrIiEEEEPS6_PKS6_NS0_5tupleIJSF_S6_EEENSJ_IJSG_SG_EEENS0_18inequality_wrapperI22is_equal_div_10_uniqueIiEEEPmJS6_EEE10hipError_tPvRmT3_T4_T5_T6_T7_T9_mT8_P12ihipStream_tbDpT10_ENKUlT_T0_E_clISt17integral_constantIbLb1EES19_IbLb0EEEEDaS15_S16_EUlS15_E_NS1_11comp_targetILNS1_3genE8ELNS1_11target_archE1030ELNS1_3gpuE2ELNS1_3repE0EEENS1_30default_config_static_selectorELNS0_4arch9wavefront6targetE1EEEvT1_,"axG",@progbits,_ZN7rocprim17ROCPRIM_400000_NS6detail17trampoline_kernelINS0_14default_configENS1_25partition_config_selectorILNS1_17partition_subalgoE8EiNS0_10empty_typeEbEEZZNS1_14partition_implILS5_8ELb0ES3_jN6thrust23THRUST_200600_302600_NS6detail15normal_iteratorINSA_10device_ptrIiEEEEPS6_PKS6_NS0_5tupleIJSF_S6_EEENSJ_IJSG_SG_EEENS0_18inequality_wrapperI22is_equal_div_10_uniqueIiEEEPmJS6_EEE10hipError_tPvRmT3_T4_T5_T6_T7_T9_mT8_P12ihipStream_tbDpT10_ENKUlT_T0_E_clISt17integral_constantIbLb1EES19_IbLb0EEEEDaS15_S16_EUlS15_E_NS1_11comp_targetILNS1_3genE8ELNS1_11target_archE1030ELNS1_3gpuE2ELNS1_3repE0EEENS1_30default_config_static_selectorELNS0_4arch9wavefront6targetE1EEEvT1_,comdat
.Lfunc_end459:
	.size	_ZN7rocprim17ROCPRIM_400000_NS6detail17trampoline_kernelINS0_14default_configENS1_25partition_config_selectorILNS1_17partition_subalgoE8EiNS0_10empty_typeEbEEZZNS1_14partition_implILS5_8ELb0ES3_jN6thrust23THRUST_200600_302600_NS6detail15normal_iteratorINSA_10device_ptrIiEEEEPS6_PKS6_NS0_5tupleIJSF_S6_EEENSJ_IJSG_SG_EEENS0_18inequality_wrapperI22is_equal_div_10_uniqueIiEEEPmJS6_EEE10hipError_tPvRmT3_T4_T5_T6_T7_T9_mT8_P12ihipStream_tbDpT10_ENKUlT_T0_E_clISt17integral_constantIbLb1EES19_IbLb0EEEEDaS15_S16_EUlS15_E_NS1_11comp_targetILNS1_3genE8ELNS1_11target_archE1030ELNS1_3gpuE2ELNS1_3repE0EEENS1_30default_config_static_selectorELNS0_4arch9wavefront6targetE1EEEvT1_, .Lfunc_end459-_ZN7rocprim17ROCPRIM_400000_NS6detail17trampoline_kernelINS0_14default_configENS1_25partition_config_selectorILNS1_17partition_subalgoE8EiNS0_10empty_typeEbEEZZNS1_14partition_implILS5_8ELb0ES3_jN6thrust23THRUST_200600_302600_NS6detail15normal_iteratorINSA_10device_ptrIiEEEEPS6_PKS6_NS0_5tupleIJSF_S6_EEENSJ_IJSG_SG_EEENS0_18inequality_wrapperI22is_equal_div_10_uniqueIiEEEPmJS6_EEE10hipError_tPvRmT3_T4_T5_T6_T7_T9_mT8_P12ihipStream_tbDpT10_ENKUlT_T0_E_clISt17integral_constantIbLb1EES19_IbLb0EEEEDaS15_S16_EUlS15_E_NS1_11comp_targetILNS1_3genE8ELNS1_11target_archE1030ELNS1_3gpuE2ELNS1_3repE0EEENS1_30default_config_static_selectorELNS0_4arch9wavefront6targetE1EEEvT1_
                                        ; -- End function
	.set _ZN7rocprim17ROCPRIM_400000_NS6detail17trampoline_kernelINS0_14default_configENS1_25partition_config_selectorILNS1_17partition_subalgoE8EiNS0_10empty_typeEbEEZZNS1_14partition_implILS5_8ELb0ES3_jN6thrust23THRUST_200600_302600_NS6detail15normal_iteratorINSA_10device_ptrIiEEEEPS6_PKS6_NS0_5tupleIJSF_S6_EEENSJ_IJSG_SG_EEENS0_18inequality_wrapperI22is_equal_div_10_uniqueIiEEEPmJS6_EEE10hipError_tPvRmT3_T4_T5_T6_T7_T9_mT8_P12ihipStream_tbDpT10_ENKUlT_T0_E_clISt17integral_constantIbLb1EES19_IbLb0EEEEDaS15_S16_EUlS15_E_NS1_11comp_targetILNS1_3genE8ELNS1_11target_archE1030ELNS1_3gpuE2ELNS1_3repE0EEENS1_30default_config_static_selectorELNS0_4arch9wavefront6targetE1EEEvT1_.num_vgpr, 0
	.set _ZN7rocprim17ROCPRIM_400000_NS6detail17trampoline_kernelINS0_14default_configENS1_25partition_config_selectorILNS1_17partition_subalgoE8EiNS0_10empty_typeEbEEZZNS1_14partition_implILS5_8ELb0ES3_jN6thrust23THRUST_200600_302600_NS6detail15normal_iteratorINSA_10device_ptrIiEEEEPS6_PKS6_NS0_5tupleIJSF_S6_EEENSJ_IJSG_SG_EEENS0_18inequality_wrapperI22is_equal_div_10_uniqueIiEEEPmJS6_EEE10hipError_tPvRmT3_T4_T5_T6_T7_T9_mT8_P12ihipStream_tbDpT10_ENKUlT_T0_E_clISt17integral_constantIbLb1EES19_IbLb0EEEEDaS15_S16_EUlS15_E_NS1_11comp_targetILNS1_3genE8ELNS1_11target_archE1030ELNS1_3gpuE2ELNS1_3repE0EEENS1_30default_config_static_selectorELNS0_4arch9wavefront6targetE1EEEvT1_.num_agpr, 0
	.set _ZN7rocprim17ROCPRIM_400000_NS6detail17trampoline_kernelINS0_14default_configENS1_25partition_config_selectorILNS1_17partition_subalgoE8EiNS0_10empty_typeEbEEZZNS1_14partition_implILS5_8ELb0ES3_jN6thrust23THRUST_200600_302600_NS6detail15normal_iteratorINSA_10device_ptrIiEEEEPS6_PKS6_NS0_5tupleIJSF_S6_EEENSJ_IJSG_SG_EEENS0_18inequality_wrapperI22is_equal_div_10_uniqueIiEEEPmJS6_EEE10hipError_tPvRmT3_T4_T5_T6_T7_T9_mT8_P12ihipStream_tbDpT10_ENKUlT_T0_E_clISt17integral_constantIbLb1EES19_IbLb0EEEEDaS15_S16_EUlS15_E_NS1_11comp_targetILNS1_3genE8ELNS1_11target_archE1030ELNS1_3gpuE2ELNS1_3repE0EEENS1_30default_config_static_selectorELNS0_4arch9wavefront6targetE1EEEvT1_.numbered_sgpr, 0
	.set _ZN7rocprim17ROCPRIM_400000_NS6detail17trampoline_kernelINS0_14default_configENS1_25partition_config_selectorILNS1_17partition_subalgoE8EiNS0_10empty_typeEbEEZZNS1_14partition_implILS5_8ELb0ES3_jN6thrust23THRUST_200600_302600_NS6detail15normal_iteratorINSA_10device_ptrIiEEEEPS6_PKS6_NS0_5tupleIJSF_S6_EEENSJ_IJSG_SG_EEENS0_18inequality_wrapperI22is_equal_div_10_uniqueIiEEEPmJS6_EEE10hipError_tPvRmT3_T4_T5_T6_T7_T9_mT8_P12ihipStream_tbDpT10_ENKUlT_T0_E_clISt17integral_constantIbLb1EES19_IbLb0EEEEDaS15_S16_EUlS15_E_NS1_11comp_targetILNS1_3genE8ELNS1_11target_archE1030ELNS1_3gpuE2ELNS1_3repE0EEENS1_30default_config_static_selectorELNS0_4arch9wavefront6targetE1EEEvT1_.num_named_barrier, 0
	.set _ZN7rocprim17ROCPRIM_400000_NS6detail17trampoline_kernelINS0_14default_configENS1_25partition_config_selectorILNS1_17partition_subalgoE8EiNS0_10empty_typeEbEEZZNS1_14partition_implILS5_8ELb0ES3_jN6thrust23THRUST_200600_302600_NS6detail15normal_iteratorINSA_10device_ptrIiEEEEPS6_PKS6_NS0_5tupleIJSF_S6_EEENSJ_IJSG_SG_EEENS0_18inequality_wrapperI22is_equal_div_10_uniqueIiEEEPmJS6_EEE10hipError_tPvRmT3_T4_T5_T6_T7_T9_mT8_P12ihipStream_tbDpT10_ENKUlT_T0_E_clISt17integral_constantIbLb1EES19_IbLb0EEEEDaS15_S16_EUlS15_E_NS1_11comp_targetILNS1_3genE8ELNS1_11target_archE1030ELNS1_3gpuE2ELNS1_3repE0EEENS1_30default_config_static_selectorELNS0_4arch9wavefront6targetE1EEEvT1_.private_seg_size, 0
	.set _ZN7rocprim17ROCPRIM_400000_NS6detail17trampoline_kernelINS0_14default_configENS1_25partition_config_selectorILNS1_17partition_subalgoE8EiNS0_10empty_typeEbEEZZNS1_14partition_implILS5_8ELb0ES3_jN6thrust23THRUST_200600_302600_NS6detail15normal_iteratorINSA_10device_ptrIiEEEEPS6_PKS6_NS0_5tupleIJSF_S6_EEENSJ_IJSG_SG_EEENS0_18inequality_wrapperI22is_equal_div_10_uniqueIiEEEPmJS6_EEE10hipError_tPvRmT3_T4_T5_T6_T7_T9_mT8_P12ihipStream_tbDpT10_ENKUlT_T0_E_clISt17integral_constantIbLb1EES19_IbLb0EEEEDaS15_S16_EUlS15_E_NS1_11comp_targetILNS1_3genE8ELNS1_11target_archE1030ELNS1_3gpuE2ELNS1_3repE0EEENS1_30default_config_static_selectorELNS0_4arch9wavefront6targetE1EEEvT1_.uses_vcc, 0
	.set _ZN7rocprim17ROCPRIM_400000_NS6detail17trampoline_kernelINS0_14default_configENS1_25partition_config_selectorILNS1_17partition_subalgoE8EiNS0_10empty_typeEbEEZZNS1_14partition_implILS5_8ELb0ES3_jN6thrust23THRUST_200600_302600_NS6detail15normal_iteratorINSA_10device_ptrIiEEEEPS6_PKS6_NS0_5tupleIJSF_S6_EEENSJ_IJSG_SG_EEENS0_18inequality_wrapperI22is_equal_div_10_uniqueIiEEEPmJS6_EEE10hipError_tPvRmT3_T4_T5_T6_T7_T9_mT8_P12ihipStream_tbDpT10_ENKUlT_T0_E_clISt17integral_constantIbLb1EES19_IbLb0EEEEDaS15_S16_EUlS15_E_NS1_11comp_targetILNS1_3genE8ELNS1_11target_archE1030ELNS1_3gpuE2ELNS1_3repE0EEENS1_30default_config_static_selectorELNS0_4arch9wavefront6targetE1EEEvT1_.uses_flat_scratch, 0
	.set _ZN7rocprim17ROCPRIM_400000_NS6detail17trampoline_kernelINS0_14default_configENS1_25partition_config_selectorILNS1_17partition_subalgoE8EiNS0_10empty_typeEbEEZZNS1_14partition_implILS5_8ELb0ES3_jN6thrust23THRUST_200600_302600_NS6detail15normal_iteratorINSA_10device_ptrIiEEEEPS6_PKS6_NS0_5tupleIJSF_S6_EEENSJ_IJSG_SG_EEENS0_18inequality_wrapperI22is_equal_div_10_uniqueIiEEEPmJS6_EEE10hipError_tPvRmT3_T4_T5_T6_T7_T9_mT8_P12ihipStream_tbDpT10_ENKUlT_T0_E_clISt17integral_constantIbLb1EES19_IbLb0EEEEDaS15_S16_EUlS15_E_NS1_11comp_targetILNS1_3genE8ELNS1_11target_archE1030ELNS1_3gpuE2ELNS1_3repE0EEENS1_30default_config_static_selectorELNS0_4arch9wavefront6targetE1EEEvT1_.has_dyn_sized_stack, 0
	.set _ZN7rocprim17ROCPRIM_400000_NS6detail17trampoline_kernelINS0_14default_configENS1_25partition_config_selectorILNS1_17partition_subalgoE8EiNS0_10empty_typeEbEEZZNS1_14partition_implILS5_8ELb0ES3_jN6thrust23THRUST_200600_302600_NS6detail15normal_iteratorINSA_10device_ptrIiEEEEPS6_PKS6_NS0_5tupleIJSF_S6_EEENSJ_IJSG_SG_EEENS0_18inequality_wrapperI22is_equal_div_10_uniqueIiEEEPmJS6_EEE10hipError_tPvRmT3_T4_T5_T6_T7_T9_mT8_P12ihipStream_tbDpT10_ENKUlT_T0_E_clISt17integral_constantIbLb1EES19_IbLb0EEEEDaS15_S16_EUlS15_E_NS1_11comp_targetILNS1_3genE8ELNS1_11target_archE1030ELNS1_3gpuE2ELNS1_3repE0EEENS1_30default_config_static_selectorELNS0_4arch9wavefront6targetE1EEEvT1_.has_recursion, 0
	.set _ZN7rocprim17ROCPRIM_400000_NS6detail17trampoline_kernelINS0_14default_configENS1_25partition_config_selectorILNS1_17partition_subalgoE8EiNS0_10empty_typeEbEEZZNS1_14partition_implILS5_8ELb0ES3_jN6thrust23THRUST_200600_302600_NS6detail15normal_iteratorINSA_10device_ptrIiEEEEPS6_PKS6_NS0_5tupleIJSF_S6_EEENSJ_IJSG_SG_EEENS0_18inequality_wrapperI22is_equal_div_10_uniqueIiEEEPmJS6_EEE10hipError_tPvRmT3_T4_T5_T6_T7_T9_mT8_P12ihipStream_tbDpT10_ENKUlT_T0_E_clISt17integral_constantIbLb1EES19_IbLb0EEEEDaS15_S16_EUlS15_E_NS1_11comp_targetILNS1_3genE8ELNS1_11target_archE1030ELNS1_3gpuE2ELNS1_3repE0EEENS1_30default_config_static_selectorELNS0_4arch9wavefront6targetE1EEEvT1_.has_indirect_call, 0
	.section	.AMDGPU.csdata,"",@progbits
; Kernel info:
; codeLenInByte = 0
; TotalNumSgprs: 4
; NumVgprs: 0
; ScratchSize: 0
; MemoryBound: 0
; FloatMode: 240
; IeeeMode: 1
; LDSByteSize: 0 bytes/workgroup (compile time only)
; SGPRBlocks: 0
; VGPRBlocks: 0
; NumSGPRsForWavesPerEU: 4
; NumVGPRsForWavesPerEU: 1
; Occupancy: 10
; WaveLimiterHint : 0
; COMPUTE_PGM_RSRC2:SCRATCH_EN: 0
; COMPUTE_PGM_RSRC2:USER_SGPR: 6
; COMPUTE_PGM_RSRC2:TRAP_HANDLER: 0
; COMPUTE_PGM_RSRC2:TGID_X_EN: 1
; COMPUTE_PGM_RSRC2:TGID_Y_EN: 0
; COMPUTE_PGM_RSRC2:TGID_Z_EN: 0
; COMPUTE_PGM_RSRC2:TIDIG_COMP_CNT: 0
	.section	.text._ZN7rocprim17ROCPRIM_400000_NS6detail17trampoline_kernelINS0_14default_configENS1_25partition_config_selectorILNS1_17partition_subalgoE8EiNS0_10empty_typeEbEEZZNS1_14partition_implILS5_8ELb0ES3_jN6thrust23THRUST_200600_302600_NS6detail15normal_iteratorINSA_10device_ptrIiEEEEPS6_PKS6_NS0_5tupleIJSF_S6_EEENSJ_IJSG_SG_EEENS0_18inequality_wrapperI22is_equal_div_10_uniqueIiEEEPmJS6_EEE10hipError_tPvRmT3_T4_T5_T6_T7_T9_mT8_P12ihipStream_tbDpT10_ENKUlT_T0_E_clISt17integral_constantIbLb0EES19_IbLb1EEEEDaS15_S16_EUlS15_E_NS1_11comp_targetILNS1_3genE0ELNS1_11target_archE4294967295ELNS1_3gpuE0ELNS1_3repE0EEENS1_30default_config_static_selectorELNS0_4arch9wavefront6targetE1EEEvT1_,"axG",@progbits,_ZN7rocprim17ROCPRIM_400000_NS6detail17trampoline_kernelINS0_14default_configENS1_25partition_config_selectorILNS1_17partition_subalgoE8EiNS0_10empty_typeEbEEZZNS1_14partition_implILS5_8ELb0ES3_jN6thrust23THRUST_200600_302600_NS6detail15normal_iteratorINSA_10device_ptrIiEEEEPS6_PKS6_NS0_5tupleIJSF_S6_EEENSJ_IJSG_SG_EEENS0_18inequality_wrapperI22is_equal_div_10_uniqueIiEEEPmJS6_EEE10hipError_tPvRmT3_T4_T5_T6_T7_T9_mT8_P12ihipStream_tbDpT10_ENKUlT_T0_E_clISt17integral_constantIbLb0EES19_IbLb1EEEEDaS15_S16_EUlS15_E_NS1_11comp_targetILNS1_3genE0ELNS1_11target_archE4294967295ELNS1_3gpuE0ELNS1_3repE0EEENS1_30default_config_static_selectorELNS0_4arch9wavefront6targetE1EEEvT1_,comdat
	.protected	_ZN7rocprim17ROCPRIM_400000_NS6detail17trampoline_kernelINS0_14default_configENS1_25partition_config_selectorILNS1_17partition_subalgoE8EiNS0_10empty_typeEbEEZZNS1_14partition_implILS5_8ELb0ES3_jN6thrust23THRUST_200600_302600_NS6detail15normal_iteratorINSA_10device_ptrIiEEEEPS6_PKS6_NS0_5tupleIJSF_S6_EEENSJ_IJSG_SG_EEENS0_18inequality_wrapperI22is_equal_div_10_uniqueIiEEEPmJS6_EEE10hipError_tPvRmT3_T4_T5_T6_T7_T9_mT8_P12ihipStream_tbDpT10_ENKUlT_T0_E_clISt17integral_constantIbLb0EES19_IbLb1EEEEDaS15_S16_EUlS15_E_NS1_11comp_targetILNS1_3genE0ELNS1_11target_archE4294967295ELNS1_3gpuE0ELNS1_3repE0EEENS1_30default_config_static_selectorELNS0_4arch9wavefront6targetE1EEEvT1_ ; -- Begin function _ZN7rocprim17ROCPRIM_400000_NS6detail17trampoline_kernelINS0_14default_configENS1_25partition_config_selectorILNS1_17partition_subalgoE8EiNS0_10empty_typeEbEEZZNS1_14partition_implILS5_8ELb0ES3_jN6thrust23THRUST_200600_302600_NS6detail15normal_iteratorINSA_10device_ptrIiEEEEPS6_PKS6_NS0_5tupleIJSF_S6_EEENSJ_IJSG_SG_EEENS0_18inequality_wrapperI22is_equal_div_10_uniqueIiEEEPmJS6_EEE10hipError_tPvRmT3_T4_T5_T6_T7_T9_mT8_P12ihipStream_tbDpT10_ENKUlT_T0_E_clISt17integral_constantIbLb0EES19_IbLb1EEEEDaS15_S16_EUlS15_E_NS1_11comp_targetILNS1_3genE0ELNS1_11target_archE4294967295ELNS1_3gpuE0ELNS1_3repE0EEENS1_30default_config_static_selectorELNS0_4arch9wavefront6targetE1EEEvT1_
	.globl	_ZN7rocprim17ROCPRIM_400000_NS6detail17trampoline_kernelINS0_14default_configENS1_25partition_config_selectorILNS1_17partition_subalgoE8EiNS0_10empty_typeEbEEZZNS1_14partition_implILS5_8ELb0ES3_jN6thrust23THRUST_200600_302600_NS6detail15normal_iteratorINSA_10device_ptrIiEEEEPS6_PKS6_NS0_5tupleIJSF_S6_EEENSJ_IJSG_SG_EEENS0_18inequality_wrapperI22is_equal_div_10_uniqueIiEEEPmJS6_EEE10hipError_tPvRmT3_T4_T5_T6_T7_T9_mT8_P12ihipStream_tbDpT10_ENKUlT_T0_E_clISt17integral_constantIbLb0EES19_IbLb1EEEEDaS15_S16_EUlS15_E_NS1_11comp_targetILNS1_3genE0ELNS1_11target_archE4294967295ELNS1_3gpuE0ELNS1_3repE0EEENS1_30default_config_static_selectorELNS0_4arch9wavefront6targetE1EEEvT1_
	.p2align	8
	.type	_ZN7rocprim17ROCPRIM_400000_NS6detail17trampoline_kernelINS0_14default_configENS1_25partition_config_selectorILNS1_17partition_subalgoE8EiNS0_10empty_typeEbEEZZNS1_14partition_implILS5_8ELb0ES3_jN6thrust23THRUST_200600_302600_NS6detail15normal_iteratorINSA_10device_ptrIiEEEEPS6_PKS6_NS0_5tupleIJSF_S6_EEENSJ_IJSG_SG_EEENS0_18inequality_wrapperI22is_equal_div_10_uniqueIiEEEPmJS6_EEE10hipError_tPvRmT3_T4_T5_T6_T7_T9_mT8_P12ihipStream_tbDpT10_ENKUlT_T0_E_clISt17integral_constantIbLb0EES19_IbLb1EEEEDaS15_S16_EUlS15_E_NS1_11comp_targetILNS1_3genE0ELNS1_11target_archE4294967295ELNS1_3gpuE0ELNS1_3repE0EEENS1_30default_config_static_selectorELNS0_4arch9wavefront6targetE1EEEvT1_,@function
_ZN7rocprim17ROCPRIM_400000_NS6detail17trampoline_kernelINS0_14default_configENS1_25partition_config_selectorILNS1_17partition_subalgoE8EiNS0_10empty_typeEbEEZZNS1_14partition_implILS5_8ELb0ES3_jN6thrust23THRUST_200600_302600_NS6detail15normal_iteratorINSA_10device_ptrIiEEEEPS6_PKS6_NS0_5tupleIJSF_S6_EEENSJ_IJSG_SG_EEENS0_18inequality_wrapperI22is_equal_div_10_uniqueIiEEEPmJS6_EEE10hipError_tPvRmT3_T4_T5_T6_T7_T9_mT8_P12ihipStream_tbDpT10_ENKUlT_T0_E_clISt17integral_constantIbLb0EES19_IbLb1EEEEDaS15_S16_EUlS15_E_NS1_11comp_targetILNS1_3genE0ELNS1_11target_archE4294967295ELNS1_3gpuE0ELNS1_3repE0EEENS1_30default_config_static_selectorELNS0_4arch9wavefront6targetE1EEEvT1_: ; @_ZN7rocprim17ROCPRIM_400000_NS6detail17trampoline_kernelINS0_14default_configENS1_25partition_config_selectorILNS1_17partition_subalgoE8EiNS0_10empty_typeEbEEZZNS1_14partition_implILS5_8ELb0ES3_jN6thrust23THRUST_200600_302600_NS6detail15normal_iteratorINSA_10device_ptrIiEEEEPS6_PKS6_NS0_5tupleIJSF_S6_EEENSJ_IJSG_SG_EEENS0_18inequality_wrapperI22is_equal_div_10_uniqueIiEEEPmJS6_EEE10hipError_tPvRmT3_T4_T5_T6_T7_T9_mT8_P12ihipStream_tbDpT10_ENKUlT_T0_E_clISt17integral_constantIbLb0EES19_IbLb1EEEEDaS15_S16_EUlS15_E_NS1_11comp_targetILNS1_3genE0ELNS1_11target_archE4294967295ELNS1_3gpuE0ELNS1_3repE0EEENS1_30default_config_static_selectorELNS0_4arch9wavefront6targetE1EEEvT1_
; %bb.0:
	.section	.rodata,"a",@progbits
	.p2align	6, 0x0
	.amdhsa_kernel _ZN7rocprim17ROCPRIM_400000_NS6detail17trampoline_kernelINS0_14default_configENS1_25partition_config_selectorILNS1_17partition_subalgoE8EiNS0_10empty_typeEbEEZZNS1_14partition_implILS5_8ELb0ES3_jN6thrust23THRUST_200600_302600_NS6detail15normal_iteratorINSA_10device_ptrIiEEEEPS6_PKS6_NS0_5tupleIJSF_S6_EEENSJ_IJSG_SG_EEENS0_18inequality_wrapperI22is_equal_div_10_uniqueIiEEEPmJS6_EEE10hipError_tPvRmT3_T4_T5_T6_T7_T9_mT8_P12ihipStream_tbDpT10_ENKUlT_T0_E_clISt17integral_constantIbLb0EES19_IbLb1EEEEDaS15_S16_EUlS15_E_NS1_11comp_targetILNS1_3genE0ELNS1_11target_archE4294967295ELNS1_3gpuE0ELNS1_3repE0EEENS1_30default_config_static_selectorELNS0_4arch9wavefront6targetE1EEEvT1_
		.amdhsa_group_segment_fixed_size 0
		.amdhsa_private_segment_fixed_size 0
		.amdhsa_kernarg_size 128
		.amdhsa_user_sgpr_count 6
		.amdhsa_user_sgpr_private_segment_buffer 1
		.amdhsa_user_sgpr_dispatch_ptr 0
		.amdhsa_user_sgpr_queue_ptr 0
		.amdhsa_user_sgpr_kernarg_segment_ptr 1
		.amdhsa_user_sgpr_dispatch_id 0
		.amdhsa_user_sgpr_flat_scratch_init 0
		.amdhsa_user_sgpr_private_segment_size 0
		.amdhsa_uses_dynamic_stack 0
		.amdhsa_system_sgpr_private_segment_wavefront_offset 0
		.amdhsa_system_sgpr_workgroup_id_x 1
		.amdhsa_system_sgpr_workgroup_id_y 0
		.amdhsa_system_sgpr_workgroup_id_z 0
		.amdhsa_system_sgpr_workgroup_info 0
		.amdhsa_system_vgpr_workitem_id 0
		.amdhsa_next_free_vgpr 1
		.amdhsa_next_free_sgpr 0
		.amdhsa_reserve_vcc 0
		.amdhsa_reserve_flat_scratch 0
		.amdhsa_float_round_mode_32 0
		.amdhsa_float_round_mode_16_64 0
		.amdhsa_float_denorm_mode_32 3
		.amdhsa_float_denorm_mode_16_64 3
		.amdhsa_dx10_clamp 1
		.amdhsa_ieee_mode 1
		.amdhsa_fp16_overflow 0
		.amdhsa_exception_fp_ieee_invalid_op 0
		.amdhsa_exception_fp_denorm_src 0
		.amdhsa_exception_fp_ieee_div_zero 0
		.amdhsa_exception_fp_ieee_overflow 0
		.amdhsa_exception_fp_ieee_underflow 0
		.amdhsa_exception_fp_ieee_inexact 0
		.amdhsa_exception_int_div_zero 0
	.end_amdhsa_kernel
	.section	.text._ZN7rocprim17ROCPRIM_400000_NS6detail17trampoline_kernelINS0_14default_configENS1_25partition_config_selectorILNS1_17partition_subalgoE8EiNS0_10empty_typeEbEEZZNS1_14partition_implILS5_8ELb0ES3_jN6thrust23THRUST_200600_302600_NS6detail15normal_iteratorINSA_10device_ptrIiEEEEPS6_PKS6_NS0_5tupleIJSF_S6_EEENSJ_IJSG_SG_EEENS0_18inequality_wrapperI22is_equal_div_10_uniqueIiEEEPmJS6_EEE10hipError_tPvRmT3_T4_T5_T6_T7_T9_mT8_P12ihipStream_tbDpT10_ENKUlT_T0_E_clISt17integral_constantIbLb0EES19_IbLb1EEEEDaS15_S16_EUlS15_E_NS1_11comp_targetILNS1_3genE0ELNS1_11target_archE4294967295ELNS1_3gpuE0ELNS1_3repE0EEENS1_30default_config_static_selectorELNS0_4arch9wavefront6targetE1EEEvT1_,"axG",@progbits,_ZN7rocprim17ROCPRIM_400000_NS6detail17trampoline_kernelINS0_14default_configENS1_25partition_config_selectorILNS1_17partition_subalgoE8EiNS0_10empty_typeEbEEZZNS1_14partition_implILS5_8ELb0ES3_jN6thrust23THRUST_200600_302600_NS6detail15normal_iteratorINSA_10device_ptrIiEEEEPS6_PKS6_NS0_5tupleIJSF_S6_EEENSJ_IJSG_SG_EEENS0_18inequality_wrapperI22is_equal_div_10_uniqueIiEEEPmJS6_EEE10hipError_tPvRmT3_T4_T5_T6_T7_T9_mT8_P12ihipStream_tbDpT10_ENKUlT_T0_E_clISt17integral_constantIbLb0EES19_IbLb1EEEEDaS15_S16_EUlS15_E_NS1_11comp_targetILNS1_3genE0ELNS1_11target_archE4294967295ELNS1_3gpuE0ELNS1_3repE0EEENS1_30default_config_static_selectorELNS0_4arch9wavefront6targetE1EEEvT1_,comdat
.Lfunc_end460:
	.size	_ZN7rocprim17ROCPRIM_400000_NS6detail17trampoline_kernelINS0_14default_configENS1_25partition_config_selectorILNS1_17partition_subalgoE8EiNS0_10empty_typeEbEEZZNS1_14partition_implILS5_8ELb0ES3_jN6thrust23THRUST_200600_302600_NS6detail15normal_iteratorINSA_10device_ptrIiEEEEPS6_PKS6_NS0_5tupleIJSF_S6_EEENSJ_IJSG_SG_EEENS0_18inequality_wrapperI22is_equal_div_10_uniqueIiEEEPmJS6_EEE10hipError_tPvRmT3_T4_T5_T6_T7_T9_mT8_P12ihipStream_tbDpT10_ENKUlT_T0_E_clISt17integral_constantIbLb0EES19_IbLb1EEEEDaS15_S16_EUlS15_E_NS1_11comp_targetILNS1_3genE0ELNS1_11target_archE4294967295ELNS1_3gpuE0ELNS1_3repE0EEENS1_30default_config_static_selectorELNS0_4arch9wavefront6targetE1EEEvT1_, .Lfunc_end460-_ZN7rocprim17ROCPRIM_400000_NS6detail17trampoline_kernelINS0_14default_configENS1_25partition_config_selectorILNS1_17partition_subalgoE8EiNS0_10empty_typeEbEEZZNS1_14partition_implILS5_8ELb0ES3_jN6thrust23THRUST_200600_302600_NS6detail15normal_iteratorINSA_10device_ptrIiEEEEPS6_PKS6_NS0_5tupleIJSF_S6_EEENSJ_IJSG_SG_EEENS0_18inequality_wrapperI22is_equal_div_10_uniqueIiEEEPmJS6_EEE10hipError_tPvRmT3_T4_T5_T6_T7_T9_mT8_P12ihipStream_tbDpT10_ENKUlT_T0_E_clISt17integral_constantIbLb0EES19_IbLb1EEEEDaS15_S16_EUlS15_E_NS1_11comp_targetILNS1_3genE0ELNS1_11target_archE4294967295ELNS1_3gpuE0ELNS1_3repE0EEENS1_30default_config_static_selectorELNS0_4arch9wavefront6targetE1EEEvT1_
                                        ; -- End function
	.set _ZN7rocprim17ROCPRIM_400000_NS6detail17trampoline_kernelINS0_14default_configENS1_25partition_config_selectorILNS1_17partition_subalgoE8EiNS0_10empty_typeEbEEZZNS1_14partition_implILS5_8ELb0ES3_jN6thrust23THRUST_200600_302600_NS6detail15normal_iteratorINSA_10device_ptrIiEEEEPS6_PKS6_NS0_5tupleIJSF_S6_EEENSJ_IJSG_SG_EEENS0_18inequality_wrapperI22is_equal_div_10_uniqueIiEEEPmJS6_EEE10hipError_tPvRmT3_T4_T5_T6_T7_T9_mT8_P12ihipStream_tbDpT10_ENKUlT_T0_E_clISt17integral_constantIbLb0EES19_IbLb1EEEEDaS15_S16_EUlS15_E_NS1_11comp_targetILNS1_3genE0ELNS1_11target_archE4294967295ELNS1_3gpuE0ELNS1_3repE0EEENS1_30default_config_static_selectorELNS0_4arch9wavefront6targetE1EEEvT1_.num_vgpr, 0
	.set _ZN7rocprim17ROCPRIM_400000_NS6detail17trampoline_kernelINS0_14default_configENS1_25partition_config_selectorILNS1_17partition_subalgoE8EiNS0_10empty_typeEbEEZZNS1_14partition_implILS5_8ELb0ES3_jN6thrust23THRUST_200600_302600_NS6detail15normal_iteratorINSA_10device_ptrIiEEEEPS6_PKS6_NS0_5tupleIJSF_S6_EEENSJ_IJSG_SG_EEENS0_18inequality_wrapperI22is_equal_div_10_uniqueIiEEEPmJS6_EEE10hipError_tPvRmT3_T4_T5_T6_T7_T9_mT8_P12ihipStream_tbDpT10_ENKUlT_T0_E_clISt17integral_constantIbLb0EES19_IbLb1EEEEDaS15_S16_EUlS15_E_NS1_11comp_targetILNS1_3genE0ELNS1_11target_archE4294967295ELNS1_3gpuE0ELNS1_3repE0EEENS1_30default_config_static_selectorELNS0_4arch9wavefront6targetE1EEEvT1_.num_agpr, 0
	.set _ZN7rocprim17ROCPRIM_400000_NS6detail17trampoline_kernelINS0_14default_configENS1_25partition_config_selectorILNS1_17partition_subalgoE8EiNS0_10empty_typeEbEEZZNS1_14partition_implILS5_8ELb0ES3_jN6thrust23THRUST_200600_302600_NS6detail15normal_iteratorINSA_10device_ptrIiEEEEPS6_PKS6_NS0_5tupleIJSF_S6_EEENSJ_IJSG_SG_EEENS0_18inequality_wrapperI22is_equal_div_10_uniqueIiEEEPmJS6_EEE10hipError_tPvRmT3_T4_T5_T6_T7_T9_mT8_P12ihipStream_tbDpT10_ENKUlT_T0_E_clISt17integral_constantIbLb0EES19_IbLb1EEEEDaS15_S16_EUlS15_E_NS1_11comp_targetILNS1_3genE0ELNS1_11target_archE4294967295ELNS1_3gpuE0ELNS1_3repE0EEENS1_30default_config_static_selectorELNS0_4arch9wavefront6targetE1EEEvT1_.numbered_sgpr, 0
	.set _ZN7rocprim17ROCPRIM_400000_NS6detail17trampoline_kernelINS0_14default_configENS1_25partition_config_selectorILNS1_17partition_subalgoE8EiNS0_10empty_typeEbEEZZNS1_14partition_implILS5_8ELb0ES3_jN6thrust23THRUST_200600_302600_NS6detail15normal_iteratorINSA_10device_ptrIiEEEEPS6_PKS6_NS0_5tupleIJSF_S6_EEENSJ_IJSG_SG_EEENS0_18inequality_wrapperI22is_equal_div_10_uniqueIiEEEPmJS6_EEE10hipError_tPvRmT3_T4_T5_T6_T7_T9_mT8_P12ihipStream_tbDpT10_ENKUlT_T0_E_clISt17integral_constantIbLb0EES19_IbLb1EEEEDaS15_S16_EUlS15_E_NS1_11comp_targetILNS1_3genE0ELNS1_11target_archE4294967295ELNS1_3gpuE0ELNS1_3repE0EEENS1_30default_config_static_selectorELNS0_4arch9wavefront6targetE1EEEvT1_.num_named_barrier, 0
	.set _ZN7rocprim17ROCPRIM_400000_NS6detail17trampoline_kernelINS0_14default_configENS1_25partition_config_selectorILNS1_17partition_subalgoE8EiNS0_10empty_typeEbEEZZNS1_14partition_implILS5_8ELb0ES3_jN6thrust23THRUST_200600_302600_NS6detail15normal_iteratorINSA_10device_ptrIiEEEEPS6_PKS6_NS0_5tupleIJSF_S6_EEENSJ_IJSG_SG_EEENS0_18inequality_wrapperI22is_equal_div_10_uniqueIiEEEPmJS6_EEE10hipError_tPvRmT3_T4_T5_T6_T7_T9_mT8_P12ihipStream_tbDpT10_ENKUlT_T0_E_clISt17integral_constantIbLb0EES19_IbLb1EEEEDaS15_S16_EUlS15_E_NS1_11comp_targetILNS1_3genE0ELNS1_11target_archE4294967295ELNS1_3gpuE0ELNS1_3repE0EEENS1_30default_config_static_selectorELNS0_4arch9wavefront6targetE1EEEvT1_.private_seg_size, 0
	.set _ZN7rocprim17ROCPRIM_400000_NS6detail17trampoline_kernelINS0_14default_configENS1_25partition_config_selectorILNS1_17partition_subalgoE8EiNS0_10empty_typeEbEEZZNS1_14partition_implILS5_8ELb0ES3_jN6thrust23THRUST_200600_302600_NS6detail15normal_iteratorINSA_10device_ptrIiEEEEPS6_PKS6_NS0_5tupleIJSF_S6_EEENSJ_IJSG_SG_EEENS0_18inequality_wrapperI22is_equal_div_10_uniqueIiEEEPmJS6_EEE10hipError_tPvRmT3_T4_T5_T6_T7_T9_mT8_P12ihipStream_tbDpT10_ENKUlT_T0_E_clISt17integral_constantIbLb0EES19_IbLb1EEEEDaS15_S16_EUlS15_E_NS1_11comp_targetILNS1_3genE0ELNS1_11target_archE4294967295ELNS1_3gpuE0ELNS1_3repE0EEENS1_30default_config_static_selectorELNS0_4arch9wavefront6targetE1EEEvT1_.uses_vcc, 0
	.set _ZN7rocprim17ROCPRIM_400000_NS6detail17trampoline_kernelINS0_14default_configENS1_25partition_config_selectorILNS1_17partition_subalgoE8EiNS0_10empty_typeEbEEZZNS1_14partition_implILS5_8ELb0ES3_jN6thrust23THRUST_200600_302600_NS6detail15normal_iteratorINSA_10device_ptrIiEEEEPS6_PKS6_NS0_5tupleIJSF_S6_EEENSJ_IJSG_SG_EEENS0_18inequality_wrapperI22is_equal_div_10_uniqueIiEEEPmJS6_EEE10hipError_tPvRmT3_T4_T5_T6_T7_T9_mT8_P12ihipStream_tbDpT10_ENKUlT_T0_E_clISt17integral_constantIbLb0EES19_IbLb1EEEEDaS15_S16_EUlS15_E_NS1_11comp_targetILNS1_3genE0ELNS1_11target_archE4294967295ELNS1_3gpuE0ELNS1_3repE0EEENS1_30default_config_static_selectorELNS0_4arch9wavefront6targetE1EEEvT1_.uses_flat_scratch, 0
	.set _ZN7rocprim17ROCPRIM_400000_NS6detail17trampoline_kernelINS0_14default_configENS1_25partition_config_selectorILNS1_17partition_subalgoE8EiNS0_10empty_typeEbEEZZNS1_14partition_implILS5_8ELb0ES3_jN6thrust23THRUST_200600_302600_NS6detail15normal_iteratorINSA_10device_ptrIiEEEEPS6_PKS6_NS0_5tupleIJSF_S6_EEENSJ_IJSG_SG_EEENS0_18inequality_wrapperI22is_equal_div_10_uniqueIiEEEPmJS6_EEE10hipError_tPvRmT3_T4_T5_T6_T7_T9_mT8_P12ihipStream_tbDpT10_ENKUlT_T0_E_clISt17integral_constantIbLb0EES19_IbLb1EEEEDaS15_S16_EUlS15_E_NS1_11comp_targetILNS1_3genE0ELNS1_11target_archE4294967295ELNS1_3gpuE0ELNS1_3repE0EEENS1_30default_config_static_selectorELNS0_4arch9wavefront6targetE1EEEvT1_.has_dyn_sized_stack, 0
	.set _ZN7rocprim17ROCPRIM_400000_NS6detail17trampoline_kernelINS0_14default_configENS1_25partition_config_selectorILNS1_17partition_subalgoE8EiNS0_10empty_typeEbEEZZNS1_14partition_implILS5_8ELb0ES3_jN6thrust23THRUST_200600_302600_NS6detail15normal_iteratorINSA_10device_ptrIiEEEEPS6_PKS6_NS0_5tupleIJSF_S6_EEENSJ_IJSG_SG_EEENS0_18inequality_wrapperI22is_equal_div_10_uniqueIiEEEPmJS6_EEE10hipError_tPvRmT3_T4_T5_T6_T7_T9_mT8_P12ihipStream_tbDpT10_ENKUlT_T0_E_clISt17integral_constantIbLb0EES19_IbLb1EEEEDaS15_S16_EUlS15_E_NS1_11comp_targetILNS1_3genE0ELNS1_11target_archE4294967295ELNS1_3gpuE0ELNS1_3repE0EEENS1_30default_config_static_selectorELNS0_4arch9wavefront6targetE1EEEvT1_.has_recursion, 0
	.set _ZN7rocprim17ROCPRIM_400000_NS6detail17trampoline_kernelINS0_14default_configENS1_25partition_config_selectorILNS1_17partition_subalgoE8EiNS0_10empty_typeEbEEZZNS1_14partition_implILS5_8ELb0ES3_jN6thrust23THRUST_200600_302600_NS6detail15normal_iteratorINSA_10device_ptrIiEEEEPS6_PKS6_NS0_5tupleIJSF_S6_EEENSJ_IJSG_SG_EEENS0_18inequality_wrapperI22is_equal_div_10_uniqueIiEEEPmJS6_EEE10hipError_tPvRmT3_T4_T5_T6_T7_T9_mT8_P12ihipStream_tbDpT10_ENKUlT_T0_E_clISt17integral_constantIbLb0EES19_IbLb1EEEEDaS15_S16_EUlS15_E_NS1_11comp_targetILNS1_3genE0ELNS1_11target_archE4294967295ELNS1_3gpuE0ELNS1_3repE0EEENS1_30default_config_static_selectorELNS0_4arch9wavefront6targetE1EEEvT1_.has_indirect_call, 0
	.section	.AMDGPU.csdata,"",@progbits
; Kernel info:
; codeLenInByte = 0
; TotalNumSgprs: 4
; NumVgprs: 0
; ScratchSize: 0
; MemoryBound: 0
; FloatMode: 240
; IeeeMode: 1
; LDSByteSize: 0 bytes/workgroup (compile time only)
; SGPRBlocks: 0
; VGPRBlocks: 0
; NumSGPRsForWavesPerEU: 4
; NumVGPRsForWavesPerEU: 1
; Occupancy: 10
; WaveLimiterHint : 0
; COMPUTE_PGM_RSRC2:SCRATCH_EN: 0
; COMPUTE_PGM_RSRC2:USER_SGPR: 6
; COMPUTE_PGM_RSRC2:TRAP_HANDLER: 0
; COMPUTE_PGM_RSRC2:TGID_X_EN: 1
; COMPUTE_PGM_RSRC2:TGID_Y_EN: 0
; COMPUTE_PGM_RSRC2:TGID_Z_EN: 0
; COMPUTE_PGM_RSRC2:TIDIG_COMP_CNT: 0
	.section	.text._ZN7rocprim17ROCPRIM_400000_NS6detail17trampoline_kernelINS0_14default_configENS1_25partition_config_selectorILNS1_17partition_subalgoE8EiNS0_10empty_typeEbEEZZNS1_14partition_implILS5_8ELb0ES3_jN6thrust23THRUST_200600_302600_NS6detail15normal_iteratorINSA_10device_ptrIiEEEEPS6_PKS6_NS0_5tupleIJSF_S6_EEENSJ_IJSG_SG_EEENS0_18inequality_wrapperI22is_equal_div_10_uniqueIiEEEPmJS6_EEE10hipError_tPvRmT3_T4_T5_T6_T7_T9_mT8_P12ihipStream_tbDpT10_ENKUlT_T0_E_clISt17integral_constantIbLb0EES19_IbLb1EEEEDaS15_S16_EUlS15_E_NS1_11comp_targetILNS1_3genE5ELNS1_11target_archE942ELNS1_3gpuE9ELNS1_3repE0EEENS1_30default_config_static_selectorELNS0_4arch9wavefront6targetE1EEEvT1_,"axG",@progbits,_ZN7rocprim17ROCPRIM_400000_NS6detail17trampoline_kernelINS0_14default_configENS1_25partition_config_selectorILNS1_17partition_subalgoE8EiNS0_10empty_typeEbEEZZNS1_14partition_implILS5_8ELb0ES3_jN6thrust23THRUST_200600_302600_NS6detail15normal_iteratorINSA_10device_ptrIiEEEEPS6_PKS6_NS0_5tupleIJSF_S6_EEENSJ_IJSG_SG_EEENS0_18inequality_wrapperI22is_equal_div_10_uniqueIiEEEPmJS6_EEE10hipError_tPvRmT3_T4_T5_T6_T7_T9_mT8_P12ihipStream_tbDpT10_ENKUlT_T0_E_clISt17integral_constantIbLb0EES19_IbLb1EEEEDaS15_S16_EUlS15_E_NS1_11comp_targetILNS1_3genE5ELNS1_11target_archE942ELNS1_3gpuE9ELNS1_3repE0EEENS1_30default_config_static_selectorELNS0_4arch9wavefront6targetE1EEEvT1_,comdat
	.protected	_ZN7rocprim17ROCPRIM_400000_NS6detail17trampoline_kernelINS0_14default_configENS1_25partition_config_selectorILNS1_17partition_subalgoE8EiNS0_10empty_typeEbEEZZNS1_14partition_implILS5_8ELb0ES3_jN6thrust23THRUST_200600_302600_NS6detail15normal_iteratorINSA_10device_ptrIiEEEEPS6_PKS6_NS0_5tupleIJSF_S6_EEENSJ_IJSG_SG_EEENS0_18inequality_wrapperI22is_equal_div_10_uniqueIiEEEPmJS6_EEE10hipError_tPvRmT3_T4_T5_T6_T7_T9_mT8_P12ihipStream_tbDpT10_ENKUlT_T0_E_clISt17integral_constantIbLb0EES19_IbLb1EEEEDaS15_S16_EUlS15_E_NS1_11comp_targetILNS1_3genE5ELNS1_11target_archE942ELNS1_3gpuE9ELNS1_3repE0EEENS1_30default_config_static_selectorELNS0_4arch9wavefront6targetE1EEEvT1_ ; -- Begin function _ZN7rocprim17ROCPRIM_400000_NS6detail17trampoline_kernelINS0_14default_configENS1_25partition_config_selectorILNS1_17partition_subalgoE8EiNS0_10empty_typeEbEEZZNS1_14partition_implILS5_8ELb0ES3_jN6thrust23THRUST_200600_302600_NS6detail15normal_iteratorINSA_10device_ptrIiEEEEPS6_PKS6_NS0_5tupleIJSF_S6_EEENSJ_IJSG_SG_EEENS0_18inequality_wrapperI22is_equal_div_10_uniqueIiEEEPmJS6_EEE10hipError_tPvRmT3_T4_T5_T6_T7_T9_mT8_P12ihipStream_tbDpT10_ENKUlT_T0_E_clISt17integral_constantIbLb0EES19_IbLb1EEEEDaS15_S16_EUlS15_E_NS1_11comp_targetILNS1_3genE5ELNS1_11target_archE942ELNS1_3gpuE9ELNS1_3repE0EEENS1_30default_config_static_selectorELNS0_4arch9wavefront6targetE1EEEvT1_
	.globl	_ZN7rocprim17ROCPRIM_400000_NS6detail17trampoline_kernelINS0_14default_configENS1_25partition_config_selectorILNS1_17partition_subalgoE8EiNS0_10empty_typeEbEEZZNS1_14partition_implILS5_8ELb0ES3_jN6thrust23THRUST_200600_302600_NS6detail15normal_iteratorINSA_10device_ptrIiEEEEPS6_PKS6_NS0_5tupleIJSF_S6_EEENSJ_IJSG_SG_EEENS0_18inequality_wrapperI22is_equal_div_10_uniqueIiEEEPmJS6_EEE10hipError_tPvRmT3_T4_T5_T6_T7_T9_mT8_P12ihipStream_tbDpT10_ENKUlT_T0_E_clISt17integral_constantIbLb0EES19_IbLb1EEEEDaS15_S16_EUlS15_E_NS1_11comp_targetILNS1_3genE5ELNS1_11target_archE942ELNS1_3gpuE9ELNS1_3repE0EEENS1_30default_config_static_selectorELNS0_4arch9wavefront6targetE1EEEvT1_
	.p2align	8
	.type	_ZN7rocprim17ROCPRIM_400000_NS6detail17trampoline_kernelINS0_14default_configENS1_25partition_config_selectorILNS1_17partition_subalgoE8EiNS0_10empty_typeEbEEZZNS1_14partition_implILS5_8ELb0ES3_jN6thrust23THRUST_200600_302600_NS6detail15normal_iteratorINSA_10device_ptrIiEEEEPS6_PKS6_NS0_5tupleIJSF_S6_EEENSJ_IJSG_SG_EEENS0_18inequality_wrapperI22is_equal_div_10_uniqueIiEEEPmJS6_EEE10hipError_tPvRmT3_T4_T5_T6_T7_T9_mT8_P12ihipStream_tbDpT10_ENKUlT_T0_E_clISt17integral_constantIbLb0EES19_IbLb1EEEEDaS15_S16_EUlS15_E_NS1_11comp_targetILNS1_3genE5ELNS1_11target_archE942ELNS1_3gpuE9ELNS1_3repE0EEENS1_30default_config_static_selectorELNS0_4arch9wavefront6targetE1EEEvT1_,@function
_ZN7rocprim17ROCPRIM_400000_NS6detail17trampoline_kernelINS0_14default_configENS1_25partition_config_selectorILNS1_17partition_subalgoE8EiNS0_10empty_typeEbEEZZNS1_14partition_implILS5_8ELb0ES3_jN6thrust23THRUST_200600_302600_NS6detail15normal_iteratorINSA_10device_ptrIiEEEEPS6_PKS6_NS0_5tupleIJSF_S6_EEENSJ_IJSG_SG_EEENS0_18inequality_wrapperI22is_equal_div_10_uniqueIiEEEPmJS6_EEE10hipError_tPvRmT3_T4_T5_T6_T7_T9_mT8_P12ihipStream_tbDpT10_ENKUlT_T0_E_clISt17integral_constantIbLb0EES19_IbLb1EEEEDaS15_S16_EUlS15_E_NS1_11comp_targetILNS1_3genE5ELNS1_11target_archE942ELNS1_3gpuE9ELNS1_3repE0EEENS1_30default_config_static_selectorELNS0_4arch9wavefront6targetE1EEEvT1_: ; @_ZN7rocprim17ROCPRIM_400000_NS6detail17trampoline_kernelINS0_14default_configENS1_25partition_config_selectorILNS1_17partition_subalgoE8EiNS0_10empty_typeEbEEZZNS1_14partition_implILS5_8ELb0ES3_jN6thrust23THRUST_200600_302600_NS6detail15normal_iteratorINSA_10device_ptrIiEEEEPS6_PKS6_NS0_5tupleIJSF_S6_EEENSJ_IJSG_SG_EEENS0_18inequality_wrapperI22is_equal_div_10_uniqueIiEEEPmJS6_EEE10hipError_tPvRmT3_T4_T5_T6_T7_T9_mT8_P12ihipStream_tbDpT10_ENKUlT_T0_E_clISt17integral_constantIbLb0EES19_IbLb1EEEEDaS15_S16_EUlS15_E_NS1_11comp_targetILNS1_3genE5ELNS1_11target_archE942ELNS1_3gpuE9ELNS1_3repE0EEENS1_30default_config_static_selectorELNS0_4arch9wavefront6targetE1EEEvT1_
; %bb.0:
	.section	.rodata,"a",@progbits
	.p2align	6, 0x0
	.amdhsa_kernel _ZN7rocprim17ROCPRIM_400000_NS6detail17trampoline_kernelINS0_14default_configENS1_25partition_config_selectorILNS1_17partition_subalgoE8EiNS0_10empty_typeEbEEZZNS1_14partition_implILS5_8ELb0ES3_jN6thrust23THRUST_200600_302600_NS6detail15normal_iteratorINSA_10device_ptrIiEEEEPS6_PKS6_NS0_5tupleIJSF_S6_EEENSJ_IJSG_SG_EEENS0_18inequality_wrapperI22is_equal_div_10_uniqueIiEEEPmJS6_EEE10hipError_tPvRmT3_T4_T5_T6_T7_T9_mT8_P12ihipStream_tbDpT10_ENKUlT_T0_E_clISt17integral_constantIbLb0EES19_IbLb1EEEEDaS15_S16_EUlS15_E_NS1_11comp_targetILNS1_3genE5ELNS1_11target_archE942ELNS1_3gpuE9ELNS1_3repE0EEENS1_30default_config_static_selectorELNS0_4arch9wavefront6targetE1EEEvT1_
		.amdhsa_group_segment_fixed_size 0
		.amdhsa_private_segment_fixed_size 0
		.amdhsa_kernarg_size 128
		.amdhsa_user_sgpr_count 6
		.amdhsa_user_sgpr_private_segment_buffer 1
		.amdhsa_user_sgpr_dispatch_ptr 0
		.amdhsa_user_sgpr_queue_ptr 0
		.amdhsa_user_sgpr_kernarg_segment_ptr 1
		.amdhsa_user_sgpr_dispatch_id 0
		.amdhsa_user_sgpr_flat_scratch_init 0
		.amdhsa_user_sgpr_private_segment_size 0
		.amdhsa_uses_dynamic_stack 0
		.amdhsa_system_sgpr_private_segment_wavefront_offset 0
		.amdhsa_system_sgpr_workgroup_id_x 1
		.amdhsa_system_sgpr_workgroup_id_y 0
		.amdhsa_system_sgpr_workgroup_id_z 0
		.amdhsa_system_sgpr_workgroup_info 0
		.amdhsa_system_vgpr_workitem_id 0
		.amdhsa_next_free_vgpr 1
		.amdhsa_next_free_sgpr 0
		.amdhsa_reserve_vcc 0
		.amdhsa_reserve_flat_scratch 0
		.amdhsa_float_round_mode_32 0
		.amdhsa_float_round_mode_16_64 0
		.amdhsa_float_denorm_mode_32 3
		.amdhsa_float_denorm_mode_16_64 3
		.amdhsa_dx10_clamp 1
		.amdhsa_ieee_mode 1
		.amdhsa_fp16_overflow 0
		.amdhsa_exception_fp_ieee_invalid_op 0
		.amdhsa_exception_fp_denorm_src 0
		.amdhsa_exception_fp_ieee_div_zero 0
		.amdhsa_exception_fp_ieee_overflow 0
		.amdhsa_exception_fp_ieee_underflow 0
		.amdhsa_exception_fp_ieee_inexact 0
		.amdhsa_exception_int_div_zero 0
	.end_amdhsa_kernel
	.section	.text._ZN7rocprim17ROCPRIM_400000_NS6detail17trampoline_kernelINS0_14default_configENS1_25partition_config_selectorILNS1_17partition_subalgoE8EiNS0_10empty_typeEbEEZZNS1_14partition_implILS5_8ELb0ES3_jN6thrust23THRUST_200600_302600_NS6detail15normal_iteratorINSA_10device_ptrIiEEEEPS6_PKS6_NS0_5tupleIJSF_S6_EEENSJ_IJSG_SG_EEENS0_18inequality_wrapperI22is_equal_div_10_uniqueIiEEEPmJS6_EEE10hipError_tPvRmT3_T4_T5_T6_T7_T9_mT8_P12ihipStream_tbDpT10_ENKUlT_T0_E_clISt17integral_constantIbLb0EES19_IbLb1EEEEDaS15_S16_EUlS15_E_NS1_11comp_targetILNS1_3genE5ELNS1_11target_archE942ELNS1_3gpuE9ELNS1_3repE0EEENS1_30default_config_static_selectorELNS0_4arch9wavefront6targetE1EEEvT1_,"axG",@progbits,_ZN7rocprim17ROCPRIM_400000_NS6detail17trampoline_kernelINS0_14default_configENS1_25partition_config_selectorILNS1_17partition_subalgoE8EiNS0_10empty_typeEbEEZZNS1_14partition_implILS5_8ELb0ES3_jN6thrust23THRUST_200600_302600_NS6detail15normal_iteratorINSA_10device_ptrIiEEEEPS6_PKS6_NS0_5tupleIJSF_S6_EEENSJ_IJSG_SG_EEENS0_18inequality_wrapperI22is_equal_div_10_uniqueIiEEEPmJS6_EEE10hipError_tPvRmT3_T4_T5_T6_T7_T9_mT8_P12ihipStream_tbDpT10_ENKUlT_T0_E_clISt17integral_constantIbLb0EES19_IbLb1EEEEDaS15_S16_EUlS15_E_NS1_11comp_targetILNS1_3genE5ELNS1_11target_archE942ELNS1_3gpuE9ELNS1_3repE0EEENS1_30default_config_static_selectorELNS0_4arch9wavefront6targetE1EEEvT1_,comdat
.Lfunc_end461:
	.size	_ZN7rocprim17ROCPRIM_400000_NS6detail17trampoline_kernelINS0_14default_configENS1_25partition_config_selectorILNS1_17partition_subalgoE8EiNS0_10empty_typeEbEEZZNS1_14partition_implILS5_8ELb0ES3_jN6thrust23THRUST_200600_302600_NS6detail15normal_iteratorINSA_10device_ptrIiEEEEPS6_PKS6_NS0_5tupleIJSF_S6_EEENSJ_IJSG_SG_EEENS0_18inequality_wrapperI22is_equal_div_10_uniqueIiEEEPmJS6_EEE10hipError_tPvRmT3_T4_T5_T6_T7_T9_mT8_P12ihipStream_tbDpT10_ENKUlT_T0_E_clISt17integral_constantIbLb0EES19_IbLb1EEEEDaS15_S16_EUlS15_E_NS1_11comp_targetILNS1_3genE5ELNS1_11target_archE942ELNS1_3gpuE9ELNS1_3repE0EEENS1_30default_config_static_selectorELNS0_4arch9wavefront6targetE1EEEvT1_, .Lfunc_end461-_ZN7rocprim17ROCPRIM_400000_NS6detail17trampoline_kernelINS0_14default_configENS1_25partition_config_selectorILNS1_17partition_subalgoE8EiNS0_10empty_typeEbEEZZNS1_14partition_implILS5_8ELb0ES3_jN6thrust23THRUST_200600_302600_NS6detail15normal_iteratorINSA_10device_ptrIiEEEEPS6_PKS6_NS0_5tupleIJSF_S6_EEENSJ_IJSG_SG_EEENS0_18inequality_wrapperI22is_equal_div_10_uniqueIiEEEPmJS6_EEE10hipError_tPvRmT3_T4_T5_T6_T7_T9_mT8_P12ihipStream_tbDpT10_ENKUlT_T0_E_clISt17integral_constantIbLb0EES19_IbLb1EEEEDaS15_S16_EUlS15_E_NS1_11comp_targetILNS1_3genE5ELNS1_11target_archE942ELNS1_3gpuE9ELNS1_3repE0EEENS1_30default_config_static_selectorELNS0_4arch9wavefront6targetE1EEEvT1_
                                        ; -- End function
	.set _ZN7rocprim17ROCPRIM_400000_NS6detail17trampoline_kernelINS0_14default_configENS1_25partition_config_selectorILNS1_17partition_subalgoE8EiNS0_10empty_typeEbEEZZNS1_14partition_implILS5_8ELb0ES3_jN6thrust23THRUST_200600_302600_NS6detail15normal_iteratorINSA_10device_ptrIiEEEEPS6_PKS6_NS0_5tupleIJSF_S6_EEENSJ_IJSG_SG_EEENS0_18inequality_wrapperI22is_equal_div_10_uniqueIiEEEPmJS6_EEE10hipError_tPvRmT3_T4_T5_T6_T7_T9_mT8_P12ihipStream_tbDpT10_ENKUlT_T0_E_clISt17integral_constantIbLb0EES19_IbLb1EEEEDaS15_S16_EUlS15_E_NS1_11comp_targetILNS1_3genE5ELNS1_11target_archE942ELNS1_3gpuE9ELNS1_3repE0EEENS1_30default_config_static_selectorELNS0_4arch9wavefront6targetE1EEEvT1_.num_vgpr, 0
	.set _ZN7rocprim17ROCPRIM_400000_NS6detail17trampoline_kernelINS0_14default_configENS1_25partition_config_selectorILNS1_17partition_subalgoE8EiNS0_10empty_typeEbEEZZNS1_14partition_implILS5_8ELb0ES3_jN6thrust23THRUST_200600_302600_NS6detail15normal_iteratorINSA_10device_ptrIiEEEEPS6_PKS6_NS0_5tupleIJSF_S6_EEENSJ_IJSG_SG_EEENS0_18inequality_wrapperI22is_equal_div_10_uniqueIiEEEPmJS6_EEE10hipError_tPvRmT3_T4_T5_T6_T7_T9_mT8_P12ihipStream_tbDpT10_ENKUlT_T0_E_clISt17integral_constantIbLb0EES19_IbLb1EEEEDaS15_S16_EUlS15_E_NS1_11comp_targetILNS1_3genE5ELNS1_11target_archE942ELNS1_3gpuE9ELNS1_3repE0EEENS1_30default_config_static_selectorELNS0_4arch9wavefront6targetE1EEEvT1_.num_agpr, 0
	.set _ZN7rocprim17ROCPRIM_400000_NS6detail17trampoline_kernelINS0_14default_configENS1_25partition_config_selectorILNS1_17partition_subalgoE8EiNS0_10empty_typeEbEEZZNS1_14partition_implILS5_8ELb0ES3_jN6thrust23THRUST_200600_302600_NS6detail15normal_iteratorINSA_10device_ptrIiEEEEPS6_PKS6_NS0_5tupleIJSF_S6_EEENSJ_IJSG_SG_EEENS0_18inequality_wrapperI22is_equal_div_10_uniqueIiEEEPmJS6_EEE10hipError_tPvRmT3_T4_T5_T6_T7_T9_mT8_P12ihipStream_tbDpT10_ENKUlT_T0_E_clISt17integral_constantIbLb0EES19_IbLb1EEEEDaS15_S16_EUlS15_E_NS1_11comp_targetILNS1_3genE5ELNS1_11target_archE942ELNS1_3gpuE9ELNS1_3repE0EEENS1_30default_config_static_selectorELNS0_4arch9wavefront6targetE1EEEvT1_.numbered_sgpr, 0
	.set _ZN7rocprim17ROCPRIM_400000_NS6detail17trampoline_kernelINS0_14default_configENS1_25partition_config_selectorILNS1_17partition_subalgoE8EiNS0_10empty_typeEbEEZZNS1_14partition_implILS5_8ELb0ES3_jN6thrust23THRUST_200600_302600_NS6detail15normal_iteratorINSA_10device_ptrIiEEEEPS6_PKS6_NS0_5tupleIJSF_S6_EEENSJ_IJSG_SG_EEENS0_18inequality_wrapperI22is_equal_div_10_uniqueIiEEEPmJS6_EEE10hipError_tPvRmT3_T4_T5_T6_T7_T9_mT8_P12ihipStream_tbDpT10_ENKUlT_T0_E_clISt17integral_constantIbLb0EES19_IbLb1EEEEDaS15_S16_EUlS15_E_NS1_11comp_targetILNS1_3genE5ELNS1_11target_archE942ELNS1_3gpuE9ELNS1_3repE0EEENS1_30default_config_static_selectorELNS0_4arch9wavefront6targetE1EEEvT1_.num_named_barrier, 0
	.set _ZN7rocprim17ROCPRIM_400000_NS6detail17trampoline_kernelINS0_14default_configENS1_25partition_config_selectorILNS1_17partition_subalgoE8EiNS0_10empty_typeEbEEZZNS1_14partition_implILS5_8ELb0ES3_jN6thrust23THRUST_200600_302600_NS6detail15normal_iteratorINSA_10device_ptrIiEEEEPS6_PKS6_NS0_5tupleIJSF_S6_EEENSJ_IJSG_SG_EEENS0_18inequality_wrapperI22is_equal_div_10_uniqueIiEEEPmJS6_EEE10hipError_tPvRmT3_T4_T5_T6_T7_T9_mT8_P12ihipStream_tbDpT10_ENKUlT_T0_E_clISt17integral_constantIbLb0EES19_IbLb1EEEEDaS15_S16_EUlS15_E_NS1_11comp_targetILNS1_3genE5ELNS1_11target_archE942ELNS1_3gpuE9ELNS1_3repE0EEENS1_30default_config_static_selectorELNS0_4arch9wavefront6targetE1EEEvT1_.private_seg_size, 0
	.set _ZN7rocprim17ROCPRIM_400000_NS6detail17trampoline_kernelINS0_14default_configENS1_25partition_config_selectorILNS1_17partition_subalgoE8EiNS0_10empty_typeEbEEZZNS1_14partition_implILS5_8ELb0ES3_jN6thrust23THRUST_200600_302600_NS6detail15normal_iteratorINSA_10device_ptrIiEEEEPS6_PKS6_NS0_5tupleIJSF_S6_EEENSJ_IJSG_SG_EEENS0_18inequality_wrapperI22is_equal_div_10_uniqueIiEEEPmJS6_EEE10hipError_tPvRmT3_T4_T5_T6_T7_T9_mT8_P12ihipStream_tbDpT10_ENKUlT_T0_E_clISt17integral_constantIbLb0EES19_IbLb1EEEEDaS15_S16_EUlS15_E_NS1_11comp_targetILNS1_3genE5ELNS1_11target_archE942ELNS1_3gpuE9ELNS1_3repE0EEENS1_30default_config_static_selectorELNS0_4arch9wavefront6targetE1EEEvT1_.uses_vcc, 0
	.set _ZN7rocprim17ROCPRIM_400000_NS6detail17trampoline_kernelINS0_14default_configENS1_25partition_config_selectorILNS1_17partition_subalgoE8EiNS0_10empty_typeEbEEZZNS1_14partition_implILS5_8ELb0ES3_jN6thrust23THRUST_200600_302600_NS6detail15normal_iteratorINSA_10device_ptrIiEEEEPS6_PKS6_NS0_5tupleIJSF_S6_EEENSJ_IJSG_SG_EEENS0_18inequality_wrapperI22is_equal_div_10_uniqueIiEEEPmJS6_EEE10hipError_tPvRmT3_T4_T5_T6_T7_T9_mT8_P12ihipStream_tbDpT10_ENKUlT_T0_E_clISt17integral_constantIbLb0EES19_IbLb1EEEEDaS15_S16_EUlS15_E_NS1_11comp_targetILNS1_3genE5ELNS1_11target_archE942ELNS1_3gpuE9ELNS1_3repE0EEENS1_30default_config_static_selectorELNS0_4arch9wavefront6targetE1EEEvT1_.uses_flat_scratch, 0
	.set _ZN7rocprim17ROCPRIM_400000_NS6detail17trampoline_kernelINS0_14default_configENS1_25partition_config_selectorILNS1_17partition_subalgoE8EiNS0_10empty_typeEbEEZZNS1_14partition_implILS5_8ELb0ES3_jN6thrust23THRUST_200600_302600_NS6detail15normal_iteratorINSA_10device_ptrIiEEEEPS6_PKS6_NS0_5tupleIJSF_S6_EEENSJ_IJSG_SG_EEENS0_18inequality_wrapperI22is_equal_div_10_uniqueIiEEEPmJS6_EEE10hipError_tPvRmT3_T4_T5_T6_T7_T9_mT8_P12ihipStream_tbDpT10_ENKUlT_T0_E_clISt17integral_constantIbLb0EES19_IbLb1EEEEDaS15_S16_EUlS15_E_NS1_11comp_targetILNS1_3genE5ELNS1_11target_archE942ELNS1_3gpuE9ELNS1_3repE0EEENS1_30default_config_static_selectorELNS0_4arch9wavefront6targetE1EEEvT1_.has_dyn_sized_stack, 0
	.set _ZN7rocprim17ROCPRIM_400000_NS6detail17trampoline_kernelINS0_14default_configENS1_25partition_config_selectorILNS1_17partition_subalgoE8EiNS0_10empty_typeEbEEZZNS1_14partition_implILS5_8ELb0ES3_jN6thrust23THRUST_200600_302600_NS6detail15normal_iteratorINSA_10device_ptrIiEEEEPS6_PKS6_NS0_5tupleIJSF_S6_EEENSJ_IJSG_SG_EEENS0_18inequality_wrapperI22is_equal_div_10_uniqueIiEEEPmJS6_EEE10hipError_tPvRmT3_T4_T5_T6_T7_T9_mT8_P12ihipStream_tbDpT10_ENKUlT_T0_E_clISt17integral_constantIbLb0EES19_IbLb1EEEEDaS15_S16_EUlS15_E_NS1_11comp_targetILNS1_3genE5ELNS1_11target_archE942ELNS1_3gpuE9ELNS1_3repE0EEENS1_30default_config_static_selectorELNS0_4arch9wavefront6targetE1EEEvT1_.has_recursion, 0
	.set _ZN7rocprim17ROCPRIM_400000_NS6detail17trampoline_kernelINS0_14default_configENS1_25partition_config_selectorILNS1_17partition_subalgoE8EiNS0_10empty_typeEbEEZZNS1_14partition_implILS5_8ELb0ES3_jN6thrust23THRUST_200600_302600_NS6detail15normal_iteratorINSA_10device_ptrIiEEEEPS6_PKS6_NS0_5tupleIJSF_S6_EEENSJ_IJSG_SG_EEENS0_18inequality_wrapperI22is_equal_div_10_uniqueIiEEEPmJS6_EEE10hipError_tPvRmT3_T4_T5_T6_T7_T9_mT8_P12ihipStream_tbDpT10_ENKUlT_T0_E_clISt17integral_constantIbLb0EES19_IbLb1EEEEDaS15_S16_EUlS15_E_NS1_11comp_targetILNS1_3genE5ELNS1_11target_archE942ELNS1_3gpuE9ELNS1_3repE0EEENS1_30default_config_static_selectorELNS0_4arch9wavefront6targetE1EEEvT1_.has_indirect_call, 0
	.section	.AMDGPU.csdata,"",@progbits
; Kernel info:
; codeLenInByte = 0
; TotalNumSgprs: 4
; NumVgprs: 0
; ScratchSize: 0
; MemoryBound: 0
; FloatMode: 240
; IeeeMode: 1
; LDSByteSize: 0 bytes/workgroup (compile time only)
; SGPRBlocks: 0
; VGPRBlocks: 0
; NumSGPRsForWavesPerEU: 4
; NumVGPRsForWavesPerEU: 1
; Occupancy: 10
; WaveLimiterHint : 0
; COMPUTE_PGM_RSRC2:SCRATCH_EN: 0
; COMPUTE_PGM_RSRC2:USER_SGPR: 6
; COMPUTE_PGM_RSRC2:TRAP_HANDLER: 0
; COMPUTE_PGM_RSRC2:TGID_X_EN: 1
; COMPUTE_PGM_RSRC2:TGID_Y_EN: 0
; COMPUTE_PGM_RSRC2:TGID_Z_EN: 0
; COMPUTE_PGM_RSRC2:TIDIG_COMP_CNT: 0
	.section	.text._ZN7rocprim17ROCPRIM_400000_NS6detail17trampoline_kernelINS0_14default_configENS1_25partition_config_selectorILNS1_17partition_subalgoE8EiNS0_10empty_typeEbEEZZNS1_14partition_implILS5_8ELb0ES3_jN6thrust23THRUST_200600_302600_NS6detail15normal_iteratorINSA_10device_ptrIiEEEEPS6_PKS6_NS0_5tupleIJSF_S6_EEENSJ_IJSG_SG_EEENS0_18inequality_wrapperI22is_equal_div_10_uniqueIiEEEPmJS6_EEE10hipError_tPvRmT3_T4_T5_T6_T7_T9_mT8_P12ihipStream_tbDpT10_ENKUlT_T0_E_clISt17integral_constantIbLb0EES19_IbLb1EEEEDaS15_S16_EUlS15_E_NS1_11comp_targetILNS1_3genE4ELNS1_11target_archE910ELNS1_3gpuE8ELNS1_3repE0EEENS1_30default_config_static_selectorELNS0_4arch9wavefront6targetE1EEEvT1_,"axG",@progbits,_ZN7rocprim17ROCPRIM_400000_NS6detail17trampoline_kernelINS0_14default_configENS1_25partition_config_selectorILNS1_17partition_subalgoE8EiNS0_10empty_typeEbEEZZNS1_14partition_implILS5_8ELb0ES3_jN6thrust23THRUST_200600_302600_NS6detail15normal_iteratorINSA_10device_ptrIiEEEEPS6_PKS6_NS0_5tupleIJSF_S6_EEENSJ_IJSG_SG_EEENS0_18inequality_wrapperI22is_equal_div_10_uniqueIiEEEPmJS6_EEE10hipError_tPvRmT3_T4_T5_T6_T7_T9_mT8_P12ihipStream_tbDpT10_ENKUlT_T0_E_clISt17integral_constantIbLb0EES19_IbLb1EEEEDaS15_S16_EUlS15_E_NS1_11comp_targetILNS1_3genE4ELNS1_11target_archE910ELNS1_3gpuE8ELNS1_3repE0EEENS1_30default_config_static_selectorELNS0_4arch9wavefront6targetE1EEEvT1_,comdat
	.protected	_ZN7rocprim17ROCPRIM_400000_NS6detail17trampoline_kernelINS0_14default_configENS1_25partition_config_selectorILNS1_17partition_subalgoE8EiNS0_10empty_typeEbEEZZNS1_14partition_implILS5_8ELb0ES3_jN6thrust23THRUST_200600_302600_NS6detail15normal_iteratorINSA_10device_ptrIiEEEEPS6_PKS6_NS0_5tupleIJSF_S6_EEENSJ_IJSG_SG_EEENS0_18inequality_wrapperI22is_equal_div_10_uniqueIiEEEPmJS6_EEE10hipError_tPvRmT3_T4_T5_T6_T7_T9_mT8_P12ihipStream_tbDpT10_ENKUlT_T0_E_clISt17integral_constantIbLb0EES19_IbLb1EEEEDaS15_S16_EUlS15_E_NS1_11comp_targetILNS1_3genE4ELNS1_11target_archE910ELNS1_3gpuE8ELNS1_3repE0EEENS1_30default_config_static_selectorELNS0_4arch9wavefront6targetE1EEEvT1_ ; -- Begin function _ZN7rocprim17ROCPRIM_400000_NS6detail17trampoline_kernelINS0_14default_configENS1_25partition_config_selectorILNS1_17partition_subalgoE8EiNS0_10empty_typeEbEEZZNS1_14partition_implILS5_8ELb0ES3_jN6thrust23THRUST_200600_302600_NS6detail15normal_iteratorINSA_10device_ptrIiEEEEPS6_PKS6_NS0_5tupleIJSF_S6_EEENSJ_IJSG_SG_EEENS0_18inequality_wrapperI22is_equal_div_10_uniqueIiEEEPmJS6_EEE10hipError_tPvRmT3_T4_T5_T6_T7_T9_mT8_P12ihipStream_tbDpT10_ENKUlT_T0_E_clISt17integral_constantIbLb0EES19_IbLb1EEEEDaS15_S16_EUlS15_E_NS1_11comp_targetILNS1_3genE4ELNS1_11target_archE910ELNS1_3gpuE8ELNS1_3repE0EEENS1_30default_config_static_selectorELNS0_4arch9wavefront6targetE1EEEvT1_
	.globl	_ZN7rocprim17ROCPRIM_400000_NS6detail17trampoline_kernelINS0_14default_configENS1_25partition_config_selectorILNS1_17partition_subalgoE8EiNS0_10empty_typeEbEEZZNS1_14partition_implILS5_8ELb0ES3_jN6thrust23THRUST_200600_302600_NS6detail15normal_iteratorINSA_10device_ptrIiEEEEPS6_PKS6_NS0_5tupleIJSF_S6_EEENSJ_IJSG_SG_EEENS0_18inequality_wrapperI22is_equal_div_10_uniqueIiEEEPmJS6_EEE10hipError_tPvRmT3_T4_T5_T6_T7_T9_mT8_P12ihipStream_tbDpT10_ENKUlT_T0_E_clISt17integral_constantIbLb0EES19_IbLb1EEEEDaS15_S16_EUlS15_E_NS1_11comp_targetILNS1_3genE4ELNS1_11target_archE910ELNS1_3gpuE8ELNS1_3repE0EEENS1_30default_config_static_selectorELNS0_4arch9wavefront6targetE1EEEvT1_
	.p2align	8
	.type	_ZN7rocprim17ROCPRIM_400000_NS6detail17trampoline_kernelINS0_14default_configENS1_25partition_config_selectorILNS1_17partition_subalgoE8EiNS0_10empty_typeEbEEZZNS1_14partition_implILS5_8ELb0ES3_jN6thrust23THRUST_200600_302600_NS6detail15normal_iteratorINSA_10device_ptrIiEEEEPS6_PKS6_NS0_5tupleIJSF_S6_EEENSJ_IJSG_SG_EEENS0_18inequality_wrapperI22is_equal_div_10_uniqueIiEEEPmJS6_EEE10hipError_tPvRmT3_T4_T5_T6_T7_T9_mT8_P12ihipStream_tbDpT10_ENKUlT_T0_E_clISt17integral_constantIbLb0EES19_IbLb1EEEEDaS15_S16_EUlS15_E_NS1_11comp_targetILNS1_3genE4ELNS1_11target_archE910ELNS1_3gpuE8ELNS1_3repE0EEENS1_30default_config_static_selectorELNS0_4arch9wavefront6targetE1EEEvT1_,@function
_ZN7rocprim17ROCPRIM_400000_NS6detail17trampoline_kernelINS0_14default_configENS1_25partition_config_selectorILNS1_17partition_subalgoE8EiNS0_10empty_typeEbEEZZNS1_14partition_implILS5_8ELb0ES3_jN6thrust23THRUST_200600_302600_NS6detail15normal_iteratorINSA_10device_ptrIiEEEEPS6_PKS6_NS0_5tupleIJSF_S6_EEENSJ_IJSG_SG_EEENS0_18inequality_wrapperI22is_equal_div_10_uniqueIiEEEPmJS6_EEE10hipError_tPvRmT3_T4_T5_T6_T7_T9_mT8_P12ihipStream_tbDpT10_ENKUlT_T0_E_clISt17integral_constantIbLb0EES19_IbLb1EEEEDaS15_S16_EUlS15_E_NS1_11comp_targetILNS1_3genE4ELNS1_11target_archE910ELNS1_3gpuE8ELNS1_3repE0EEENS1_30default_config_static_selectorELNS0_4arch9wavefront6targetE1EEEvT1_: ; @_ZN7rocprim17ROCPRIM_400000_NS6detail17trampoline_kernelINS0_14default_configENS1_25partition_config_selectorILNS1_17partition_subalgoE8EiNS0_10empty_typeEbEEZZNS1_14partition_implILS5_8ELb0ES3_jN6thrust23THRUST_200600_302600_NS6detail15normal_iteratorINSA_10device_ptrIiEEEEPS6_PKS6_NS0_5tupleIJSF_S6_EEENSJ_IJSG_SG_EEENS0_18inequality_wrapperI22is_equal_div_10_uniqueIiEEEPmJS6_EEE10hipError_tPvRmT3_T4_T5_T6_T7_T9_mT8_P12ihipStream_tbDpT10_ENKUlT_T0_E_clISt17integral_constantIbLb0EES19_IbLb1EEEEDaS15_S16_EUlS15_E_NS1_11comp_targetILNS1_3genE4ELNS1_11target_archE910ELNS1_3gpuE8ELNS1_3repE0EEENS1_30default_config_static_selectorELNS0_4arch9wavefront6targetE1EEEvT1_
; %bb.0:
	.section	.rodata,"a",@progbits
	.p2align	6, 0x0
	.amdhsa_kernel _ZN7rocprim17ROCPRIM_400000_NS6detail17trampoline_kernelINS0_14default_configENS1_25partition_config_selectorILNS1_17partition_subalgoE8EiNS0_10empty_typeEbEEZZNS1_14partition_implILS5_8ELb0ES3_jN6thrust23THRUST_200600_302600_NS6detail15normal_iteratorINSA_10device_ptrIiEEEEPS6_PKS6_NS0_5tupleIJSF_S6_EEENSJ_IJSG_SG_EEENS0_18inequality_wrapperI22is_equal_div_10_uniqueIiEEEPmJS6_EEE10hipError_tPvRmT3_T4_T5_T6_T7_T9_mT8_P12ihipStream_tbDpT10_ENKUlT_T0_E_clISt17integral_constantIbLb0EES19_IbLb1EEEEDaS15_S16_EUlS15_E_NS1_11comp_targetILNS1_3genE4ELNS1_11target_archE910ELNS1_3gpuE8ELNS1_3repE0EEENS1_30default_config_static_selectorELNS0_4arch9wavefront6targetE1EEEvT1_
		.amdhsa_group_segment_fixed_size 0
		.amdhsa_private_segment_fixed_size 0
		.amdhsa_kernarg_size 128
		.amdhsa_user_sgpr_count 6
		.amdhsa_user_sgpr_private_segment_buffer 1
		.amdhsa_user_sgpr_dispatch_ptr 0
		.amdhsa_user_sgpr_queue_ptr 0
		.amdhsa_user_sgpr_kernarg_segment_ptr 1
		.amdhsa_user_sgpr_dispatch_id 0
		.amdhsa_user_sgpr_flat_scratch_init 0
		.amdhsa_user_sgpr_private_segment_size 0
		.amdhsa_uses_dynamic_stack 0
		.amdhsa_system_sgpr_private_segment_wavefront_offset 0
		.amdhsa_system_sgpr_workgroup_id_x 1
		.amdhsa_system_sgpr_workgroup_id_y 0
		.amdhsa_system_sgpr_workgroup_id_z 0
		.amdhsa_system_sgpr_workgroup_info 0
		.amdhsa_system_vgpr_workitem_id 0
		.amdhsa_next_free_vgpr 1
		.amdhsa_next_free_sgpr 0
		.amdhsa_reserve_vcc 0
		.amdhsa_reserve_flat_scratch 0
		.amdhsa_float_round_mode_32 0
		.amdhsa_float_round_mode_16_64 0
		.amdhsa_float_denorm_mode_32 3
		.amdhsa_float_denorm_mode_16_64 3
		.amdhsa_dx10_clamp 1
		.amdhsa_ieee_mode 1
		.amdhsa_fp16_overflow 0
		.amdhsa_exception_fp_ieee_invalid_op 0
		.amdhsa_exception_fp_denorm_src 0
		.amdhsa_exception_fp_ieee_div_zero 0
		.amdhsa_exception_fp_ieee_overflow 0
		.amdhsa_exception_fp_ieee_underflow 0
		.amdhsa_exception_fp_ieee_inexact 0
		.amdhsa_exception_int_div_zero 0
	.end_amdhsa_kernel
	.section	.text._ZN7rocprim17ROCPRIM_400000_NS6detail17trampoline_kernelINS0_14default_configENS1_25partition_config_selectorILNS1_17partition_subalgoE8EiNS0_10empty_typeEbEEZZNS1_14partition_implILS5_8ELb0ES3_jN6thrust23THRUST_200600_302600_NS6detail15normal_iteratorINSA_10device_ptrIiEEEEPS6_PKS6_NS0_5tupleIJSF_S6_EEENSJ_IJSG_SG_EEENS0_18inequality_wrapperI22is_equal_div_10_uniqueIiEEEPmJS6_EEE10hipError_tPvRmT3_T4_T5_T6_T7_T9_mT8_P12ihipStream_tbDpT10_ENKUlT_T0_E_clISt17integral_constantIbLb0EES19_IbLb1EEEEDaS15_S16_EUlS15_E_NS1_11comp_targetILNS1_3genE4ELNS1_11target_archE910ELNS1_3gpuE8ELNS1_3repE0EEENS1_30default_config_static_selectorELNS0_4arch9wavefront6targetE1EEEvT1_,"axG",@progbits,_ZN7rocprim17ROCPRIM_400000_NS6detail17trampoline_kernelINS0_14default_configENS1_25partition_config_selectorILNS1_17partition_subalgoE8EiNS0_10empty_typeEbEEZZNS1_14partition_implILS5_8ELb0ES3_jN6thrust23THRUST_200600_302600_NS6detail15normal_iteratorINSA_10device_ptrIiEEEEPS6_PKS6_NS0_5tupleIJSF_S6_EEENSJ_IJSG_SG_EEENS0_18inequality_wrapperI22is_equal_div_10_uniqueIiEEEPmJS6_EEE10hipError_tPvRmT3_T4_T5_T6_T7_T9_mT8_P12ihipStream_tbDpT10_ENKUlT_T0_E_clISt17integral_constantIbLb0EES19_IbLb1EEEEDaS15_S16_EUlS15_E_NS1_11comp_targetILNS1_3genE4ELNS1_11target_archE910ELNS1_3gpuE8ELNS1_3repE0EEENS1_30default_config_static_selectorELNS0_4arch9wavefront6targetE1EEEvT1_,comdat
.Lfunc_end462:
	.size	_ZN7rocprim17ROCPRIM_400000_NS6detail17trampoline_kernelINS0_14default_configENS1_25partition_config_selectorILNS1_17partition_subalgoE8EiNS0_10empty_typeEbEEZZNS1_14partition_implILS5_8ELb0ES3_jN6thrust23THRUST_200600_302600_NS6detail15normal_iteratorINSA_10device_ptrIiEEEEPS6_PKS6_NS0_5tupleIJSF_S6_EEENSJ_IJSG_SG_EEENS0_18inequality_wrapperI22is_equal_div_10_uniqueIiEEEPmJS6_EEE10hipError_tPvRmT3_T4_T5_T6_T7_T9_mT8_P12ihipStream_tbDpT10_ENKUlT_T0_E_clISt17integral_constantIbLb0EES19_IbLb1EEEEDaS15_S16_EUlS15_E_NS1_11comp_targetILNS1_3genE4ELNS1_11target_archE910ELNS1_3gpuE8ELNS1_3repE0EEENS1_30default_config_static_selectorELNS0_4arch9wavefront6targetE1EEEvT1_, .Lfunc_end462-_ZN7rocprim17ROCPRIM_400000_NS6detail17trampoline_kernelINS0_14default_configENS1_25partition_config_selectorILNS1_17partition_subalgoE8EiNS0_10empty_typeEbEEZZNS1_14partition_implILS5_8ELb0ES3_jN6thrust23THRUST_200600_302600_NS6detail15normal_iteratorINSA_10device_ptrIiEEEEPS6_PKS6_NS0_5tupleIJSF_S6_EEENSJ_IJSG_SG_EEENS0_18inequality_wrapperI22is_equal_div_10_uniqueIiEEEPmJS6_EEE10hipError_tPvRmT3_T4_T5_T6_T7_T9_mT8_P12ihipStream_tbDpT10_ENKUlT_T0_E_clISt17integral_constantIbLb0EES19_IbLb1EEEEDaS15_S16_EUlS15_E_NS1_11comp_targetILNS1_3genE4ELNS1_11target_archE910ELNS1_3gpuE8ELNS1_3repE0EEENS1_30default_config_static_selectorELNS0_4arch9wavefront6targetE1EEEvT1_
                                        ; -- End function
	.set _ZN7rocprim17ROCPRIM_400000_NS6detail17trampoline_kernelINS0_14default_configENS1_25partition_config_selectorILNS1_17partition_subalgoE8EiNS0_10empty_typeEbEEZZNS1_14partition_implILS5_8ELb0ES3_jN6thrust23THRUST_200600_302600_NS6detail15normal_iteratorINSA_10device_ptrIiEEEEPS6_PKS6_NS0_5tupleIJSF_S6_EEENSJ_IJSG_SG_EEENS0_18inequality_wrapperI22is_equal_div_10_uniqueIiEEEPmJS6_EEE10hipError_tPvRmT3_T4_T5_T6_T7_T9_mT8_P12ihipStream_tbDpT10_ENKUlT_T0_E_clISt17integral_constantIbLb0EES19_IbLb1EEEEDaS15_S16_EUlS15_E_NS1_11comp_targetILNS1_3genE4ELNS1_11target_archE910ELNS1_3gpuE8ELNS1_3repE0EEENS1_30default_config_static_selectorELNS0_4arch9wavefront6targetE1EEEvT1_.num_vgpr, 0
	.set _ZN7rocprim17ROCPRIM_400000_NS6detail17trampoline_kernelINS0_14default_configENS1_25partition_config_selectorILNS1_17partition_subalgoE8EiNS0_10empty_typeEbEEZZNS1_14partition_implILS5_8ELb0ES3_jN6thrust23THRUST_200600_302600_NS6detail15normal_iteratorINSA_10device_ptrIiEEEEPS6_PKS6_NS0_5tupleIJSF_S6_EEENSJ_IJSG_SG_EEENS0_18inequality_wrapperI22is_equal_div_10_uniqueIiEEEPmJS6_EEE10hipError_tPvRmT3_T4_T5_T6_T7_T9_mT8_P12ihipStream_tbDpT10_ENKUlT_T0_E_clISt17integral_constantIbLb0EES19_IbLb1EEEEDaS15_S16_EUlS15_E_NS1_11comp_targetILNS1_3genE4ELNS1_11target_archE910ELNS1_3gpuE8ELNS1_3repE0EEENS1_30default_config_static_selectorELNS0_4arch9wavefront6targetE1EEEvT1_.num_agpr, 0
	.set _ZN7rocprim17ROCPRIM_400000_NS6detail17trampoline_kernelINS0_14default_configENS1_25partition_config_selectorILNS1_17partition_subalgoE8EiNS0_10empty_typeEbEEZZNS1_14partition_implILS5_8ELb0ES3_jN6thrust23THRUST_200600_302600_NS6detail15normal_iteratorINSA_10device_ptrIiEEEEPS6_PKS6_NS0_5tupleIJSF_S6_EEENSJ_IJSG_SG_EEENS0_18inequality_wrapperI22is_equal_div_10_uniqueIiEEEPmJS6_EEE10hipError_tPvRmT3_T4_T5_T6_T7_T9_mT8_P12ihipStream_tbDpT10_ENKUlT_T0_E_clISt17integral_constantIbLb0EES19_IbLb1EEEEDaS15_S16_EUlS15_E_NS1_11comp_targetILNS1_3genE4ELNS1_11target_archE910ELNS1_3gpuE8ELNS1_3repE0EEENS1_30default_config_static_selectorELNS0_4arch9wavefront6targetE1EEEvT1_.numbered_sgpr, 0
	.set _ZN7rocprim17ROCPRIM_400000_NS6detail17trampoline_kernelINS0_14default_configENS1_25partition_config_selectorILNS1_17partition_subalgoE8EiNS0_10empty_typeEbEEZZNS1_14partition_implILS5_8ELb0ES3_jN6thrust23THRUST_200600_302600_NS6detail15normal_iteratorINSA_10device_ptrIiEEEEPS6_PKS6_NS0_5tupleIJSF_S6_EEENSJ_IJSG_SG_EEENS0_18inequality_wrapperI22is_equal_div_10_uniqueIiEEEPmJS6_EEE10hipError_tPvRmT3_T4_T5_T6_T7_T9_mT8_P12ihipStream_tbDpT10_ENKUlT_T0_E_clISt17integral_constantIbLb0EES19_IbLb1EEEEDaS15_S16_EUlS15_E_NS1_11comp_targetILNS1_3genE4ELNS1_11target_archE910ELNS1_3gpuE8ELNS1_3repE0EEENS1_30default_config_static_selectorELNS0_4arch9wavefront6targetE1EEEvT1_.num_named_barrier, 0
	.set _ZN7rocprim17ROCPRIM_400000_NS6detail17trampoline_kernelINS0_14default_configENS1_25partition_config_selectorILNS1_17partition_subalgoE8EiNS0_10empty_typeEbEEZZNS1_14partition_implILS5_8ELb0ES3_jN6thrust23THRUST_200600_302600_NS6detail15normal_iteratorINSA_10device_ptrIiEEEEPS6_PKS6_NS0_5tupleIJSF_S6_EEENSJ_IJSG_SG_EEENS0_18inequality_wrapperI22is_equal_div_10_uniqueIiEEEPmJS6_EEE10hipError_tPvRmT3_T4_T5_T6_T7_T9_mT8_P12ihipStream_tbDpT10_ENKUlT_T0_E_clISt17integral_constantIbLb0EES19_IbLb1EEEEDaS15_S16_EUlS15_E_NS1_11comp_targetILNS1_3genE4ELNS1_11target_archE910ELNS1_3gpuE8ELNS1_3repE0EEENS1_30default_config_static_selectorELNS0_4arch9wavefront6targetE1EEEvT1_.private_seg_size, 0
	.set _ZN7rocprim17ROCPRIM_400000_NS6detail17trampoline_kernelINS0_14default_configENS1_25partition_config_selectorILNS1_17partition_subalgoE8EiNS0_10empty_typeEbEEZZNS1_14partition_implILS5_8ELb0ES3_jN6thrust23THRUST_200600_302600_NS6detail15normal_iteratorINSA_10device_ptrIiEEEEPS6_PKS6_NS0_5tupleIJSF_S6_EEENSJ_IJSG_SG_EEENS0_18inequality_wrapperI22is_equal_div_10_uniqueIiEEEPmJS6_EEE10hipError_tPvRmT3_T4_T5_T6_T7_T9_mT8_P12ihipStream_tbDpT10_ENKUlT_T0_E_clISt17integral_constantIbLb0EES19_IbLb1EEEEDaS15_S16_EUlS15_E_NS1_11comp_targetILNS1_3genE4ELNS1_11target_archE910ELNS1_3gpuE8ELNS1_3repE0EEENS1_30default_config_static_selectorELNS0_4arch9wavefront6targetE1EEEvT1_.uses_vcc, 0
	.set _ZN7rocprim17ROCPRIM_400000_NS6detail17trampoline_kernelINS0_14default_configENS1_25partition_config_selectorILNS1_17partition_subalgoE8EiNS0_10empty_typeEbEEZZNS1_14partition_implILS5_8ELb0ES3_jN6thrust23THRUST_200600_302600_NS6detail15normal_iteratorINSA_10device_ptrIiEEEEPS6_PKS6_NS0_5tupleIJSF_S6_EEENSJ_IJSG_SG_EEENS0_18inequality_wrapperI22is_equal_div_10_uniqueIiEEEPmJS6_EEE10hipError_tPvRmT3_T4_T5_T6_T7_T9_mT8_P12ihipStream_tbDpT10_ENKUlT_T0_E_clISt17integral_constantIbLb0EES19_IbLb1EEEEDaS15_S16_EUlS15_E_NS1_11comp_targetILNS1_3genE4ELNS1_11target_archE910ELNS1_3gpuE8ELNS1_3repE0EEENS1_30default_config_static_selectorELNS0_4arch9wavefront6targetE1EEEvT1_.uses_flat_scratch, 0
	.set _ZN7rocprim17ROCPRIM_400000_NS6detail17trampoline_kernelINS0_14default_configENS1_25partition_config_selectorILNS1_17partition_subalgoE8EiNS0_10empty_typeEbEEZZNS1_14partition_implILS5_8ELb0ES3_jN6thrust23THRUST_200600_302600_NS6detail15normal_iteratorINSA_10device_ptrIiEEEEPS6_PKS6_NS0_5tupleIJSF_S6_EEENSJ_IJSG_SG_EEENS0_18inequality_wrapperI22is_equal_div_10_uniqueIiEEEPmJS6_EEE10hipError_tPvRmT3_T4_T5_T6_T7_T9_mT8_P12ihipStream_tbDpT10_ENKUlT_T0_E_clISt17integral_constantIbLb0EES19_IbLb1EEEEDaS15_S16_EUlS15_E_NS1_11comp_targetILNS1_3genE4ELNS1_11target_archE910ELNS1_3gpuE8ELNS1_3repE0EEENS1_30default_config_static_selectorELNS0_4arch9wavefront6targetE1EEEvT1_.has_dyn_sized_stack, 0
	.set _ZN7rocprim17ROCPRIM_400000_NS6detail17trampoline_kernelINS0_14default_configENS1_25partition_config_selectorILNS1_17partition_subalgoE8EiNS0_10empty_typeEbEEZZNS1_14partition_implILS5_8ELb0ES3_jN6thrust23THRUST_200600_302600_NS6detail15normal_iteratorINSA_10device_ptrIiEEEEPS6_PKS6_NS0_5tupleIJSF_S6_EEENSJ_IJSG_SG_EEENS0_18inequality_wrapperI22is_equal_div_10_uniqueIiEEEPmJS6_EEE10hipError_tPvRmT3_T4_T5_T6_T7_T9_mT8_P12ihipStream_tbDpT10_ENKUlT_T0_E_clISt17integral_constantIbLb0EES19_IbLb1EEEEDaS15_S16_EUlS15_E_NS1_11comp_targetILNS1_3genE4ELNS1_11target_archE910ELNS1_3gpuE8ELNS1_3repE0EEENS1_30default_config_static_selectorELNS0_4arch9wavefront6targetE1EEEvT1_.has_recursion, 0
	.set _ZN7rocprim17ROCPRIM_400000_NS6detail17trampoline_kernelINS0_14default_configENS1_25partition_config_selectorILNS1_17partition_subalgoE8EiNS0_10empty_typeEbEEZZNS1_14partition_implILS5_8ELb0ES3_jN6thrust23THRUST_200600_302600_NS6detail15normal_iteratorINSA_10device_ptrIiEEEEPS6_PKS6_NS0_5tupleIJSF_S6_EEENSJ_IJSG_SG_EEENS0_18inequality_wrapperI22is_equal_div_10_uniqueIiEEEPmJS6_EEE10hipError_tPvRmT3_T4_T5_T6_T7_T9_mT8_P12ihipStream_tbDpT10_ENKUlT_T0_E_clISt17integral_constantIbLb0EES19_IbLb1EEEEDaS15_S16_EUlS15_E_NS1_11comp_targetILNS1_3genE4ELNS1_11target_archE910ELNS1_3gpuE8ELNS1_3repE0EEENS1_30default_config_static_selectorELNS0_4arch9wavefront6targetE1EEEvT1_.has_indirect_call, 0
	.section	.AMDGPU.csdata,"",@progbits
; Kernel info:
; codeLenInByte = 0
; TotalNumSgprs: 4
; NumVgprs: 0
; ScratchSize: 0
; MemoryBound: 0
; FloatMode: 240
; IeeeMode: 1
; LDSByteSize: 0 bytes/workgroup (compile time only)
; SGPRBlocks: 0
; VGPRBlocks: 0
; NumSGPRsForWavesPerEU: 4
; NumVGPRsForWavesPerEU: 1
; Occupancy: 10
; WaveLimiterHint : 0
; COMPUTE_PGM_RSRC2:SCRATCH_EN: 0
; COMPUTE_PGM_RSRC2:USER_SGPR: 6
; COMPUTE_PGM_RSRC2:TRAP_HANDLER: 0
; COMPUTE_PGM_RSRC2:TGID_X_EN: 1
; COMPUTE_PGM_RSRC2:TGID_Y_EN: 0
; COMPUTE_PGM_RSRC2:TGID_Z_EN: 0
; COMPUTE_PGM_RSRC2:TIDIG_COMP_CNT: 0
	.section	.text._ZN7rocprim17ROCPRIM_400000_NS6detail17trampoline_kernelINS0_14default_configENS1_25partition_config_selectorILNS1_17partition_subalgoE8EiNS0_10empty_typeEbEEZZNS1_14partition_implILS5_8ELb0ES3_jN6thrust23THRUST_200600_302600_NS6detail15normal_iteratorINSA_10device_ptrIiEEEEPS6_PKS6_NS0_5tupleIJSF_S6_EEENSJ_IJSG_SG_EEENS0_18inequality_wrapperI22is_equal_div_10_uniqueIiEEEPmJS6_EEE10hipError_tPvRmT3_T4_T5_T6_T7_T9_mT8_P12ihipStream_tbDpT10_ENKUlT_T0_E_clISt17integral_constantIbLb0EES19_IbLb1EEEEDaS15_S16_EUlS15_E_NS1_11comp_targetILNS1_3genE3ELNS1_11target_archE908ELNS1_3gpuE7ELNS1_3repE0EEENS1_30default_config_static_selectorELNS0_4arch9wavefront6targetE1EEEvT1_,"axG",@progbits,_ZN7rocprim17ROCPRIM_400000_NS6detail17trampoline_kernelINS0_14default_configENS1_25partition_config_selectorILNS1_17partition_subalgoE8EiNS0_10empty_typeEbEEZZNS1_14partition_implILS5_8ELb0ES3_jN6thrust23THRUST_200600_302600_NS6detail15normal_iteratorINSA_10device_ptrIiEEEEPS6_PKS6_NS0_5tupleIJSF_S6_EEENSJ_IJSG_SG_EEENS0_18inequality_wrapperI22is_equal_div_10_uniqueIiEEEPmJS6_EEE10hipError_tPvRmT3_T4_T5_T6_T7_T9_mT8_P12ihipStream_tbDpT10_ENKUlT_T0_E_clISt17integral_constantIbLb0EES19_IbLb1EEEEDaS15_S16_EUlS15_E_NS1_11comp_targetILNS1_3genE3ELNS1_11target_archE908ELNS1_3gpuE7ELNS1_3repE0EEENS1_30default_config_static_selectorELNS0_4arch9wavefront6targetE1EEEvT1_,comdat
	.protected	_ZN7rocprim17ROCPRIM_400000_NS6detail17trampoline_kernelINS0_14default_configENS1_25partition_config_selectorILNS1_17partition_subalgoE8EiNS0_10empty_typeEbEEZZNS1_14partition_implILS5_8ELb0ES3_jN6thrust23THRUST_200600_302600_NS6detail15normal_iteratorINSA_10device_ptrIiEEEEPS6_PKS6_NS0_5tupleIJSF_S6_EEENSJ_IJSG_SG_EEENS0_18inequality_wrapperI22is_equal_div_10_uniqueIiEEEPmJS6_EEE10hipError_tPvRmT3_T4_T5_T6_T7_T9_mT8_P12ihipStream_tbDpT10_ENKUlT_T0_E_clISt17integral_constantIbLb0EES19_IbLb1EEEEDaS15_S16_EUlS15_E_NS1_11comp_targetILNS1_3genE3ELNS1_11target_archE908ELNS1_3gpuE7ELNS1_3repE0EEENS1_30default_config_static_selectorELNS0_4arch9wavefront6targetE1EEEvT1_ ; -- Begin function _ZN7rocprim17ROCPRIM_400000_NS6detail17trampoline_kernelINS0_14default_configENS1_25partition_config_selectorILNS1_17partition_subalgoE8EiNS0_10empty_typeEbEEZZNS1_14partition_implILS5_8ELb0ES3_jN6thrust23THRUST_200600_302600_NS6detail15normal_iteratorINSA_10device_ptrIiEEEEPS6_PKS6_NS0_5tupleIJSF_S6_EEENSJ_IJSG_SG_EEENS0_18inequality_wrapperI22is_equal_div_10_uniqueIiEEEPmJS6_EEE10hipError_tPvRmT3_T4_T5_T6_T7_T9_mT8_P12ihipStream_tbDpT10_ENKUlT_T0_E_clISt17integral_constantIbLb0EES19_IbLb1EEEEDaS15_S16_EUlS15_E_NS1_11comp_targetILNS1_3genE3ELNS1_11target_archE908ELNS1_3gpuE7ELNS1_3repE0EEENS1_30default_config_static_selectorELNS0_4arch9wavefront6targetE1EEEvT1_
	.globl	_ZN7rocprim17ROCPRIM_400000_NS6detail17trampoline_kernelINS0_14default_configENS1_25partition_config_selectorILNS1_17partition_subalgoE8EiNS0_10empty_typeEbEEZZNS1_14partition_implILS5_8ELb0ES3_jN6thrust23THRUST_200600_302600_NS6detail15normal_iteratorINSA_10device_ptrIiEEEEPS6_PKS6_NS0_5tupleIJSF_S6_EEENSJ_IJSG_SG_EEENS0_18inequality_wrapperI22is_equal_div_10_uniqueIiEEEPmJS6_EEE10hipError_tPvRmT3_T4_T5_T6_T7_T9_mT8_P12ihipStream_tbDpT10_ENKUlT_T0_E_clISt17integral_constantIbLb0EES19_IbLb1EEEEDaS15_S16_EUlS15_E_NS1_11comp_targetILNS1_3genE3ELNS1_11target_archE908ELNS1_3gpuE7ELNS1_3repE0EEENS1_30default_config_static_selectorELNS0_4arch9wavefront6targetE1EEEvT1_
	.p2align	8
	.type	_ZN7rocprim17ROCPRIM_400000_NS6detail17trampoline_kernelINS0_14default_configENS1_25partition_config_selectorILNS1_17partition_subalgoE8EiNS0_10empty_typeEbEEZZNS1_14partition_implILS5_8ELb0ES3_jN6thrust23THRUST_200600_302600_NS6detail15normal_iteratorINSA_10device_ptrIiEEEEPS6_PKS6_NS0_5tupleIJSF_S6_EEENSJ_IJSG_SG_EEENS0_18inequality_wrapperI22is_equal_div_10_uniqueIiEEEPmJS6_EEE10hipError_tPvRmT3_T4_T5_T6_T7_T9_mT8_P12ihipStream_tbDpT10_ENKUlT_T0_E_clISt17integral_constantIbLb0EES19_IbLb1EEEEDaS15_S16_EUlS15_E_NS1_11comp_targetILNS1_3genE3ELNS1_11target_archE908ELNS1_3gpuE7ELNS1_3repE0EEENS1_30default_config_static_selectorELNS0_4arch9wavefront6targetE1EEEvT1_,@function
_ZN7rocprim17ROCPRIM_400000_NS6detail17trampoline_kernelINS0_14default_configENS1_25partition_config_selectorILNS1_17partition_subalgoE8EiNS0_10empty_typeEbEEZZNS1_14partition_implILS5_8ELb0ES3_jN6thrust23THRUST_200600_302600_NS6detail15normal_iteratorINSA_10device_ptrIiEEEEPS6_PKS6_NS0_5tupleIJSF_S6_EEENSJ_IJSG_SG_EEENS0_18inequality_wrapperI22is_equal_div_10_uniqueIiEEEPmJS6_EEE10hipError_tPvRmT3_T4_T5_T6_T7_T9_mT8_P12ihipStream_tbDpT10_ENKUlT_T0_E_clISt17integral_constantIbLb0EES19_IbLb1EEEEDaS15_S16_EUlS15_E_NS1_11comp_targetILNS1_3genE3ELNS1_11target_archE908ELNS1_3gpuE7ELNS1_3repE0EEENS1_30default_config_static_selectorELNS0_4arch9wavefront6targetE1EEEvT1_: ; @_ZN7rocprim17ROCPRIM_400000_NS6detail17trampoline_kernelINS0_14default_configENS1_25partition_config_selectorILNS1_17partition_subalgoE8EiNS0_10empty_typeEbEEZZNS1_14partition_implILS5_8ELb0ES3_jN6thrust23THRUST_200600_302600_NS6detail15normal_iteratorINSA_10device_ptrIiEEEEPS6_PKS6_NS0_5tupleIJSF_S6_EEENSJ_IJSG_SG_EEENS0_18inequality_wrapperI22is_equal_div_10_uniqueIiEEEPmJS6_EEE10hipError_tPvRmT3_T4_T5_T6_T7_T9_mT8_P12ihipStream_tbDpT10_ENKUlT_T0_E_clISt17integral_constantIbLb0EES19_IbLb1EEEEDaS15_S16_EUlS15_E_NS1_11comp_targetILNS1_3genE3ELNS1_11target_archE908ELNS1_3gpuE7ELNS1_3repE0EEENS1_30default_config_static_selectorELNS0_4arch9wavefront6targetE1EEEvT1_
; %bb.0:
	.section	.rodata,"a",@progbits
	.p2align	6, 0x0
	.amdhsa_kernel _ZN7rocprim17ROCPRIM_400000_NS6detail17trampoline_kernelINS0_14default_configENS1_25partition_config_selectorILNS1_17partition_subalgoE8EiNS0_10empty_typeEbEEZZNS1_14partition_implILS5_8ELb0ES3_jN6thrust23THRUST_200600_302600_NS6detail15normal_iteratorINSA_10device_ptrIiEEEEPS6_PKS6_NS0_5tupleIJSF_S6_EEENSJ_IJSG_SG_EEENS0_18inequality_wrapperI22is_equal_div_10_uniqueIiEEEPmJS6_EEE10hipError_tPvRmT3_T4_T5_T6_T7_T9_mT8_P12ihipStream_tbDpT10_ENKUlT_T0_E_clISt17integral_constantIbLb0EES19_IbLb1EEEEDaS15_S16_EUlS15_E_NS1_11comp_targetILNS1_3genE3ELNS1_11target_archE908ELNS1_3gpuE7ELNS1_3repE0EEENS1_30default_config_static_selectorELNS0_4arch9wavefront6targetE1EEEvT1_
		.amdhsa_group_segment_fixed_size 0
		.amdhsa_private_segment_fixed_size 0
		.amdhsa_kernarg_size 128
		.amdhsa_user_sgpr_count 6
		.amdhsa_user_sgpr_private_segment_buffer 1
		.amdhsa_user_sgpr_dispatch_ptr 0
		.amdhsa_user_sgpr_queue_ptr 0
		.amdhsa_user_sgpr_kernarg_segment_ptr 1
		.amdhsa_user_sgpr_dispatch_id 0
		.amdhsa_user_sgpr_flat_scratch_init 0
		.amdhsa_user_sgpr_private_segment_size 0
		.amdhsa_uses_dynamic_stack 0
		.amdhsa_system_sgpr_private_segment_wavefront_offset 0
		.amdhsa_system_sgpr_workgroup_id_x 1
		.amdhsa_system_sgpr_workgroup_id_y 0
		.amdhsa_system_sgpr_workgroup_id_z 0
		.amdhsa_system_sgpr_workgroup_info 0
		.amdhsa_system_vgpr_workitem_id 0
		.amdhsa_next_free_vgpr 1
		.amdhsa_next_free_sgpr 0
		.amdhsa_reserve_vcc 0
		.amdhsa_reserve_flat_scratch 0
		.amdhsa_float_round_mode_32 0
		.amdhsa_float_round_mode_16_64 0
		.amdhsa_float_denorm_mode_32 3
		.amdhsa_float_denorm_mode_16_64 3
		.amdhsa_dx10_clamp 1
		.amdhsa_ieee_mode 1
		.amdhsa_fp16_overflow 0
		.amdhsa_exception_fp_ieee_invalid_op 0
		.amdhsa_exception_fp_denorm_src 0
		.amdhsa_exception_fp_ieee_div_zero 0
		.amdhsa_exception_fp_ieee_overflow 0
		.amdhsa_exception_fp_ieee_underflow 0
		.amdhsa_exception_fp_ieee_inexact 0
		.amdhsa_exception_int_div_zero 0
	.end_amdhsa_kernel
	.section	.text._ZN7rocprim17ROCPRIM_400000_NS6detail17trampoline_kernelINS0_14default_configENS1_25partition_config_selectorILNS1_17partition_subalgoE8EiNS0_10empty_typeEbEEZZNS1_14partition_implILS5_8ELb0ES3_jN6thrust23THRUST_200600_302600_NS6detail15normal_iteratorINSA_10device_ptrIiEEEEPS6_PKS6_NS0_5tupleIJSF_S6_EEENSJ_IJSG_SG_EEENS0_18inequality_wrapperI22is_equal_div_10_uniqueIiEEEPmJS6_EEE10hipError_tPvRmT3_T4_T5_T6_T7_T9_mT8_P12ihipStream_tbDpT10_ENKUlT_T0_E_clISt17integral_constantIbLb0EES19_IbLb1EEEEDaS15_S16_EUlS15_E_NS1_11comp_targetILNS1_3genE3ELNS1_11target_archE908ELNS1_3gpuE7ELNS1_3repE0EEENS1_30default_config_static_selectorELNS0_4arch9wavefront6targetE1EEEvT1_,"axG",@progbits,_ZN7rocprim17ROCPRIM_400000_NS6detail17trampoline_kernelINS0_14default_configENS1_25partition_config_selectorILNS1_17partition_subalgoE8EiNS0_10empty_typeEbEEZZNS1_14partition_implILS5_8ELb0ES3_jN6thrust23THRUST_200600_302600_NS6detail15normal_iteratorINSA_10device_ptrIiEEEEPS6_PKS6_NS0_5tupleIJSF_S6_EEENSJ_IJSG_SG_EEENS0_18inequality_wrapperI22is_equal_div_10_uniqueIiEEEPmJS6_EEE10hipError_tPvRmT3_T4_T5_T6_T7_T9_mT8_P12ihipStream_tbDpT10_ENKUlT_T0_E_clISt17integral_constantIbLb0EES19_IbLb1EEEEDaS15_S16_EUlS15_E_NS1_11comp_targetILNS1_3genE3ELNS1_11target_archE908ELNS1_3gpuE7ELNS1_3repE0EEENS1_30default_config_static_selectorELNS0_4arch9wavefront6targetE1EEEvT1_,comdat
.Lfunc_end463:
	.size	_ZN7rocprim17ROCPRIM_400000_NS6detail17trampoline_kernelINS0_14default_configENS1_25partition_config_selectorILNS1_17partition_subalgoE8EiNS0_10empty_typeEbEEZZNS1_14partition_implILS5_8ELb0ES3_jN6thrust23THRUST_200600_302600_NS6detail15normal_iteratorINSA_10device_ptrIiEEEEPS6_PKS6_NS0_5tupleIJSF_S6_EEENSJ_IJSG_SG_EEENS0_18inequality_wrapperI22is_equal_div_10_uniqueIiEEEPmJS6_EEE10hipError_tPvRmT3_T4_T5_T6_T7_T9_mT8_P12ihipStream_tbDpT10_ENKUlT_T0_E_clISt17integral_constantIbLb0EES19_IbLb1EEEEDaS15_S16_EUlS15_E_NS1_11comp_targetILNS1_3genE3ELNS1_11target_archE908ELNS1_3gpuE7ELNS1_3repE0EEENS1_30default_config_static_selectorELNS0_4arch9wavefront6targetE1EEEvT1_, .Lfunc_end463-_ZN7rocprim17ROCPRIM_400000_NS6detail17trampoline_kernelINS0_14default_configENS1_25partition_config_selectorILNS1_17partition_subalgoE8EiNS0_10empty_typeEbEEZZNS1_14partition_implILS5_8ELb0ES3_jN6thrust23THRUST_200600_302600_NS6detail15normal_iteratorINSA_10device_ptrIiEEEEPS6_PKS6_NS0_5tupleIJSF_S6_EEENSJ_IJSG_SG_EEENS0_18inequality_wrapperI22is_equal_div_10_uniqueIiEEEPmJS6_EEE10hipError_tPvRmT3_T4_T5_T6_T7_T9_mT8_P12ihipStream_tbDpT10_ENKUlT_T0_E_clISt17integral_constantIbLb0EES19_IbLb1EEEEDaS15_S16_EUlS15_E_NS1_11comp_targetILNS1_3genE3ELNS1_11target_archE908ELNS1_3gpuE7ELNS1_3repE0EEENS1_30default_config_static_selectorELNS0_4arch9wavefront6targetE1EEEvT1_
                                        ; -- End function
	.set _ZN7rocprim17ROCPRIM_400000_NS6detail17trampoline_kernelINS0_14default_configENS1_25partition_config_selectorILNS1_17partition_subalgoE8EiNS0_10empty_typeEbEEZZNS1_14partition_implILS5_8ELb0ES3_jN6thrust23THRUST_200600_302600_NS6detail15normal_iteratorINSA_10device_ptrIiEEEEPS6_PKS6_NS0_5tupleIJSF_S6_EEENSJ_IJSG_SG_EEENS0_18inequality_wrapperI22is_equal_div_10_uniqueIiEEEPmJS6_EEE10hipError_tPvRmT3_T4_T5_T6_T7_T9_mT8_P12ihipStream_tbDpT10_ENKUlT_T0_E_clISt17integral_constantIbLb0EES19_IbLb1EEEEDaS15_S16_EUlS15_E_NS1_11comp_targetILNS1_3genE3ELNS1_11target_archE908ELNS1_3gpuE7ELNS1_3repE0EEENS1_30default_config_static_selectorELNS0_4arch9wavefront6targetE1EEEvT1_.num_vgpr, 0
	.set _ZN7rocprim17ROCPRIM_400000_NS6detail17trampoline_kernelINS0_14default_configENS1_25partition_config_selectorILNS1_17partition_subalgoE8EiNS0_10empty_typeEbEEZZNS1_14partition_implILS5_8ELb0ES3_jN6thrust23THRUST_200600_302600_NS6detail15normal_iteratorINSA_10device_ptrIiEEEEPS6_PKS6_NS0_5tupleIJSF_S6_EEENSJ_IJSG_SG_EEENS0_18inequality_wrapperI22is_equal_div_10_uniqueIiEEEPmJS6_EEE10hipError_tPvRmT3_T4_T5_T6_T7_T9_mT8_P12ihipStream_tbDpT10_ENKUlT_T0_E_clISt17integral_constantIbLb0EES19_IbLb1EEEEDaS15_S16_EUlS15_E_NS1_11comp_targetILNS1_3genE3ELNS1_11target_archE908ELNS1_3gpuE7ELNS1_3repE0EEENS1_30default_config_static_selectorELNS0_4arch9wavefront6targetE1EEEvT1_.num_agpr, 0
	.set _ZN7rocprim17ROCPRIM_400000_NS6detail17trampoline_kernelINS0_14default_configENS1_25partition_config_selectorILNS1_17partition_subalgoE8EiNS0_10empty_typeEbEEZZNS1_14partition_implILS5_8ELb0ES3_jN6thrust23THRUST_200600_302600_NS6detail15normal_iteratorINSA_10device_ptrIiEEEEPS6_PKS6_NS0_5tupleIJSF_S6_EEENSJ_IJSG_SG_EEENS0_18inequality_wrapperI22is_equal_div_10_uniqueIiEEEPmJS6_EEE10hipError_tPvRmT3_T4_T5_T6_T7_T9_mT8_P12ihipStream_tbDpT10_ENKUlT_T0_E_clISt17integral_constantIbLb0EES19_IbLb1EEEEDaS15_S16_EUlS15_E_NS1_11comp_targetILNS1_3genE3ELNS1_11target_archE908ELNS1_3gpuE7ELNS1_3repE0EEENS1_30default_config_static_selectorELNS0_4arch9wavefront6targetE1EEEvT1_.numbered_sgpr, 0
	.set _ZN7rocprim17ROCPRIM_400000_NS6detail17trampoline_kernelINS0_14default_configENS1_25partition_config_selectorILNS1_17partition_subalgoE8EiNS0_10empty_typeEbEEZZNS1_14partition_implILS5_8ELb0ES3_jN6thrust23THRUST_200600_302600_NS6detail15normal_iteratorINSA_10device_ptrIiEEEEPS6_PKS6_NS0_5tupleIJSF_S6_EEENSJ_IJSG_SG_EEENS0_18inequality_wrapperI22is_equal_div_10_uniqueIiEEEPmJS6_EEE10hipError_tPvRmT3_T4_T5_T6_T7_T9_mT8_P12ihipStream_tbDpT10_ENKUlT_T0_E_clISt17integral_constantIbLb0EES19_IbLb1EEEEDaS15_S16_EUlS15_E_NS1_11comp_targetILNS1_3genE3ELNS1_11target_archE908ELNS1_3gpuE7ELNS1_3repE0EEENS1_30default_config_static_selectorELNS0_4arch9wavefront6targetE1EEEvT1_.num_named_barrier, 0
	.set _ZN7rocprim17ROCPRIM_400000_NS6detail17trampoline_kernelINS0_14default_configENS1_25partition_config_selectorILNS1_17partition_subalgoE8EiNS0_10empty_typeEbEEZZNS1_14partition_implILS5_8ELb0ES3_jN6thrust23THRUST_200600_302600_NS6detail15normal_iteratorINSA_10device_ptrIiEEEEPS6_PKS6_NS0_5tupleIJSF_S6_EEENSJ_IJSG_SG_EEENS0_18inequality_wrapperI22is_equal_div_10_uniqueIiEEEPmJS6_EEE10hipError_tPvRmT3_T4_T5_T6_T7_T9_mT8_P12ihipStream_tbDpT10_ENKUlT_T0_E_clISt17integral_constantIbLb0EES19_IbLb1EEEEDaS15_S16_EUlS15_E_NS1_11comp_targetILNS1_3genE3ELNS1_11target_archE908ELNS1_3gpuE7ELNS1_3repE0EEENS1_30default_config_static_selectorELNS0_4arch9wavefront6targetE1EEEvT1_.private_seg_size, 0
	.set _ZN7rocprim17ROCPRIM_400000_NS6detail17trampoline_kernelINS0_14default_configENS1_25partition_config_selectorILNS1_17partition_subalgoE8EiNS0_10empty_typeEbEEZZNS1_14partition_implILS5_8ELb0ES3_jN6thrust23THRUST_200600_302600_NS6detail15normal_iteratorINSA_10device_ptrIiEEEEPS6_PKS6_NS0_5tupleIJSF_S6_EEENSJ_IJSG_SG_EEENS0_18inequality_wrapperI22is_equal_div_10_uniqueIiEEEPmJS6_EEE10hipError_tPvRmT3_T4_T5_T6_T7_T9_mT8_P12ihipStream_tbDpT10_ENKUlT_T0_E_clISt17integral_constantIbLb0EES19_IbLb1EEEEDaS15_S16_EUlS15_E_NS1_11comp_targetILNS1_3genE3ELNS1_11target_archE908ELNS1_3gpuE7ELNS1_3repE0EEENS1_30default_config_static_selectorELNS0_4arch9wavefront6targetE1EEEvT1_.uses_vcc, 0
	.set _ZN7rocprim17ROCPRIM_400000_NS6detail17trampoline_kernelINS0_14default_configENS1_25partition_config_selectorILNS1_17partition_subalgoE8EiNS0_10empty_typeEbEEZZNS1_14partition_implILS5_8ELb0ES3_jN6thrust23THRUST_200600_302600_NS6detail15normal_iteratorINSA_10device_ptrIiEEEEPS6_PKS6_NS0_5tupleIJSF_S6_EEENSJ_IJSG_SG_EEENS0_18inequality_wrapperI22is_equal_div_10_uniqueIiEEEPmJS6_EEE10hipError_tPvRmT3_T4_T5_T6_T7_T9_mT8_P12ihipStream_tbDpT10_ENKUlT_T0_E_clISt17integral_constantIbLb0EES19_IbLb1EEEEDaS15_S16_EUlS15_E_NS1_11comp_targetILNS1_3genE3ELNS1_11target_archE908ELNS1_3gpuE7ELNS1_3repE0EEENS1_30default_config_static_selectorELNS0_4arch9wavefront6targetE1EEEvT1_.uses_flat_scratch, 0
	.set _ZN7rocprim17ROCPRIM_400000_NS6detail17trampoline_kernelINS0_14default_configENS1_25partition_config_selectorILNS1_17partition_subalgoE8EiNS0_10empty_typeEbEEZZNS1_14partition_implILS5_8ELb0ES3_jN6thrust23THRUST_200600_302600_NS6detail15normal_iteratorINSA_10device_ptrIiEEEEPS6_PKS6_NS0_5tupleIJSF_S6_EEENSJ_IJSG_SG_EEENS0_18inequality_wrapperI22is_equal_div_10_uniqueIiEEEPmJS6_EEE10hipError_tPvRmT3_T4_T5_T6_T7_T9_mT8_P12ihipStream_tbDpT10_ENKUlT_T0_E_clISt17integral_constantIbLb0EES19_IbLb1EEEEDaS15_S16_EUlS15_E_NS1_11comp_targetILNS1_3genE3ELNS1_11target_archE908ELNS1_3gpuE7ELNS1_3repE0EEENS1_30default_config_static_selectorELNS0_4arch9wavefront6targetE1EEEvT1_.has_dyn_sized_stack, 0
	.set _ZN7rocprim17ROCPRIM_400000_NS6detail17trampoline_kernelINS0_14default_configENS1_25partition_config_selectorILNS1_17partition_subalgoE8EiNS0_10empty_typeEbEEZZNS1_14partition_implILS5_8ELb0ES3_jN6thrust23THRUST_200600_302600_NS6detail15normal_iteratorINSA_10device_ptrIiEEEEPS6_PKS6_NS0_5tupleIJSF_S6_EEENSJ_IJSG_SG_EEENS0_18inequality_wrapperI22is_equal_div_10_uniqueIiEEEPmJS6_EEE10hipError_tPvRmT3_T4_T5_T6_T7_T9_mT8_P12ihipStream_tbDpT10_ENKUlT_T0_E_clISt17integral_constantIbLb0EES19_IbLb1EEEEDaS15_S16_EUlS15_E_NS1_11comp_targetILNS1_3genE3ELNS1_11target_archE908ELNS1_3gpuE7ELNS1_3repE0EEENS1_30default_config_static_selectorELNS0_4arch9wavefront6targetE1EEEvT1_.has_recursion, 0
	.set _ZN7rocprim17ROCPRIM_400000_NS6detail17trampoline_kernelINS0_14default_configENS1_25partition_config_selectorILNS1_17partition_subalgoE8EiNS0_10empty_typeEbEEZZNS1_14partition_implILS5_8ELb0ES3_jN6thrust23THRUST_200600_302600_NS6detail15normal_iteratorINSA_10device_ptrIiEEEEPS6_PKS6_NS0_5tupleIJSF_S6_EEENSJ_IJSG_SG_EEENS0_18inequality_wrapperI22is_equal_div_10_uniqueIiEEEPmJS6_EEE10hipError_tPvRmT3_T4_T5_T6_T7_T9_mT8_P12ihipStream_tbDpT10_ENKUlT_T0_E_clISt17integral_constantIbLb0EES19_IbLb1EEEEDaS15_S16_EUlS15_E_NS1_11comp_targetILNS1_3genE3ELNS1_11target_archE908ELNS1_3gpuE7ELNS1_3repE0EEENS1_30default_config_static_selectorELNS0_4arch9wavefront6targetE1EEEvT1_.has_indirect_call, 0
	.section	.AMDGPU.csdata,"",@progbits
; Kernel info:
; codeLenInByte = 0
; TotalNumSgprs: 4
; NumVgprs: 0
; ScratchSize: 0
; MemoryBound: 0
; FloatMode: 240
; IeeeMode: 1
; LDSByteSize: 0 bytes/workgroup (compile time only)
; SGPRBlocks: 0
; VGPRBlocks: 0
; NumSGPRsForWavesPerEU: 4
; NumVGPRsForWavesPerEU: 1
; Occupancy: 10
; WaveLimiterHint : 0
; COMPUTE_PGM_RSRC2:SCRATCH_EN: 0
; COMPUTE_PGM_RSRC2:USER_SGPR: 6
; COMPUTE_PGM_RSRC2:TRAP_HANDLER: 0
; COMPUTE_PGM_RSRC2:TGID_X_EN: 1
; COMPUTE_PGM_RSRC2:TGID_Y_EN: 0
; COMPUTE_PGM_RSRC2:TGID_Z_EN: 0
; COMPUTE_PGM_RSRC2:TIDIG_COMP_CNT: 0
	.section	.text._ZN7rocprim17ROCPRIM_400000_NS6detail17trampoline_kernelINS0_14default_configENS1_25partition_config_selectorILNS1_17partition_subalgoE8EiNS0_10empty_typeEbEEZZNS1_14partition_implILS5_8ELb0ES3_jN6thrust23THRUST_200600_302600_NS6detail15normal_iteratorINSA_10device_ptrIiEEEEPS6_PKS6_NS0_5tupleIJSF_S6_EEENSJ_IJSG_SG_EEENS0_18inequality_wrapperI22is_equal_div_10_uniqueIiEEEPmJS6_EEE10hipError_tPvRmT3_T4_T5_T6_T7_T9_mT8_P12ihipStream_tbDpT10_ENKUlT_T0_E_clISt17integral_constantIbLb0EES19_IbLb1EEEEDaS15_S16_EUlS15_E_NS1_11comp_targetILNS1_3genE2ELNS1_11target_archE906ELNS1_3gpuE6ELNS1_3repE0EEENS1_30default_config_static_selectorELNS0_4arch9wavefront6targetE1EEEvT1_,"axG",@progbits,_ZN7rocprim17ROCPRIM_400000_NS6detail17trampoline_kernelINS0_14default_configENS1_25partition_config_selectorILNS1_17partition_subalgoE8EiNS0_10empty_typeEbEEZZNS1_14partition_implILS5_8ELb0ES3_jN6thrust23THRUST_200600_302600_NS6detail15normal_iteratorINSA_10device_ptrIiEEEEPS6_PKS6_NS0_5tupleIJSF_S6_EEENSJ_IJSG_SG_EEENS0_18inequality_wrapperI22is_equal_div_10_uniqueIiEEEPmJS6_EEE10hipError_tPvRmT3_T4_T5_T6_T7_T9_mT8_P12ihipStream_tbDpT10_ENKUlT_T0_E_clISt17integral_constantIbLb0EES19_IbLb1EEEEDaS15_S16_EUlS15_E_NS1_11comp_targetILNS1_3genE2ELNS1_11target_archE906ELNS1_3gpuE6ELNS1_3repE0EEENS1_30default_config_static_selectorELNS0_4arch9wavefront6targetE1EEEvT1_,comdat
	.protected	_ZN7rocprim17ROCPRIM_400000_NS6detail17trampoline_kernelINS0_14default_configENS1_25partition_config_selectorILNS1_17partition_subalgoE8EiNS0_10empty_typeEbEEZZNS1_14partition_implILS5_8ELb0ES3_jN6thrust23THRUST_200600_302600_NS6detail15normal_iteratorINSA_10device_ptrIiEEEEPS6_PKS6_NS0_5tupleIJSF_S6_EEENSJ_IJSG_SG_EEENS0_18inequality_wrapperI22is_equal_div_10_uniqueIiEEEPmJS6_EEE10hipError_tPvRmT3_T4_T5_T6_T7_T9_mT8_P12ihipStream_tbDpT10_ENKUlT_T0_E_clISt17integral_constantIbLb0EES19_IbLb1EEEEDaS15_S16_EUlS15_E_NS1_11comp_targetILNS1_3genE2ELNS1_11target_archE906ELNS1_3gpuE6ELNS1_3repE0EEENS1_30default_config_static_selectorELNS0_4arch9wavefront6targetE1EEEvT1_ ; -- Begin function _ZN7rocprim17ROCPRIM_400000_NS6detail17trampoline_kernelINS0_14default_configENS1_25partition_config_selectorILNS1_17partition_subalgoE8EiNS0_10empty_typeEbEEZZNS1_14partition_implILS5_8ELb0ES3_jN6thrust23THRUST_200600_302600_NS6detail15normal_iteratorINSA_10device_ptrIiEEEEPS6_PKS6_NS0_5tupleIJSF_S6_EEENSJ_IJSG_SG_EEENS0_18inequality_wrapperI22is_equal_div_10_uniqueIiEEEPmJS6_EEE10hipError_tPvRmT3_T4_T5_T6_T7_T9_mT8_P12ihipStream_tbDpT10_ENKUlT_T0_E_clISt17integral_constantIbLb0EES19_IbLb1EEEEDaS15_S16_EUlS15_E_NS1_11comp_targetILNS1_3genE2ELNS1_11target_archE906ELNS1_3gpuE6ELNS1_3repE0EEENS1_30default_config_static_selectorELNS0_4arch9wavefront6targetE1EEEvT1_
	.globl	_ZN7rocprim17ROCPRIM_400000_NS6detail17trampoline_kernelINS0_14default_configENS1_25partition_config_selectorILNS1_17partition_subalgoE8EiNS0_10empty_typeEbEEZZNS1_14partition_implILS5_8ELb0ES3_jN6thrust23THRUST_200600_302600_NS6detail15normal_iteratorINSA_10device_ptrIiEEEEPS6_PKS6_NS0_5tupleIJSF_S6_EEENSJ_IJSG_SG_EEENS0_18inequality_wrapperI22is_equal_div_10_uniqueIiEEEPmJS6_EEE10hipError_tPvRmT3_T4_T5_T6_T7_T9_mT8_P12ihipStream_tbDpT10_ENKUlT_T0_E_clISt17integral_constantIbLb0EES19_IbLb1EEEEDaS15_S16_EUlS15_E_NS1_11comp_targetILNS1_3genE2ELNS1_11target_archE906ELNS1_3gpuE6ELNS1_3repE0EEENS1_30default_config_static_selectorELNS0_4arch9wavefront6targetE1EEEvT1_
	.p2align	8
	.type	_ZN7rocprim17ROCPRIM_400000_NS6detail17trampoline_kernelINS0_14default_configENS1_25partition_config_selectorILNS1_17partition_subalgoE8EiNS0_10empty_typeEbEEZZNS1_14partition_implILS5_8ELb0ES3_jN6thrust23THRUST_200600_302600_NS6detail15normal_iteratorINSA_10device_ptrIiEEEEPS6_PKS6_NS0_5tupleIJSF_S6_EEENSJ_IJSG_SG_EEENS0_18inequality_wrapperI22is_equal_div_10_uniqueIiEEEPmJS6_EEE10hipError_tPvRmT3_T4_T5_T6_T7_T9_mT8_P12ihipStream_tbDpT10_ENKUlT_T0_E_clISt17integral_constantIbLb0EES19_IbLb1EEEEDaS15_S16_EUlS15_E_NS1_11comp_targetILNS1_3genE2ELNS1_11target_archE906ELNS1_3gpuE6ELNS1_3repE0EEENS1_30default_config_static_selectorELNS0_4arch9wavefront6targetE1EEEvT1_,@function
_ZN7rocprim17ROCPRIM_400000_NS6detail17trampoline_kernelINS0_14default_configENS1_25partition_config_selectorILNS1_17partition_subalgoE8EiNS0_10empty_typeEbEEZZNS1_14partition_implILS5_8ELb0ES3_jN6thrust23THRUST_200600_302600_NS6detail15normal_iteratorINSA_10device_ptrIiEEEEPS6_PKS6_NS0_5tupleIJSF_S6_EEENSJ_IJSG_SG_EEENS0_18inequality_wrapperI22is_equal_div_10_uniqueIiEEEPmJS6_EEE10hipError_tPvRmT3_T4_T5_T6_T7_T9_mT8_P12ihipStream_tbDpT10_ENKUlT_T0_E_clISt17integral_constantIbLb0EES19_IbLb1EEEEDaS15_S16_EUlS15_E_NS1_11comp_targetILNS1_3genE2ELNS1_11target_archE906ELNS1_3gpuE6ELNS1_3repE0EEENS1_30default_config_static_selectorELNS0_4arch9wavefront6targetE1EEEvT1_: ; @_ZN7rocprim17ROCPRIM_400000_NS6detail17trampoline_kernelINS0_14default_configENS1_25partition_config_selectorILNS1_17partition_subalgoE8EiNS0_10empty_typeEbEEZZNS1_14partition_implILS5_8ELb0ES3_jN6thrust23THRUST_200600_302600_NS6detail15normal_iteratorINSA_10device_ptrIiEEEEPS6_PKS6_NS0_5tupleIJSF_S6_EEENSJ_IJSG_SG_EEENS0_18inequality_wrapperI22is_equal_div_10_uniqueIiEEEPmJS6_EEE10hipError_tPvRmT3_T4_T5_T6_T7_T9_mT8_P12ihipStream_tbDpT10_ENKUlT_T0_E_clISt17integral_constantIbLb0EES19_IbLb1EEEEDaS15_S16_EUlS15_E_NS1_11comp_targetILNS1_3genE2ELNS1_11target_archE906ELNS1_3gpuE6ELNS1_3repE0EEENS1_30default_config_static_selectorELNS0_4arch9wavefront6targetE1EEEvT1_
; %bb.0:
	s_load_dwordx2 s[34:35], s[4:5], 0x28
	s_load_dwordx4 s[36:39], s[4:5], 0x40
	s_load_dwordx2 s[6:7], s[4:5], 0x50
	s_load_dwordx2 s[42:43], s[4:5], 0x60
	v_cmp_ne_u32_e64 s[2:3], 0, v0
	v_cmp_eq_u32_e64 s[0:1], 0, v0
	s_and_saveexec_b64 s[8:9], s[0:1]
	s_cbranch_execz .LBB464_4
; %bb.1:
	s_mov_b64 s[12:13], exec
	v_mbcnt_lo_u32_b32 v1, s12, 0
	v_mbcnt_hi_u32_b32 v1, s13, v1
	v_cmp_eq_u32_e32 vcc, 0, v1
                                        ; implicit-def: $vgpr2
	s_and_saveexec_b64 s[10:11], vcc
	s_cbranch_execz .LBB464_3
; %bb.2:
	s_load_dwordx2 s[14:15], s[4:5], 0x70
	s_bcnt1_i32_b64 s12, s[12:13]
	v_mov_b32_e32 v2, 0
	v_mov_b32_e32 v3, s12
	s_waitcnt lgkmcnt(0)
	global_atomic_add v2, v2, v3, s[14:15] glc
.LBB464_3:
	s_or_b64 exec, exec, s[10:11]
	s_waitcnt vmcnt(0)
	v_readfirstlane_b32 s10, v2
	v_add_u32_e32 v1, s10, v1
	v_mov_b32_e32 v2, 0
	ds_write_b32 v2, v1
.LBB464_4:
	s_or_b64 exec, exec, s[8:9]
	v_mov_b32_e32 v2, 0
	s_load_dwordx4 s[8:11], s[4:5], 0x8
	s_load_dword s12, s[4:5], 0x68
	s_waitcnt lgkmcnt(0)
	s_barrier
	ds_read_b32 v1, v2
	s_waitcnt lgkmcnt(0)
	s_barrier
	global_load_dwordx2 v[18:19], v2, s[38:39]
	s_lshl_b64 s[4:5], s[10:11], 2
	s_add_u32 s13, s8, s4
	s_addc_u32 s9, s9, s5
	s_add_i32 s14, s12, -1
	s_lshl_b32 s4, s14, 12
	s_add_i32 s8, s10, s4
	s_lshl_b32 s4, s12, 12
	s_add_u32 s4, s10, s4
	s_addc_u32 s5, s11, 0
	v_mov_b32_e32 v3, s4
	v_readfirstlane_b32 s33, v1
	v_lshlrev_b32_e32 v1, 12, v1
	v_mov_b32_e32 v4, s5
	v_cmp_le_u64_e32 vcc, s[6:7], v[3:4]
	s_cmp_eq_u32 s33, s14
	v_lshlrev_b64 v[1:2], 2, v[1:2]
	s_cselect_b64 s[38:39], -1, 0
	s_and_b64 s[44:45], vcc, s[38:39]
	v_mov_b32_e32 v3, s9
	v_add_co_u32_e32 v20, vcc, s13, v1
	s_xor_b64 s[40:41], s[44:45], -1
	v_addc_co_u32_e32 v21, vcc, v3, v2, vcc
	s_mov_b64 s[4:5], -1
	s_and_b64 vcc, exec, s[40:41]
	v_lshrrev_b32_e32 v22, 3, v0
	s_cbranch_vccz .LBB464_6
; %bb.5:
	v_lshlrev_b32_e32 v5, 2, v0
	v_add_co_u32_e32 v1, vcc, v20, v5
	v_addc_co_u32_e32 v2, vcc, 0, v21, vcc
	v_add_co_u32_e32 v3, vcc, 0x1000, v1
	v_addc_co_u32_e32 v4, vcc, 0, v2, vcc
	flat_load_dword v6, v[1:2]
	flat_load_dword v7, v[1:2] offset:1024
	flat_load_dword v8, v[1:2] offset:2048
	;; [unrolled: 1-line block ×3, first 2 shown]
	flat_load_dword v10, v[3:4]
	flat_load_dword v11, v[3:4] offset:1024
	flat_load_dword v12, v[3:4] offset:2048
	;; [unrolled: 1-line block ×3, first 2 shown]
	v_add_co_u32_e32 v3, vcc, 0x2000, v1
	v_addc_co_u32_e32 v4, vcc, 0, v2, vcc
	flat_load_dword v14, v[3:4]
	flat_load_dword v15, v[3:4] offset:1024
	flat_load_dword v16, v[3:4] offset:2048
	flat_load_dword v17, v[3:4] offset:3072
	v_add_co_u32_e32 v1, vcc, 0x3000, v1
	v_addc_co_u32_e32 v2, vcc, 0, v2, vcc
	flat_load_dword v3, v[1:2]
	flat_load_dword v4, v[1:2] offset:1024
	flat_load_dword v23, v[1:2] offset:2048
	;; [unrolled: 1-line block ×3, first 2 shown]
	v_or_b32_e32 v2, 0x100, v0
	v_or_b32_e32 v25, 0x200, v0
	;; [unrolled: 1-line block ×9, first 2 shown]
	v_and_b32_e32 v1, 28, v22
	v_or_b32_e32 v33, 0xa00, v0
	v_lshrrev_b32_e32 v2, 3, v2
	v_lshrrev_b32_e32 v25, 3, v25
	;; [unrolled: 1-line block ×9, first 2 shown]
	v_add_u32_e32 v1, v1, v5
	v_lshrrev_b32_e32 v33, 3, v33
	v_and_b32_e32 v2, 60, v2
	v_and_b32_e32 v25, 0x5c, v25
	;; [unrolled: 1-line block ×9, first 2 shown]
	v_add_u32_e32 v2, v2, v5
	v_add_u32_e32 v25, v25, v5
	;; [unrolled: 1-line block ×9, first 2 shown]
	s_mov_b64 s[4:5], 0
	s_waitcnt vmcnt(0) lgkmcnt(0)
	ds_write_b32 v1, v6
	ds_write_b32 v2, v7 offset:1024
	ds_write_b32 v25, v8 offset:2048
	;; [unrolled: 1-line block ×9, first 2 shown]
	v_and_b32_e32 v1, 0x15c, v33
	v_add_u32_e32 v1, v1, v5
	ds_write_b32 v1, v16 offset:10240
	v_or_b32_e32 v1, 0xb00, v0
	v_lshrrev_b32_e32 v1, 3, v1
	v_and_b32_e32 v1, 0x17c, v1
	v_add_u32_e32 v1, v1, v5
	ds_write_b32 v1, v17 offset:11264
	v_or_b32_e32 v1, 0xc00, v0
	v_lshrrev_b32_e32 v1, 3, v1
	;; [unrolled: 5-line block ×5, first 2 shown]
	v_and_b32_e32 v1, 0x1fc, v1
	v_add_u32_e32 v1, v1, v5
	ds_write_b32 v1, v24 offset:15360
	s_waitcnt lgkmcnt(0)
	s_barrier
.LBB464_6:
	s_andn2_b64 vcc, exec, s[4:5]
	s_sub_i32 s56, s6, s8
	s_cbranch_vccnz .LBB464_40
; %bb.7:
	v_mov_b32_e32 v1, 0
	v_cmp_gt_u32_e32 vcc, s56, v0
	v_mov_b32_e32 v2, v1
	v_mov_b32_e32 v3, v1
	v_mov_b32_e32 v4, v1
	v_mov_b32_e32 v5, v1
	v_mov_b32_e32 v6, v1
	v_mov_b32_e32 v7, v1
	v_mov_b32_e32 v8, v1
	v_mov_b32_e32 v9, v1
	v_mov_b32_e32 v10, v1
	v_mov_b32_e32 v11, v1
	v_mov_b32_e32 v12, v1
	v_mov_b32_e32 v13, v1
	v_mov_b32_e32 v14, v1
	v_mov_b32_e32 v15, v1
	v_mov_b32_e32 v16, v1
	s_and_saveexec_b64 s[4:5], vcc
	s_cbranch_execz .LBB464_9
; %bb.8:
	v_lshlrev_b32_e32 v2, 2, v0
	v_add_co_u32_e32 v2, vcc, v20, v2
	v_addc_co_u32_e32 v3, vcc, 0, v21, vcc
	flat_load_dword v2, v[2:3]
	v_mov_b32_e32 v3, v1
	v_mov_b32_e32 v4, v1
	;; [unrolled: 1-line block ×15, first 2 shown]
	s_waitcnt vmcnt(0) lgkmcnt(0)
	v_mov_b32_e32 v1, v2
	v_mov_b32_e32 v2, v3
	;; [unrolled: 1-line block ×16, first 2 shown]
.LBB464_9:
	s_or_b64 exec, exec, s[4:5]
	v_or_b32_e32 v17, 0x100, v0
	v_cmp_gt_u32_e32 vcc, s56, v17
	s_and_saveexec_b64 s[4:5], vcc
	s_cbranch_execz .LBB464_11
; %bb.10:
	v_lshlrev_b32_e32 v2, 2, v0
	v_add_co_u32_e32 v23, vcc, v20, v2
	v_addc_co_u32_e32 v24, vcc, 0, v21, vcc
	flat_load_dword v2, v[23:24] offset:1024
.LBB464_11:
	s_or_b64 exec, exec, s[4:5]
	v_or_b32_e32 v23, 0x200, v0
	v_cmp_gt_u32_e32 vcc, s56, v23
	s_and_saveexec_b64 s[4:5], vcc
	s_cbranch_execz .LBB464_13
; %bb.12:
	v_lshlrev_b32_e32 v3, 2, v0
	v_add_co_u32_e32 v24, vcc, v20, v3
	v_addc_co_u32_e32 v25, vcc, 0, v21, vcc
	flat_load_dword v3, v[24:25] offset:2048
.LBB464_13:
	;; [unrolled: 11-line block ×3, first 2 shown]
	s_or_b64 exec, exec, s[4:5]
	v_or_b32_e32 v25, 0x400, v0
	v_cmp_gt_u32_e32 vcc, s56, v25
	s_and_saveexec_b64 s[4:5], vcc
	s_cbranch_execz .LBB464_17
; %bb.16:
	v_lshlrev_b32_e32 v5, 2, v25
	v_add_co_u32_e32 v26, vcc, v20, v5
	v_addc_co_u32_e32 v27, vcc, 0, v21, vcc
	flat_load_dword v5, v[26:27]
.LBB464_17:
	s_or_b64 exec, exec, s[4:5]
	v_or_b32_e32 v26, 0x500, v0
	v_cmp_gt_u32_e32 vcc, s56, v26
	s_and_saveexec_b64 s[4:5], vcc
	s_cbranch_execz .LBB464_19
; %bb.18:
	v_lshlrev_b32_e32 v6, 2, v26
	v_add_co_u32_e32 v27, vcc, v20, v6
	v_addc_co_u32_e32 v28, vcc, 0, v21, vcc
	flat_load_dword v6, v[27:28]
.LBB464_19:
	;; [unrolled: 11-line block ×12, first 2 shown]
	s_or_b64 exec, exec, s[4:5]
	v_and_b32_e32 v22, 28, v22
	v_lshlrev_b32_e32 v37, 2, v0
	v_add_u32_e32 v22, v22, v37
	ds_write_b32 v22, v1
	v_lshrrev_b32_e32 v1, 3, v17
	v_and_b32_e32 v1, 60, v1
	v_add_u32_e32 v1, v1, v37
	s_waitcnt vmcnt(0) lgkmcnt(0)
	ds_write_b32 v1, v2 offset:1024
	v_lshrrev_b32_e32 v1, 3, v23
	v_and_b32_e32 v1, 0x7c, v1
	v_add_u32_e32 v1, v1, v37
	ds_write_b32 v1, v3 offset:2048
	v_lshrrev_b32_e32 v1, 3, v24
	v_and_b32_e32 v1, 0x7c, v1
	v_add_u32_e32 v1, v1, v37
	;; [unrolled: 4-line block ×14, first 2 shown]
	ds_write_b32 v1, v16 offset:15360
	s_waitcnt lgkmcnt(0)
	s_barrier
.LBB464_40:
	v_lshlrev_b32_e32 v1, 1, v0
	v_and_b32_e32 v1, 0x1fc, v1
	v_lshl_add_u32 v1, v0, 6, v1
	ds_read2_b32 v[15:16], v1 offset1:1
	ds_read2_b32 v[13:14], v1 offset0:2 offset1:3
	ds_read2_b32 v[11:12], v1 offset0:4 offset1:5
	;; [unrolled: 1-line block ×7, first 2 shown]
	s_cmp_lg_u32 s33, 0
	s_cselect_b64 s[46:47], -1, 0
	s_cmp_lg_u64 s[10:11], 0
	s_cselect_b64 s[4:5], -1, 0
	s_or_b64 s[4:5], s[4:5], s[46:47]
	v_lshlrev_b32_e32 v17, 4, v0
	s_mov_b64 s[48:49], 0
	s_and_b64 vcc, exec, s[4:5]
	s_waitcnt vmcnt(0) lgkmcnt(0)
	s_barrier
	s_cbranch_vccz .LBB464_45
; %bb.41:
	v_add_co_u32_e32 v20, vcc, -4, v20
	v_addc_co_u32_e32 v21, vcc, -1, v21, vcc
	flat_load_dword v20, v[20:21]
	v_lshlrev_b32_e32 v21, 2, v0
	s_and_b64 vcc, exec, s[40:41]
	ds_write_b32 v21, v2
	s_cbranch_vccz .LBB464_46
; %bb.42:
	s_waitcnt vmcnt(0) lgkmcnt(0)
	v_mov_b32_e32 v22, v20
	s_barrier
	s_and_saveexec_b64 s[4:5], s[2:3]
; %bb.43:
	v_add_u32_e32 v22, -4, v21
	ds_read_b32 v22, v22
; %bb.44:
	s_or_b64 exec, exec, s[4:5]
	s_mov_b32 s4, 0x66666667
	v_mul_hi_i32 v23, v1, s4
	v_mul_hi_i32 v24, v2, s4
	s_waitcnt lgkmcnt(0)
	v_mul_hi_i32 v22, v22, s4
	v_lshrrev_b32_e32 v25, 31, v23
	v_ashrrev_i32_e32 v23, 2, v23
	v_add_u32_e32 v23, v23, v25
	v_mul_hi_i32 v25, v4, s4
	v_lshrrev_b32_e32 v26, 31, v24
	v_ashrrev_i32_e32 v24, 2, v24
	v_add_u32_e32 v24, v24, v26
	v_mul_hi_i32 v26, v3, s4
	v_cmp_ne_u32_e32 vcc, v23, v24
	v_lshrrev_b32_e32 v24, 31, v25
	v_ashrrev_i32_e32 v25, 2, v25
	v_add_u32_e32 v24, v25, v24
	v_cndmask_b32_e64 v54, 0, 1, vcc
	v_cmp_ne_u32_e32 vcc, v24, v23
	v_lshrrev_b32_e32 v23, 31, v26
	v_ashrrev_i32_e32 v25, 2, v26
	v_mul_hi_i32 v26, v6, s4
	v_add_u32_e32 v23, v25, v23
	v_cndmask_b32_e64 v55, 0, 1, vcc
	v_cmp_ne_u32_e32 vcc, v23, v24
	v_lshrrev_b32_e32 v24, 31, v26
	v_ashrrev_i32_e32 v25, 2, v26
	v_mul_hi_i32 v26, v5, s4
	;; [unrolled: 6-line block ×12, first 2 shown]
	v_add_u32_e32 v24, v25, v24
	v_cndmask_b32_e64 v66, 0, 1, vcc
	v_cmp_ne_u32_e32 vcc, v24, v23
	v_lshrrev_b32_e32 v23, 31, v26
	v_ashrrev_i32_e32 v25, 2, v26
	v_add_u32_e32 v23, v25, v23
	v_cndmask_b32_e64 v67, 0, 1, vcc
	v_cmp_ne_u32_e32 vcc, v23, v24
	v_lshrrev_b32_e32 v24, 31, v22
	v_ashrrev_i32_e32 v22, 2, v22
	v_add_u32_e32 v22, v22, v24
	v_cndmask_b32_e64 v68, 0, 1, vcc
	v_cmp_ne_u32_e64 s[50:51], v22, v23
	s_branch .LBB464_82
.LBB464_45:
                                        ; implicit-def: $sgpr50_sgpr51
                                        ; implicit-def: $vgpr54
                                        ; implicit-def: $vgpr55
                                        ; implicit-def: $vgpr56
                                        ; implicit-def: $vgpr57
                                        ; implicit-def: $vgpr58
                                        ; implicit-def: $vgpr59
                                        ; implicit-def: $vgpr60
                                        ; implicit-def: $vgpr61
                                        ; implicit-def: $vgpr62
                                        ; implicit-def: $vgpr68
                                        ; implicit-def: $vgpr67
                                        ; implicit-def: $vgpr66
                                        ; implicit-def: $vgpr65
                                        ; implicit-def: $vgpr64
                                        ; implicit-def: $vgpr63
	s_branch .LBB464_83
.LBB464_46:
                                        ; implicit-def: $sgpr50_sgpr51
                                        ; implicit-def: $vgpr54
                                        ; implicit-def: $vgpr55
                                        ; implicit-def: $vgpr56
                                        ; implicit-def: $vgpr57
                                        ; implicit-def: $vgpr58
                                        ; implicit-def: $vgpr59
                                        ; implicit-def: $vgpr60
                                        ; implicit-def: $vgpr61
                                        ; implicit-def: $vgpr62
                                        ; implicit-def: $vgpr68
                                        ; implicit-def: $vgpr67
                                        ; implicit-def: $vgpr66
                                        ; implicit-def: $vgpr65
                                        ; implicit-def: $vgpr64
                                        ; implicit-def: $vgpr63
	s_cbranch_execz .LBB464_82
; %bb.47:
	v_or_b32_e32 v22, 15, v17
	v_cmp_gt_u32_e32 vcc, s56, v22
	s_mov_b64 s[6:7], 0
	s_mov_b64 s[4:5], 0
	s_and_saveexec_b64 s[8:9], vcc
	s_cbranch_execz .LBB464_49
; %bb.48:
	s_mov_b32 s4, 0x66666667
	v_mul_hi_i32 v22, v1, s4
	v_mul_hi_i32 v23, v2, s4
	v_lshrrev_b32_e32 v24, 31, v22
	v_ashrrev_i32_e32 v22, 2, v22
	v_lshrrev_b32_e32 v25, 31, v23
	v_ashrrev_i32_e32 v23, 2, v23
	v_add_u32_e32 v22, v22, v24
	v_add_u32_e32 v23, v23, v25
	v_cmp_ne_u32_e32 vcc, v22, v23
	s_and_b64 s[4:5], vcc, exec
.LBB464_49:
	s_or_b64 exec, exec, s[8:9]
	v_or_b32_e32 v22, 14, v17
	v_cmp_gt_u32_e32 vcc, s56, v22
	s_and_saveexec_b64 s[8:9], vcc
	s_cbranch_execz .LBB464_51
; %bb.50:
	s_mov_b32 s6, 0x66666667
	v_mul_hi_i32 v22, v4, s6
	v_mul_hi_i32 v23, v1, s6
	v_lshrrev_b32_e32 v24, 31, v22
	v_ashrrev_i32_e32 v22, 2, v22
	v_lshrrev_b32_e32 v25, 31, v23
	v_ashrrev_i32_e32 v23, 2, v23
	v_add_u32_e32 v22, v22, v24
	v_add_u32_e32 v23, v23, v25
	v_cmp_ne_u32_e32 vcc, v22, v23
	s_and_b64 s[6:7], vcc, exec
.LBB464_51:
	s_or_b64 exec, exec, s[8:9]
	v_or_b32_e32 v22, 13, v17
	v_cmp_gt_u32_e32 vcc, s56, v22
	s_mov_b64 s[10:11], 0
	s_mov_b64 s[8:9], 0
	s_and_saveexec_b64 s[12:13], vcc
	s_cbranch_execz .LBB464_53
; %bb.52:
	s_mov_b32 s8, 0x66666667
	v_mul_hi_i32 v22, v3, s8
	v_mul_hi_i32 v23, v4, s8
	v_lshrrev_b32_e32 v24, 31, v22
	v_ashrrev_i32_e32 v22, 2, v22
	v_lshrrev_b32_e32 v25, 31, v23
	v_ashrrev_i32_e32 v23, 2, v23
	v_add_u32_e32 v22, v22, v24
	v_add_u32_e32 v23, v23, v25
	v_cmp_ne_u32_e32 vcc, v22, v23
	s_and_b64 s[8:9], vcc, exec
.LBB464_53:
	s_or_b64 exec, exec, s[12:13]
	v_or_b32_e32 v22, 12, v17
	v_cmp_gt_u32_e32 vcc, s56, v22
	s_and_saveexec_b64 s[12:13], vcc
	s_cbranch_execz .LBB464_55
; %bb.54:
	s_mov_b32 s10, 0x66666667
	v_mul_hi_i32 v22, v6, s10
	v_mul_hi_i32 v23, v3, s10
	v_lshrrev_b32_e32 v24, 31, v22
	v_ashrrev_i32_e32 v22, 2, v22
	v_lshrrev_b32_e32 v25, 31, v23
	v_ashrrev_i32_e32 v23, 2, v23
	v_add_u32_e32 v22, v22, v24
	v_add_u32_e32 v23, v23, v25
	v_cmp_ne_u32_e32 vcc, v22, v23
	s_and_b64 s[10:11], vcc, exec
.LBB464_55:
	s_or_b64 exec, exec, s[12:13]
	v_or_b32_e32 v22, 11, v17
	v_cmp_gt_u32_e32 vcc, s56, v22
	s_mov_b64 s[14:15], 0
	s_mov_b64 s[12:13], 0
	s_and_saveexec_b64 s[16:17], vcc
	s_cbranch_execz .LBB464_57
; %bb.56:
	s_mov_b32 s12, 0x66666667
	v_mul_hi_i32 v22, v5, s12
	v_mul_hi_i32 v23, v6, s12
	v_lshrrev_b32_e32 v24, 31, v22
	v_ashrrev_i32_e32 v22, 2, v22
	v_lshrrev_b32_e32 v25, 31, v23
	v_ashrrev_i32_e32 v23, 2, v23
	v_add_u32_e32 v22, v22, v24
	v_add_u32_e32 v23, v23, v25
	v_cmp_ne_u32_e32 vcc, v22, v23
	s_and_b64 s[12:13], vcc, exec
.LBB464_57:
	s_or_b64 exec, exec, s[16:17]
	v_or_b32_e32 v22, 10, v17
	v_cmp_gt_u32_e32 vcc, s56, v22
	s_and_saveexec_b64 s[16:17], vcc
	s_cbranch_execz .LBB464_59
; %bb.58:
	s_mov_b32 s14, 0x66666667
	v_mul_hi_i32 v22, v8, s14
	v_mul_hi_i32 v23, v5, s14
	v_lshrrev_b32_e32 v24, 31, v22
	v_ashrrev_i32_e32 v22, 2, v22
	v_lshrrev_b32_e32 v25, 31, v23
	v_ashrrev_i32_e32 v23, 2, v23
	v_add_u32_e32 v22, v22, v24
	v_add_u32_e32 v23, v23, v25
	v_cmp_ne_u32_e32 vcc, v22, v23
	s_and_b64 s[14:15], vcc, exec
.LBB464_59:
	s_or_b64 exec, exec, s[16:17]
	v_or_b32_e32 v22, 9, v17
	v_cmp_gt_u32_e32 vcc, s56, v22
	s_mov_b64 s[18:19], 0
	s_mov_b64 s[16:17], 0
	s_and_saveexec_b64 s[20:21], vcc
	s_cbranch_execz .LBB464_61
; %bb.60:
	s_mov_b32 s16, 0x66666667
	v_mul_hi_i32 v22, v7, s16
	v_mul_hi_i32 v23, v8, s16
	v_lshrrev_b32_e32 v24, 31, v22
	v_ashrrev_i32_e32 v22, 2, v22
	v_lshrrev_b32_e32 v25, 31, v23
	v_ashrrev_i32_e32 v23, 2, v23
	v_add_u32_e32 v22, v22, v24
	v_add_u32_e32 v23, v23, v25
	v_cmp_ne_u32_e32 vcc, v22, v23
	s_and_b64 s[16:17], vcc, exec
.LBB464_61:
	s_or_b64 exec, exec, s[20:21]
	v_or_b32_e32 v22, 8, v17
	v_cmp_gt_u32_e32 vcc, s56, v22
	s_and_saveexec_b64 s[20:21], vcc
	s_cbranch_execz .LBB464_63
; %bb.62:
	s_mov_b32 s18, 0x66666667
	v_mul_hi_i32 v22, v10, s18
	v_mul_hi_i32 v23, v7, s18
	v_lshrrev_b32_e32 v24, 31, v22
	v_ashrrev_i32_e32 v22, 2, v22
	v_lshrrev_b32_e32 v25, 31, v23
	v_ashrrev_i32_e32 v23, 2, v23
	v_add_u32_e32 v22, v22, v24
	v_add_u32_e32 v23, v23, v25
	v_cmp_ne_u32_e32 vcc, v22, v23
	s_and_b64 s[18:19], vcc, exec
.LBB464_63:
	s_or_b64 exec, exec, s[20:21]
	v_or_b32_e32 v22, 7, v17
	v_cmp_gt_u32_e32 vcc, s56, v22
	s_mov_b64 s[22:23], 0
	s_mov_b64 s[20:21], 0
	s_and_saveexec_b64 s[24:25], vcc
	s_cbranch_execz .LBB464_65
; %bb.64:
	s_mov_b32 s20, 0x66666667
	v_mul_hi_i32 v22, v9, s20
	v_mul_hi_i32 v23, v10, s20
	v_lshrrev_b32_e32 v24, 31, v22
	v_ashrrev_i32_e32 v22, 2, v22
	v_lshrrev_b32_e32 v25, 31, v23
	v_ashrrev_i32_e32 v23, 2, v23
	v_add_u32_e32 v22, v22, v24
	v_add_u32_e32 v23, v23, v25
	v_cmp_ne_u32_e32 vcc, v22, v23
	s_and_b64 s[20:21], vcc, exec
.LBB464_65:
	s_or_b64 exec, exec, s[24:25]
	v_or_b32_e32 v22, 6, v17
	v_cmp_gt_u32_e32 vcc, s56, v22
	s_and_saveexec_b64 s[24:25], vcc
	s_cbranch_execz .LBB464_67
; %bb.66:
	s_mov_b32 s22, 0x66666667
	v_mul_hi_i32 v22, v12, s22
	v_mul_hi_i32 v23, v9, s22
	v_lshrrev_b32_e32 v24, 31, v22
	v_ashrrev_i32_e32 v22, 2, v22
	v_lshrrev_b32_e32 v25, 31, v23
	v_ashrrev_i32_e32 v23, 2, v23
	v_add_u32_e32 v22, v22, v24
	v_add_u32_e32 v23, v23, v25
	v_cmp_ne_u32_e32 vcc, v22, v23
	s_and_b64 s[22:23], vcc, exec
.LBB464_67:
	s_or_b64 exec, exec, s[24:25]
	v_or_b32_e32 v22, 5, v17
	v_cmp_gt_u32_e32 vcc, s56, v22
	s_mov_b64 s[26:27], 0
	s_mov_b64 s[24:25], 0
	s_and_saveexec_b64 s[28:29], vcc
	s_cbranch_execz .LBB464_69
; %bb.68:
	s_mov_b32 s24, 0x66666667
	v_mul_hi_i32 v22, v11, s24
	v_mul_hi_i32 v23, v12, s24
	v_lshrrev_b32_e32 v24, 31, v22
	v_ashrrev_i32_e32 v22, 2, v22
	v_lshrrev_b32_e32 v25, 31, v23
	v_ashrrev_i32_e32 v23, 2, v23
	v_add_u32_e32 v22, v22, v24
	v_add_u32_e32 v23, v23, v25
	v_cmp_ne_u32_e32 vcc, v22, v23
	s_and_b64 s[24:25], vcc, exec
.LBB464_69:
	s_or_b64 exec, exec, s[28:29]
	v_or_b32_e32 v22, 4, v17
	v_cmp_gt_u32_e32 vcc, s56, v22
	s_and_saveexec_b64 s[28:29], vcc
	s_cbranch_execz .LBB464_71
; %bb.70:
	s_mov_b32 s26, 0x66666667
	v_mul_hi_i32 v22, v14, s26
	v_mul_hi_i32 v23, v11, s26
	v_lshrrev_b32_e32 v24, 31, v22
	v_ashrrev_i32_e32 v22, 2, v22
	v_lshrrev_b32_e32 v25, 31, v23
	v_ashrrev_i32_e32 v23, 2, v23
	v_add_u32_e32 v22, v22, v24
	v_add_u32_e32 v23, v23, v25
	v_cmp_ne_u32_e32 vcc, v22, v23
	s_and_b64 s[26:27], vcc, exec
.LBB464_71:
	s_or_b64 exec, exec, s[28:29]
	v_or_b32_e32 v22, 3, v17
	v_cmp_gt_u32_e32 vcc, s56, v22
	s_mov_b64 s[30:31], 0
	s_mov_b64 s[28:29], 0
	s_and_saveexec_b64 s[48:49], vcc
	s_cbranch_execz .LBB464_73
; %bb.72:
	s_mov_b32 s28, 0x66666667
	v_mul_hi_i32 v22, v13, s28
	v_mul_hi_i32 v23, v14, s28
	v_lshrrev_b32_e32 v24, 31, v22
	v_ashrrev_i32_e32 v22, 2, v22
	v_lshrrev_b32_e32 v25, 31, v23
	v_ashrrev_i32_e32 v23, 2, v23
	v_add_u32_e32 v22, v22, v24
	v_add_u32_e32 v23, v23, v25
	v_cmp_ne_u32_e32 vcc, v22, v23
	s_and_b64 s[28:29], vcc, exec
.LBB464_73:
	s_or_b64 exec, exec, s[48:49]
	v_or_b32_e32 v22, 2, v17
	v_cmp_gt_u32_e32 vcc, s56, v22
	s_and_saveexec_b64 s[48:49], vcc
	s_cbranch_execz .LBB464_75
; %bb.74:
	s_mov_b32 s30, 0x66666667
	v_mul_hi_i32 v22, v16, s30
	v_mul_hi_i32 v23, v13, s30
	v_lshrrev_b32_e32 v24, 31, v22
	v_ashrrev_i32_e32 v22, 2, v22
	v_lshrrev_b32_e32 v25, 31, v23
	v_ashrrev_i32_e32 v23, 2, v23
	v_add_u32_e32 v22, v22, v24
	v_add_u32_e32 v23, v23, v25
	v_cmp_ne_u32_e32 vcc, v22, v23
	s_and_b64 s[30:31], vcc, exec
.LBB464_75:
	s_or_b64 exec, exec, s[48:49]
	v_or_b32_e32 v22, 1, v17
	v_cmp_gt_u32_e32 vcc, s56, v22
	s_mov_b64 s[48:49], 0
	s_and_saveexec_b64 s[50:51], vcc
	s_cbranch_execz .LBB464_77
; %bb.76:
	s_mov_b32 s48, 0x66666667
	v_mul_hi_i32 v22, v15, s48
	v_mul_hi_i32 v23, v16, s48
	v_lshrrev_b32_e32 v24, 31, v22
	v_ashrrev_i32_e32 v22, 2, v22
	v_lshrrev_b32_e32 v25, 31, v23
	v_ashrrev_i32_e32 v23, 2, v23
	v_add_u32_e32 v22, v22, v24
	v_add_u32_e32 v23, v23, v25
	v_cmp_ne_u32_e32 vcc, v22, v23
	s_and_b64 s[48:49], vcc, exec
.LBB464_77:
	s_or_b64 exec, exec, s[50:51]
	s_waitcnt vmcnt(0) lgkmcnt(0)
	s_barrier
	s_and_saveexec_b64 s[50:51], s[2:3]
; %bb.78:
	v_add_u32_e32 v20, -4, v21
	ds_read_b32 v20, v20
; %bb.79:
	s_or_b64 exec, exec, s[50:51]
	v_cmp_gt_u32_e32 vcc, s56, v17
	s_mov_b64 s[50:51], 0
	s_and_saveexec_b64 s[52:53], vcc
	s_cbranch_execz .LBB464_81
; %bb.80:
	s_mov_b32 s50, 0x66666667
	s_waitcnt lgkmcnt(0)
	v_mul_hi_i32 v20, v20, s50
	v_mul_hi_i32 v21, v15, s50
	v_lshrrev_b32_e32 v22, 31, v20
	v_ashrrev_i32_e32 v20, 2, v20
	v_lshrrev_b32_e32 v23, 31, v21
	v_ashrrev_i32_e32 v21, 2, v21
	v_add_u32_e32 v20, v20, v22
	v_add_u32_e32 v21, v21, v23
	v_cmp_ne_u32_e32 vcc, v20, v21
	s_and_b64 s[50:51], vcc, exec
.LBB464_81:
	s_or_b64 exec, exec, s[52:53]
	v_cndmask_b32_e64 v68, 0, 1, s[48:49]
	v_cndmask_b32_e64 v67, 0, 1, s[30:31]
	;; [unrolled: 1-line block ×15, first 2 shown]
.LBB464_82:
	s_mov_b64 s[48:49], -1
	s_cbranch_execnz .LBB464_123
.LBB464_83:
	s_waitcnt vmcnt(0) lgkmcnt(0)
	v_lshlrev_b32_e32 v20, 2, v0
	s_and_b64 vcc, exec, s[40:41]
	ds_write_b32 v20, v2
	s_cbranch_vccz .LBB464_87
; %bb.84:
	s_mov_b32 s54, 0x66666667
	v_mul_hi_i32 v21, v1, s54
	v_mul_hi_i32 v22, v2, s54
	s_waitcnt lgkmcnt(0)
	s_barrier
	v_lshrrev_b32_e32 v23, 31, v21
	v_ashrrev_i32_e32 v21, 2, v21
	v_add_u32_e32 v21, v21, v23
	v_mul_hi_i32 v23, v4, s54
	v_lshrrev_b32_e32 v24, 31, v22
	v_ashrrev_i32_e32 v22, 2, v22
	v_add_u32_e32 v22, v22, v24
	v_mul_hi_i32 v24, v3, s54
	v_cmp_ne_u32_e32 vcc, v21, v22
	v_lshrrev_b32_e32 v22, 31, v23
	v_ashrrev_i32_e32 v23, 2, v23
	v_add_u32_e32 v22, v23, v22
	v_mul_hi_i32 v23, v6, s54
	v_cmp_ne_u32_e64 s[4:5], v22, v21
	v_lshrrev_b32_e32 v21, 31, v24
	v_ashrrev_i32_e32 v24, 2, v24
	v_add_u32_e32 v21, v24, v21
	v_mul_hi_i32 v24, v5, s54
	v_cmp_ne_u32_e64 s[6:7], v21, v22
	;; [unrolled: 5-line block ×12, first 2 shown]
	v_lshrrev_b32_e32 v22, 31, v23
	v_ashrrev_i32_e32 v23, 2, v23
	v_add_u32_e32 v22, v23, v22
	v_cmp_ne_u32_e64 s[28:29], v22, v21
	v_lshrrev_b32_e32 v21, 31, v24
	v_ashrrev_i32_e32 v23, 2, v24
	v_add_u32_e32 v21, v23, v21
	v_cmp_ne_u32_e64 s[30:31], v21, v22
                                        ; implicit-def: $sgpr50_sgpr51
	s_and_saveexec_b64 s[52:53], s[2:3]
	s_xor_b64 s[52:53], exec, s[52:53]
	s_cbranch_execz .LBB464_86
; %bb.85:
	v_add_u32_e32 v22, -4, v20
	ds_read_b32 v22, v22
	s_or_b64 s[48:49], s[48:49], exec
	s_waitcnt lgkmcnt(0)
	v_mul_hi_i32 v22, v22, s54
	v_lshrrev_b32_e32 v23, 31, v22
	v_ashrrev_i32_e32 v22, 2, v22
	v_add_u32_e32 v22, v22, v23
	v_cmp_ne_u32_e64 s[50:51], v22, v21
.LBB464_86:
	s_or_b64 exec, exec, s[52:53]
	v_cndmask_b32_e64 v54, 0, 1, vcc
	v_cndmask_b32_e64 v55, 0, 1, s[4:5]
	v_cndmask_b32_e64 v56, 0, 1, s[6:7]
	v_cndmask_b32_e64 v57, 0, 1, s[8:9]
	v_cndmask_b32_e64 v58, 0, 1, s[10:11]
	v_cndmask_b32_e64 v59, 0, 1, s[12:13]
	v_cndmask_b32_e64 v60, 0, 1, s[14:15]
	v_cndmask_b32_e64 v61, 0, 1, s[16:17]
	v_cndmask_b32_e64 v62, 0, 1, s[18:19]
	v_cndmask_b32_e64 v63, 0, 1, s[20:21]
	v_cndmask_b32_e64 v64, 0, 1, s[22:23]
	v_cndmask_b32_e64 v65, 0, 1, s[24:25]
	v_cndmask_b32_e64 v66, 0, 1, s[26:27]
	v_cndmask_b32_e64 v67, 0, 1, s[28:29]
	v_cndmask_b32_e64 v68, 0, 1, s[30:31]
	s_branch .LBB464_123
.LBB464_87:
                                        ; implicit-def: $sgpr50_sgpr51
                                        ; implicit-def: $vgpr54
                                        ; implicit-def: $vgpr55
                                        ; implicit-def: $vgpr56
                                        ; implicit-def: $vgpr57
                                        ; implicit-def: $vgpr58
                                        ; implicit-def: $vgpr59
                                        ; implicit-def: $vgpr60
                                        ; implicit-def: $vgpr61
                                        ; implicit-def: $vgpr62
                                        ; implicit-def: $vgpr68
                                        ; implicit-def: $vgpr67
                                        ; implicit-def: $vgpr66
                                        ; implicit-def: $vgpr65
                                        ; implicit-def: $vgpr64
                                        ; implicit-def: $vgpr63
	s_cbranch_execz .LBB464_123
; %bb.88:
	v_or_b32_e32 v21, 15, v17
	v_cmp_gt_u32_e32 vcc, s56, v21
	s_mov_b64 s[6:7], 0
	s_mov_b64 s[4:5], 0
	s_and_saveexec_b64 s[8:9], vcc
	s_cbranch_execz .LBB464_90
; %bb.89:
	s_mov_b32 s4, 0x66666667
	v_mul_hi_i32 v21, v1, s4
	v_mul_hi_i32 v22, v2, s4
	v_lshrrev_b32_e32 v23, 31, v21
	v_ashrrev_i32_e32 v21, 2, v21
	v_lshrrev_b32_e32 v24, 31, v22
	v_ashrrev_i32_e32 v22, 2, v22
	v_add_u32_e32 v21, v21, v23
	v_add_u32_e32 v22, v22, v24
	v_cmp_ne_u32_e32 vcc, v21, v22
	s_and_b64 s[4:5], vcc, exec
.LBB464_90:
	s_or_b64 exec, exec, s[8:9]
	v_or_b32_e32 v21, 14, v17
	v_cmp_gt_u32_e32 vcc, s56, v21
	s_and_saveexec_b64 s[8:9], vcc
	s_cbranch_execz .LBB464_92
; %bb.91:
	s_mov_b32 s6, 0x66666667
	v_mul_hi_i32 v21, v4, s6
	v_mul_hi_i32 v22, v1, s6
	v_lshrrev_b32_e32 v23, 31, v21
	v_ashrrev_i32_e32 v21, 2, v21
	v_lshrrev_b32_e32 v24, 31, v22
	v_ashrrev_i32_e32 v22, 2, v22
	v_add_u32_e32 v21, v21, v23
	v_add_u32_e32 v22, v22, v24
	v_cmp_ne_u32_e32 vcc, v21, v22
	s_and_b64 s[6:7], vcc, exec
.LBB464_92:
	s_or_b64 exec, exec, s[8:9]
	v_or_b32_e32 v21, 13, v17
	v_cmp_gt_u32_e32 vcc, s56, v21
	s_mov_b64 s[10:11], 0
	s_mov_b64 s[8:9], 0
	s_and_saveexec_b64 s[12:13], vcc
	s_cbranch_execz .LBB464_94
; %bb.93:
	s_mov_b32 s8, 0x66666667
	v_mul_hi_i32 v21, v3, s8
	v_mul_hi_i32 v22, v4, s8
	v_lshrrev_b32_e32 v23, 31, v21
	v_ashrrev_i32_e32 v21, 2, v21
	v_lshrrev_b32_e32 v24, 31, v22
	v_ashrrev_i32_e32 v22, 2, v22
	v_add_u32_e32 v21, v21, v23
	v_add_u32_e32 v22, v22, v24
	v_cmp_ne_u32_e32 vcc, v21, v22
	s_and_b64 s[8:9], vcc, exec
.LBB464_94:
	s_or_b64 exec, exec, s[12:13]
	v_or_b32_e32 v21, 12, v17
	v_cmp_gt_u32_e32 vcc, s56, v21
	s_and_saveexec_b64 s[12:13], vcc
	s_cbranch_execz .LBB464_96
; %bb.95:
	s_mov_b32 s10, 0x66666667
	v_mul_hi_i32 v21, v6, s10
	v_mul_hi_i32 v22, v3, s10
	v_lshrrev_b32_e32 v23, 31, v21
	v_ashrrev_i32_e32 v21, 2, v21
	v_lshrrev_b32_e32 v24, 31, v22
	v_ashrrev_i32_e32 v22, 2, v22
	v_add_u32_e32 v21, v21, v23
	v_add_u32_e32 v22, v22, v24
	v_cmp_ne_u32_e32 vcc, v21, v22
	s_and_b64 s[10:11], vcc, exec
.LBB464_96:
	s_or_b64 exec, exec, s[12:13]
	;; [unrolled: 38-line block ×7, first 2 shown]
	v_or_b32_e32 v21, 1, v17
	v_cmp_gt_u32_e32 vcc, s56, v21
	s_mov_b64 s[52:53], 0
	s_and_saveexec_b64 s[50:51], vcc
	s_cbranch_execz .LBB464_118
; %bb.117:
	s_mov_b32 s52, 0x66666667
	v_mul_hi_i32 v21, v15, s52
	v_mul_hi_i32 v22, v16, s52
	v_lshrrev_b32_e32 v23, 31, v21
	v_ashrrev_i32_e32 v21, 2, v21
	v_lshrrev_b32_e32 v24, 31, v22
	v_ashrrev_i32_e32 v22, 2, v22
	v_add_u32_e32 v21, v21, v23
	v_add_u32_e32 v22, v22, v24
	v_cmp_ne_u32_e32 vcc, v21, v22
	s_and_b64 s[52:53], vcc, exec
.LBB464_118:
	s_or_b64 exec, exec, s[50:51]
	s_waitcnt lgkmcnt(0)
	s_barrier
                                        ; implicit-def: $sgpr50_sgpr51
	s_and_saveexec_b64 s[54:55], s[2:3]
	s_cbranch_execz .LBB464_122
; %bb.119:
	v_cmp_gt_u32_e32 vcc, s56, v17
	s_mov_b64 s[50:51], 0
	s_and_saveexec_b64 s[2:3], vcc
	s_cbranch_execz .LBB464_121
; %bb.120:
	v_add_u32_e32 v20, -4, v20
	ds_read_b32 v20, v20
	s_mov_b32 s50, 0x66666667
	v_mul_hi_i32 v21, v15, s50
	s_waitcnt lgkmcnt(0)
	v_mul_hi_i32 v20, v20, s50
	v_lshrrev_b32_e32 v22, 31, v21
	v_ashrrev_i32_e32 v21, 2, v21
	v_add_u32_e32 v21, v21, v22
	v_lshrrev_b32_e32 v23, 31, v20
	v_ashrrev_i32_e32 v20, 2, v20
	v_add_u32_e32 v20, v20, v23
	v_cmp_ne_u32_e32 vcc, v20, v21
	s_and_b64 s[50:51], vcc, exec
.LBB464_121:
	s_or_b64 exec, exec, s[2:3]
	s_or_b64 s[48:49], s[48:49], exec
.LBB464_122:
	s_or_b64 exec, exec, s[54:55]
	v_cndmask_b32_e64 v67, 0, 1, s[30:31]
	v_cndmask_b32_e64 v66, 0, 1, s[28:29]
	;; [unrolled: 1-line block ×15, first 2 shown]
.LBB464_123:
	v_mov_b32_e32 v31, 1
	s_and_saveexec_b64 s[2:3], s[48:49]
; %bb.124:
	v_cndmask_b32_e64 v31, 0, 1, s[50:51]
; %bb.125:
	s_or_b64 exec, exec, s[2:3]
	s_andn2_b64 vcc, exec, s[44:45]
	s_cbranch_vccnz .LBB464_127
; %bb.126:
	v_cmp_gt_u32_e32 vcc, s56, v17
	s_waitcnt vmcnt(0) lgkmcnt(0)
	v_or_b32_e32 v20, 1, v17
	v_cndmask_b32_e32 v31, 0, v31, vcc
	v_cmp_gt_u32_e32 vcc, s56, v20
	v_or_b32_e32 v20, 2, v17
	v_cndmask_b32_e32 v68, 0, v68, vcc
	v_cmp_gt_u32_e32 vcc, s56, v20
	;; [unrolled: 3-line block ×15, first 2 shown]
	v_cndmask_b32_e32 v54, 0, v54, vcc
.LBB464_127:
	v_and_b32_e32 v40, 0xff, v66
	v_and_b32_e32 v42, 0xff, v65
	v_add_u32_sdwa v21, v64, v63 dst_sel:DWORD dst_unused:UNUSED_PAD src0_sel:BYTE_0 src1_sel:BYTE_0
	v_and_b32_e32 v36, 0xff, v68
	v_and_b32_e32 v38, 0xff, v67
	v_add3_u32 v21, v21, v42, v40
	v_and_b32_e32 v34, 0xffff, v31
	v_and_b32_e32 v17, 0xff, v62
	v_add3_u32 v21, v21, v38, v36
	;; [unrolled: 3-line block ×5, first 2 shown]
	v_and_b32_e32 v41, 0xff, v55
	s_waitcnt vmcnt(0) lgkmcnt(0)
	v_and_b32_e32 v20, 0xff, v54
	v_add3_u32 v21, v21, v37, v39
	v_add3_u32 v45, v21, v41, v20
	v_mbcnt_lo_u32_b32 v20, -1, 0
	v_mbcnt_hi_u32_b32 v43, -1, v20
	v_and_b32_e32 v20, 15, v43
	v_cmp_eq_u32_e64 s[14:15], 0, v20
	v_cmp_lt_u32_e64 s[12:13], 1, v20
	v_cmp_lt_u32_e64 s[10:11], 3, v20
	v_cmp_lt_u32_e64 s[8:9], 7, v20
	v_and_b32_e32 v20, 16, v43
	v_cmp_eq_u32_e64 s[6:7], 0, v20
	v_or_b32_e32 v20, 63, v0
	v_cmp_lt_u32_e64 s[2:3], 31, v43
	v_lshrrev_b32_e32 v44, 6, v0
	v_cmp_eq_u32_e64 s[4:5], v0, v20
	s_and_b64 vcc, exec, s[46:47]
	s_barrier
	s_cbranch_vccz .LBB464_149
; %bb.128:
	v_mov_b32_dpp v20, v45 row_shr:1 row_mask:0xf bank_mask:0xf
	v_cndmask_b32_e64 v20, v20, 0, s[14:15]
	v_add_u32_e32 v20, v20, v45
	s_nop 1
	v_mov_b32_dpp v21, v20 row_shr:2 row_mask:0xf bank_mask:0xf
	v_cndmask_b32_e64 v21, 0, v21, s[12:13]
	v_add_u32_e32 v20, v20, v21
	s_nop 1
	;; [unrolled: 4-line block ×4, first 2 shown]
	v_mov_b32_dpp v21, v20 row_bcast:15 row_mask:0xf bank_mask:0xf
	v_cndmask_b32_e64 v21, v21, 0, s[6:7]
	v_add_u32_e32 v20, v20, v21
	s_nop 1
	v_mov_b32_dpp v21, v20 row_bcast:31 row_mask:0xf bank_mask:0xf
	v_cndmask_b32_e64 v21, 0, v21, s[2:3]
	v_add_u32_e32 v20, v20, v21
	s_and_saveexec_b64 s[16:17], s[4:5]
; %bb.129:
	v_lshlrev_b32_e32 v21, 2, v44
	ds_write_b32 v21, v20
; %bb.130:
	s_or_b64 exec, exec, s[16:17]
	v_cmp_gt_u32_e32 vcc, 4, v0
	s_waitcnt lgkmcnt(0)
	s_barrier
	s_and_saveexec_b64 s[16:17], vcc
	s_cbranch_execz .LBB464_132
; %bb.131:
	v_lshlrev_b32_e32 v21, 2, v0
	ds_read_b32 v22, v21
	v_and_b32_e32 v23, 3, v43
	v_cmp_ne_u32_e32 vcc, 0, v23
	s_waitcnt lgkmcnt(0)
	v_mov_b32_dpp v24, v22 row_shr:1 row_mask:0xf bank_mask:0xf
	v_cndmask_b32_e32 v24, 0, v24, vcc
	v_add_u32_e32 v22, v24, v22
	v_cmp_lt_u32_e32 vcc, 1, v23
	s_nop 0
	v_mov_b32_dpp v24, v22 row_shr:2 row_mask:0xf bank_mask:0xf
	v_cndmask_b32_e32 v23, 0, v24, vcc
	v_add_u32_e32 v22, v22, v23
	ds_write_b32 v21, v22
.LBB464_132:
	s_or_b64 exec, exec, s[16:17]
	v_cmp_gt_u32_e32 vcc, 64, v0
	v_cmp_lt_u32_e64 s[16:17], 63, v0
	s_waitcnt lgkmcnt(0)
	s_barrier
                                        ; implicit-def: $vgpr46
	s_and_saveexec_b64 s[18:19], s[16:17]
	s_cbranch_execz .LBB464_134
; %bb.133:
	v_lshl_add_u32 v21, v44, 2, -4
	ds_read_b32 v46, v21
	s_waitcnt lgkmcnt(0)
	v_add_u32_e32 v20, v46, v20
.LBB464_134:
	s_or_b64 exec, exec, s[18:19]
	v_subrev_co_u32_e64 v21, s[16:17], 1, v43
	v_and_b32_e32 v22, 64, v43
	v_cmp_lt_i32_e64 s[18:19], v21, v22
	v_cndmask_b32_e64 v21, v21, v43, s[18:19]
	v_lshlrev_b32_e32 v21, 2, v21
	ds_bpermute_b32 v47, v21, v20
	s_and_saveexec_b64 s[18:19], vcc
	s_cbranch_execz .LBB464_154
; %bb.135:
	v_mov_b32_e32 v26, 0
	ds_read_b32 v20, v26 offset:12
	s_and_saveexec_b64 s[20:21], s[16:17]
	s_cbranch_execz .LBB464_137
; %bb.136:
	s_add_i32 s22, s33, 64
	s_mov_b32 s23, 0
	s_lshl_b64 s[22:23], s[22:23], 3
	s_add_u32 s22, s42, s22
	v_mov_b32_e32 v21, 1
	s_addc_u32 s23, s43, s23
	s_waitcnt lgkmcnt(0)
	global_store_dwordx2 v26, v[20:21], s[22:23]
.LBB464_137:
	s_or_b64 exec, exec, s[20:21]
	v_xad_u32 v22, v43, -1, s33
	v_add_u32_e32 v25, 64, v22
	v_lshlrev_b64 v[23:24], 3, v[25:26]
	v_mov_b32_e32 v21, s43
	v_add_co_u32_e32 v27, vcc, s42, v23
	v_addc_co_u32_e32 v28, vcc, v21, v24, vcc
	global_load_dwordx2 v[24:25], v[27:28], off glc
	s_waitcnt vmcnt(0)
	v_cmp_eq_u16_sdwa s[22:23], v25, v26 src0_sel:BYTE_0 src1_sel:DWORD
	s_and_saveexec_b64 s[20:21], s[22:23]
	s_cbranch_execz .LBB464_141
; %bb.138:
	s_mov_b64 s[22:23], 0
	v_mov_b32_e32 v21, 0
.LBB464_139:                            ; =>This Inner Loop Header: Depth=1
	global_load_dwordx2 v[24:25], v[27:28], off glc
	s_waitcnt vmcnt(0)
	v_cmp_ne_u16_sdwa s[24:25], v25, v21 src0_sel:BYTE_0 src1_sel:DWORD
	s_or_b64 s[22:23], s[24:25], s[22:23]
	s_andn2_b64 exec, exec, s[22:23]
	s_cbranch_execnz .LBB464_139
; %bb.140:
	s_or_b64 exec, exec, s[22:23]
.LBB464_141:
	s_or_b64 exec, exec, s[20:21]
	v_and_b32_e32 v49, 63, v43
	v_mov_b32_e32 v48, 2
	v_lshlrev_b64 v[26:27], v43, -1
	v_cmp_ne_u32_e32 vcc, 63, v49
	v_cmp_eq_u16_sdwa s[20:21], v25, v48 src0_sel:BYTE_0 src1_sel:DWORD
	v_addc_co_u32_e32 v28, vcc, 0, v43, vcc
	v_and_b32_e32 v21, s21, v27
	v_lshlrev_b32_e32 v50, 2, v28
	v_or_b32_e32 v21, 0x80000000, v21
	ds_bpermute_b32 v28, v50, v24
	v_and_b32_e32 v23, s20, v26
	v_ffbl_b32_e32 v21, v21
	v_add_u32_e32 v21, 32, v21
	v_ffbl_b32_e32 v23, v23
	v_min_u32_e32 v21, v23, v21
	v_cmp_lt_u32_e32 vcc, v49, v21
	s_waitcnt lgkmcnt(0)
	v_cndmask_b32_e32 v23, 0, v28, vcc
	v_cmp_gt_u32_e32 vcc, 62, v49
	v_add_u32_e32 v23, v23, v24
	v_cndmask_b32_e64 v24, 0, 2, vcc
	v_add_lshl_u32 v51, v24, v43, 2
	ds_bpermute_b32 v24, v51, v23
	v_add_u32_e32 v52, 2, v49
	v_cmp_le_u32_e32 vcc, v52, v21
	v_add_u32_e32 v69, 4, v49
	v_add_u32_e32 v71, 8, v49
	s_waitcnt lgkmcnt(0)
	v_cndmask_b32_e32 v24, 0, v24, vcc
	v_cmp_gt_u32_e32 vcc, 60, v49
	v_add_u32_e32 v23, v23, v24
	v_cndmask_b32_e64 v24, 0, 4, vcc
	v_add_lshl_u32 v53, v24, v43, 2
	ds_bpermute_b32 v24, v53, v23
	v_cmp_le_u32_e32 vcc, v69, v21
	v_add_u32_e32 v73, 16, v49
	v_add_u32_e32 v75, 32, v49
	s_waitcnt lgkmcnt(0)
	v_cndmask_b32_e32 v24, 0, v24, vcc
	v_cmp_gt_u32_e32 vcc, 56, v49
	v_add_u32_e32 v23, v23, v24
	v_cndmask_b32_e64 v24, 0, 8, vcc
	v_add_lshl_u32 v70, v24, v43, 2
	ds_bpermute_b32 v24, v70, v23
	v_cmp_le_u32_e32 vcc, v71, v21
	s_waitcnt lgkmcnt(0)
	v_cndmask_b32_e32 v24, 0, v24, vcc
	v_cmp_gt_u32_e32 vcc, 48, v49
	v_add_u32_e32 v23, v23, v24
	v_cndmask_b32_e64 v24, 0, 16, vcc
	v_add_lshl_u32 v72, v24, v43, 2
	ds_bpermute_b32 v24, v72, v23
	v_cmp_le_u32_e32 vcc, v73, v21
	s_waitcnt lgkmcnt(0)
	v_cndmask_b32_e32 v24, 0, v24, vcc
	v_add_u32_e32 v23, v23, v24
	v_mov_b32_e32 v24, 0x80
	v_lshl_or_b32 v74, v43, 2, v24
	ds_bpermute_b32 v24, v74, v23
	v_cmp_le_u32_e32 vcc, v75, v21
	s_waitcnt lgkmcnt(0)
	v_cndmask_b32_e32 v21, 0, v24, vcc
	v_add_u32_e32 v24, v23, v21
	v_mov_b32_e32 v23, 0
	s_branch .LBB464_144
.LBB464_142:                            ;   in Loop: Header=BB464_144 Depth=1
	s_or_b64 exec, exec, s[20:21]
	v_cmp_eq_u16_sdwa s[20:21], v25, v48 src0_sel:BYTE_0 src1_sel:DWORD
	v_and_b32_e32 v28, s21, v27
	v_or_b32_e32 v28, 0x80000000, v28
	ds_bpermute_b32 v76, v50, v24
	v_and_b32_e32 v29, s20, v26
	v_ffbl_b32_e32 v28, v28
	v_add_u32_e32 v28, 32, v28
	v_ffbl_b32_e32 v29, v29
	v_min_u32_e32 v28, v29, v28
	v_cmp_lt_u32_e32 vcc, v49, v28
	s_waitcnt lgkmcnt(0)
	v_cndmask_b32_e32 v29, 0, v76, vcc
	v_add_u32_e32 v24, v29, v24
	ds_bpermute_b32 v29, v51, v24
	v_cmp_le_u32_e32 vcc, v52, v28
	v_subrev_u32_e32 v22, 64, v22
	s_mov_b64 s[20:21], 0
	s_waitcnt lgkmcnt(0)
	v_cndmask_b32_e32 v29, 0, v29, vcc
	v_add_u32_e32 v24, v24, v29
	ds_bpermute_b32 v29, v53, v24
	v_cmp_le_u32_e32 vcc, v69, v28
	s_waitcnt lgkmcnt(0)
	v_cndmask_b32_e32 v29, 0, v29, vcc
	v_add_u32_e32 v24, v24, v29
	ds_bpermute_b32 v29, v70, v24
	v_cmp_le_u32_e32 vcc, v71, v28
	;; [unrolled: 5-line block ×4, first 2 shown]
	s_waitcnt lgkmcnt(0)
	v_cndmask_b32_e32 v28, 0, v29, vcc
	v_add3_u32 v24, v28, v21, v24
.LBB464_143:                            ;   in Loop: Header=BB464_144 Depth=1
	s_and_b64 vcc, exec, s[20:21]
	s_cbranch_vccnz .LBB464_150
.LBB464_144:                            ; =>This Loop Header: Depth=1
                                        ;     Child Loop BB464_147 Depth 2
	v_cmp_ne_u16_sdwa s[20:21], v25, v48 src0_sel:BYTE_0 src1_sel:DWORD
	v_mov_b32_e32 v21, v24
	s_cmp_lg_u64 s[20:21], exec
	s_mov_b64 s[20:21], -1
                                        ; implicit-def: $vgpr24
                                        ; implicit-def: $vgpr25
	s_cbranch_scc1 .LBB464_143
; %bb.145:                              ;   in Loop: Header=BB464_144 Depth=1
	v_lshlrev_b64 v[24:25], 3, v[22:23]
	v_mov_b32_e32 v29, s43
	v_add_co_u32_e32 v28, vcc, s42, v24
	v_addc_co_u32_e32 v29, vcc, v29, v25, vcc
	global_load_dwordx2 v[24:25], v[28:29], off glc
	s_waitcnt vmcnt(0)
	v_cmp_eq_u16_sdwa s[22:23], v25, v23 src0_sel:BYTE_0 src1_sel:DWORD
	s_and_saveexec_b64 s[20:21], s[22:23]
	s_cbranch_execz .LBB464_142
; %bb.146:                              ;   in Loop: Header=BB464_144 Depth=1
	s_mov_b64 s[22:23], 0
.LBB464_147:                            ;   Parent Loop BB464_144 Depth=1
                                        ; =>  This Inner Loop Header: Depth=2
	global_load_dwordx2 v[24:25], v[28:29], off glc
	s_waitcnt vmcnt(0)
	v_cmp_ne_u16_sdwa s[24:25], v25, v23 src0_sel:BYTE_0 src1_sel:DWORD
	s_or_b64 s[22:23], s[24:25], s[22:23]
	s_andn2_b64 exec, exec, s[22:23]
	s_cbranch_execnz .LBB464_147
; %bb.148:                              ;   in Loop: Header=BB464_144 Depth=1
	s_or_b64 exec, exec, s[22:23]
	s_branch .LBB464_142
.LBB464_149:
                                        ; implicit-def: $vgpr21
                                        ; implicit-def: $vgpr46
	s_cbranch_execnz .LBB464_155
	s_branch .LBB464_164
.LBB464_150:
	s_and_saveexec_b64 s[20:21], s[16:17]
	s_cbranch_execz .LBB464_152
; %bb.151:
	s_add_i32 s22, s33, 64
	s_mov_b32 s23, 0
	s_lshl_b64 s[22:23], s[22:23], 3
	s_add_u32 s22, s42, s22
	v_add_u32_e32 v22, v21, v20
	v_mov_b32_e32 v23, 2
	s_addc_u32 s23, s43, s23
	v_mov_b32_e32 v24, 0
	global_store_dwordx2 v24, v[22:23], s[22:23]
	ds_write_b64 v24, v[20:21] offset:16896
.LBB464_152:
	s_or_b64 exec, exec, s[20:21]
	s_and_b64 exec, exec, s[0:1]
; %bb.153:
	v_mov_b32_e32 v20, 0
	ds_write_b32 v20, v21 offset:12
.LBB464_154:
	s_or_b64 exec, exec, s[18:19]
	v_mov_b32_e32 v20, 0
	s_waitcnt vmcnt(0) lgkmcnt(0)
	s_barrier
	ds_read_b32 v22, v20 offset:12
	s_waitcnt lgkmcnt(0)
	s_barrier
	ds_read_b64 v[20:21], v20 offset:16896
	v_cndmask_b32_e64 v23, v47, v46, s[16:17]
	v_cndmask_b32_e64 v23, v23, 0, s[0:1]
	v_add_u32_e32 v46, v22, v23
	s_branch .LBB464_164
.LBB464_155:
	s_waitcnt lgkmcnt(0)
	v_mov_b32_dpp v20, v45 row_shr:1 row_mask:0xf bank_mask:0xf
	v_cndmask_b32_e64 v20, v20, 0, s[14:15]
	v_add_u32_e32 v20, v20, v45
	s_nop 1
	v_mov_b32_dpp v21, v20 row_shr:2 row_mask:0xf bank_mask:0xf
	v_cndmask_b32_e64 v21, 0, v21, s[12:13]
	v_add_u32_e32 v20, v20, v21
	s_nop 1
	;; [unrolled: 4-line block ×4, first 2 shown]
	v_mov_b32_dpp v21, v20 row_bcast:15 row_mask:0xf bank_mask:0xf
	v_cndmask_b32_e64 v21, v21, 0, s[6:7]
	v_add_u32_e32 v20, v20, v21
	s_nop 1
	v_mov_b32_dpp v21, v20 row_bcast:31 row_mask:0xf bank_mask:0xf
	v_cndmask_b32_e64 v21, 0, v21, s[2:3]
	v_add_u32_e32 v20, v20, v21
	s_and_saveexec_b64 s[2:3], s[4:5]
; %bb.156:
	v_lshlrev_b32_e32 v21, 2, v44
	ds_write_b32 v21, v20
; %bb.157:
	s_or_b64 exec, exec, s[2:3]
	v_cmp_gt_u32_e32 vcc, 4, v0
	s_waitcnt lgkmcnt(0)
	s_barrier
	s_and_saveexec_b64 s[2:3], vcc
	s_cbranch_execz .LBB464_159
; %bb.158:
	v_lshlrev_b32_e32 v21, 2, v0
	ds_read_b32 v22, v21
	v_and_b32_e32 v23, 3, v43
	v_cmp_ne_u32_e32 vcc, 0, v23
	s_waitcnt lgkmcnt(0)
	v_mov_b32_dpp v24, v22 row_shr:1 row_mask:0xf bank_mask:0xf
	v_cndmask_b32_e32 v24, 0, v24, vcc
	v_add_u32_e32 v22, v24, v22
	v_cmp_lt_u32_e32 vcc, 1, v23
	s_nop 0
	v_mov_b32_dpp v24, v22 row_shr:2 row_mask:0xf bank_mask:0xf
	v_cndmask_b32_e32 v23, 0, v24, vcc
	v_add_u32_e32 v22, v22, v23
	ds_write_b32 v21, v22
.LBB464_159:
	s_or_b64 exec, exec, s[2:3]
	v_cmp_lt_u32_e32 vcc, 63, v0
	v_mov_b32_e32 v21, 0
	v_mov_b32_e32 v22, 0
	s_waitcnt lgkmcnt(0)
	s_barrier
	s_and_saveexec_b64 s[2:3], vcc
; %bb.160:
	v_lshl_add_u32 v22, v44, 2, -4
	ds_read_b32 v22, v22
; %bb.161:
	s_or_b64 exec, exec, s[2:3]
	v_subrev_co_u32_e32 v23, vcc, 1, v43
	v_and_b32_e32 v24, 64, v43
	v_cmp_lt_i32_e64 s[2:3], v23, v24
	v_cndmask_b32_e64 v23, v23, v43, s[2:3]
	s_waitcnt lgkmcnt(0)
	v_add_u32_e32 v20, v22, v20
	v_lshlrev_b32_e32 v23, 2, v23
	ds_bpermute_b32 v23, v23, v20
	ds_read_b32 v20, v21 offset:12
	s_and_saveexec_b64 s[2:3], s[0:1]
	s_cbranch_execz .LBB464_163
; %bb.162:
	v_mov_b32_e32 v24, 0
	v_mov_b32_e32 v21, 2
	s_waitcnt lgkmcnt(0)
	global_store_dwordx2 v24, v[20:21], s[42:43] offset:512
.LBB464_163:
	s_or_b64 exec, exec, s[2:3]
	s_waitcnt lgkmcnt(1)
	v_cndmask_b32_e32 v21, v23, v22, vcc
	v_cndmask_b32_e64 v46, v21, 0, s[0:1]
	s_waitcnt vmcnt(0) lgkmcnt(0)
	s_barrier
	v_mov_b32_e32 v21, 0
.LBB464_164:
	v_add_u32_e32 v52, v46, v34
	v_add_u32_e32 v50, v52, v36
	v_add_u32_e32 v48, v50, v38
	v_add_u32_e32 v44, v48, v40
	v_add_u32_e32 v42, v44, v42
	v_add_u32_sdwa v40, v42, v64 dst_sel:DWORD dst_unused:UNUSED_PAD src0_sel:DWORD src1_sel:BYTE_0
	v_add_u32_sdwa v38, v40, v63 dst_sel:DWORD dst_unused:UNUSED_PAD src0_sel:DWORD src1_sel:BYTE_0
	v_add_u32_e32 v36, v38, v17
	v_add_u32_e32 v34, v36, v30
	;; [unrolled: 1-line block ×6, first 2 shown]
	s_movk_i32 s4, 0x101
	v_add_u32_e32 v24, v26, v39
	s_waitcnt lgkmcnt(0)
	v_cmp_gt_u32_e32 vcc, s4, v20
	v_add_u32_e32 v22, v24, v41
	s_mov_b64 s[2:3], -1
	v_and_b32_e32 v17, 1, v31
	s_cbranch_vccnz .LBB464_168
; %bb.165:
	s_and_b64 vcc, exec, s[2:3]
	s_cbranch_vccnz .LBB464_201
.LBB464_166:
	s_and_b64 s[0:1], s[0:1], s[38:39]
	s_and_saveexec_b64 s[2:3], s[0:1]
	s_cbranch_execnz .LBB464_237
.LBB464_167:
	s_endpgm
.LBB464_168:
	v_lshlrev_b64 v[69:70], 2, v[18:19]
	v_mov_b32_e32 v25, s35
	v_add_co_u32_e32 v69, vcc, s34, v69
	v_add_u32_e32 v23, v21, v20
	v_addc_co_u32_e32 v70, vcc, v25, v70, vcc
	v_cmp_lt_u32_e32 vcc, v46, v23
	s_or_b64 s[2:3], s[40:41], vcc
	v_cmp_eq_u32_e32 vcc, 1, v17
	s_and_b64 s[4:5], s[2:3], vcc
	s_and_saveexec_b64 s[2:3], s[4:5]
	s_cbranch_execz .LBB464_170
; %bb.169:
	v_mov_b32_e32 v47, 0
	v_lshlrev_b64 v[71:72], 2, v[46:47]
	v_add_co_u32_e32 v71, vcc, v69, v71
	v_addc_co_u32_e32 v72, vcc, v70, v72, vcc
	global_store_dword v[71:72], v15, off
.LBB464_170:
	s_or_b64 exec, exec, s[2:3]
	v_cmp_lt_u32_e32 vcc, v52, v23
	v_and_b32_e32 v25, 1, v68
	s_or_b64 s[2:3], s[40:41], vcc
	v_cmp_eq_u32_e32 vcc, 1, v25
	s_and_b64 s[4:5], s[2:3], vcc
	s_and_saveexec_b64 s[2:3], s[4:5]
	s_cbranch_execz .LBB464_172
; %bb.171:
	v_mov_b32_e32 v53, 0
	v_lshlrev_b64 v[71:72], 2, v[52:53]
	v_add_co_u32_e32 v71, vcc, v69, v71
	v_addc_co_u32_e32 v72, vcc, v70, v72, vcc
	global_store_dword v[71:72], v16, off
.LBB464_172:
	s_or_b64 exec, exec, s[2:3]
	v_cmp_lt_u32_e32 vcc, v50, v23
	v_and_b32_e32 v25, 1, v67
	;; [unrolled: 15-line block ×15, first 2 shown]
	s_or_b64 s[2:3], s[40:41], vcc
	v_cmp_eq_u32_e32 vcc, 1, v23
	s_and_b64 s[4:5], s[2:3], vcc
	s_and_saveexec_b64 s[2:3], s[4:5]
	s_cbranch_execz .LBB464_200
; %bb.199:
	v_mov_b32_e32 v23, 0
	v_lshlrev_b64 v[71:72], 2, v[22:23]
	v_add_co_u32_e32 v69, vcc, v69, v71
	v_addc_co_u32_e32 v70, vcc, v70, v72, vcc
	global_store_dword v[69:70], v2, off
.LBB464_200:
	s_or_b64 exec, exec, s[2:3]
	s_branch .LBB464_166
.LBB464_201:
	v_cmp_eq_u32_e32 vcc, 1, v17
	s_and_saveexec_b64 s[2:3], vcc
; %bb.202:
	v_sub_u32_e32 v17, v46, v21
	v_lshlrev_b32_e32 v17, 2, v17
	ds_write_b32 v17, v15
; %bb.203:
	s_or_b64 exec, exec, s[2:3]
	v_and_b32_e32 v15, 1, v68
	v_cmp_eq_u32_e32 vcc, 1, v15
	s_and_saveexec_b64 s[2:3], vcc
; %bb.204:
	v_sub_u32_e32 v15, v52, v21
	v_lshlrev_b32_e32 v15, 2, v15
	ds_write_b32 v15, v16
; %bb.205:
	s_or_b64 exec, exec, s[2:3]
	v_and_b32_e32 v15, 1, v67
	;; [unrolled: 9-line block ×15, first 2 shown]
	v_cmp_eq_u32_e32 vcc, 1, v1
	s_and_saveexec_b64 s[2:3], vcc
; %bb.232:
	v_sub_u32_e32 v1, v22, v21
	v_lshlrev_b32_e32 v1, 2, v1
	ds_write_b32 v1, v2
; %bb.233:
	s_or_b64 exec, exec, s[2:3]
	v_cmp_lt_u32_e32 vcc, v0, v20
	s_waitcnt vmcnt(0) lgkmcnt(0)
	s_barrier
	s_and_saveexec_b64 s[4:5], vcc
	s_cbranch_execz .LBB464_236
; %bb.234:
	v_mov_b32_e32 v1, 0
	v_lshlrev_b64 v[4:5], 2, v[18:19]
	v_mov_b32_e32 v2, v21
	v_mov_b32_e32 v3, v1
	;; [unrolled: 1-line block ×3, first 2 shown]
	v_add_co_u32_e32 v4, vcc, s34, v4
	v_lshlrev_b64 v[2:3], 2, v[2:3]
	v_addc_co_u32_e32 v5, vcc, v6, v5, vcc
	v_add_co_u32_e32 v2, vcc, v4, v2
	v_addc_co_u32_e32 v3, vcc, v5, v3, vcc
	v_lshlrev_b32_e32 v4, 2, v0
	s_mov_b64 s[6:7], 0
.LBB464_235:                            ; =>This Inner Loop Header: Depth=1
	ds_read_b32 v7, v4
	v_lshlrev_b64 v[5:6], 2, v[0:1]
	v_add_u32_e32 v0, 0x100, v0
	v_cmp_ge_u32_e32 vcc, v0, v20
	v_add_co_u32_e64 v5, s[2:3], v2, v5
	v_add_u32_e32 v4, 0x400, v4
	v_addc_co_u32_e64 v6, s[2:3], v3, v6, s[2:3]
	s_or_b64 s[6:7], vcc, s[6:7]
	s_waitcnt lgkmcnt(0)
	global_store_dword v[5:6], v7, off
	s_andn2_b64 exec, exec, s[6:7]
	s_cbranch_execnz .LBB464_235
.LBB464_236:
	s_or_b64 exec, exec, s[4:5]
	s_and_b64 s[0:1], s[0:1], s[38:39]
	s_and_saveexec_b64 s[2:3], s[0:1]
	s_cbranch_execz .LBB464_167
.LBB464_237:
	v_add_co_u32_e32 v0, vcc, v18, v20
	v_addc_co_u32_e32 v1, vcc, 0, v19, vcc
	v_add_co_u32_e32 v0, vcc, v0, v21
	v_mov_b32_e32 v2, 0
	v_addc_co_u32_e32 v1, vcc, 0, v1, vcc
	global_store_dwordx2 v2, v[0:1], s[36:37]
	s_endpgm
	.section	.rodata,"a",@progbits
	.p2align	6, 0x0
	.amdhsa_kernel _ZN7rocprim17ROCPRIM_400000_NS6detail17trampoline_kernelINS0_14default_configENS1_25partition_config_selectorILNS1_17partition_subalgoE8EiNS0_10empty_typeEbEEZZNS1_14partition_implILS5_8ELb0ES3_jN6thrust23THRUST_200600_302600_NS6detail15normal_iteratorINSA_10device_ptrIiEEEEPS6_PKS6_NS0_5tupleIJSF_S6_EEENSJ_IJSG_SG_EEENS0_18inequality_wrapperI22is_equal_div_10_uniqueIiEEEPmJS6_EEE10hipError_tPvRmT3_T4_T5_T6_T7_T9_mT8_P12ihipStream_tbDpT10_ENKUlT_T0_E_clISt17integral_constantIbLb0EES19_IbLb1EEEEDaS15_S16_EUlS15_E_NS1_11comp_targetILNS1_3genE2ELNS1_11target_archE906ELNS1_3gpuE6ELNS1_3repE0EEENS1_30default_config_static_selectorELNS0_4arch9wavefront6targetE1EEEvT1_
		.amdhsa_group_segment_fixed_size 16904
		.amdhsa_private_segment_fixed_size 0
		.amdhsa_kernarg_size 128
		.amdhsa_user_sgpr_count 6
		.amdhsa_user_sgpr_private_segment_buffer 1
		.amdhsa_user_sgpr_dispatch_ptr 0
		.amdhsa_user_sgpr_queue_ptr 0
		.amdhsa_user_sgpr_kernarg_segment_ptr 1
		.amdhsa_user_sgpr_dispatch_id 0
		.amdhsa_user_sgpr_flat_scratch_init 0
		.amdhsa_user_sgpr_private_segment_size 0
		.amdhsa_uses_dynamic_stack 0
		.amdhsa_system_sgpr_private_segment_wavefront_offset 0
		.amdhsa_system_sgpr_workgroup_id_x 1
		.amdhsa_system_sgpr_workgroup_id_y 0
		.amdhsa_system_sgpr_workgroup_id_z 0
		.amdhsa_system_sgpr_workgroup_info 0
		.amdhsa_system_vgpr_workitem_id 0
		.amdhsa_next_free_vgpr 77
		.amdhsa_next_free_sgpr 98
		.amdhsa_reserve_vcc 1
		.amdhsa_reserve_flat_scratch 0
		.amdhsa_float_round_mode_32 0
		.amdhsa_float_round_mode_16_64 0
		.amdhsa_float_denorm_mode_32 3
		.amdhsa_float_denorm_mode_16_64 3
		.amdhsa_dx10_clamp 1
		.amdhsa_ieee_mode 1
		.amdhsa_fp16_overflow 0
		.amdhsa_exception_fp_ieee_invalid_op 0
		.amdhsa_exception_fp_denorm_src 0
		.amdhsa_exception_fp_ieee_div_zero 0
		.amdhsa_exception_fp_ieee_overflow 0
		.amdhsa_exception_fp_ieee_underflow 0
		.amdhsa_exception_fp_ieee_inexact 0
		.amdhsa_exception_int_div_zero 0
	.end_amdhsa_kernel
	.section	.text._ZN7rocprim17ROCPRIM_400000_NS6detail17trampoline_kernelINS0_14default_configENS1_25partition_config_selectorILNS1_17partition_subalgoE8EiNS0_10empty_typeEbEEZZNS1_14partition_implILS5_8ELb0ES3_jN6thrust23THRUST_200600_302600_NS6detail15normal_iteratorINSA_10device_ptrIiEEEEPS6_PKS6_NS0_5tupleIJSF_S6_EEENSJ_IJSG_SG_EEENS0_18inequality_wrapperI22is_equal_div_10_uniqueIiEEEPmJS6_EEE10hipError_tPvRmT3_T4_T5_T6_T7_T9_mT8_P12ihipStream_tbDpT10_ENKUlT_T0_E_clISt17integral_constantIbLb0EES19_IbLb1EEEEDaS15_S16_EUlS15_E_NS1_11comp_targetILNS1_3genE2ELNS1_11target_archE906ELNS1_3gpuE6ELNS1_3repE0EEENS1_30default_config_static_selectorELNS0_4arch9wavefront6targetE1EEEvT1_,"axG",@progbits,_ZN7rocprim17ROCPRIM_400000_NS6detail17trampoline_kernelINS0_14default_configENS1_25partition_config_selectorILNS1_17partition_subalgoE8EiNS0_10empty_typeEbEEZZNS1_14partition_implILS5_8ELb0ES3_jN6thrust23THRUST_200600_302600_NS6detail15normal_iteratorINSA_10device_ptrIiEEEEPS6_PKS6_NS0_5tupleIJSF_S6_EEENSJ_IJSG_SG_EEENS0_18inequality_wrapperI22is_equal_div_10_uniqueIiEEEPmJS6_EEE10hipError_tPvRmT3_T4_T5_T6_T7_T9_mT8_P12ihipStream_tbDpT10_ENKUlT_T0_E_clISt17integral_constantIbLb0EES19_IbLb1EEEEDaS15_S16_EUlS15_E_NS1_11comp_targetILNS1_3genE2ELNS1_11target_archE906ELNS1_3gpuE6ELNS1_3repE0EEENS1_30default_config_static_selectorELNS0_4arch9wavefront6targetE1EEEvT1_,comdat
.Lfunc_end464:
	.size	_ZN7rocprim17ROCPRIM_400000_NS6detail17trampoline_kernelINS0_14default_configENS1_25partition_config_selectorILNS1_17partition_subalgoE8EiNS0_10empty_typeEbEEZZNS1_14partition_implILS5_8ELb0ES3_jN6thrust23THRUST_200600_302600_NS6detail15normal_iteratorINSA_10device_ptrIiEEEEPS6_PKS6_NS0_5tupleIJSF_S6_EEENSJ_IJSG_SG_EEENS0_18inequality_wrapperI22is_equal_div_10_uniqueIiEEEPmJS6_EEE10hipError_tPvRmT3_T4_T5_T6_T7_T9_mT8_P12ihipStream_tbDpT10_ENKUlT_T0_E_clISt17integral_constantIbLb0EES19_IbLb1EEEEDaS15_S16_EUlS15_E_NS1_11comp_targetILNS1_3genE2ELNS1_11target_archE906ELNS1_3gpuE6ELNS1_3repE0EEENS1_30default_config_static_selectorELNS0_4arch9wavefront6targetE1EEEvT1_, .Lfunc_end464-_ZN7rocprim17ROCPRIM_400000_NS6detail17trampoline_kernelINS0_14default_configENS1_25partition_config_selectorILNS1_17partition_subalgoE8EiNS0_10empty_typeEbEEZZNS1_14partition_implILS5_8ELb0ES3_jN6thrust23THRUST_200600_302600_NS6detail15normal_iteratorINSA_10device_ptrIiEEEEPS6_PKS6_NS0_5tupleIJSF_S6_EEENSJ_IJSG_SG_EEENS0_18inequality_wrapperI22is_equal_div_10_uniqueIiEEEPmJS6_EEE10hipError_tPvRmT3_T4_T5_T6_T7_T9_mT8_P12ihipStream_tbDpT10_ENKUlT_T0_E_clISt17integral_constantIbLb0EES19_IbLb1EEEEDaS15_S16_EUlS15_E_NS1_11comp_targetILNS1_3genE2ELNS1_11target_archE906ELNS1_3gpuE6ELNS1_3repE0EEENS1_30default_config_static_selectorELNS0_4arch9wavefront6targetE1EEEvT1_
                                        ; -- End function
	.set _ZN7rocprim17ROCPRIM_400000_NS6detail17trampoline_kernelINS0_14default_configENS1_25partition_config_selectorILNS1_17partition_subalgoE8EiNS0_10empty_typeEbEEZZNS1_14partition_implILS5_8ELb0ES3_jN6thrust23THRUST_200600_302600_NS6detail15normal_iteratorINSA_10device_ptrIiEEEEPS6_PKS6_NS0_5tupleIJSF_S6_EEENSJ_IJSG_SG_EEENS0_18inequality_wrapperI22is_equal_div_10_uniqueIiEEEPmJS6_EEE10hipError_tPvRmT3_T4_T5_T6_T7_T9_mT8_P12ihipStream_tbDpT10_ENKUlT_T0_E_clISt17integral_constantIbLb0EES19_IbLb1EEEEDaS15_S16_EUlS15_E_NS1_11comp_targetILNS1_3genE2ELNS1_11target_archE906ELNS1_3gpuE6ELNS1_3repE0EEENS1_30default_config_static_selectorELNS0_4arch9wavefront6targetE1EEEvT1_.num_vgpr, 77
	.set _ZN7rocprim17ROCPRIM_400000_NS6detail17trampoline_kernelINS0_14default_configENS1_25partition_config_selectorILNS1_17partition_subalgoE8EiNS0_10empty_typeEbEEZZNS1_14partition_implILS5_8ELb0ES3_jN6thrust23THRUST_200600_302600_NS6detail15normal_iteratorINSA_10device_ptrIiEEEEPS6_PKS6_NS0_5tupleIJSF_S6_EEENSJ_IJSG_SG_EEENS0_18inequality_wrapperI22is_equal_div_10_uniqueIiEEEPmJS6_EEE10hipError_tPvRmT3_T4_T5_T6_T7_T9_mT8_P12ihipStream_tbDpT10_ENKUlT_T0_E_clISt17integral_constantIbLb0EES19_IbLb1EEEEDaS15_S16_EUlS15_E_NS1_11comp_targetILNS1_3genE2ELNS1_11target_archE906ELNS1_3gpuE6ELNS1_3repE0EEENS1_30default_config_static_selectorELNS0_4arch9wavefront6targetE1EEEvT1_.num_agpr, 0
	.set _ZN7rocprim17ROCPRIM_400000_NS6detail17trampoline_kernelINS0_14default_configENS1_25partition_config_selectorILNS1_17partition_subalgoE8EiNS0_10empty_typeEbEEZZNS1_14partition_implILS5_8ELb0ES3_jN6thrust23THRUST_200600_302600_NS6detail15normal_iteratorINSA_10device_ptrIiEEEEPS6_PKS6_NS0_5tupleIJSF_S6_EEENSJ_IJSG_SG_EEENS0_18inequality_wrapperI22is_equal_div_10_uniqueIiEEEPmJS6_EEE10hipError_tPvRmT3_T4_T5_T6_T7_T9_mT8_P12ihipStream_tbDpT10_ENKUlT_T0_E_clISt17integral_constantIbLb0EES19_IbLb1EEEEDaS15_S16_EUlS15_E_NS1_11comp_targetILNS1_3genE2ELNS1_11target_archE906ELNS1_3gpuE6ELNS1_3repE0EEENS1_30default_config_static_selectorELNS0_4arch9wavefront6targetE1EEEvT1_.numbered_sgpr, 57
	.set _ZN7rocprim17ROCPRIM_400000_NS6detail17trampoline_kernelINS0_14default_configENS1_25partition_config_selectorILNS1_17partition_subalgoE8EiNS0_10empty_typeEbEEZZNS1_14partition_implILS5_8ELb0ES3_jN6thrust23THRUST_200600_302600_NS6detail15normal_iteratorINSA_10device_ptrIiEEEEPS6_PKS6_NS0_5tupleIJSF_S6_EEENSJ_IJSG_SG_EEENS0_18inequality_wrapperI22is_equal_div_10_uniqueIiEEEPmJS6_EEE10hipError_tPvRmT3_T4_T5_T6_T7_T9_mT8_P12ihipStream_tbDpT10_ENKUlT_T0_E_clISt17integral_constantIbLb0EES19_IbLb1EEEEDaS15_S16_EUlS15_E_NS1_11comp_targetILNS1_3genE2ELNS1_11target_archE906ELNS1_3gpuE6ELNS1_3repE0EEENS1_30default_config_static_selectorELNS0_4arch9wavefront6targetE1EEEvT1_.num_named_barrier, 0
	.set _ZN7rocprim17ROCPRIM_400000_NS6detail17trampoline_kernelINS0_14default_configENS1_25partition_config_selectorILNS1_17partition_subalgoE8EiNS0_10empty_typeEbEEZZNS1_14partition_implILS5_8ELb0ES3_jN6thrust23THRUST_200600_302600_NS6detail15normal_iteratorINSA_10device_ptrIiEEEEPS6_PKS6_NS0_5tupleIJSF_S6_EEENSJ_IJSG_SG_EEENS0_18inequality_wrapperI22is_equal_div_10_uniqueIiEEEPmJS6_EEE10hipError_tPvRmT3_T4_T5_T6_T7_T9_mT8_P12ihipStream_tbDpT10_ENKUlT_T0_E_clISt17integral_constantIbLb0EES19_IbLb1EEEEDaS15_S16_EUlS15_E_NS1_11comp_targetILNS1_3genE2ELNS1_11target_archE906ELNS1_3gpuE6ELNS1_3repE0EEENS1_30default_config_static_selectorELNS0_4arch9wavefront6targetE1EEEvT1_.private_seg_size, 0
	.set _ZN7rocprim17ROCPRIM_400000_NS6detail17trampoline_kernelINS0_14default_configENS1_25partition_config_selectorILNS1_17partition_subalgoE8EiNS0_10empty_typeEbEEZZNS1_14partition_implILS5_8ELb0ES3_jN6thrust23THRUST_200600_302600_NS6detail15normal_iteratorINSA_10device_ptrIiEEEEPS6_PKS6_NS0_5tupleIJSF_S6_EEENSJ_IJSG_SG_EEENS0_18inequality_wrapperI22is_equal_div_10_uniqueIiEEEPmJS6_EEE10hipError_tPvRmT3_T4_T5_T6_T7_T9_mT8_P12ihipStream_tbDpT10_ENKUlT_T0_E_clISt17integral_constantIbLb0EES19_IbLb1EEEEDaS15_S16_EUlS15_E_NS1_11comp_targetILNS1_3genE2ELNS1_11target_archE906ELNS1_3gpuE6ELNS1_3repE0EEENS1_30default_config_static_selectorELNS0_4arch9wavefront6targetE1EEEvT1_.uses_vcc, 1
	.set _ZN7rocprim17ROCPRIM_400000_NS6detail17trampoline_kernelINS0_14default_configENS1_25partition_config_selectorILNS1_17partition_subalgoE8EiNS0_10empty_typeEbEEZZNS1_14partition_implILS5_8ELb0ES3_jN6thrust23THRUST_200600_302600_NS6detail15normal_iteratorINSA_10device_ptrIiEEEEPS6_PKS6_NS0_5tupleIJSF_S6_EEENSJ_IJSG_SG_EEENS0_18inequality_wrapperI22is_equal_div_10_uniqueIiEEEPmJS6_EEE10hipError_tPvRmT3_T4_T5_T6_T7_T9_mT8_P12ihipStream_tbDpT10_ENKUlT_T0_E_clISt17integral_constantIbLb0EES19_IbLb1EEEEDaS15_S16_EUlS15_E_NS1_11comp_targetILNS1_3genE2ELNS1_11target_archE906ELNS1_3gpuE6ELNS1_3repE0EEENS1_30default_config_static_selectorELNS0_4arch9wavefront6targetE1EEEvT1_.uses_flat_scratch, 0
	.set _ZN7rocprim17ROCPRIM_400000_NS6detail17trampoline_kernelINS0_14default_configENS1_25partition_config_selectorILNS1_17partition_subalgoE8EiNS0_10empty_typeEbEEZZNS1_14partition_implILS5_8ELb0ES3_jN6thrust23THRUST_200600_302600_NS6detail15normal_iteratorINSA_10device_ptrIiEEEEPS6_PKS6_NS0_5tupleIJSF_S6_EEENSJ_IJSG_SG_EEENS0_18inequality_wrapperI22is_equal_div_10_uniqueIiEEEPmJS6_EEE10hipError_tPvRmT3_T4_T5_T6_T7_T9_mT8_P12ihipStream_tbDpT10_ENKUlT_T0_E_clISt17integral_constantIbLb0EES19_IbLb1EEEEDaS15_S16_EUlS15_E_NS1_11comp_targetILNS1_3genE2ELNS1_11target_archE906ELNS1_3gpuE6ELNS1_3repE0EEENS1_30default_config_static_selectorELNS0_4arch9wavefront6targetE1EEEvT1_.has_dyn_sized_stack, 0
	.set _ZN7rocprim17ROCPRIM_400000_NS6detail17trampoline_kernelINS0_14default_configENS1_25partition_config_selectorILNS1_17partition_subalgoE8EiNS0_10empty_typeEbEEZZNS1_14partition_implILS5_8ELb0ES3_jN6thrust23THRUST_200600_302600_NS6detail15normal_iteratorINSA_10device_ptrIiEEEEPS6_PKS6_NS0_5tupleIJSF_S6_EEENSJ_IJSG_SG_EEENS0_18inequality_wrapperI22is_equal_div_10_uniqueIiEEEPmJS6_EEE10hipError_tPvRmT3_T4_T5_T6_T7_T9_mT8_P12ihipStream_tbDpT10_ENKUlT_T0_E_clISt17integral_constantIbLb0EES19_IbLb1EEEEDaS15_S16_EUlS15_E_NS1_11comp_targetILNS1_3genE2ELNS1_11target_archE906ELNS1_3gpuE6ELNS1_3repE0EEENS1_30default_config_static_selectorELNS0_4arch9wavefront6targetE1EEEvT1_.has_recursion, 0
	.set _ZN7rocprim17ROCPRIM_400000_NS6detail17trampoline_kernelINS0_14default_configENS1_25partition_config_selectorILNS1_17partition_subalgoE8EiNS0_10empty_typeEbEEZZNS1_14partition_implILS5_8ELb0ES3_jN6thrust23THRUST_200600_302600_NS6detail15normal_iteratorINSA_10device_ptrIiEEEEPS6_PKS6_NS0_5tupleIJSF_S6_EEENSJ_IJSG_SG_EEENS0_18inequality_wrapperI22is_equal_div_10_uniqueIiEEEPmJS6_EEE10hipError_tPvRmT3_T4_T5_T6_T7_T9_mT8_P12ihipStream_tbDpT10_ENKUlT_T0_E_clISt17integral_constantIbLb0EES19_IbLb1EEEEDaS15_S16_EUlS15_E_NS1_11comp_targetILNS1_3genE2ELNS1_11target_archE906ELNS1_3gpuE6ELNS1_3repE0EEENS1_30default_config_static_selectorELNS0_4arch9wavefront6targetE1EEEvT1_.has_indirect_call, 0
	.section	.AMDGPU.csdata,"",@progbits
; Kernel info:
; codeLenInByte = 10632
; TotalNumSgprs: 61
; NumVgprs: 77
; ScratchSize: 0
; MemoryBound: 0
; FloatMode: 240
; IeeeMode: 1
; LDSByteSize: 16904 bytes/workgroup (compile time only)
; SGPRBlocks: 12
; VGPRBlocks: 19
; NumSGPRsForWavesPerEU: 102
; NumVGPRsForWavesPerEU: 77
; Occupancy: 3
; WaveLimiterHint : 1
; COMPUTE_PGM_RSRC2:SCRATCH_EN: 0
; COMPUTE_PGM_RSRC2:USER_SGPR: 6
; COMPUTE_PGM_RSRC2:TRAP_HANDLER: 0
; COMPUTE_PGM_RSRC2:TGID_X_EN: 1
; COMPUTE_PGM_RSRC2:TGID_Y_EN: 0
; COMPUTE_PGM_RSRC2:TGID_Z_EN: 0
; COMPUTE_PGM_RSRC2:TIDIG_COMP_CNT: 0
	.section	.text._ZN7rocprim17ROCPRIM_400000_NS6detail17trampoline_kernelINS0_14default_configENS1_25partition_config_selectorILNS1_17partition_subalgoE8EiNS0_10empty_typeEbEEZZNS1_14partition_implILS5_8ELb0ES3_jN6thrust23THRUST_200600_302600_NS6detail15normal_iteratorINSA_10device_ptrIiEEEEPS6_PKS6_NS0_5tupleIJSF_S6_EEENSJ_IJSG_SG_EEENS0_18inequality_wrapperI22is_equal_div_10_uniqueIiEEEPmJS6_EEE10hipError_tPvRmT3_T4_T5_T6_T7_T9_mT8_P12ihipStream_tbDpT10_ENKUlT_T0_E_clISt17integral_constantIbLb0EES19_IbLb1EEEEDaS15_S16_EUlS15_E_NS1_11comp_targetILNS1_3genE10ELNS1_11target_archE1200ELNS1_3gpuE4ELNS1_3repE0EEENS1_30default_config_static_selectorELNS0_4arch9wavefront6targetE1EEEvT1_,"axG",@progbits,_ZN7rocprim17ROCPRIM_400000_NS6detail17trampoline_kernelINS0_14default_configENS1_25partition_config_selectorILNS1_17partition_subalgoE8EiNS0_10empty_typeEbEEZZNS1_14partition_implILS5_8ELb0ES3_jN6thrust23THRUST_200600_302600_NS6detail15normal_iteratorINSA_10device_ptrIiEEEEPS6_PKS6_NS0_5tupleIJSF_S6_EEENSJ_IJSG_SG_EEENS0_18inequality_wrapperI22is_equal_div_10_uniqueIiEEEPmJS6_EEE10hipError_tPvRmT3_T4_T5_T6_T7_T9_mT8_P12ihipStream_tbDpT10_ENKUlT_T0_E_clISt17integral_constantIbLb0EES19_IbLb1EEEEDaS15_S16_EUlS15_E_NS1_11comp_targetILNS1_3genE10ELNS1_11target_archE1200ELNS1_3gpuE4ELNS1_3repE0EEENS1_30default_config_static_selectorELNS0_4arch9wavefront6targetE1EEEvT1_,comdat
	.protected	_ZN7rocprim17ROCPRIM_400000_NS6detail17trampoline_kernelINS0_14default_configENS1_25partition_config_selectorILNS1_17partition_subalgoE8EiNS0_10empty_typeEbEEZZNS1_14partition_implILS5_8ELb0ES3_jN6thrust23THRUST_200600_302600_NS6detail15normal_iteratorINSA_10device_ptrIiEEEEPS6_PKS6_NS0_5tupleIJSF_S6_EEENSJ_IJSG_SG_EEENS0_18inequality_wrapperI22is_equal_div_10_uniqueIiEEEPmJS6_EEE10hipError_tPvRmT3_T4_T5_T6_T7_T9_mT8_P12ihipStream_tbDpT10_ENKUlT_T0_E_clISt17integral_constantIbLb0EES19_IbLb1EEEEDaS15_S16_EUlS15_E_NS1_11comp_targetILNS1_3genE10ELNS1_11target_archE1200ELNS1_3gpuE4ELNS1_3repE0EEENS1_30default_config_static_selectorELNS0_4arch9wavefront6targetE1EEEvT1_ ; -- Begin function _ZN7rocprim17ROCPRIM_400000_NS6detail17trampoline_kernelINS0_14default_configENS1_25partition_config_selectorILNS1_17partition_subalgoE8EiNS0_10empty_typeEbEEZZNS1_14partition_implILS5_8ELb0ES3_jN6thrust23THRUST_200600_302600_NS6detail15normal_iteratorINSA_10device_ptrIiEEEEPS6_PKS6_NS0_5tupleIJSF_S6_EEENSJ_IJSG_SG_EEENS0_18inequality_wrapperI22is_equal_div_10_uniqueIiEEEPmJS6_EEE10hipError_tPvRmT3_T4_T5_T6_T7_T9_mT8_P12ihipStream_tbDpT10_ENKUlT_T0_E_clISt17integral_constantIbLb0EES19_IbLb1EEEEDaS15_S16_EUlS15_E_NS1_11comp_targetILNS1_3genE10ELNS1_11target_archE1200ELNS1_3gpuE4ELNS1_3repE0EEENS1_30default_config_static_selectorELNS0_4arch9wavefront6targetE1EEEvT1_
	.globl	_ZN7rocprim17ROCPRIM_400000_NS6detail17trampoline_kernelINS0_14default_configENS1_25partition_config_selectorILNS1_17partition_subalgoE8EiNS0_10empty_typeEbEEZZNS1_14partition_implILS5_8ELb0ES3_jN6thrust23THRUST_200600_302600_NS6detail15normal_iteratorINSA_10device_ptrIiEEEEPS6_PKS6_NS0_5tupleIJSF_S6_EEENSJ_IJSG_SG_EEENS0_18inequality_wrapperI22is_equal_div_10_uniqueIiEEEPmJS6_EEE10hipError_tPvRmT3_T4_T5_T6_T7_T9_mT8_P12ihipStream_tbDpT10_ENKUlT_T0_E_clISt17integral_constantIbLb0EES19_IbLb1EEEEDaS15_S16_EUlS15_E_NS1_11comp_targetILNS1_3genE10ELNS1_11target_archE1200ELNS1_3gpuE4ELNS1_3repE0EEENS1_30default_config_static_selectorELNS0_4arch9wavefront6targetE1EEEvT1_
	.p2align	8
	.type	_ZN7rocprim17ROCPRIM_400000_NS6detail17trampoline_kernelINS0_14default_configENS1_25partition_config_selectorILNS1_17partition_subalgoE8EiNS0_10empty_typeEbEEZZNS1_14partition_implILS5_8ELb0ES3_jN6thrust23THRUST_200600_302600_NS6detail15normal_iteratorINSA_10device_ptrIiEEEEPS6_PKS6_NS0_5tupleIJSF_S6_EEENSJ_IJSG_SG_EEENS0_18inequality_wrapperI22is_equal_div_10_uniqueIiEEEPmJS6_EEE10hipError_tPvRmT3_T4_T5_T6_T7_T9_mT8_P12ihipStream_tbDpT10_ENKUlT_T0_E_clISt17integral_constantIbLb0EES19_IbLb1EEEEDaS15_S16_EUlS15_E_NS1_11comp_targetILNS1_3genE10ELNS1_11target_archE1200ELNS1_3gpuE4ELNS1_3repE0EEENS1_30default_config_static_selectorELNS0_4arch9wavefront6targetE1EEEvT1_,@function
_ZN7rocprim17ROCPRIM_400000_NS6detail17trampoline_kernelINS0_14default_configENS1_25partition_config_selectorILNS1_17partition_subalgoE8EiNS0_10empty_typeEbEEZZNS1_14partition_implILS5_8ELb0ES3_jN6thrust23THRUST_200600_302600_NS6detail15normal_iteratorINSA_10device_ptrIiEEEEPS6_PKS6_NS0_5tupleIJSF_S6_EEENSJ_IJSG_SG_EEENS0_18inequality_wrapperI22is_equal_div_10_uniqueIiEEEPmJS6_EEE10hipError_tPvRmT3_T4_T5_T6_T7_T9_mT8_P12ihipStream_tbDpT10_ENKUlT_T0_E_clISt17integral_constantIbLb0EES19_IbLb1EEEEDaS15_S16_EUlS15_E_NS1_11comp_targetILNS1_3genE10ELNS1_11target_archE1200ELNS1_3gpuE4ELNS1_3repE0EEENS1_30default_config_static_selectorELNS0_4arch9wavefront6targetE1EEEvT1_: ; @_ZN7rocprim17ROCPRIM_400000_NS6detail17trampoline_kernelINS0_14default_configENS1_25partition_config_selectorILNS1_17partition_subalgoE8EiNS0_10empty_typeEbEEZZNS1_14partition_implILS5_8ELb0ES3_jN6thrust23THRUST_200600_302600_NS6detail15normal_iteratorINSA_10device_ptrIiEEEEPS6_PKS6_NS0_5tupleIJSF_S6_EEENSJ_IJSG_SG_EEENS0_18inequality_wrapperI22is_equal_div_10_uniqueIiEEEPmJS6_EEE10hipError_tPvRmT3_T4_T5_T6_T7_T9_mT8_P12ihipStream_tbDpT10_ENKUlT_T0_E_clISt17integral_constantIbLb0EES19_IbLb1EEEEDaS15_S16_EUlS15_E_NS1_11comp_targetILNS1_3genE10ELNS1_11target_archE1200ELNS1_3gpuE4ELNS1_3repE0EEENS1_30default_config_static_selectorELNS0_4arch9wavefront6targetE1EEEvT1_
; %bb.0:
	.section	.rodata,"a",@progbits
	.p2align	6, 0x0
	.amdhsa_kernel _ZN7rocprim17ROCPRIM_400000_NS6detail17trampoline_kernelINS0_14default_configENS1_25partition_config_selectorILNS1_17partition_subalgoE8EiNS0_10empty_typeEbEEZZNS1_14partition_implILS5_8ELb0ES3_jN6thrust23THRUST_200600_302600_NS6detail15normal_iteratorINSA_10device_ptrIiEEEEPS6_PKS6_NS0_5tupleIJSF_S6_EEENSJ_IJSG_SG_EEENS0_18inequality_wrapperI22is_equal_div_10_uniqueIiEEEPmJS6_EEE10hipError_tPvRmT3_T4_T5_T6_T7_T9_mT8_P12ihipStream_tbDpT10_ENKUlT_T0_E_clISt17integral_constantIbLb0EES19_IbLb1EEEEDaS15_S16_EUlS15_E_NS1_11comp_targetILNS1_3genE10ELNS1_11target_archE1200ELNS1_3gpuE4ELNS1_3repE0EEENS1_30default_config_static_selectorELNS0_4arch9wavefront6targetE1EEEvT1_
		.amdhsa_group_segment_fixed_size 0
		.amdhsa_private_segment_fixed_size 0
		.amdhsa_kernarg_size 128
		.amdhsa_user_sgpr_count 6
		.amdhsa_user_sgpr_private_segment_buffer 1
		.amdhsa_user_sgpr_dispatch_ptr 0
		.amdhsa_user_sgpr_queue_ptr 0
		.amdhsa_user_sgpr_kernarg_segment_ptr 1
		.amdhsa_user_sgpr_dispatch_id 0
		.amdhsa_user_sgpr_flat_scratch_init 0
		.amdhsa_user_sgpr_private_segment_size 0
		.amdhsa_uses_dynamic_stack 0
		.amdhsa_system_sgpr_private_segment_wavefront_offset 0
		.amdhsa_system_sgpr_workgroup_id_x 1
		.amdhsa_system_sgpr_workgroup_id_y 0
		.amdhsa_system_sgpr_workgroup_id_z 0
		.amdhsa_system_sgpr_workgroup_info 0
		.amdhsa_system_vgpr_workitem_id 0
		.amdhsa_next_free_vgpr 1
		.amdhsa_next_free_sgpr 0
		.amdhsa_reserve_vcc 0
		.amdhsa_reserve_flat_scratch 0
		.amdhsa_float_round_mode_32 0
		.amdhsa_float_round_mode_16_64 0
		.amdhsa_float_denorm_mode_32 3
		.amdhsa_float_denorm_mode_16_64 3
		.amdhsa_dx10_clamp 1
		.amdhsa_ieee_mode 1
		.amdhsa_fp16_overflow 0
		.amdhsa_exception_fp_ieee_invalid_op 0
		.amdhsa_exception_fp_denorm_src 0
		.amdhsa_exception_fp_ieee_div_zero 0
		.amdhsa_exception_fp_ieee_overflow 0
		.amdhsa_exception_fp_ieee_underflow 0
		.amdhsa_exception_fp_ieee_inexact 0
		.amdhsa_exception_int_div_zero 0
	.end_amdhsa_kernel
	.section	.text._ZN7rocprim17ROCPRIM_400000_NS6detail17trampoline_kernelINS0_14default_configENS1_25partition_config_selectorILNS1_17partition_subalgoE8EiNS0_10empty_typeEbEEZZNS1_14partition_implILS5_8ELb0ES3_jN6thrust23THRUST_200600_302600_NS6detail15normal_iteratorINSA_10device_ptrIiEEEEPS6_PKS6_NS0_5tupleIJSF_S6_EEENSJ_IJSG_SG_EEENS0_18inequality_wrapperI22is_equal_div_10_uniqueIiEEEPmJS6_EEE10hipError_tPvRmT3_T4_T5_T6_T7_T9_mT8_P12ihipStream_tbDpT10_ENKUlT_T0_E_clISt17integral_constantIbLb0EES19_IbLb1EEEEDaS15_S16_EUlS15_E_NS1_11comp_targetILNS1_3genE10ELNS1_11target_archE1200ELNS1_3gpuE4ELNS1_3repE0EEENS1_30default_config_static_selectorELNS0_4arch9wavefront6targetE1EEEvT1_,"axG",@progbits,_ZN7rocprim17ROCPRIM_400000_NS6detail17trampoline_kernelINS0_14default_configENS1_25partition_config_selectorILNS1_17partition_subalgoE8EiNS0_10empty_typeEbEEZZNS1_14partition_implILS5_8ELb0ES3_jN6thrust23THRUST_200600_302600_NS6detail15normal_iteratorINSA_10device_ptrIiEEEEPS6_PKS6_NS0_5tupleIJSF_S6_EEENSJ_IJSG_SG_EEENS0_18inequality_wrapperI22is_equal_div_10_uniqueIiEEEPmJS6_EEE10hipError_tPvRmT3_T4_T5_T6_T7_T9_mT8_P12ihipStream_tbDpT10_ENKUlT_T0_E_clISt17integral_constantIbLb0EES19_IbLb1EEEEDaS15_S16_EUlS15_E_NS1_11comp_targetILNS1_3genE10ELNS1_11target_archE1200ELNS1_3gpuE4ELNS1_3repE0EEENS1_30default_config_static_selectorELNS0_4arch9wavefront6targetE1EEEvT1_,comdat
.Lfunc_end465:
	.size	_ZN7rocprim17ROCPRIM_400000_NS6detail17trampoline_kernelINS0_14default_configENS1_25partition_config_selectorILNS1_17partition_subalgoE8EiNS0_10empty_typeEbEEZZNS1_14partition_implILS5_8ELb0ES3_jN6thrust23THRUST_200600_302600_NS6detail15normal_iteratorINSA_10device_ptrIiEEEEPS6_PKS6_NS0_5tupleIJSF_S6_EEENSJ_IJSG_SG_EEENS0_18inequality_wrapperI22is_equal_div_10_uniqueIiEEEPmJS6_EEE10hipError_tPvRmT3_T4_T5_T6_T7_T9_mT8_P12ihipStream_tbDpT10_ENKUlT_T0_E_clISt17integral_constantIbLb0EES19_IbLb1EEEEDaS15_S16_EUlS15_E_NS1_11comp_targetILNS1_3genE10ELNS1_11target_archE1200ELNS1_3gpuE4ELNS1_3repE0EEENS1_30default_config_static_selectorELNS0_4arch9wavefront6targetE1EEEvT1_, .Lfunc_end465-_ZN7rocprim17ROCPRIM_400000_NS6detail17trampoline_kernelINS0_14default_configENS1_25partition_config_selectorILNS1_17partition_subalgoE8EiNS0_10empty_typeEbEEZZNS1_14partition_implILS5_8ELb0ES3_jN6thrust23THRUST_200600_302600_NS6detail15normal_iteratorINSA_10device_ptrIiEEEEPS6_PKS6_NS0_5tupleIJSF_S6_EEENSJ_IJSG_SG_EEENS0_18inequality_wrapperI22is_equal_div_10_uniqueIiEEEPmJS6_EEE10hipError_tPvRmT3_T4_T5_T6_T7_T9_mT8_P12ihipStream_tbDpT10_ENKUlT_T0_E_clISt17integral_constantIbLb0EES19_IbLb1EEEEDaS15_S16_EUlS15_E_NS1_11comp_targetILNS1_3genE10ELNS1_11target_archE1200ELNS1_3gpuE4ELNS1_3repE0EEENS1_30default_config_static_selectorELNS0_4arch9wavefront6targetE1EEEvT1_
                                        ; -- End function
	.set _ZN7rocprim17ROCPRIM_400000_NS6detail17trampoline_kernelINS0_14default_configENS1_25partition_config_selectorILNS1_17partition_subalgoE8EiNS0_10empty_typeEbEEZZNS1_14partition_implILS5_8ELb0ES3_jN6thrust23THRUST_200600_302600_NS6detail15normal_iteratorINSA_10device_ptrIiEEEEPS6_PKS6_NS0_5tupleIJSF_S6_EEENSJ_IJSG_SG_EEENS0_18inequality_wrapperI22is_equal_div_10_uniqueIiEEEPmJS6_EEE10hipError_tPvRmT3_T4_T5_T6_T7_T9_mT8_P12ihipStream_tbDpT10_ENKUlT_T0_E_clISt17integral_constantIbLb0EES19_IbLb1EEEEDaS15_S16_EUlS15_E_NS1_11comp_targetILNS1_3genE10ELNS1_11target_archE1200ELNS1_3gpuE4ELNS1_3repE0EEENS1_30default_config_static_selectorELNS0_4arch9wavefront6targetE1EEEvT1_.num_vgpr, 0
	.set _ZN7rocprim17ROCPRIM_400000_NS6detail17trampoline_kernelINS0_14default_configENS1_25partition_config_selectorILNS1_17partition_subalgoE8EiNS0_10empty_typeEbEEZZNS1_14partition_implILS5_8ELb0ES3_jN6thrust23THRUST_200600_302600_NS6detail15normal_iteratorINSA_10device_ptrIiEEEEPS6_PKS6_NS0_5tupleIJSF_S6_EEENSJ_IJSG_SG_EEENS0_18inequality_wrapperI22is_equal_div_10_uniqueIiEEEPmJS6_EEE10hipError_tPvRmT3_T4_T5_T6_T7_T9_mT8_P12ihipStream_tbDpT10_ENKUlT_T0_E_clISt17integral_constantIbLb0EES19_IbLb1EEEEDaS15_S16_EUlS15_E_NS1_11comp_targetILNS1_3genE10ELNS1_11target_archE1200ELNS1_3gpuE4ELNS1_3repE0EEENS1_30default_config_static_selectorELNS0_4arch9wavefront6targetE1EEEvT1_.num_agpr, 0
	.set _ZN7rocprim17ROCPRIM_400000_NS6detail17trampoline_kernelINS0_14default_configENS1_25partition_config_selectorILNS1_17partition_subalgoE8EiNS0_10empty_typeEbEEZZNS1_14partition_implILS5_8ELb0ES3_jN6thrust23THRUST_200600_302600_NS6detail15normal_iteratorINSA_10device_ptrIiEEEEPS6_PKS6_NS0_5tupleIJSF_S6_EEENSJ_IJSG_SG_EEENS0_18inequality_wrapperI22is_equal_div_10_uniqueIiEEEPmJS6_EEE10hipError_tPvRmT3_T4_T5_T6_T7_T9_mT8_P12ihipStream_tbDpT10_ENKUlT_T0_E_clISt17integral_constantIbLb0EES19_IbLb1EEEEDaS15_S16_EUlS15_E_NS1_11comp_targetILNS1_3genE10ELNS1_11target_archE1200ELNS1_3gpuE4ELNS1_3repE0EEENS1_30default_config_static_selectorELNS0_4arch9wavefront6targetE1EEEvT1_.numbered_sgpr, 0
	.set _ZN7rocprim17ROCPRIM_400000_NS6detail17trampoline_kernelINS0_14default_configENS1_25partition_config_selectorILNS1_17partition_subalgoE8EiNS0_10empty_typeEbEEZZNS1_14partition_implILS5_8ELb0ES3_jN6thrust23THRUST_200600_302600_NS6detail15normal_iteratorINSA_10device_ptrIiEEEEPS6_PKS6_NS0_5tupleIJSF_S6_EEENSJ_IJSG_SG_EEENS0_18inequality_wrapperI22is_equal_div_10_uniqueIiEEEPmJS6_EEE10hipError_tPvRmT3_T4_T5_T6_T7_T9_mT8_P12ihipStream_tbDpT10_ENKUlT_T0_E_clISt17integral_constantIbLb0EES19_IbLb1EEEEDaS15_S16_EUlS15_E_NS1_11comp_targetILNS1_3genE10ELNS1_11target_archE1200ELNS1_3gpuE4ELNS1_3repE0EEENS1_30default_config_static_selectorELNS0_4arch9wavefront6targetE1EEEvT1_.num_named_barrier, 0
	.set _ZN7rocprim17ROCPRIM_400000_NS6detail17trampoline_kernelINS0_14default_configENS1_25partition_config_selectorILNS1_17partition_subalgoE8EiNS0_10empty_typeEbEEZZNS1_14partition_implILS5_8ELb0ES3_jN6thrust23THRUST_200600_302600_NS6detail15normal_iteratorINSA_10device_ptrIiEEEEPS6_PKS6_NS0_5tupleIJSF_S6_EEENSJ_IJSG_SG_EEENS0_18inequality_wrapperI22is_equal_div_10_uniqueIiEEEPmJS6_EEE10hipError_tPvRmT3_T4_T5_T6_T7_T9_mT8_P12ihipStream_tbDpT10_ENKUlT_T0_E_clISt17integral_constantIbLb0EES19_IbLb1EEEEDaS15_S16_EUlS15_E_NS1_11comp_targetILNS1_3genE10ELNS1_11target_archE1200ELNS1_3gpuE4ELNS1_3repE0EEENS1_30default_config_static_selectorELNS0_4arch9wavefront6targetE1EEEvT1_.private_seg_size, 0
	.set _ZN7rocprim17ROCPRIM_400000_NS6detail17trampoline_kernelINS0_14default_configENS1_25partition_config_selectorILNS1_17partition_subalgoE8EiNS0_10empty_typeEbEEZZNS1_14partition_implILS5_8ELb0ES3_jN6thrust23THRUST_200600_302600_NS6detail15normal_iteratorINSA_10device_ptrIiEEEEPS6_PKS6_NS0_5tupleIJSF_S6_EEENSJ_IJSG_SG_EEENS0_18inequality_wrapperI22is_equal_div_10_uniqueIiEEEPmJS6_EEE10hipError_tPvRmT3_T4_T5_T6_T7_T9_mT8_P12ihipStream_tbDpT10_ENKUlT_T0_E_clISt17integral_constantIbLb0EES19_IbLb1EEEEDaS15_S16_EUlS15_E_NS1_11comp_targetILNS1_3genE10ELNS1_11target_archE1200ELNS1_3gpuE4ELNS1_3repE0EEENS1_30default_config_static_selectorELNS0_4arch9wavefront6targetE1EEEvT1_.uses_vcc, 0
	.set _ZN7rocprim17ROCPRIM_400000_NS6detail17trampoline_kernelINS0_14default_configENS1_25partition_config_selectorILNS1_17partition_subalgoE8EiNS0_10empty_typeEbEEZZNS1_14partition_implILS5_8ELb0ES3_jN6thrust23THRUST_200600_302600_NS6detail15normal_iteratorINSA_10device_ptrIiEEEEPS6_PKS6_NS0_5tupleIJSF_S6_EEENSJ_IJSG_SG_EEENS0_18inequality_wrapperI22is_equal_div_10_uniqueIiEEEPmJS6_EEE10hipError_tPvRmT3_T4_T5_T6_T7_T9_mT8_P12ihipStream_tbDpT10_ENKUlT_T0_E_clISt17integral_constantIbLb0EES19_IbLb1EEEEDaS15_S16_EUlS15_E_NS1_11comp_targetILNS1_3genE10ELNS1_11target_archE1200ELNS1_3gpuE4ELNS1_3repE0EEENS1_30default_config_static_selectorELNS0_4arch9wavefront6targetE1EEEvT1_.uses_flat_scratch, 0
	.set _ZN7rocprim17ROCPRIM_400000_NS6detail17trampoline_kernelINS0_14default_configENS1_25partition_config_selectorILNS1_17partition_subalgoE8EiNS0_10empty_typeEbEEZZNS1_14partition_implILS5_8ELb0ES3_jN6thrust23THRUST_200600_302600_NS6detail15normal_iteratorINSA_10device_ptrIiEEEEPS6_PKS6_NS0_5tupleIJSF_S6_EEENSJ_IJSG_SG_EEENS0_18inequality_wrapperI22is_equal_div_10_uniqueIiEEEPmJS6_EEE10hipError_tPvRmT3_T4_T5_T6_T7_T9_mT8_P12ihipStream_tbDpT10_ENKUlT_T0_E_clISt17integral_constantIbLb0EES19_IbLb1EEEEDaS15_S16_EUlS15_E_NS1_11comp_targetILNS1_3genE10ELNS1_11target_archE1200ELNS1_3gpuE4ELNS1_3repE0EEENS1_30default_config_static_selectorELNS0_4arch9wavefront6targetE1EEEvT1_.has_dyn_sized_stack, 0
	.set _ZN7rocprim17ROCPRIM_400000_NS6detail17trampoline_kernelINS0_14default_configENS1_25partition_config_selectorILNS1_17partition_subalgoE8EiNS0_10empty_typeEbEEZZNS1_14partition_implILS5_8ELb0ES3_jN6thrust23THRUST_200600_302600_NS6detail15normal_iteratorINSA_10device_ptrIiEEEEPS6_PKS6_NS0_5tupleIJSF_S6_EEENSJ_IJSG_SG_EEENS0_18inequality_wrapperI22is_equal_div_10_uniqueIiEEEPmJS6_EEE10hipError_tPvRmT3_T4_T5_T6_T7_T9_mT8_P12ihipStream_tbDpT10_ENKUlT_T0_E_clISt17integral_constantIbLb0EES19_IbLb1EEEEDaS15_S16_EUlS15_E_NS1_11comp_targetILNS1_3genE10ELNS1_11target_archE1200ELNS1_3gpuE4ELNS1_3repE0EEENS1_30default_config_static_selectorELNS0_4arch9wavefront6targetE1EEEvT1_.has_recursion, 0
	.set _ZN7rocprim17ROCPRIM_400000_NS6detail17trampoline_kernelINS0_14default_configENS1_25partition_config_selectorILNS1_17partition_subalgoE8EiNS0_10empty_typeEbEEZZNS1_14partition_implILS5_8ELb0ES3_jN6thrust23THRUST_200600_302600_NS6detail15normal_iteratorINSA_10device_ptrIiEEEEPS6_PKS6_NS0_5tupleIJSF_S6_EEENSJ_IJSG_SG_EEENS0_18inequality_wrapperI22is_equal_div_10_uniqueIiEEEPmJS6_EEE10hipError_tPvRmT3_T4_T5_T6_T7_T9_mT8_P12ihipStream_tbDpT10_ENKUlT_T0_E_clISt17integral_constantIbLb0EES19_IbLb1EEEEDaS15_S16_EUlS15_E_NS1_11comp_targetILNS1_3genE10ELNS1_11target_archE1200ELNS1_3gpuE4ELNS1_3repE0EEENS1_30default_config_static_selectorELNS0_4arch9wavefront6targetE1EEEvT1_.has_indirect_call, 0
	.section	.AMDGPU.csdata,"",@progbits
; Kernel info:
; codeLenInByte = 0
; TotalNumSgprs: 4
; NumVgprs: 0
; ScratchSize: 0
; MemoryBound: 0
; FloatMode: 240
; IeeeMode: 1
; LDSByteSize: 0 bytes/workgroup (compile time only)
; SGPRBlocks: 0
; VGPRBlocks: 0
; NumSGPRsForWavesPerEU: 4
; NumVGPRsForWavesPerEU: 1
; Occupancy: 10
; WaveLimiterHint : 0
; COMPUTE_PGM_RSRC2:SCRATCH_EN: 0
; COMPUTE_PGM_RSRC2:USER_SGPR: 6
; COMPUTE_PGM_RSRC2:TRAP_HANDLER: 0
; COMPUTE_PGM_RSRC2:TGID_X_EN: 1
; COMPUTE_PGM_RSRC2:TGID_Y_EN: 0
; COMPUTE_PGM_RSRC2:TGID_Z_EN: 0
; COMPUTE_PGM_RSRC2:TIDIG_COMP_CNT: 0
	.section	.text._ZN7rocprim17ROCPRIM_400000_NS6detail17trampoline_kernelINS0_14default_configENS1_25partition_config_selectorILNS1_17partition_subalgoE8EiNS0_10empty_typeEbEEZZNS1_14partition_implILS5_8ELb0ES3_jN6thrust23THRUST_200600_302600_NS6detail15normal_iteratorINSA_10device_ptrIiEEEEPS6_PKS6_NS0_5tupleIJSF_S6_EEENSJ_IJSG_SG_EEENS0_18inequality_wrapperI22is_equal_div_10_uniqueIiEEEPmJS6_EEE10hipError_tPvRmT3_T4_T5_T6_T7_T9_mT8_P12ihipStream_tbDpT10_ENKUlT_T0_E_clISt17integral_constantIbLb0EES19_IbLb1EEEEDaS15_S16_EUlS15_E_NS1_11comp_targetILNS1_3genE9ELNS1_11target_archE1100ELNS1_3gpuE3ELNS1_3repE0EEENS1_30default_config_static_selectorELNS0_4arch9wavefront6targetE1EEEvT1_,"axG",@progbits,_ZN7rocprim17ROCPRIM_400000_NS6detail17trampoline_kernelINS0_14default_configENS1_25partition_config_selectorILNS1_17partition_subalgoE8EiNS0_10empty_typeEbEEZZNS1_14partition_implILS5_8ELb0ES3_jN6thrust23THRUST_200600_302600_NS6detail15normal_iteratorINSA_10device_ptrIiEEEEPS6_PKS6_NS0_5tupleIJSF_S6_EEENSJ_IJSG_SG_EEENS0_18inequality_wrapperI22is_equal_div_10_uniqueIiEEEPmJS6_EEE10hipError_tPvRmT3_T4_T5_T6_T7_T9_mT8_P12ihipStream_tbDpT10_ENKUlT_T0_E_clISt17integral_constantIbLb0EES19_IbLb1EEEEDaS15_S16_EUlS15_E_NS1_11comp_targetILNS1_3genE9ELNS1_11target_archE1100ELNS1_3gpuE3ELNS1_3repE0EEENS1_30default_config_static_selectorELNS0_4arch9wavefront6targetE1EEEvT1_,comdat
	.protected	_ZN7rocprim17ROCPRIM_400000_NS6detail17trampoline_kernelINS0_14default_configENS1_25partition_config_selectorILNS1_17partition_subalgoE8EiNS0_10empty_typeEbEEZZNS1_14partition_implILS5_8ELb0ES3_jN6thrust23THRUST_200600_302600_NS6detail15normal_iteratorINSA_10device_ptrIiEEEEPS6_PKS6_NS0_5tupleIJSF_S6_EEENSJ_IJSG_SG_EEENS0_18inequality_wrapperI22is_equal_div_10_uniqueIiEEEPmJS6_EEE10hipError_tPvRmT3_T4_T5_T6_T7_T9_mT8_P12ihipStream_tbDpT10_ENKUlT_T0_E_clISt17integral_constantIbLb0EES19_IbLb1EEEEDaS15_S16_EUlS15_E_NS1_11comp_targetILNS1_3genE9ELNS1_11target_archE1100ELNS1_3gpuE3ELNS1_3repE0EEENS1_30default_config_static_selectorELNS0_4arch9wavefront6targetE1EEEvT1_ ; -- Begin function _ZN7rocprim17ROCPRIM_400000_NS6detail17trampoline_kernelINS0_14default_configENS1_25partition_config_selectorILNS1_17partition_subalgoE8EiNS0_10empty_typeEbEEZZNS1_14partition_implILS5_8ELb0ES3_jN6thrust23THRUST_200600_302600_NS6detail15normal_iteratorINSA_10device_ptrIiEEEEPS6_PKS6_NS0_5tupleIJSF_S6_EEENSJ_IJSG_SG_EEENS0_18inequality_wrapperI22is_equal_div_10_uniqueIiEEEPmJS6_EEE10hipError_tPvRmT3_T4_T5_T6_T7_T9_mT8_P12ihipStream_tbDpT10_ENKUlT_T0_E_clISt17integral_constantIbLb0EES19_IbLb1EEEEDaS15_S16_EUlS15_E_NS1_11comp_targetILNS1_3genE9ELNS1_11target_archE1100ELNS1_3gpuE3ELNS1_3repE0EEENS1_30default_config_static_selectorELNS0_4arch9wavefront6targetE1EEEvT1_
	.globl	_ZN7rocprim17ROCPRIM_400000_NS6detail17trampoline_kernelINS0_14default_configENS1_25partition_config_selectorILNS1_17partition_subalgoE8EiNS0_10empty_typeEbEEZZNS1_14partition_implILS5_8ELb0ES3_jN6thrust23THRUST_200600_302600_NS6detail15normal_iteratorINSA_10device_ptrIiEEEEPS6_PKS6_NS0_5tupleIJSF_S6_EEENSJ_IJSG_SG_EEENS0_18inequality_wrapperI22is_equal_div_10_uniqueIiEEEPmJS6_EEE10hipError_tPvRmT3_T4_T5_T6_T7_T9_mT8_P12ihipStream_tbDpT10_ENKUlT_T0_E_clISt17integral_constantIbLb0EES19_IbLb1EEEEDaS15_S16_EUlS15_E_NS1_11comp_targetILNS1_3genE9ELNS1_11target_archE1100ELNS1_3gpuE3ELNS1_3repE0EEENS1_30default_config_static_selectorELNS0_4arch9wavefront6targetE1EEEvT1_
	.p2align	8
	.type	_ZN7rocprim17ROCPRIM_400000_NS6detail17trampoline_kernelINS0_14default_configENS1_25partition_config_selectorILNS1_17partition_subalgoE8EiNS0_10empty_typeEbEEZZNS1_14partition_implILS5_8ELb0ES3_jN6thrust23THRUST_200600_302600_NS6detail15normal_iteratorINSA_10device_ptrIiEEEEPS6_PKS6_NS0_5tupleIJSF_S6_EEENSJ_IJSG_SG_EEENS0_18inequality_wrapperI22is_equal_div_10_uniqueIiEEEPmJS6_EEE10hipError_tPvRmT3_T4_T5_T6_T7_T9_mT8_P12ihipStream_tbDpT10_ENKUlT_T0_E_clISt17integral_constantIbLb0EES19_IbLb1EEEEDaS15_S16_EUlS15_E_NS1_11comp_targetILNS1_3genE9ELNS1_11target_archE1100ELNS1_3gpuE3ELNS1_3repE0EEENS1_30default_config_static_selectorELNS0_4arch9wavefront6targetE1EEEvT1_,@function
_ZN7rocprim17ROCPRIM_400000_NS6detail17trampoline_kernelINS0_14default_configENS1_25partition_config_selectorILNS1_17partition_subalgoE8EiNS0_10empty_typeEbEEZZNS1_14partition_implILS5_8ELb0ES3_jN6thrust23THRUST_200600_302600_NS6detail15normal_iteratorINSA_10device_ptrIiEEEEPS6_PKS6_NS0_5tupleIJSF_S6_EEENSJ_IJSG_SG_EEENS0_18inequality_wrapperI22is_equal_div_10_uniqueIiEEEPmJS6_EEE10hipError_tPvRmT3_T4_T5_T6_T7_T9_mT8_P12ihipStream_tbDpT10_ENKUlT_T0_E_clISt17integral_constantIbLb0EES19_IbLb1EEEEDaS15_S16_EUlS15_E_NS1_11comp_targetILNS1_3genE9ELNS1_11target_archE1100ELNS1_3gpuE3ELNS1_3repE0EEENS1_30default_config_static_selectorELNS0_4arch9wavefront6targetE1EEEvT1_: ; @_ZN7rocprim17ROCPRIM_400000_NS6detail17trampoline_kernelINS0_14default_configENS1_25partition_config_selectorILNS1_17partition_subalgoE8EiNS0_10empty_typeEbEEZZNS1_14partition_implILS5_8ELb0ES3_jN6thrust23THRUST_200600_302600_NS6detail15normal_iteratorINSA_10device_ptrIiEEEEPS6_PKS6_NS0_5tupleIJSF_S6_EEENSJ_IJSG_SG_EEENS0_18inequality_wrapperI22is_equal_div_10_uniqueIiEEEPmJS6_EEE10hipError_tPvRmT3_T4_T5_T6_T7_T9_mT8_P12ihipStream_tbDpT10_ENKUlT_T0_E_clISt17integral_constantIbLb0EES19_IbLb1EEEEDaS15_S16_EUlS15_E_NS1_11comp_targetILNS1_3genE9ELNS1_11target_archE1100ELNS1_3gpuE3ELNS1_3repE0EEENS1_30default_config_static_selectorELNS0_4arch9wavefront6targetE1EEEvT1_
; %bb.0:
	.section	.rodata,"a",@progbits
	.p2align	6, 0x0
	.amdhsa_kernel _ZN7rocprim17ROCPRIM_400000_NS6detail17trampoline_kernelINS0_14default_configENS1_25partition_config_selectorILNS1_17partition_subalgoE8EiNS0_10empty_typeEbEEZZNS1_14partition_implILS5_8ELb0ES3_jN6thrust23THRUST_200600_302600_NS6detail15normal_iteratorINSA_10device_ptrIiEEEEPS6_PKS6_NS0_5tupleIJSF_S6_EEENSJ_IJSG_SG_EEENS0_18inequality_wrapperI22is_equal_div_10_uniqueIiEEEPmJS6_EEE10hipError_tPvRmT3_T4_T5_T6_T7_T9_mT8_P12ihipStream_tbDpT10_ENKUlT_T0_E_clISt17integral_constantIbLb0EES19_IbLb1EEEEDaS15_S16_EUlS15_E_NS1_11comp_targetILNS1_3genE9ELNS1_11target_archE1100ELNS1_3gpuE3ELNS1_3repE0EEENS1_30default_config_static_selectorELNS0_4arch9wavefront6targetE1EEEvT1_
		.amdhsa_group_segment_fixed_size 0
		.amdhsa_private_segment_fixed_size 0
		.amdhsa_kernarg_size 128
		.amdhsa_user_sgpr_count 6
		.amdhsa_user_sgpr_private_segment_buffer 1
		.amdhsa_user_sgpr_dispatch_ptr 0
		.amdhsa_user_sgpr_queue_ptr 0
		.amdhsa_user_sgpr_kernarg_segment_ptr 1
		.amdhsa_user_sgpr_dispatch_id 0
		.amdhsa_user_sgpr_flat_scratch_init 0
		.amdhsa_user_sgpr_private_segment_size 0
		.amdhsa_uses_dynamic_stack 0
		.amdhsa_system_sgpr_private_segment_wavefront_offset 0
		.amdhsa_system_sgpr_workgroup_id_x 1
		.amdhsa_system_sgpr_workgroup_id_y 0
		.amdhsa_system_sgpr_workgroup_id_z 0
		.amdhsa_system_sgpr_workgroup_info 0
		.amdhsa_system_vgpr_workitem_id 0
		.amdhsa_next_free_vgpr 1
		.amdhsa_next_free_sgpr 0
		.amdhsa_reserve_vcc 0
		.amdhsa_reserve_flat_scratch 0
		.amdhsa_float_round_mode_32 0
		.amdhsa_float_round_mode_16_64 0
		.amdhsa_float_denorm_mode_32 3
		.amdhsa_float_denorm_mode_16_64 3
		.amdhsa_dx10_clamp 1
		.amdhsa_ieee_mode 1
		.amdhsa_fp16_overflow 0
		.amdhsa_exception_fp_ieee_invalid_op 0
		.amdhsa_exception_fp_denorm_src 0
		.amdhsa_exception_fp_ieee_div_zero 0
		.amdhsa_exception_fp_ieee_overflow 0
		.amdhsa_exception_fp_ieee_underflow 0
		.amdhsa_exception_fp_ieee_inexact 0
		.amdhsa_exception_int_div_zero 0
	.end_amdhsa_kernel
	.section	.text._ZN7rocprim17ROCPRIM_400000_NS6detail17trampoline_kernelINS0_14default_configENS1_25partition_config_selectorILNS1_17partition_subalgoE8EiNS0_10empty_typeEbEEZZNS1_14partition_implILS5_8ELb0ES3_jN6thrust23THRUST_200600_302600_NS6detail15normal_iteratorINSA_10device_ptrIiEEEEPS6_PKS6_NS0_5tupleIJSF_S6_EEENSJ_IJSG_SG_EEENS0_18inequality_wrapperI22is_equal_div_10_uniqueIiEEEPmJS6_EEE10hipError_tPvRmT3_T4_T5_T6_T7_T9_mT8_P12ihipStream_tbDpT10_ENKUlT_T0_E_clISt17integral_constantIbLb0EES19_IbLb1EEEEDaS15_S16_EUlS15_E_NS1_11comp_targetILNS1_3genE9ELNS1_11target_archE1100ELNS1_3gpuE3ELNS1_3repE0EEENS1_30default_config_static_selectorELNS0_4arch9wavefront6targetE1EEEvT1_,"axG",@progbits,_ZN7rocprim17ROCPRIM_400000_NS6detail17trampoline_kernelINS0_14default_configENS1_25partition_config_selectorILNS1_17partition_subalgoE8EiNS0_10empty_typeEbEEZZNS1_14partition_implILS5_8ELb0ES3_jN6thrust23THRUST_200600_302600_NS6detail15normal_iteratorINSA_10device_ptrIiEEEEPS6_PKS6_NS0_5tupleIJSF_S6_EEENSJ_IJSG_SG_EEENS0_18inequality_wrapperI22is_equal_div_10_uniqueIiEEEPmJS6_EEE10hipError_tPvRmT3_T4_T5_T6_T7_T9_mT8_P12ihipStream_tbDpT10_ENKUlT_T0_E_clISt17integral_constantIbLb0EES19_IbLb1EEEEDaS15_S16_EUlS15_E_NS1_11comp_targetILNS1_3genE9ELNS1_11target_archE1100ELNS1_3gpuE3ELNS1_3repE0EEENS1_30default_config_static_selectorELNS0_4arch9wavefront6targetE1EEEvT1_,comdat
.Lfunc_end466:
	.size	_ZN7rocprim17ROCPRIM_400000_NS6detail17trampoline_kernelINS0_14default_configENS1_25partition_config_selectorILNS1_17partition_subalgoE8EiNS0_10empty_typeEbEEZZNS1_14partition_implILS5_8ELb0ES3_jN6thrust23THRUST_200600_302600_NS6detail15normal_iteratorINSA_10device_ptrIiEEEEPS6_PKS6_NS0_5tupleIJSF_S6_EEENSJ_IJSG_SG_EEENS0_18inequality_wrapperI22is_equal_div_10_uniqueIiEEEPmJS6_EEE10hipError_tPvRmT3_T4_T5_T6_T7_T9_mT8_P12ihipStream_tbDpT10_ENKUlT_T0_E_clISt17integral_constantIbLb0EES19_IbLb1EEEEDaS15_S16_EUlS15_E_NS1_11comp_targetILNS1_3genE9ELNS1_11target_archE1100ELNS1_3gpuE3ELNS1_3repE0EEENS1_30default_config_static_selectorELNS0_4arch9wavefront6targetE1EEEvT1_, .Lfunc_end466-_ZN7rocprim17ROCPRIM_400000_NS6detail17trampoline_kernelINS0_14default_configENS1_25partition_config_selectorILNS1_17partition_subalgoE8EiNS0_10empty_typeEbEEZZNS1_14partition_implILS5_8ELb0ES3_jN6thrust23THRUST_200600_302600_NS6detail15normal_iteratorINSA_10device_ptrIiEEEEPS6_PKS6_NS0_5tupleIJSF_S6_EEENSJ_IJSG_SG_EEENS0_18inequality_wrapperI22is_equal_div_10_uniqueIiEEEPmJS6_EEE10hipError_tPvRmT3_T4_T5_T6_T7_T9_mT8_P12ihipStream_tbDpT10_ENKUlT_T0_E_clISt17integral_constantIbLb0EES19_IbLb1EEEEDaS15_S16_EUlS15_E_NS1_11comp_targetILNS1_3genE9ELNS1_11target_archE1100ELNS1_3gpuE3ELNS1_3repE0EEENS1_30default_config_static_selectorELNS0_4arch9wavefront6targetE1EEEvT1_
                                        ; -- End function
	.set _ZN7rocprim17ROCPRIM_400000_NS6detail17trampoline_kernelINS0_14default_configENS1_25partition_config_selectorILNS1_17partition_subalgoE8EiNS0_10empty_typeEbEEZZNS1_14partition_implILS5_8ELb0ES3_jN6thrust23THRUST_200600_302600_NS6detail15normal_iteratorINSA_10device_ptrIiEEEEPS6_PKS6_NS0_5tupleIJSF_S6_EEENSJ_IJSG_SG_EEENS0_18inequality_wrapperI22is_equal_div_10_uniqueIiEEEPmJS6_EEE10hipError_tPvRmT3_T4_T5_T6_T7_T9_mT8_P12ihipStream_tbDpT10_ENKUlT_T0_E_clISt17integral_constantIbLb0EES19_IbLb1EEEEDaS15_S16_EUlS15_E_NS1_11comp_targetILNS1_3genE9ELNS1_11target_archE1100ELNS1_3gpuE3ELNS1_3repE0EEENS1_30default_config_static_selectorELNS0_4arch9wavefront6targetE1EEEvT1_.num_vgpr, 0
	.set _ZN7rocprim17ROCPRIM_400000_NS6detail17trampoline_kernelINS0_14default_configENS1_25partition_config_selectorILNS1_17partition_subalgoE8EiNS0_10empty_typeEbEEZZNS1_14partition_implILS5_8ELb0ES3_jN6thrust23THRUST_200600_302600_NS6detail15normal_iteratorINSA_10device_ptrIiEEEEPS6_PKS6_NS0_5tupleIJSF_S6_EEENSJ_IJSG_SG_EEENS0_18inequality_wrapperI22is_equal_div_10_uniqueIiEEEPmJS6_EEE10hipError_tPvRmT3_T4_T5_T6_T7_T9_mT8_P12ihipStream_tbDpT10_ENKUlT_T0_E_clISt17integral_constantIbLb0EES19_IbLb1EEEEDaS15_S16_EUlS15_E_NS1_11comp_targetILNS1_3genE9ELNS1_11target_archE1100ELNS1_3gpuE3ELNS1_3repE0EEENS1_30default_config_static_selectorELNS0_4arch9wavefront6targetE1EEEvT1_.num_agpr, 0
	.set _ZN7rocprim17ROCPRIM_400000_NS6detail17trampoline_kernelINS0_14default_configENS1_25partition_config_selectorILNS1_17partition_subalgoE8EiNS0_10empty_typeEbEEZZNS1_14partition_implILS5_8ELb0ES3_jN6thrust23THRUST_200600_302600_NS6detail15normal_iteratorINSA_10device_ptrIiEEEEPS6_PKS6_NS0_5tupleIJSF_S6_EEENSJ_IJSG_SG_EEENS0_18inequality_wrapperI22is_equal_div_10_uniqueIiEEEPmJS6_EEE10hipError_tPvRmT3_T4_T5_T6_T7_T9_mT8_P12ihipStream_tbDpT10_ENKUlT_T0_E_clISt17integral_constantIbLb0EES19_IbLb1EEEEDaS15_S16_EUlS15_E_NS1_11comp_targetILNS1_3genE9ELNS1_11target_archE1100ELNS1_3gpuE3ELNS1_3repE0EEENS1_30default_config_static_selectorELNS0_4arch9wavefront6targetE1EEEvT1_.numbered_sgpr, 0
	.set _ZN7rocprim17ROCPRIM_400000_NS6detail17trampoline_kernelINS0_14default_configENS1_25partition_config_selectorILNS1_17partition_subalgoE8EiNS0_10empty_typeEbEEZZNS1_14partition_implILS5_8ELb0ES3_jN6thrust23THRUST_200600_302600_NS6detail15normal_iteratorINSA_10device_ptrIiEEEEPS6_PKS6_NS0_5tupleIJSF_S6_EEENSJ_IJSG_SG_EEENS0_18inequality_wrapperI22is_equal_div_10_uniqueIiEEEPmJS6_EEE10hipError_tPvRmT3_T4_T5_T6_T7_T9_mT8_P12ihipStream_tbDpT10_ENKUlT_T0_E_clISt17integral_constantIbLb0EES19_IbLb1EEEEDaS15_S16_EUlS15_E_NS1_11comp_targetILNS1_3genE9ELNS1_11target_archE1100ELNS1_3gpuE3ELNS1_3repE0EEENS1_30default_config_static_selectorELNS0_4arch9wavefront6targetE1EEEvT1_.num_named_barrier, 0
	.set _ZN7rocprim17ROCPRIM_400000_NS6detail17trampoline_kernelINS0_14default_configENS1_25partition_config_selectorILNS1_17partition_subalgoE8EiNS0_10empty_typeEbEEZZNS1_14partition_implILS5_8ELb0ES3_jN6thrust23THRUST_200600_302600_NS6detail15normal_iteratorINSA_10device_ptrIiEEEEPS6_PKS6_NS0_5tupleIJSF_S6_EEENSJ_IJSG_SG_EEENS0_18inequality_wrapperI22is_equal_div_10_uniqueIiEEEPmJS6_EEE10hipError_tPvRmT3_T4_T5_T6_T7_T9_mT8_P12ihipStream_tbDpT10_ENKUlT_T0_E_clISt17integral_constantIbLb0EES19_IbLb1EEEEDaS15_S16_EUlS15_E_NS1_11comp_targetILNS1_3genE9ELNS1_11target_archE1100ELNS1_3gpuE3ELNS1_3repE0EEENS1_30default_config_static_selectorELNS0_4arch9wavefront6targetE1EEEvT1_.private_seg_size, 0
	.set _ZN7rocprim17ROCPRIM_400000_NS6detail17trampoline_kernelINS0_14default_configENS1_25partition_config_selectorILNS1_17partition_subalgoE8EiNS0_10empty_typeEbEEZZNS1_14partition_implILS5_8ELb0ES3_jN6thrust23THRUST_200600_302600_NS6detail15normal_iteratorINSA_10device_ptrIiEEEEPS6_PKS6_NS0_5tupleIJSF_S6_EEENSJ_IJSG_SG_EEENS0_18inequality_wrapperI22is_equal_div_10_uniqueIiEEEPmJS6_EEE10hipError_tPvRmT3_T4_T5_T6_T7_T9_mT8_P12ihipStream_tbDpT10_ENKUlT_T0_E_clISt17integral_constantIbLb0EES19_IbLb1EEEEDaS15_S16_EUlS15_E_NS1_11comp_targetILNS1_3genE9ELNS1_11target_archE1100ELNS1_3gpuE3ELNS1_3repE0EEENS1_30default_config_static_selectorELNS0_4arch9wavefront6targetE1EEEvT1_.uses_vcc, 0
	.set _ZN7rocprim17ROCPRIM_400000_NS6detail17trampoline_kernelINS0_14default_configENS1_25partition_config_selectorILNS1_17partition_subalgoE8EiNS0_10empty_typeEbEEZZNS1_14partition_implILS5_8ELb0ES3_jN6thrust23THRUST_200600_302600_NS6detail15normal_iteratorINSA_10device_ptrIiEEEEPS6_PKS6_NS0_5tupleIJSF_S6_EEENSJ_IJSG_SG_EEENS0_18inequality_wrapperI22is_equal_div_10_uniqueIiEEEPmJS6_EEE10hipError_tPvRmT3_T4_T5_T6_T7_T9_mT8_P12ihipStream_tbDpT10_ENKUlT_T0_E_clISt17integral_constantIbLb0EES19_IbLb1EEEEDaS15_S16_EUlS15_E_NS1_11comp_targetILNS1_3genE9ELNS1_11target_archE1100ELNS1_3gpuE3ELNS1_3repE0EEENS1_30default_config_static_selectorELNS0_4arch9wavefront6targetE1EEEvT1_.uses_flat_scratch, 0
	.set _ZN7rocprim17ROCPRIM_400000_NS6detail17trampoline_kernelINS0_14default_configENS1_25partition_config_selectorILNS1_17partition_subalgoE8EiNS0_10empty_typeEbEEZZNS1_14partition_implILS5_8ELb0ES3_jN6thrust23THRUST_200600_302600_NS6detail15normal_iteratorINSA_10device_ptrIiEEEEPS6_PKS6_NS0_5tupleIJSF_S6_EEENSJ_IJSG_SG_EEENS0_18inequality_wrapperI22is_equal_div_10_uniqueIiEEEPmJS6_EEE10hipError_tPvRmT3_T4_T5_T6_T7_T9_mT8_P12ihipStream_tbDpT10_ENKUlT_T0_E_clISt17integral_constantIbLb0EES19_IbLb1EEEEDaS15_S16_EUlS15_E_NS1_11comp_targetILNS1_3genE9ELNS1_11target_archE1100ELNS1_3gpuE3ELNS1_3repE0EEENS1_30default_config_static_selectorELNS0_4arch9wavefront6targetE1EEEvT1_.has_dyn_sized_stack, 0
	.set _ZN7rocprim17ROCPRIM_400000_NS6detail17trampoline_kernelINS0_14default_configENS1_25partition_config_selectorILNS1_17partition_subalgoE8EiNS0_10empty_typeEbEEZZNS1_14partition_implILS5_8ELb0ES3_jN6thrust23THRUST_200600_302600_NS6detail15normal_iteratorINSA_10device_ptrIiEEEEPS6_PKS6_NS0_5tupleIJSF_S6_EEENSJ_IJSG_SG_EEENS0_18inequality_wrapperI22is_equal_div_10_uniqueIiEEEPmJS6_EEE10hipError_tPvRmT3_T4_T5_T6_T7_T9_mT8_P12ihipStream_tbDpT10_ENKUlT_T0_E_clISt17integral_constantIbLb0EES19_IbLb1EEEEDaS15_S16_EUlS15_E_NS1_11comp_targetILNS1_3genE9ELNS1_11target_archE1100ELNS1_3gpuE3ELNS1_3repE0EEENS1_30default_config_static_selectorELNS0_4arch9wavefront6targetE1EEEvT1_.has_recursion, 0
	.set _ZN7rocprim17ROCPRIM_400000_NS6detail17trampoline_kernelINS0_14default_configENS1_25partition_config_selectorILNS1_17partition_subalgoE8EiNS0_10empty_typeEbEEZZNS1_14partition_implILS5_8ELb0ES3_jN6thrust23THRUST_200600_302600_NS6detail15normal_iteratorINSA_10device_ptrIiEEEEPS6_PKS6_NS0_5tupleIJSF_S6_EEENSJ_IJSG_SG_EEENS0_18inequality_wrapperI22is_equal_div_10_uniqueIiEEEPmJS6_EEE10hipError_tPvRmT3_T4_T5_T6_T7_T9_mT8_P12ihipStream_tbDpT10_ENKUlT_T0_E_clISt17integral_constantIbLb0EES19_IbLb1EEEEDaS15_S16_EUlS15_E_NS1_11comp_targetILNS1_3genE9ELNS1_11target_archE1100ELNS1_3gpuE3ELNS1_3repE0EEENS1_30default_config_static_selectorELNS0_4arch9wavefront6targetE1EEEvT1_.has_indirect_call, 0
	.section	.AMDGPU.csdata,"",@progbits
; Kernel info:
; codeLenInByte = 0
; TotalNumSgprs: 4
; NumVgprs: 0
; ScratchSize: 0
; MemoryBound: 0
; FloatMode: 240
; IeeeMode: 1
; LDSByteSize: 0 bytes/workgroup (compile time only)
; SGPRBlocks: 0
; VGPRBlocks: 0
; NumSGPRsForWavesPerEU: 4
; NumVGPRsForWavesPerEU: 1
; Occupancy: 10
; WaveLimiterHint : 0
; COMPUTE_PGM_RSRC2:SCRATCH_EN: 0
; COMPUTE_PGM_RSRC2:USER_SGPR: 6
; COMPUTE_PGM_RSRC2:TRAP_HANDLER: 0
; COMPUTE_PGM_RSRC2:TGID_X_EN: 1
; COMPUTE_PGM_RSRC2:TGID_Y_EN: 0
; COMPUTE_PGM_RSRC2:TGID_Z_EN: 0
; COMPUTE_PGM_RSRC2:TIDIG_COMP_CNT: 0
	.section	.text._ZN7rocprim17ROCPRIM_400000_NS6detail17trampoline_kernelINS0_14default_configENS1_25partition_config_selectorILNS1_17partition_subalgoE8EiNS0_10empty_typeEbEEZZNS1_14partition_implILS5_8ELb0ES3_jN6thrust23THRUST_200600_302600_NS6detail15normal_iteratorINSA_10device_ptrIiEEEEPS6_PKS6_NS0_5tupleIJSF_S6_EEENSJ_IJSG_SG_EEENS0_18inequality_wrapperI22is_equal_div_10_uniqueIiEEEPmJS6_EEE10hipError_tPvRmT3_T4_T5_T6_T7_T9_mT8_P12ihipStream_tbDpT10_ENKUlT_T0_E_clISt17integral_constantIbLb0EES19_IbLb1EEEEDaS15_S16_EUlS15_E_NS1_11comp_targetILNS1_3genE8ELNS1_11target_archE1030ELNS1_3gpuE2ELNS1_3repE0EEENS1_30default_config_static_selectorELNS0_4arch9wavefront6targetE1EEEvT1_,"axG",@progbits,_ZN7rocprim17ROCPRIM_400000_NS6detail17trampoline_kernelINS0_14default_configENS1_25partition_config_selectorILNS1_17partition_subalgoE8EiNS0_10empty_typeEbEEZZNS1_14partition_implILS5_8ELb0ES3_jN6thrust23THRUST_200600_302600_NS6detail15normal_iteratorINSA_10device_ptrIiEEEEPS6_PKS6_NS0_5tupleIJSF_S6_EEENSJ_IJSG_SG_EEENS0_18inequality_wrapperI22is_equal_div_10_uniqueIiEEEPmJS6_EEE10hipError_tPvRmT3_T4_T5_T6_T7_T9_mT8_P12ihipStream_tbDpT10_ENKUlT_T0_E_clISt17integral_constantIbLb0EES19_IbLb1EEEEDaS15_S16_EUlS15_E_NS1_11comp_targetILNS1_3genE8ELNS1_11target_archE1030ELNS1_3gpuE2ELNS1_3repE0EEENS1_30default_config_static_selectorELNS0_4arch9wavefront6targetE1EEEvT1_,comdat
	.protected	_ZN7rocprim17ROCPRIM_400000_NS6detail17trampoline_kernelINS0_14default_configENS1_25partition_config_selectorILNS1_17partition_subalgoE8EiNS0_10empty_typeEbEEZZNS1_14partition_implILS5_8ELb0ES3_jN6thrust23THRUST_200600_302600_NS6detail15normal_iteratorINSA_10device_ptrIiEEEEPS6_PKS6_NS0_5tupleIJSF_S6_EEENSJ_IJSG_SG_EEENS0_18inequality_wrapperI22is_equal_div_10_uniqueIiEEEPmJS6_EEE10hipError_tPvRmT3_T4_T5_T6_T7_T9_mT8_P12ihipStream_tbDpT10_ENKUlT_T0_E_clISt17integral_constantIbLb0EES19_IbLb1EEEEDaS15_S16_EUlS15_E_NS1_11comp_targetILNS1_3genE8ELNS1_11target_archE1030ELNS1_3gpuE2ELNS1_3repE0EEENS1_30default_config_static_selectorELNS0_4arch9wavefront6targetE1EEEvT1_ ; -- Begin function _ZN7rocprim17ROCPRIM_400000_NS6detail17trampoline_kernelINS0_14default_configENS1_25partition_config_selectorILNS1_17partition_subalgoE8EiNS0_10empty_typeEbEEZZNS1_14partition_implILS5_8ELb0ES3_jN6thrust23THRUST_200600_302600_NS6detail15normal_iteratorINSA_10device_ptrIiEEEEPS6_PKS6_NS0_5tupleIJSF_S6_EEENSJ_IJSG_SG_EEENS0_18inequality_wrapperI22is_equal_div_10_uniqueIiEEEPmJS6_EEE10hipError_tPvRmT3_T4_T5_T6_T7_T9_mT8_P12ihipStream_tbDpT10_ENKUlT_T0_E_clISt17integral_constantIbLb0EES19_IbLb1EEEEDaS15_S16_EUlS15_E_NS1_11comp_targetILNS1_3genE8ELNS1_11target_archE1030ELNS1_3gpuE2ELNS1_3repE0EEENS1_30default_config_static_selectorELNS0_4arch9wavefront6targetE1EEEvT1_
	.globl	_ZN7rocprim17ROCPRIM_400000_NS6detail17trampoline_kernelINS0_14default_configENS1_25partition_config_selectorILNS1_17partition_subalgoE8EiNS0_10empty_typeEbEEZZNS1_14partition_implILS5_8ELb0ES3_jN6thrust23THRUST_200600_302600_NS6detail15normal_iteratorINSA_10device_ptrIiEEEEPS6_PKS6_NS0_5tupleIJSF_S6_EEENSJ_IJSG_SG_EEENS0_18inequality_wrapperI22is_equal_div_10_uniqueIiEEEPmJS6_EEE10hipError_tPvRmT3_T4_T5_T6_T7_T9_mT8_P12ihipStream_tbDpT10_ENKUlT_T0_E_clISt17integral_constantIbLb0EES19_IbLb1EEEEDaS15_S16_EUlS15_E_NS1_11comp_targetILNS1_3genE8ELNS1_11target_archE1030ELNS1_3gpuE2ELNS1_3repE0EEENS1_30default_config_static_selectorELNS0_4arch9wavefront6targetE1EEEvT1_
	.p2align	8
	.type	_ZN7rocprim17ROCPRIM_400000_NS6detail17trampoline_kernelINS0_14default_configENS1_25partition_config_selectorILNS1_17partition_subalgoE8EiNS0_10empty_typeEbEEZZNS1_14partition_implILS5_8ELb0ES3_jN6thrust23THRUST_200600_302600_NS6detail15normal_iteratorINSA_10device_ptrIiEEEEPS6_PKS6_NS0_5tupleIJSF_S6_EEENSJ_IJSG_SG_EEENS0_18inequality_wrapperI22is_equal_div_10_uniqueIiEEEPmJS6_EEE10hipError_tPvRmT3_T4_T5_T6_T7_T9_mT8_P12ihipStream_tbDpT10_ENKUlT_T0_E_clISt17integral_constantIbLb0EES19_IbLb1EEEEDaS15_S16_EUlS15_E_NS1_11comp_targetILNS1_3genE8ELNS1_11target_archE1030ELNS1_3gpuE2ELNS1_3repE0EEENS1_30default_config_static_selectorELNS0_4arch9wavefront6targetE1EEEvT1_,@function
_ZN7rocprim17ROCPRIM_400000_NS6detail17trampoline_kernelINS0_14default_configENS1_25partition_config_selectorILNS1_17partition_subalgoE8EiNS0_10empty_typeEbEEZZNS1_14partition_implILS5_8ELb0ES3_jN6thrust23THRUST_200600_302600_NS6detail15normal_iteratorINSA_10device_ptrIiEEEEPS6_PKS6_NS0_5tupleIJSF_S6_EEENSJ_IJSG_SG_EEENS0_18inequality_wrapperI22is_equal_div_10_uniqueIiEEEPmJS6_EEE10hipError_tPvRmT3_T4_T5_T6_T7_T9_mT8_P12ihipStream_tbDpT10_ENKUlT_T0_E_clISt17integral_constantIbLb0EES19_IbLb1EEEEDaS15_S16_EUlS15_E_NS1_11comp_targetILNS1_3genE8ELNS1_11target_archE1030ELNS1_3gpuE2ELNS1_3repE0EEENS1_30default_config_static_selectorELNS0_4arch9wavefront6targetE1EEEvT1_: ; @_ZN7rocprim17ROCPRIM_400000_NS6detail17trampoline_kernelINS0_14default_configENS1_25partition_config_selectorILNS1_17partition_subalgoE8EiNS0_10empty_typeEbEEZZNS1_14partition_implILS5_8ELb0ES3_jN6thrust23THRUST_200600_302600_NS6detail15normal_iteratorINSA_10device_ptrIiEEEEPS6_PKS6_NS0_5tupleIJSF_S6_EEENSJ_IJSG_SG_EEENS0_18inequality_wrapperI22is_equal_div_10_uniqueIiEEEPmJS6_EEE10hipError_tPvRmT3_T4_T5_T6_T7_T9_mT8_P12ihipStream_tbDpT10_ENKUlT_T0_E_clISt17integral_constantIbLb0EES19_IbLb1EEEEDaS15_S16_EUlS15_E_NS1_11comp_targetILNS1_3genE8ELNS1_11target_archE1030ELNS1_3gpuE2ELNS1_3repE0EEENS1_30default_config_static_selectorELNS0_4arch9wavefront6targetE1EEEvT1_
; %bb.0:
	.section	.rodata,"a",@progbits
	.p2align	6, 0x0
	.amdhsa_kernel _ZN7rocprim17ROCPRIM_400000_NS6detail17trampoline_kernelINS0_14default_configENS1_25partition_config_selectorILNS1_17partition_subalgoE8EiNS0_10empty_typeEbEEZZNS1_14partition_implILS5_8ELb0ES3_jN6thrust23THRUST_200600_302600_NS6detail15normal_iteratorINSA_10device_ptrIiEEEEPS6_PKS6_NS0_5tupleIJSF_S6_EEENSJ_IJSG_SG_EEENS0_18inequality_wrapperI22is_equal_div_10_uniqueIiEEEPmJS6_EEE10hipError_tPvRmT3_T4_T5_T6_T7_T9_mT8_P12ihipStream_tbDpT10_ENKUlT_T0_E_clISt17integral_constantIbLb0EES19_IbLb1EEEEDaS15_S16_EUlS15_E_NS1_11comp_targetILNS1_3genE8ELNS1_11target_archE1030ELNS1_3gpuE2ELNS1_3repE0EEENS1_30default_config_static_selectorELNS0_4arch9wavefront6targetE1EEEvT1_
		.amdhsa_group_segment_fixed_size 0
		.amdhsa_private_segment_fixed_size 0
		.amdhsa_kernarg_size 128
		.amdhsa_user_sgpr_count 6
		.amdhsa_user_sgpr_private_segment_buffer 1
		.amdhsa_user_sgpr_dispatch_ptr 0
		.amdhsa_user_sgpr_queue_ptr 0
		.amdhsa_user_sgpr_kernarg_segment_ptr 1
		.amdhsa_user_sgpr_dispatch_id 0
		.amdhsa_user_sgpr_flat_scratch_init 0
		.amdhsa_user_sgpr_private_segment_size 0
		.amdhsa_uses_dynamic_stack 0
		.amdhsa_system_sgpr_private_segment_wavefront_offset 0
		.amdhsa_system_sgpr_workgroup_id_x 1
		.amdhsa_system_sgpr_workgroup_id_y 0
		.amdhsa_system_sgpr_workgroup_id_z 0
		.amdhsa_system_sgpr_workgroup_info 0
		.amdhsa_system_vgpr_workitem_id 0
		.amdhsa_next_free_vgpr 1
		.amdhsa_next_free_sgpr 0
		.amdhsa_reserve_vcc 0
		.amdhsa_reserve_flat_scratch 0
		.amdhsa_float_round_mode_32 0
		.amdhsa_float_round_mode_16_64 0
		.amdhsa_float_denorm_mode_32 3
		.amdhsa_float_denorm_mode_16_64 3
		.amdhsa_dx10_clamp 1
		.amdhsa_ieee_mode 1
		.amdhsa_fp16_overflow 0
		.amdhsa_exception_fp_ieee_invalid_op 0
		.amdhsa_exception_fp_denorm_src 0
		.amdhsa_exception_fp_ieee_div_zero 0
		.amdhsa_exception_fp_ieee_overflow 0
		.amdhsa_exception_fp_ieee_underflow 0
		.amdhsa_exception_fp_ieee_inexact 0
		.amdhsa_exception_int_div_zero 0
	.end_amdhsa_kernel
	.section	.text._ZN7rocprim17ROCPRIM_400000_NS6detail17trampoline_kernelINS0_14default_configENS1_25partition_config_selectorILNS1_17partition_subalgoE8EiNS0_10empty_typeEbEEZZNS1_14partition_implILS5_8ELb0ES3_jN6thrust23THRUST_200600_302600_NS6detail15normal_iteratorINSA_10device_ptrIiEEEEPS6_PKS6_NS0_5tupleIJSF_S6_EEENSJ_IJSG_SG_EEENS0_18inequality_wrapperI22is_equal_div_10_uniqueIiEEEPmJS6_EEE10hipError_tPvRmT3_T4_T5_T6_T7_T9_mT8_P12ihipStream_tbDpT10_ENKUlT_T0_E_clISt17integral_constantIbLb0EES19_IbLb1EEEEDaS15_S16_EUlS15_E_NS1_11comp_targetILNS1_3genE8ELNS1_11target_archE1030ELNS1_3gpuE2ELNS1_3repE0EEENS1_30default_config_static_selectorELNS0_4arch9wavefront6targetE1EEEvT1_,"axG",@progbits,_ZN7rocprim17ROCPRIM_400000_NS6detail17trampoline_kernelINS0_14default_configENS1_25partition_config_selectorILNS1_17partition_subalgoE8EiNS0_10empty_typeEbEEZZNS1_14partition_implILS5_8ELb0ES3_jN6thrust23THRUST_200600_302600_NS6detail15normal_iteratorINSA_10device_ptrIiEEEEPS6_PKS6_NS0_5tupleIJSF_S6_EEENSJ_IJSG_SG_EEENS0_18inequality_wrapperI22is_equal_div_10_uniqueIiEEEPmJS6_EEE10hipError_tPvRmT3_T4_T5_T6_T7_T9_mT8_P12ihipStream_tbDpT10_ENKUlT_T0_E_clISt17integral_constantIbLb0EES19_IbLb1EEEEDaS15_S16_EUlS15_E_NS1_11comp_targetILNS1_3genE8ELNS1_11target_archE1030ELNS1_3gpuE2ELNS1_3repE0EEENS1_30default_config_static_selectorELNS0_4arch9wavefront6targetE1EEEvT1_,comdat
.Lfunc_end467:
	.size	_ZN7rocprim17ROCPRIM_400000_NS6detail17trampoline_kernelINS0_14default_configENS1_25partition_config_selectorILNS1_17partition_subalgoE8EiNS0_10empty_typeEbEEZZNS1_14partition_implILS5_8ELb0ES3_jN6thrust23THRUST_200600_302600_NS6detail15normal_iteratorINSA_10device_ptrIiEEEEPS6_PKS6_NS0_5tupleIJSF_S6_EEENSJ_IJSG_SG_EEENS0_18inequality_wrapperI22is_equal_div_10_uniqueIiEEEPmJS6_EEE10hipError_tPvRmT3_T4_T5_T6_T7_T9_mT8_P12ihipStream_tbDpT10_ENKUlT_T0_E_clISt17integral_constantIbLb0EES19_IbLb1EEEEDaS15_S16_EUlS15_E_NS1_11comp_targetILNS1_3genE8ELNS1_11target_archE1030ELNS1_3gpuE2ELNS1_3repE0EEENS1_30default_config_static_selectorELNS0_4arch9wavefront6targetE1EEEvT1_, .Lfunc_end467-_ZN7rocprim17ROCPRIM_400000_NS6detail17trampoline_kernelINS0_14default_configENS1_25partition_config_selectorILNS1_17partition_subalgoE8EiNS0_10empty_typeEbEEZZNS1_14partition_implILS5_8ELb0ES3_jN6thrust23THRUST_200600_302600_NS6detail15normal_iteratorINSA_10device_ptrIiEEEEPS6_PKS6_NS0_5tupleIJSF_S6_EEENSJ_IJSG_SG_EEENS0_18inequality_wrapperI22is_equal_div_10_uniqueIiEEEPmJS6_EEE10hipError_tPvRmT3_T4_T5_T6_T7_T9_mT8_P12ihipStream_tbDpT10_ENKUlT_T0_E_clISt17integral_constantIbLb0EES19_IbLb1EEEEDaS15_S16_EUlS15_E_NS1_11comp_targetILNS1_3genE8ELNS1_11target_archE1030ELNS1_3gpuE2ELNS1_3repE0EEENS1_30default_config_static_selectorELNS0_4arch9wavefront6targetE1EEEvT1_
                                        ; -- End function
	.set _ZN7rocprim17ROCPRIM_400000_NS6detail17trampoline_kernelINS0_14default_configENS1_25partition_config_selectorILNS1_17partition_subalgoE8EiNS0_10empty_typeEbEEZZNS1_14partition_implILS5_8ELb0ES3_jN6thrust23THRUST_200600_302600_NS6detail15normal_iteratorINSA_10device_ptrIiEEEEPS6_PKS6_NS0_5tupleIJSF_S6_EEENSJ_IJSG_SG_EEENS0_18inequality_wrapperI22is_equal_div_10_uniqueIiEEEPmJS6_EEE10hipError_tPvRmT3_T4_T5_T6_T7_T9_mT8_P12ihipStream_tbDpT10_ENKUlT_T0_E_clISt17integral_constantIbLb0EES19_IbLb1EEEEDaS15_S16_EUlS15_E_NS1_11comp_targetILNS1_3genE8ELNS1_11target_archE1030ELNS1_3gpuE2ELNS1_3repE0EEENS1_30default_config_static_selectorELNS0_4arch9wavefront6targetE1EEEvT1_.num_vgpr, 0
	.set _ZN7rocprim17ROCPRIM_400000_NS6detail17trampoline_kernelINS0_14default_configENS1_25partition_config_selectorILNS1_17partition_subalgoE8EiNS0_10empty_typeEbEEZZNS1_14partition_implILS5_8ELb0ES3_jN6thrust23THRUST_200600_302600_NS6detail15normal_iteratorINSA_10device_ptrIiEEEEPS6_PKS6_NS0_5tupleIJSF_S6_EEENSJ_IJSG_SG_EEENS0_18inequality_wrapperI22is_equal_div_10_uniqueIiEEEPmJS6_EEE10hipError_tPvRmT3_T4_T5_T6_T7_T9_mT8_P12ihipStream_tbDpT10_ENKUlT_T0_E_clISt17integral_constantIbLb0EES19_IbLb1EEEEDaS15_S16_EUlS15_E_NS1_11comp_targetILNS1_3genE8ELNS1_11target_archE1030ELNS1_3gpuE2ELNS1_3repE0EEENS1_30default_config_static_selectorELNS0_4arch9wavefront6targetE1EEEvT1_.num_agpr, 0
	.set _ZN7rocprim17ROCPRIM_400000_NS6detail17trampoline_kernelINS0_14default_configENS1_25partition_config_selectorILNS1_17partition_subalgoE8EiNS0_10empty_typeEbEEZZNS1_14partition_implILS5_8ELb0ES3_jN6thrust23THRUST_200600_302600_NS6detail15normal_iteratorINSA_10device_ptrIiEEEEPS6_PKS6_NS0_5tupleIJSF_S6_EEENSJ_IJSG_SG_EEENS0_18inequality_wrapperI22is_equal_div_10_uniqueIiEEEPmJS6_EEE10hipError_tPvRmT3_T4_T5_T6_T7_T9_mT8_P12ihipStream_tbDpT10_ENKUlT_T0_E_clISt17integral_constantIbLb0EES19_IbLb1EEEEDaS15_S16_EUlS15_E_NS1_11comp_targetILNS1_3genE8ELNS1_11target_archE1030ELNS1_3gpuE2ELNS1_3repE0EEENS1_30default_config_static_selectorELNS0_4arch9wavefront6targetE1EEEvT1_.numbered_sgpr, 0
	.set _ZN7rocprim17ROCPRIM_400000_NS6detail17trampoline_kernelINS0_14default_configENS1_25partition_config_selectorILNS1_17partition_subalgoE8EiNS0_10empty_typeEbEEZZNS1_14partition_implILS5_8ELb0ES3_jN6thrust23THRUST_200600_302600_NS6detail15normal_iteratorINSA_10device_ptrIiEEEEPS6_PKS6_NS0_5tupleIJSF_S6_EEENSJ_IJSG_SG_EEENS0_18inequality_wrapperI22is_equal_div_10_uniqueIiEEEPmJS6_EEE10hipError_tPvRmT3_T4_T5_T6_T7_T9_mT8_P12ihipStream_tbDpT10_ENKUlT_T0_E_clISt17integral_constantIbLb0EES19_IbLb1EEEEDaS15_S16_EUlS15_E_NS1_11comp_targetILNS1_3genE8ELNS1_11target_archE1030ELNS1_3gpuE2ELNS1_3repE0EEENS1_30default_config_static_selectorELNS0_4arch9wavefront6targetE1EEEvT1_.num_named_barrier, 0
	.set _ZN7rocprim17ROCPRIM_400000_NS6detail17trampoline_kernelINS0_14default_configENS1_25partition_config_selectorILNS1_17partition_subalgoE8EiNS0_10empty_typeEbEEZZNS1_14partition_implILS5_8ELb0ES3_jN6thrust23THRUST_200600_302600_NS6detail15normal_iteratorINSA_10device_ptrIiEEEEPS6_PKS6_NS0_5tupleIJSF_S6_EEENSJ_IJSG_SG_EEENS0_18inequality_wrapperI22is_equal_div_10_uniqueIiEEEPmJS6_EEE10hipError_tPvRmT3_T4_T5_T6_T7_T9_mT8_P12ihipStream_tbDpT10_ENKUlT_T0_E_clISt17integral_constantIbLb0EES19_IbLb1EEEEDaS15_S16_EUlS15_E_NS1_11comp_targetILNS1_3genE8ELNS1_11target_archE1030ELNS1_3gpuE2ELNS1_3repE0EEENS1_30default_config_static_selectorELNS0_4arch9wavefront6targetE1EEEvT1_.private_seg_size, 0
	.set _ZN7rocprim17ROCPRIM_400000_NS6detail17trampoline_kernelINS0_14default_configENS1_25partition_config_selectorILNS1_17partition_subalgoE8EiNS0_10empty_typeEbEEZZNS1_14partition_implILS5_8ELb0ES3_jN6thrust23THRUST_200600_302600_NS6detail15normal_iteratorINSA_10device_ptrIiEEEEPS6_PKS6_NS0_5tupleIJSF_S6_EEENSJ_IJSG_SG_EEENS0_18inequality_wrapperI22is_equal_div_10_uniqueIiEEEPmJS6_EEE10hipError_tPvRmT3_T4_T5_T6_T7_T9_mT8_P12ihipStream_tbDpT10_ENKUlT_T0_E_clISt17integral_constantIbLb0EES19_IbLb1EEEEDaS15_S16_EUlS15_E_NS1_11comp_targetILNS1_3genE8ELNS1_11target_archE1030ELNS1_3gpuE2ELNS1_3repE0EEENS1_30default_config_static_selectorELNS0_4arch9wavefront6targetE1EEEvT1_.uses_vcc, 0
	.set _ZN7rocprim17ROCPRIM_400000_NS6detail17trampoline_kernelINS0_14default_configENS1_25partition_config_selectorILNS1_17partition_subalgoE8EiNS0_10empty_typeEbEEZZNS1_14partition_implILS5_8ELb0ES3_jN6thrust23THRUST_200600_302600_NS6detail15normal_iteratorINSA_10device_ptrIiEEEEPS6_PKS6_NS0_5tupleIJSF_S6_EEENSJ_IJSG_SG_EEENS0_18inequality_wrapperI22is_equal_div_10_uniqueIiEEEPmJS6_EEE10hipError_tPvRmT3_T4_T5_T6_T7_T9_mT8_P12ihipStream_tbDpT10_ENKUlT_T0_E_clISt17integral_constantIbLb0EES19_IbLb1EEEEDaS15_S16_EUlS15_E_NS1_11comp_targetILNS1_3genE8ELNS1_11target_archE1030ELNS1_3gpuE2ELNS1_3repE0EEENS1_30default_config_static_selectorELNS0_4arch9wavefront6targetE1EEEvT1_.uses_flat_scratch, 0
	.set _ZN7rocprim17ROCPRIM_400000_NS6detail17trampoline_kernelINS0_14default_configENS1_25partition_config_selectorILNS1_17partition_subalgoE8EiNS0_10empty_typeEbEEZZNS1_14partition_implILS5_8ELb0ES3_jN6thrust23THRUST_200600_302600_NS6detail15normal_iteratorINSA_10device_ptrIiEEEEPS6_PKS6_NS0_5tupleIJSF_S6_EEENSJ_IJSG_SG_EEENS0_18inequality_wrapperI22is_equal_div_10_uniqueIiEEEPmJS6_EEE10hipError_tPvRmT3_T4_T5_T6_T7_T9_mT8_P12ihipStream_tbDpT10_ENKUlT_T0_E_clISt17integral_constantIbLb0EES19_IbLb1EEEEDaS15_S16_EUlS15_E_NS1_11comp_targetILNS1_3genE8ELNS1_11target_archE1030ELNS1_3gpuE2ELNS1_3repE0EEENS1_30default_config_static_selectorELNS0_4arch9wavefront6targetE1EEEvT1_.has_dyn_sized_stack, 0
	.set _ZN7rocprim17ROCPRIM_400000_NS6detail17trampoline_kernelINS0_14default_configENS1_25partition_config_selectorILNS1_17partition_subalgoE8EiNS0_10empty_typeEbEEZZNS1_14partition_implILS5_8ELb0ES3_jN6thrust23THRUST_200600_302600_NS6detail15normal_iteratorINSA_10device_ptrIiEEEEPS6_PKS6_NS0_5tupleIJSF_S6_EEENSJ_IJSG_SG_EEENS0_18inequality_wrapperI22is_equal_div_10_uniqueIiEEEPmJS6_EEE10hipError_tPvRmT3_T4_T5_T6_T7_T9_mT8_P12ihipStream_tbDpT10_ENKUlT_T0_E_clISt17integral_constantIbLb0EES19_IbLb1EEEEDaS15_S16_EUlS15_E_NS1_11comp_targetILNS1_3genE8ELNS1_11target_archE1030ELNS1_3gpuE2ELNS1_3repE0EEENS1_30default_config_static_selectorELNS0_4arch9wavefront6targetE1EEEvT1_.has_recursion, 0
	.set _ZN7rocprim17ROCPRIM_400000_NS6detail17trampoline_kernelINS0_14default_configENS1_25partition_config_selectorILNS1_17partition_subalgoE8EiNS0_10empty_typeEbEEZZNS1_14partition_implILS5_8ELb0ES3_jN6thrust23THRUST_200600_302600_NS6detail15normal_iteratorINSA_10device_ptrIiEEEEPS6_PKS6_NS0_5tupleIJSF_S6_EEENSJ_IJSG_SG_EEENS0_18inequality_wrapperI22is_equal_div_10_uniqueIiEEEPmJS6_EEE10hipError_tPvRmT3_T4_T5_T6_T7_T9_mT8_P12ihipStream_tbDpT10_ENKUlT_T0_E_clISt17integral_constantIbLb0EES19_IbLb1EEEEDaS15_S16_EUlS15_E_NS1_11comp_targetILNS1_3genE8ELNS1_11target_archE1030ELNS1_3gpuE2ELNS1_3repE0EEENS1_30default_config_static_selectorELNS0_4arch9wavefront6targetE1EEEvT1_.has_indirect_call, 0
	.section	.AMDGPU.csdata,"",@progbits
; Kernel info:
; codeLenInByte = 0
; TotalNumSgprs: 4
; NumVgprs: 0
; ScratchSize: 0
; MemoryBound: 0
; FloatMode: 240
; IeeeMode: 1
; LDSByteSize: 0 bytes/workgroup (compile time only)
; SGPRBlocks: 0
; VGPRBlocks: 0
; NumSGPRsForWavesPerEU: 4
; NumVGPRsForWavesPerEU: 1
; Occupancy: 10
; WaveLimiterHint : 0
; COMPUTE_PGM_RSRC2:SCRATCH_EN: 0
; COMPUTE_PGM_RSRC2:USER_SGPR: 6
; COMPUTE_PGM_RSRC2:TRAP_HANDLER: 0
; COMPUTE_PGM_RSRC2:TGID_X_EN: 1
; COMPUTE_PGM_RSRC2:TGID_Y_EN: 0
; COMPUTE_PGM_RSRC2:TGID_Z_EN: 0
; COMPUTE_PGM_RSRC2:TIDIG_COMP_CNT: 0
	.section	.text._ZN6thrust23THRUST_200600_302600_NS11hip_rocprim14__parallel_for6kernelILj256ENS1_20__uninitialized_fill7functorINS0_10device_ptrIsEEsEEmLj1EEEvT0_T1_SA_,"axG",@progbits,_ZN6thrust23THRUST_200600_302600_NS11hip_rocprim14__parallel_for6kernelILj256ENS1_20__uninitialized_fill7functorINS0_10device_ptrIsEEsEEmLj1EEEvT0_T1_SA_,comdat
	.protected	_ZN6thrust23THRUST_200600_302600_NS11hip_rocprim14__parallel_for6kernelILj256ENS1_20__uninitialized_fill7functorINS0_10device_ptrIsEEsEEmLj1EEEvT0_T1_SA_ ; -- Begin function _ZN6thrust23THRUST_200600_302600_NS11hip_rocprim14__parallel_for6kernelILj256ENS1_20__uninitialized_fill7functorINS0_10device_ptrIsEEsEEmLj1EEEvT0_T1_SA_
	.globl	_ZN6thrust23THRUST_200600_302600_NS11hip_rocprim14__parallel_for6kernelILj256ENS1_20__uninitialized_fill7functorINS0_10device_ptrIsEEsEEmLj1EEEvT0_T1_SA_
	.p2align	8
	.type	_ZN6thrust23THRUST_200600_302600_NS11hip_rocprim14__parallel_for6kernelILj256ENS1_20__uninitialized_fill7functorINS0_10device_ptrIsEEsEEmLj1EEEvT0_T1_SA_,@function
_ZN6thrust23THRUST_200600_302600_NS11hip_rocprim14__parallel_for6kernelILj256ENS1_20__uninitialized_fill7functorINS0_10device_ptrIsEEsEEmLj1EEEvT0_T1_SA_: ; @_ZN6thrust23THRUST_200600_302600_NS11hip_rocprim14__parallel_for6kernelILj256ENS1_20__uninitialized_fill7functorINS0_10device_ptrIsEEsEEmLj1EEEvT0_T1_SA_
; %bb.0:
	s_load_dwordx4 s[12:15], s[4:5], 0x10
	s_load_dwordx2 s[0:1], s[4:5], 0x0
	s_load_dword s8, s[4:5], 0x8
	s_lshl_b32 s2, s6, 8
	v_mov_b32_e32 v1, 0xff
	s_waitcnt lgkmcnt(0)
	s_add_u32 s2, s14, s2
	s_addc_u32 s3, s15, 0
	s_sub_u32 s4, s12, s2
	v_mov_b32_e32 v2, 0
	s_subb_u32 s5, s13, s3
	v_cmp_gt_u64_e32 vcc, s[4:5], v[1:2]
	s_mov_b64 s[6:7], -1
	s_cbranch_vccz .LBB468_3
; %bb.1:
	s_andn2_b64 vcc, exec, s[6:7]
	s_cbranch_vccz .LBB468_6
.LBB468_2:
	s_endpgm
.LBB468_3:
	v_cmp_gt_u32_e32 vcc, s4, v0
	s_and_saveexec_b64 s[4:5], vcc
	s_cbranch_execz .LBB468_5
; %bb.4:
	s_lshl_b64 s[6:7], s[2:3], 1
	s_add_u32 s6, s0, s6
	s_addc_u32 s7, s1, s7
	v_lshlrev_b32_e32 v1, 1, v0
	v_mov_b32_e32 v2, s7
	v_add_co_u32_e32 v1, vcc, s6, v1
	v_addc_co_u32_e32 v2, vcc, 0, v2, vcc
	v_mov_b32_e32 v3, s8
	flat_store_short v[1:2], v3
.LBB468_5:
	s_or_b64 exec, exec, s[4:5]
	s_cbranch_execnz .LBB468_2
.LBB468_6:
	s_lshl_b64 s[2:3], s[2:3], 1
	s_add_u32 s0, s0, s2
	s_addc_u32 s1, s1, s3
	v_lshlrev_b32_e32 v0, 1, v0
	v_mov_b32_e32 v1, s1
	v_add_co_u32_e32 v0, vcc, s0, v0
	v_addc_co_u32_e32 v1, vcc, 0, v1, vcc
	v_mov_b32_e32 v2, s8
	flat_store_short v[0:1], v2
	s_endpgm
	.section	.rodata,"a",@progbits
	.p2align	6, 0x0
	.amdhsa_kernel _ZN6thrust23THRUST_200600_302600_NS11hip_rocprim14__parallel_for6kernelILj256ENS1_20__uninitialized_fill7functorINS0_10device_ptrIsEEsEEmLj1EEEvT0_T1_SA_
		.amdhsa_group_segment_fixed_size 0
		.amdhsa_private_segment_fixed_size 0
		.amdhsa_kernarg_size 32
		.amdhsa_user_sgpr_count 6
		.amdhsa_user_sgpr_private_segment_buffer 1
		.amdhsa_user_sgpr_dispatch_ptr 0
		.amdhsa_user_sgpr_queue_ptr 0
		.amdhsa_user_sgpr_kernarg_segment_ptr 1
		.amdhsa_user_sgpr_dispatch_id 0
		.amdhsa_user_sgpr_flat_scratch_init 0
		.amdhsa_user_sgpr_private_segment_size 0
		.amdhsa_uses_dynamic_stack 0
		.amdhsa_system_sgpr_private_segment_wavefront_offset 0
		.amdhsa_system_sgpr_workgroup_id_x 1
		.amdhsa_system_sgpr_workgroup_id_y 0
		.amdhsa_system_sgpr_workgroup_id_z 0
		.amdhsa_system_sgpr_workgroup_info 0
		.amdhsa_system_vgpr_workitem_id 0
		.amdhsa_next_free_vgpr 4
		.amdhsa_next_free_sgpr 16
		.amdhsa_reserve_vcc 1
		.amdhsa_reserve_flat_scratch 0
		.amdhsa_float_round_mode_32 0
		.amdhsa_float_round_mode_16_64 0
		.amdhsa_float_denorm_mode_32 3
		.amdhsa_float_denorm_mode_16_64 3
		.amdhsa_dx10_clamp 1
		.amdhsa_ieee_mode 1
		.amdhsa_fp16_overflow 0
		.amdhsa_exception_fp_ieee_invalid_op 0
		.amdhsa_exception_fp_denorm_src 0
		.amdhsa_exception_fp_ieee_div_zero 0
		.amdhsa_exception_fp_ieee_overflow 0
		.amdhsa_exception_fp_ieee_underflow 0
		.amdhsa_exception_fp_ieee_inexact 0
		.amdhsa_exception_int_div_zero 0
	.end_amdhsa_kernel
	.section	.text._ZN6thrust23THRUST_200600_302600_NS11hip_rocprim14__parallel_for6kernelILj256ENS1_20__uninitialized_fill7functorINS0_10device_ptrIsEEsEEmLj1EEEvT0_T1_SA_,"axG",@progbits,_ZN6thrust23THRUST_200600_302600_NS11hip_rocprim14__parallel_for6kernelILj256ENS1_20__uninitialized_fill7functorINS0_10device_ptrIsEEsEEmLj1EEEvT0_T1_SA_,comdat
.Lfunc_end468:
	.size	_ZN6thrust23THRUST_200600_302600_NS11hip_rocprim14__parallel_for6kernelILj256ENS1_20__uninitialized_fill7functorINS0_10device_ptrIsEEsEEmLj1EEEvT0_T1_SA_, .Lfunc_end468-_ZN6thrust23THRUST_200600_302600_NS11hip_rocprim14__parallel_for6kernelILj256ENS1_20__uninitialized_fill7functorINS0_10device_ptrIsEEsEEmLj1EEEvT0_T1_SA_
                                        ; -- End function
	.set _ZN6thrust23THRUST_200600_302600_NS11hip_rocprim14__parallel_for6kernelILj256ENS1_20__uninitialized_fill7functorINS0_10device_ptrIsEEsEEmLj1EEEvT0_T1_SA_.num_vgpr, 4
	.set _ZN6thrust23THRUST_200600_302600_NS11hip_rocprim14__parallel_for6kernelILj256ENS1_20__uninitialized_fill7functorINS0_10device_ptrIsEEsEEmLj1EEEvT0_T1_SA_.num_agpr, 0
	.set _ZN6thrust23THRUST_200600_302600_NS11hip_rocprim14__parallel_for6kernelILj256ENS1_20__uninitialized_fill7functorINS0_10device_ptrIsEEsEEmLj1EEEvT0_T1_SA_.numbered_sgpr, 16
	.set _ZN6thrust23THRUST_200600_302600_NS11hip_rocprim14__parallel_for6kernelILj256ENS1_20__uninitialized_fill7functorINS0_10device_ptrIsEEsEEmLj1EEEvT0_T1_SA_.num_named_barrier, 0
	.set _ZN6thrust23THRUST_200600_302600_NS11hip_rocprim14__parallel_for6kernelILj256ENS1_20__uninitialized_fill7functorINS0_10device_ptrIsEEsEEmLj1EEEvT0_T1_SA_.private_seg_size, 0
	.set _ZN6thrust23THRUST_200600_302600_NS11hip_rocprim14__parallel_for6kernelILj256ENS1_20__uninitialized_fill7functorINS0_10device_ptrIsEEsEEmLj1EEEvT0_T1_SA_.uses_vcc, 1
	.set _ZN6thrust23THRUST_200600_302600_NS11hip_rocprim14__parallel_for6kernelILj256ENS1_20__uninitialized_fill7functorINS0_10device_ptrIsEEsEEmLj1EEEvT0_T1_SA_.uses_flat_scratch, 0
	.set _ZN6thrust23THRUST_200600_302600_NS11hip_rocprim14__parallel_for6kernelILj256ENS1_20__uninitialized_fill7functorINS0_10device_ptrIsEEsEEmLj1EEEvT0_T1_SA_.has_dyn_sized_stack, 0
	.set _ZN6thrust23THRUST_200600_302600_NS11hip_rocprim14__parallel_for6kernelILj256ENS1_20__uninitialized_fill7functorINS0_10device_ptrIsEEsEEmLj1EEEvT0_T1_SA_.has_recursion, 0
	.set _ZN6thrust23THRUST_200600_302600_NS11hip_rocprim14__parallel_for6kernelILj256ENS1_20__uninitialized_fill7functorINS0_10device_ptrIsEEsEEmLj1EEEvT0_T1_SA_.has_indirect_call, 0
	.section	.AMDGPU.csdata,"",@progbits
; Kernel info:
; codeLenInByte = 188
; TotalNumSgprs: 20
; NumVgprs: 4
; ScratchSize: 0
; MemoryBound: 0
; FloatMode: 240
; IeeeMode: 1
; LDSByteSize: 0 bytes/workgroup (compile time only)
; SGPRBlocks: 2
; VGPRBlocks: 0
; NumSGPRsForWavesPerEU: 20
; NumVGPRsForWavesPerEU: 4
; Occupancy: 10
; WaveLimiterHint : 0
; COMPUTE_PGM_RSRC2:SCRATCH_EN: 0
; COMPUTE_PGM_RSRC2:USER_SGPR: 6
; COMPUTE_PGM_RSRC2:TRAP_HANDLER: 0
; COMPUTE_PGM_RSRC2:TGID_X_EN: 1
; COMPUTE_PGM_RSRC2:TGID_Y_EN: 0
; COMPUTE_PGM_RSRC2:TGID_Z_EN: 0
; COMPUTE_PGM_RSRC2:TIDIG_COMP_CNT: 0
	.section	.text._ZN7rocprim17ROCPRIM_400000_NS6detail17trampoline_kernelINS0_14default_configENS1_25partition_config_selectorILNS1_17partition_subalgoE8EsNS0_10empty_typeEbEEZZNS1_14partition_implILS5_8ELb0ES3_jN6thrust23THRUST_200600_302600_NS6detail15normal_iteratorINSA_10device_ptrIsEEEEPS6_PKS6_NS0_5tupleIJSF_S6_EEENSJ_IJSG_SG_EEENS0_18inequality_wrapperINSA_8equal_toIsEEEEPmJS6_EEE10hipError_tPvRmT3_T4_T5_T6_T7_T9_mT8_P12ihipStream_tbDpT10_ENKUlT_T0_E_clISt17integral_constantIbLb0EES1A_EEDaS15_S16_EUlS15_E_NS1_11comp_targetILNS1_3genE0ELNS1_11target_archE4294967295ELNS1_3gpuE0ELNS1_3repE0EEENS1_30default_config_static_selectorELNS0_4arch9wavefront6targetE1EEEvT1_,"axG",@progbits,_ZN7rocprim17ROCPRIM_400000_NS6detail17trampoline_kernelINS0_14default_configENS1_25partition_config_selectorILNS1_17partition_subalgoE8EsNS0_10empty_typeEbEEZZNS1_14partition_implILS5_8ELb0ES3_jN6thrust23THRUST_200600_302600_NS6detail15normal_iteratorINSA_10device_ptrIsEEEEPS6_PKS6_NS0_5tupleIJSF_S6_EEENSJ_IJSG_SG_EEENS0_18inequality_wrapperINSA_8equal_toIsEEEEPmJS6_EEE10hipError_tPvRmT3_T4_T5_T6_T7_T9_mT8_P12ihipStream_tbDpT10_ENKUlT_T0_E_clISt17integral_constantIbLb0EES1A_EEDaS15_S16_EUlS15_E_NS1_11comp_targetILNS1_3genE0ELNS1_11target_archE4294967295ELNS1_3gpuE0ELNS1_3repE0EEENS1_30default_config_static_selectorELNS0_4arch9wavefront6targetE1EEEvT1_,comdat
	.protected	_ZN7rocprim17ROCPRIM_400000_NS6detail17trampoline_kernelINS0_14default_configENS1_25partition_config_selectorILNS1_17partition_subalgoE8EsNS0_10empty_typeEbEEZZNS1_14partition_implILS5_8ELb0ES3_jN6thrust23THRUST_200600_302600_NS6detail15normal_iteratorINSA_10device_ptrIsEEEEPS6_PKS6_NS0_5tupleIJSF_S6_EEENSJ_IJSG_SG_EEENS0_18inequality_wrapperINSA_8equal_toIsEEEEPmJS6_EEE10hipError_tPvRmT3_T4_T5_T6_T7_T9_mT8_P12ihipStream_tbDpT10_ENKUlT_T0_E_clISt17integral_constantIbLb0EES1A_EEDaS15_S16_EUlS15_E_NS1_11comp_targetILNS1_3genE0ELNS1_11target_archE4294967295ELNS1_3gpuE0ELNS1_3repE0EEENS1_30default_config_static_selectorELNS0_4arch9wavefront6targetE1EEEvT1_ ; -- Begin function _ZN7rocprim17ROCPRIM_400000_NS6detail17trampoline_kernelINS0_14default_configENS1_25partition_config_selectorILNS1_17partition_subalgoE8EsNS0_10empty_typeEbEEZZNS1_14partition_implILS5_8ELb0ES3_jN6thrust23THRUST_200600_302600_NS6detail15normal_iteratorINSA_10device_ptrIsEEEEPS6_PKS6_NS0_5tupleIJSF_S6_EEENSJ_IJSG_SG_EEENS0_18inequality_wrapperINSA_8equal_toIsEEEEPmJS6_EEE10hipError_tPvRmT3_T4_T5_T6_T7_T9_mT8_P12ihipStream_tbDpT10_ENKUlT_T0_E_clISt17integral_constantIbLb0EES1A_EEDaS15_S16_EUlS15_E_NS1_11comp_targetILNS1_3genE0ELNS1_11target_archE4294967295ELNS1_3gpuE0ELNS1_3repE0EEENS1_30default_config_static_selectorELNS0_4arch9wavefront6targetE1EEEvT1_
	.globl	_ZN7rocprim17ROCPRIM_400000_NS6detail17trampoline_kernelINS0_14default_configENS1_25partition_config_selectorILNS1_17partition_subalgoE8EsNS0_10empty_typeEbEEZZNS1_14partition_implILS5_8ELb0ES3_jN6thrust23THRUST_200600_302600_NS6detail15normal_iteratorINSA_10device_ptrIsEEEEPS6_PKS6_NS0_5tupleIJSF_S6_EEENSJ_IJSG_SG_EEENS0_18inequality_wrapperINSA_8equal_toIsEEEEPmJS6_EEE10hipError_tPvRmT3_T4_T5_T6_T7_T9_mT8_P12ihipStream_tbDpT10_ENKUlT_T0_E_clISt17integral_constantIbLb0EES1A_EEDaS15_S16_EUlS15_E_NS1_11comp_targetILNS1_3genE0ELNS1_11target_archE4294967295ELNS1_3gpuE0ELNS1_3repE0EEENS1_30default_config_static_selectorELNS0_4arch9wavefront6targetE1EEEvT1_
	.p2align	8
	.type	_ZN7rocprim17ROCPRIM_400000_NS6detail17trampoline_kernelINS0_14default_configENS1_25partition_config_selectorILNS1_17partition_subalgoE8EsNS0_10empty_typeEbEEZZNS1_14partition_implILS5_8ELb0ES3_jN6thrust23THRUST_200600_302600_NS6detail15normal_iteratorINSA_10device_ptrIsEEEEPS6_PKS6_NS0_5tupleIJSF_S6_EEENSJ_IJSG_SG_EEENS0_18inequality_wrapperINSA_8equal_toIsEEEEPmJS6_EEE10hipError_tPvRmT3_T4_T5_T6_T7_T9_mT8_P12ihipStream_tbDpT10_ENKUlT_T0_E_clISt17integral_constantIbLb0EES1A_EEDaS15_S16_EUlS15_E_NS1_11comp_targetILNS1_3genE0ELNS1_11target_archE4294967295ELNS1_3gpuE0ELNS1_3repE0EEENS1_30default_config_static_selectorELNS0_4arch9wavefront6targetE1EEEvT1_,@function
_ZN7rocprim17ROCPRIM_400000_NS6detail17trampoline_kernelINS0_14default_configENS1_25partition_config_selectorILNS1_17partition_subalgoE8EsNS0_10empty_typeEbEEZZNS1_14partition_implILS5_8ELb0ES3_jN6thrust23THRUST_200600_302600_NS6detail15normal_iteratorINSA_10device_ptrIsEEEEPS6_PKS6_NS0_5tupleIJSF_S6_EEENSJ_IJSG_SG_EEENS0_18inequality_wrapperINSA_8equal_toIsEEEEPmJS6_EEE10hipError_tPvRmT3_T4_T5_T6_T7_T9_mT8_P12ihipStream_tbDpT10_ENKUlT_T0_E_clISt17integral_constantIbLb0EES1A_EEDaS15_S16_EUlS15_E_NS1_11comp_targetILNS1_3genE0ELNS1_11target_archE4294967295ELNS1_3gpuE0ELNS1_3repE0EEENS1_30default_config_static_selectorELNS0_4arch9wavefront6targetE1EEEvT1_: ; @_ZN7rocprim17ROCPRIM_400000_NS6detail17trampoline_kernelINS0_14default_configENS1_25partition_config_selectorILNS1_17partition_subalgoE8EsNS0_10empty_typeEbEEZZNS1_14partition_implILS5_8ELb0ES3_jN6thrust23THRUST_200600_302600_NS6detail15normal_iteratorINSA_10device_ptrIsEEEEPS6_PKS6_NS0_5tupleIJSF_S6_EEENSJ_IJSG_SG_EEENS0_18inequality_wrapperINSA_8equal_toIsEEEEPmJS6_EEE10hipError_tPvRmT3_T4_T5_T6_T7_T9_mT8_P12ihipStream_tbDpT10_ENKUlT_T0_E_clISt17integral_constantIbLb0EES1A_EEDaS15_S16_EUlS15_E_NS1_11comp_targetILNS1_3genE0ELNS1_11target_archE4294967295ELNS1_3gpuE0ELNS1_3repE0EEENS1_30default_config_static_selectorELNS0_4arch9wavefront6targetE1EEEvT1_
; %bb.0:
	.section	.rodata,"a",@progbits
	.p2align	6, 0x0
	.amdhsa_kernel _ZN7rocprim17ROCPRIM_400000_NS6detail17trampoline_kernelINS0_14default_configENS1_25partition_config_selectorILNS1_17partition_subalgoE8EsNS0_10empty_typeEbEEZZNS1_14partition_implILS5_8ELb0ES3_jN6thrust23THRUST_200600_302600_NS6detail15normal_iteratorINSA_10device_ptrIsEEEEPS6_PKS6_NS0_5tupleIJSF_S6_EEENSJ_IJSG_SG_EEENS0_18inequality_wrapperINSA_8equal_toIsEEEEPmJS6_EEE10hipError_tPvRmT3_T4_T5_T6_T7_T9_mT8_P12ihipStream_tbDpT10_ENKUlT_T0_E_clISt17integral_constantIbLb0EES1A_EEDaS15_S16_EUlS15_E_NS1_11comp_targetILNS1_3genE0ELNS1_11target_archE4294967295ELNS1_3gpuE0ELNS1_3repE0EEENS1_30default_config_static_selectorELNS0_4arch9wavefront6targetE1EEEvT1_
		.amdhsa_group_segment_fixed_size 0
		.amdhsa_private_segment_fixed_size 0
		.amdhsa_kernarg_size 112
		.amdhsa_user_sgpr_count 6
		.amdhsa_user_sgpr_private_segment_buffer 1
		.amdhsa_user_sgpr_dispatch_ptr 0
		.amdhsa_user_sgpr_queue_ptr 0
		.amdhsa_user_sgpr_kernarg_segment_ptr 1
		.amdhsa_user_sgpr_dispatch_id 0
		.amdhsa_user_sgpr_flat_scratch_init 0
		.amdhsa_user_sgpr_private_segment_size 0
		.amdhsa_uses_dynamic_stack 0
		.amdhsa_system_sgpr_private_segment_wavefront_offset 0
		.amdhsa_system_sgpr_workgroup_id_x 1
		.amdhsa_system_sgpr_workgroup_id_y 0
		.amdhsa_system_sgpr_workgroup_id_z 0
		.amdhsa_system_sgpr_workgroup_info 0
		.amdhsa_system_vgpr_workitem_id 0
		.amdhsa_next_free_vgpr 1
		.amdhsa_next_free_sgpr 0
		.amdhsa_reserve_vcc 0
		.amdhsa_reserve_flat_scratch 0
		.amdhsa_float_round_mode_32 0
		.amdhsa_float_round_mode_16_64 0
		.amdhsa_float_denorm_mode_32 3
		.amdhsa_float_denorm_mode_16_64 3
		.amdhsa_dx10_clamp 1
		.amdhsa_ieee_mode 1
		.amdhsa_fp16_overflow 0
		.amdhsa_exception_fp_ieee_invalid_op 0
		.amdhsa_exception_fp_denorm_src 0
		.amdhsa_exception_fp_ieee_div_zero 0
		.amdhsa_exception_fp_ieee_overflow 0
		.amdhsa_exception_fp_ieee_underflow 0
		.amdhsa_exception_fp_ieee_inexact 0
		.amdhsa_exception_int_div_zero 0
	.end_amdhsa_kernel
	.section	.text._ZN7rocprim17ROCPRIM_400000_NS6detail17trampoline_kernelINS0_14default_configENS1_25partition_config_selectorILNS1_17partition_subalgoE8EsNS0_10empty_typeEbEEZZNS1_14partition_implILS5_8ELb0ES3_jN6thrust23THRUST_200600_302600_NS6detail15normal_iteratorINSA_10device_ptrIsEEEEPS6_PKS6_NS0_5tupleIJSF_S6_EEENSJ_IJSG_SG_EEENS0_18inequality_wrapperINSA_8equal_toIsEEEEPmJS6_EEE10hipError_tPvRmT3_T4_T5_T6_T7_T9_mT8_P12ihipStream_tbDpT10_ENKUlT_T0_E_clISt17integral_constantIbLb0EES1A_EEDaS15_S16_EUlS15_E_NS1_11comp_targetILNS1_3genE0ELNS1_11target_archE4294967295ELNS1_3gpuE0ELNS1_3repE0EEENS1_30default_config_static_selectorELNS0_4arch9wavefront6targetE1EEEvT1_,"axG",@progbits,_ZN7rocprim17ROCPRIM_400000_NS6detail17trampoline_kernelINS0_14default_configENS1_25partition_config_selectorILNS1_17partition_subalgoE8EsNS0_10empty_typeEbEEZZNS1_14partition_implILS5_8ELb0ES3_jN6thrust23THRUST_200600_302600_NS6detail15normal_iteratorINSA_10device_ptrIsEEEEPS6_PKS6_NS0_5tupleIJSF_S6_EEENSJ_IJSG_SG_EEENS0_18inequality_wrapperINSA_8equal_toIsEEEEPmJS6_EEE10hipError_tPvRmT3_T4_T5_T6_T7_T9_mT8_P12ihipStream_tbDpT10_ENKUlT_T0_E_clISt17integral_constantIbLb0EES1A_EEDaS15_S16_EUlS15_E_NS1_11comp_targetILNS1_3genE0ELNS1_11target_archE4294967295ELNS1_3gpuE0ELNS1_3repE0EEENS1_30default_config_static_selectorELNS0_4arch9wavefront6targetE1EEEvT1_,comdat
.Lfunc_end469:
	.size	_ZN7rocprim17ROCPRIM_400000_NS6detail17trampoline_kernelINS0_14default_configENS1_25partition_config_selectorILNS1_17partition_subalgoE8EsNS0_10empty_typeEbEEZZNS1_14partition_implILS5_8ELb0ES3_jN6thrust23THRUST_200600_302600_NS6detail15normal_iteratorINSA_10device_ptrIsEEEEPS6_PKS6_NS0_5tupleIJSF_S6_EEENSJ_IJSG_SG_EEENS0_18inequality_wrapperINSA_8equal_toIsEEEEPmJS6_EEE10hipError_tPvRmT3_T4_T5_T6_T7_T9_mT8_P12ihipStream_tbDpT10_ENKUlT_T0_E_clISt17integral_constantIbLb0EES1A_EEDaS15_S16_EUlS15_E_NS1_11comp_targetILNS1_3genE0ELNS1_11target_archE4294967295ELNS1_3gpuE0ELNS1_3repE0EEENS1_30default_config_static_selectorELNS0_4arch9wavefront6targetE1EEEvT1_, .Lfunc_end469-_ZN7rocprim17ROCPRIM_400000_NS6detail17trampoline_kernelINS0_14default_configENS1_25partition_config_selectorILNS1_17partition_subalgoE8EsNS0_10empty_typeEbEEZZNS1_14partition_implILS5_8ELb0ES3_jN6thrust23THRUST_200600_302600_NS6detail15normal_iteratorINSA_10device_ptrIsEEEEPS6_PKS6_NS0_5tupleIJSF_S6_EEENSJ_IJSG_SG_EEENS0_18inequality_wrapperINSA_8equal_toIsEEEEPmJS6_EEE10hipError_tPvRmT3_T4_T5_T6_T7_T9_mT8_P12ihipStream_tbDpT10_ENKUlT_T0_E_clISt17integral_constantIbLb0EES1A_EEDaS15_S16_EUlS15_E_NS1_11comp_targetILNS1_3genE0ELNS1_11target_archE4294967295ELNS1_3gpuE0ELNS1_3repE0EEENS1_30default_config_static_selectorELNS0_4arch9wavefront6targetE1EEEvT1_
                                        ; -- End function
	.set _ZN7rocprim17ROCPRIM_400000_NS6detail17trampoline_kernelINS0_14default_configENS1_25partition_config_selectorILNS1_17partition_subalgoE8EsNS0_10empty_typeEbEEZZNS1_14partition_implILS5_8ELb0ES3_jN6thrust23THRUST_200600_302600_NS6detail15normal_iteratorINSA_10device_ptrIsEEEEPS6_PKS6_NS0_5tupleIJSF_S6_EEENSJ_IJSG_SG_EEENS0_18inequality_wrapperINSA_8equal_toIsEEEEPmJS6_EEE10hipError_tPvRmT3_T4_T5_T6_T7_T9_mT8_P12ihipStream_tbDpT10_ENKUlT_T0_E_clISt17integral_constantIbLb0EES1A_EEDaS15_S16_EUlS15_E_NS1_11comp_targetILNS1_3genE0ELNS1_11target_archE4294967295ELNS1_3gpuE0ELNS1_3repE0EEENS1_30default_config_static_selectorELNS0_4arch9wavefront6targetE1EEEvT1_.num_vgpr, 0
	.set _ZN7rocprim17ROCPRIM_400000_NS6detail17trampoline_kernelINS0_14default_configENS1_25partition_config_selectorILNS1_17partition_subalgoE8EsNS0_10empty_typeEbEEZZNS1_14partition_implILS5_8ELb0ES3_jN6thrust23THRUST_200600_302600_NS6detail15normal_iteratorINSA_10device_ptrIsEEEEPS6_PKS6_NS0_5tupleIJSF_S6_EEENSJ_IJSG_SG_EEENS0_18inequality_wrapperINSA_8equal_toIsEEEEPmJS6_EEE10hipError_tPvRmT3_T4_T5_T6_T7_T9_mT8_P12ihipStream_tbDpT10_ENKUlT_T0_E_clISt17integral_constantIbLb0EES1A_EEDaS15_S16_EUlS15_E_NS1_11comp_targetILNS1_3genE0ELNS1_11target_archE4294967295ELNS1_3gpuE0ELNS1_3repE0EEENS1_30default_config_static_selectorELNS0_4arch9wavefront6targetE1EEEvT1_.num_agpr, 0
	.set _ZN7rocprim17ROCPRIM_400000_NS6detail17trampoline_kernelINS0_14default_configENS1_25partition_config_selectorILNS1_17partition_subalgoE8EsNS0_10empty_typeEbEEZZNS1_14partition_implILS5_8ELb0ES3_jN6thrust23THRUST_200600_302600_NS6detail15normal_iteratorINSA_10device_ptrIsEEEEPS6_PKS6_NS0_5tupleIJSF_S6_EEENSJ_IJSG_SG_EEENS0_18inequality_wrapperINSA_8equal_toIsEEEEPmJS6_EEE10hipError_tPvRmT3_T4_T5_T6_T7_T9_mT8_P12ihipStream_tbDpT10_ENKUlT_T0_E_clISt17integral_constantIbLb0EES1A_EEDaS15_S16_EUlS15_E_NS1_11comp_targetILNS1_3genE0ELNS1_11target_archE4294967295ELNS1_3gpuE0ELNS1_3repE0EEENS1_30default_config_static_selectorELNS0_4arch9wavefront6targetE1EEEvT1_.numbered_sgpr, 0
	.set _ZN7rocprim17ROCPRIM_400000_NS6detail17trampoline_kernelINS0_14default_configENS1_25partition_config_selectorILNS1_17partition_subalgoE8EsNS0_10empty_typeEbEEZZNS1_14partition_implILS5_8ELb0ES3_jN6thrust23THRUST_200600_302600_NS6detail15normal_iteratorINSA_10device_ptrIsEEEEPS6_PKS6_NS0_5tupleIJSF_S6_EEENSJ_IJSG_SG_EEENS0_18inequality_wrapperINSA_8equal_toIsEEEEPmJS6_EEE10hipError_tPvRmT3_T4_T5_T6_T7_T9_mT8_P12ihipStream_tbDpT10_ENKUlT_T0_E_clISt17integral_constantIbLb0EES1A_EEDaS15_S16_EUlS15_E_NS1_11comp_targetILNS1_3genE0ELNS1_11target_archE4294967295ELNS1_3gpuE0ELNS1_3repE0EEENS1_30default_config_static_selectorELNS0_4arch9wavefront6targetE1EEEvT1_.num_named_barrier, 0
	.set _ZN7rocprim17ROCPRIM_400000_NS6detail17trampoline_kernelINS0_14default_configENS1_25partition_config_selectorILNS1_17partition_subalgoE8EsNS0_10empty_typeEbEEZZNS1_14partition_implILS5_8ELb0ES3_jN6thrust23THRUST_200600_302600_NS6detail15normal_iteratorINSA_10device_ptrIsEEEEPS6_PKS6_NS0_5tupleIJSF_S6_EEENSJ_IJSG_SG_EEENS0_18inequality_wrapperINSA_8equal_toIsEEEEPmJS6_EEE10hipError_tPvRmT3_T4_T5_T6_T7_T9_mT8_P12ihipStream_tbDpT10_ENKUlT_T0_E_clISt17integral_constantIbLb0EES1A_EEDaS15_S16_EUlS15_E_NS1_11comp_targetILNS1_3genE0ELNS1_11target_archE4294967295ELNS1_3gpuE0ELNS1_3repE0EEENS1_30default_config_static_selectorELNS0_4arch9wavefront6targetE1EEEvT1_.private_seg_size, 0
	.set _ZN7rocprim17ROCPRIM_400000_NS6detail17trampoline_kernelINS0_14default_configENS1_25partition_config_selectorILNS1_17partition_subalgoE8EsNS0_10empty_typeEbEEZZNS1_14partition_implILS5_8ELb0ES3_jN6thrust23THRUST_200600_302600_NS6detail15normal_iteratorINSA_10device_ptrIsEEEEPS6_PKS6_NS0_5tupleIJSF_S6_EEENSJ_IJSG_SG_EEENS0_18inequality_wrapperINSA_8equal_toIsEEEEPmJS6_EEE10hipError_tPvRmT3_T4_T5_T6_T7_T9_mT8_P12ihipStream_tbDpT10_ENKUlT_T0_E_clISt17integral_constantIbLb0EES1A_EEDaS15_S16_EUlS15_E_NS1_11comp_targetILNS1_3genE0ELNS1_11target_archE4294967295ELNS1_3gpuE0ELNS1_3repE0EEENS1_30default_config_static_selectorELNS0_4arch9wavefront6targetE1EEEvT1_.uses_vcc, 0
	.set _ZN7rocprim17ROCPRIM_400000_NS6detail17trampoline_kernelINS0_14default_configENS1_25partition_config_selectorILNS1_17partition_subalgoE8EsNS0_10empty_typeEbEEZZNS1_14partition_implILS5_8ELb0ES3_jN6thrust23THRUST_200600_302600_NS6detail15normal_iteratorINSA_10device_ptrIsEEEEPS6_PKS6_NS0_5tupleIJSF_S6_EEENSJ_IJSG_SG_EEENS0_18inequality_wrapperINSA_8equal_toIsEEEEPmJS6_EEE10hipError_tPvRmT3_T4_T5_T6_T7_T9_mT8_P12ihipStream_tbDpT10_ENKUlT_T0_E_clISt17integral_constantIbLb0EES1A_EEDaS15_S16_EUlS15_E_NS1_11comp_targetILNS1_3genE0ELNS1_11target_archE4294967295ELNS1_3gpuE0ELNS1_3repE0EEENS1_30default_config_static_selectorELNS0_4arch9wavefront6targetE1EEEvT1_.uses_flat_scratch, 0
	.set _ZN7rocprim17ROCPRIM_400000_NS6detail17trampoline_kernelINS0_14default_configENS1_25partition_config_selectorILNS1_17partition_subalgoE8EsNS0_10empty_typeEbEEZZNS1_14partition_implILS5_8ELb0ES3_jN6thrust23THRUST_200600_302600_NS6detail15normal_iteratorINSA_10device_ptrIsEEEEPS6_PKS6_NS0_5tupleIJSF_S6_EEENSJ_IJSG_SG_EEENS0_18inequality_wrapperINSA_8equal_toIsEEEEPmJS6_EEE10hipError_tPvRmT3_T4_T5_T6_T7_T9_mT8_P12ihipStream_tbDpT10_ENKUlT_T0_E_clISt17integral_constantIbLb0EES1A_EEDaS15_S16_EUlS15_E_NS1_11comp_targetILNS1_3genE0ELNS1_11target_archE4294967295ELNS1_3gpuE0ELNS1_3repE0EEENS1_30default_config_static_selectorELNS0_4arch9wavefront6targetE1EEEvT1_.has_dyn_sized_stack, 0
	.set _ZN7rocprim17ROCPRIM_400000_NS6detail17trampoline_kernelINS0_14default_configENS1_25partition_config_selectorILNS1_17partition_subalgoE8EsNS0_10empty_typeEbEEZZNS1_14partition_implILS5_8ELb0ES3_jN6thrust23THRUST_200600_302600_NS6detail15normal_iteratorINSA_10device_ptrIsEEEEPS6_PKS6_NS0_5tupleIJSF_S6_EEENSJ_IJSG_SG_EEENS0_18inequality_wrapperINSA_8equal_toIsEEEEPmJS6_EEE10hipError_tPvRmT3_T4_T5_T6_T7_T9_mT8_P12ihipStream_tbDpT10_ENKUlT_T0_E_clISt17integral_constantIbLb0EES1A_EEDaS15_S16_EUlS15_E_NS1_11comp_targetILNS1_3genE0ELNS1_11target_archE4294967295ELNS1_3gpuE0ELNS1_3repE0EEENS1_30default_config_static_selectorELNS0_4arch9wavefront6targetE1EEEvT1_.has_recursion, 0
	.set _ZN7rocprim17ROCPRIM_400000_NS6detail17trampoline_kernelINS0_14default_configENS1_25partition_config_selectorILNS1_17partition_subalgoE8EsNS0_10empty_typeEbEEZZNS1_14partition_implILS5_8ELb0ES3_jN6thrust23THRUST_200600_302600_NS6detail15normal_iteratorINSA_10device_ptrIsEEEEPS6_PKS6_NS0_5tupleIJSF_S6_EEENSJ_IJSG_SG_EEENS0_18inequality_wrapperINSA_8equal_toIsEEEEPmJS6_EEE10hipError_tPvRmT3_T4_T5_T6_T7_T9_mT8_P12ihipStream_tbDpT10_ENKUlT_T0_E_clISt17integral_constantIbLb0EES1A_EEDaS15_S16_EUlS15_E_NS1_11comp_targetILNS1_3genE0ELNS1_11target_archE4294967295ELNS1_3gpuE0ELNS1_3repE0EEENS1_30default_config_static_selectorELNS0_4arch9wavefront6targetE1EEEvT1_.has_indirect_call, 0
	.section	.AMDGPU.csdata,"",@progbits
; Kernel info:
; codeLenInByte = 0
; TotalNumSgprs: 4
; NumVgprs: 0
; ScratchSize: 0
; MemoryBound: 0
; FloatMode: 240
; IeeeMode: 1
; LDSByteSize: 0 bytes/workgroup (compile time only)
; SGPRBlocks: 0
; VGPRBlocks: 0
; NumSGPRsForWavesPerEU: 4
; NumVGPRsForWavesPerEU: 1
; Occupancy: 10
; WaveLimiterHint : 0
; COMPUTE_PGM_RSRC2:SCRATCH_EN: 0
; COMPUTE_PGM_RSRC2:USER_SGPR: 6
; COMPUTE_PGM_RSRC2:TRAP_HANDLER: 0
; COMPUTE_PGM_RSRC2:TGID_X_EN: 1
; COMPUTE_PGM_RSRC2:TGID_Y_EN: 0
; COMPUTE_PGM_RSRC2:TGID_Z_EN: 0
; COMPUTE_PGM_RSRC2:TIDIG_COMP_CNT: 0
	.section	.text._ZN7rocprim17ROCPRIM_400000_NS6detail17trampoline_kernelINS0_14default_configENS1_25partition_config_selectorILNS1_17partition_subalgoE8EsNS0_10empty_typeEbEEZZNS1_14partition_implILS5_8ELb0ES3_jN6thrust23THRUST_200600_302600_NS6detail15normal_iteratorINSA_10device_ptrIsEEEEPS6_PKS6_NS0_5tupleIJSF_S6_EEENSJ_IJSG_SG_EEENS0_18inequality_wrapperINSA_8equal_toIsEEEEPmJS6_EEE10hipError_tPvRmT3_T4_T5_T6_T7_T9_mT8_P12ihipStream_tbDpT10_ENKUlT_T0_E_clISt17integral_constantIbLb0EES1A_EEDaS15_S16_EUlS15_E_NS1_11comp_targetILNS1_3genE5ELNS1_11target_archE942ELNS1_3gpuE9ELNS1_3repE0EEENS1_30default_config_static_selectorELNS0_4arch9wavefront6targetE1EEEvT1_,"axG",@progbits,_ZN7rocprim17ROCPRIM_400000_NS6detail17trampoline_kernelINS0_14default_configENS1_25partition_config_selectorILNS1_17partition_subalgoE8EsNS0_10empty_typeEbEEZZNS1_14partition_implILS5_8ELb0ES3_jN6thrust23THRUST_200600_302600_NS6detail15normal_iteratorINSA_10device_ptrIsEEEEPS6_PKS6_NS0_5tupleIJSF_S6_EEENSJ_IJSG_SG_EEENS0_18inequality_wrapperINSA_8equal_toIsEEEEPmJS6_EEE10hipError_tPvRmT3_T4_T5_T6_T7_T9_mT8_P12ihipStream_tbDpT10_ENKUlT_T0_E_clISt17integral_constantIbLb0EES1A_EEDaS15_S16_EUlS15_E_NS1_11comp_targetILNS1_3genE5ELNS1_11target_archE942ELNS1_3gpuE9ELNS1_3repE0EEENS1_30default_config_static_selectorELNS0_4arch9wavefront6targetE1EEEvT1_,comdat
	.protected	_ZN7rocprim17ROCPRIM_400000_NS6detail17trampoline_kernelINS0_14default_configENS1_25partition_config_selectorILNS1_17partition_subalgoE8EsNS0_10empty_typeEbEEZZNS1_14partition_implILS5_8ELb0ES3_jN6thrust23THRUST_200600_302600_NS6detail15normal_iteratorINSA_10device_ptrIsEEEEPS6_PKS6_NS0_5tupleIJSF_S6_EEENSJ_IJSG_SG_EEENS0_18inequality_wrapperINSA_8equal_toIsEEEEPmJS6_EEE10hipError_tPvRmT3_T4_T5_T6_T7_T9_mT8_P12ihipStream_tbDpT10_ENKUlT_T0_E_clISt17integral_constantIbLb0EES1A_EEDaS15_S16_EUlS15_E_NS1_11comp_targetILNS1_3genE5ELNS1_11target_archE942ELNS1_3gpuE9ELNS1_3repE0EEENS1_30default_config_static_selectorELNS0_4arch9wavefront6targetE1EEEvT1_ ; -- Begin function _ZN7rocprim17ROCPRIM_400000_NS6detail17trampoline_kernelINS0_14default_configENS1_25partition_config_selectorILNS1_17partition_subalgoE8EsNS0_10empty_typeEbEEZZNS1_14partition_implILS5_8ELb0ES3_jN6thrust23THRUST_200600_302600_NS6detail15normal_iteratorINSA_10device_ptrIsEEEEPS6_PKS6_NS0_5tupleIJSF_S6_EEENSJ_IJSG_SG_EEENS0_18inequality_wrapperINSA_8equal_toIsEEEEPmJS6_EEE10hipError_tPvRmT3_T4_T5_T6_T7_T9_mT8_P12ihipStream_tbDpT10_ENKUlT_T0_E_clISt17integral_constantIbLb0EES1A_EEDaS15_S16_EUlS15_E_NS1_11comp_targetILNS1_3genE5ELNS1_11target_archE942ELNS1_3gpuE9ELNS1_3repE0EEENS1_30default_config_static_selectorELNS0_4arch9wavefront6targetE1EEEvT1_
	.globl	_ZN7rocprim17ROCPRIM_400000_NS6detail17trampoline_kernelINS0_14default_configENS1_25partition_config_selectorILNS1_17partition_subalgoE8EsNS0_10empty_typeEbEEZZNS1_14partition_implILS5_8ELb0ES3_jN6thrust23THRUST_200600_302600_NS6detail15normal_iteratorINSA_10device_ptrIsEEEEPS6_PKS6_NS0_5tupleIJSF_S6_EEENSJ_IJSG_SG_EEENS0_18inequality_wrapperINSA_8equal_toIsEEEEPmJS6_EEE10hipError_tPvRmT3_T4_T5_T6_T7_T9_mT8_P12ihipStream_tbDpT10_ENKUlT_T0_E_clISt17integral_constantIbLb0EES1A_EEDaS15_S16_EUlS15_E_NS1_11comp_targetILNS1_3genE5ELNS1_11target_archE942ELNS1_3gpuE9ELNS1_3repE0EEENS1_30default_config_static_selectorELNS0_4arch9wavefront6targetE1EEEvT1_
	.p2align	8
	.type	_ZN7rocprim17ROCPRIM_400000_NS6detail17trampoline_kernelINS0_14default_configENS1_25partition_config_selectorILNS1_17partition_subalgoE8EsNS0_10empty_typeEbEEZZNS1_14partition_implILS5_8ELb0ES3_jN6thrust23THRUST_200600_302600_NS6detail15normal_iteratorINSA_10device_ptrIsEEEEPS6_PKS6_NS0_5tupleIJSF_S6_EEENSJ_IJSG_SG_EEENS0_18inequality_wrapperINSA_8equal_toIsEEEEPmJS6_EEE10hipError_tPvRmT3_T4_T5_T6_T7_T9_mT8_P12ihipStream_tbDpT10_ENKUlT_T0_E_clISt17integral_constantIbLb0EES1A_EEDaS15_S16_EUlS15_E_NS1_11comp_targetILNS1_3genE5ELNS1_11target_archE942ELNS1_3gpuE9ELNS1_3repE0EEENS1_30default_config_static_selectorELNS0_4arch9wavefront6targetE1EEEvT1_,@function
_ZN7rocprim17ROCPRIM_400000_NS6detail17trampoline_kernelINS0_14default_configENS1_25partition_config_selectorILNS1_17partition_subalgoE8EsNS0_10empty_typeEbEEZZNS1_14partition_implILS5_8ELb0ES3_jN6thrust23THRUST_200600_302600_NS6detail15normal_iteratorINSA_10device_ptrIsEEEEPS6_PKS6_NS0_5tupleIJSF_S6_EEENSJ_IJSG_SG_EEENS0_18inequality_wrapperINSA_8equal_toIsEEEEPmJS6_EEE10hipError_tPvRmT3_T4_T5_T6_T7_T9_mT8_P12ihipStream_tbDpT10_ENKUlT_T0_E_clISt17integral_constantIbLb0EES1A_EEDaS15_S16_EUlS15_E_NS1_11comp_targetILNS1_3genE5ELNS1_11target_archE942ELNS1_3gpuE9ELNS1_3repE0EEENS1_30default_config_static_selectorELNS0_4arch9wavefront6targetE1EEEvT1_: ; @_ZN7rocprim17ROCPRIM_400000_NS6detail17trampoline_kernelINS0_14default_configENS1_25partition_config_selectorILNS1_17partition_subalgoE8EsNS0_10empty_typeEbEEZZNS1_14partition_implILS5_8ELb0ES3_jN6thrust23THRUST_200600_302600_NS6detail15normal_iteratorINSA_10device_ptrIsEEEEPS6_PKS6_NS0_5tupleIJSF_S6_EEENSJ_IJSG_SG_EEENS0_18inequality_wrapperINSA_8equal_toIsEEEEPmJS6_EEE10hipError_tPvRmT3_T4_T5_T6_T7_T9_mT8_P12ihipStream_tbDpT10_ENKUlT_T0_E_clISt17integral_constantIbLb0EES1A_EEDaS15_S16_EUlS15_E_NS1_11comp_targetILNS1_3genE5ELNS1_11target_archE942ELNS1_3gpuE9ELNS1_3repE0EEENS1_30default_config_static_selectorELNS0_4arch9wavefront6targetE1EEEvT1_
; %bb.0:
	.section	.rodata,"a",@progbits
	.p2align	6, 0x0
	.amdhsa_kernel _ZN7rocprim17ROCPRIM_400000_NS6detail17trampoline_kernelINS0_14default_configENS1_25partition_config_selectorILNS1_17partition_subalgoE8EsNS0_10empty_typeEbEEZZNS1_14partition_implILS5_8ELb0ES3_jN6thrust23THRUST_200600_302600_NS6detail15normal_iteratorINSA_10device_ptrIsEEEEPS6_PKS6_NS0_5tupleIJSF_S6_EEENSJ_IJSG_SG_EEENS0_18inequality_wrapperINSA_8equal_toIsEEEEPmJS6_EEE10hipError_tPvRmT3_T4_T5_T6_T7_T9_mT8_P12ihipStream_tbDpT10_ENKUlT_T0_E_clISt17integral_constantIbLb0EES1A_EEDaS15_S16_EUlS15_E_NS1_11comp_targetILNS1_3genE5ELNS1_11target_archE942ELNS1_3gpuE9ELNS1_3repE0EEENS1_30default_config_static_selectorELNS0_4arch9wavefront6targetE1EEEvT1_
		.amdhsa_group_segment_fixed_size 0
		.amdhsa_private_segment_fixed_size 0
		.amdhsa_kernarg_size 112
		.amdhsa_user_sgpr_count 6
		.amdhsa_user_sgpr_private_segment_buffer 1
		.amdhsa_user_sgpr_dispatch_ptr 0
		.amdhsa_user_sgpr_queue_ptr 0
		.amdhsa_user_sgpr_kernarg_segment_ptr 1
		.amdhsa_user_sgpr_dispatch_id 0
		.amdhsa_user_sgpr_flat_scratch_init 0
		.amdhsa_user_sgpr_private_segment_size 0
		.amdhsa_uses_dynamic_stack 0
		.amdhsa_system_sgpr_private_segment_wavefront_offset 0
		.amdhsa_system_sgpr_workgroup_id_x 1
		.amdhsa_system_sgpr_workgroup_id_y 0
		.amdhsa_system_sgpr_workgroup_id_z 0
		.amdhsa_system_sgpr_workgroup_info 0
		.amdhsa_system_vgpr_workitem_id 0
		.amdhsa_next_free_vgpr 1
		.amdhsa_next_free_sgpr 0
		.amdhsa_reserve_vcc 0
		.amdhsa_reserve_flat_scratch 0
		.amdhsa_float_round_mode_32 0
		.amdhsa_float_round_mode_16_64 0
		.amdhsa_float_denorm_mode_32 3
		.amdhsa_float_denorm_mode_16_64 3
		.amdhsa_dx10_clamp 1
		.amdhsa_ieee_mode 1
		.amdhsa_fp16_overflow 0
		.amdhsa_exception_fp_ieee_invalid_op 0
		.amdhsa_exception_fp_denorm_src 0
		.amdhsa_exception_fp_ieee_div_zero 0
		.amdhsa_exception_fp_ieee_overflow 0
		.amdhsa_exception_fp_ieee_underflow 0
		.amdhsa_exception_fp_ieee_inexact 0
		.amdhsa_exception_int_div_zero 0
	.end_amdhsa_kernel
	.section	.text._ZN7rocprim17ROCPRIM_400000_NS6detail17trampoline_kernelINS0_14default_configENS1_25partition_config_selectorILNS1_17partition_subalgoE8EsNS0_10empty_typeEbEEZZNS1_14partition_implILS5_8ELb0ES3_jN6thrust23THRUST_200600_302600_NS6detail15normal_iteratorINSA_10device_ptrIsEEEEPS6_PKS6_NS0_5tupleIJSF_S6_EEENSJ_IJSG_SG_EEENS0_18inequality_wrapperINSA_8equal_toIsEEEEPmJS6_EEE10hipError_tPvRmT3_T4_T5_T6_T7_T9_mT8_P12ihipStream_tbDpT10_ENKUlT_T0_E_clISt17integral_constantIbLb0EES1A_EEDaS15_S16_EUlS15_E_NS1_11comp_targetILNS1_3genE5ELNS1_11target_archE942ELNS1_3gpuE9ELNS1_3repE0EEENS1_30default_config_static_selectorELNS0_4arch9wavefront6targetE1EEEvT1_,"axG",@progbits,_ZN7rocprim17ROCPRIM_400000_NS6detail17trampoline_kernelINS0_14default_configENS1_25partition_config_selectorILNS1_17partition_subalgoE8EsNS0_10empty_typeEbEEZZNS1_14partition_implILS5_8ELb0ES3_jN6thrust23THRUST_200600_302600_NS6detail15normal_iteratorINSA_10device_ptrIsEEEEPS6_PKS6_NS0_5tupleIJSF_S6_EEENSJ_IJSG_SG_EEENS0_18inequality_wrapperINSA_8equal_toIsEEEEPmJS6_EEE10hipError_tPvRmT3_T4_T5_T6_T7_T9_mT8_P12ihipStream_tbDpT10_ENKUlT_T0_E_clISt17integral_constantIbLb0EES1A_EEDaS15_S16_EUlS15_E_NS1_11comp_targetILNS1_3genE5ELNS1_11target_archE942ELNS1_3gpuE9ELNS1_3repE0EEENS1_30default_config_static_selectorELNS0_4arch9wavefront6targetE1EEEvT1_,comdat
.Lfunc_end470:
	.size	_ZN7rocprim17ROCPRIM_400000_NS6detail17trampoline_kernelINS0_14default_configENS1_25partition_config_selectorILNS1_17partition_subalgoE8EsNS0_10empty_typeEbEEZZNS1_14partition_implILS5_8ELb0ES3_jN6thrust23THRUST_200600_302600_NS6detail15normal_iteratorINSA_10device_ptrIsEEEEPS6_PKS6_NS0_5tupleIJSF_S6_EEENSJ_IJSG_SG_EEENS0_18inequality_wrapperINSA_8equal_toIsEEEEPmJS6_EEE10hipError_tPvRmT3_T4_T5_T6_T7_T9_mT8_P12ihipStream_tbDpT10_ENKUlT_T0_E_clISt17integral_constantIbLb0EES1A_EEDaS15_S16_EUlS15_E_NS1_11comp_targetILNS1_3genE5ELNS1_11target_archE942ELNS1_3gpuE9ELNS1_3repE0EEENS1_30default_config_static_selectorELNS0_4arch9wavefront6targetE1EEEvT1_, .Lfunc_end470-_ZN7rocprim17ROCPRIM_400000_NS6detail17trampoline_kernelINS0_14default_configENS1_25partition_config_selectorILNS1_17partition_subalgoE8EsNS0_10empty_typeEbEEZZNS1_14partition_implILS5_8ELb0ES3_jN6thrust23THRUST_200600_302600_NS6detail15normal_iteratorINSA_10device_ptrIsEEEEPS6_PKS6_NS0_5tupleIJSF_S6_EEENSJ_IJSG_SG_EEENS0_18inequality_wrapperINSA_8equal_toIsEEEEPmJS6_EEE10hipError_tPvRmT3_T4_T5_T6_T7_T9_mT8_P12ihipStream_tbDpT10_ENKUlT_T0_E_clISt17integral_constantIbLb0EES1A_EEDaS15_S16_EUlS15_E_NS1_11comp_targetILNS1_3genE5ELNS1_11target_archE942ELNS1_3gpuE9ELNS1_3repE0EEENS1_30default_config_static_selectorELNS0_4arch9wavefront6targetE1EEEvT1_
                                        ; -- End function
	.set _ZN7rocprim17ROCPRIM_400000_NS6detail17trampoline_kernelINS0_14default_configENS1_25partition_config_selectorILNS1_17partition_subalgoE8EsNS0_10empty_typeEbEEZZNS1_14partition_implILS5_8ELb0ES3_jN6thrust23THRUST_200600_302600_NS6detail15normal_iteratorINSA_10device_ptrIsEEEEPS6_PKS6_NS0_5tupleIJSF_S6_EEENSJ_IJSG_SG_EEENS0_18inequality_wrapperINSA_8equal_toIsEEEEPmJS6_EEE10hipError_tPvRmT3_T4_T5_T6_T7_T9_mT8_P12ihipStream_tbDpT10_ENKUlT_T0_E_clISt17integral_constantIbLb0EES1A_EEDaS15_S16_EUlS15_E_NS1_11comp_targetILNS1_3genE5ELNS1_11target_archE942ELNS1_3gpuE9ELNS1_3repE0EEENS1_30default_config_static_selectorELNS0_4arch9wavefront6targetE1EEEvT1_.num_vgpr, 0
	.set _ZN7rocprim17ROCPRIM_400000_NS6detail17trampoline_kernelINS0_14default_configENS1_25partition_config_selectorILNS1_17partition_subalgoE8EsNS0_10empty_typeEbEEZZNS1_14partition_implILS5_8ELb0ES3_jN6thrust23THRUST_200600_302600_NS6detail15normal_iteratorINSA_10device_ptrIsEEEEPS6_PKS6_NS0_5tupleIJSF_S6_EEENSJ_IJSG_SG_EEENS0_18inequality_wrapperINSA_8equal_toIsEEEEPmJS6_EEE10hipError_tPvRmT3_T4_T5_T6_T7_T9_mT8_P12ihipStream_tbDpT10_ENKUlT_T0_E_clISt17integral_constantIbLb0EES1A_EEDaS15_S16_EUlS15_E_NS1_11comp_targetILNS1_3genE5ELNS1_11target_archE942ELNS1_3gpuE9ELNS1_3repE0EEENS1_30default_config_static_selectorELNS0_4arch9wavefront6targetE1EEEvT1_.num_agpr, 0
	.set _ZN7rocprim17ROCPRIM_400000_NS6detail17trampoline_kernelINS0_14default_configENS1_25partition_config_selectorILNS1_17partition_subalgoE8EsNS0_10empty_typeEbEEZZNS1_14partition_implILS5_8ELb0ES3_jN6thrust23THRUST_200600_302600_NS6detail15normal_iteratorINSA_10device_ptrIsEEEEPS6_PKS6_NS0_5tupleIJSF_S6_EEENSJ_IJSG_SG_EEENS0_18inequality_wrapperINSA_8equal_toIsEEEEPmJS6_EEE10hipError_tPvRmT3_T4_T5_T6_T7_T9_mT8_P12ihipStream_tbDpT10_ENKUlT_T0_E_clISt17integral_constantIbLb0EES1A_EEDaS15_S16_EUlS15_E_NS1_11comp_targetILNS1_3genE5ELNS1_11target_archE942ELNS1_3gpuE9ELNS1_3repE0EEENS1_30default_config_static_selectorELNS0_4arch9wavefront6targetE1EEEvT1_.numbered_sgpr, 0
	.set _ZN7rocprim17ROCPRIM_400000_NS6detail17trampoline_kernelINS0_14default_configENS1_25partition_config_selectorILNS1_17partition_subalgoE8EsNS0_10empty_typeEbEEZZNS1_14partition_implILS5_8ELb0ES3_jN6thrust23THRUST_200600_302600_NS6detail15normal_iteratorINSA_10device_ptrIsEEEEPS6_PKS6_NS0_5tupleIJSF_S6_EEENSJ_IJSG_SG_EEENS0_18inequality_wrapperINSA_8equal_toIsEEEEPmJS6_EEE10hipError_tPvRmT3_T4_T5_T6_T7_T9_mT8_P12ihipStream_tbDpT10_ENKUlT_T0_E_clISt17integral_constantIbLb0EES1A_EEDaS15_S16_EUlS15_E_NS1_11comp_targetILNS1_3genE5ELNS1_11target_archE942ELNS1_3gpuE9ELNS1_3repE0EEENS1_30default_config_static_selectorELNS0_4arch9wavefront6targetE1EEEvT1_.num_named_barrier, 0
	.set _ZN7rocprim17ROCPRIM_400000_NS6detail17trampoline_kernelINS0_14default_configENS1_25partition_config_selectorILNS1_17partition_subalgoE8EsNS0_10empty_typeEbEEZZNS1_14partition_implILS5_8ELb0ES3_jN6thrust23THRUST_200600_302600_NS6detail15normal_iteratorINSA_10device_ptrIsEEEEPS6_PKS6_NS0_5tupleIJSF_S6_EEENSJ_IJSG_SG_EEENS0_18inequality_wrapperINSA_8equal_toIsEEEEPmJS6_EEE10hipError_tPvRmT3_T4_T5_T6_T7_T9_mT8_P12ihipStream_tbDpT10_ENKUlT_T0_E_clISt17integral_constantIbLb0EES1A_EEDaS15_S16_EUlS15_E_NS1_11comp_targetILNS1_3genE5ELNS1_11target_archE942ELNS1_3gpuE9ELNS1_3repE0EEENS1_30default_config_static_selectorELNS0_4arch9wavefront6targetE1EEEvT1_.private_seg_size, 0
	.set _ZN7rocprim17ROCPRIM_400000_NS6detail17trampoline_kernelINS0_14default_configENS1_25partition_config_selectorILNS1_17partition_subalgoE8EsNS0_10empty_typeEbEEZZNS1_14partition_implILS5_8ELb0ES3_jN6thrust23THRUST_200600_302600_NS6detail15normal_iteratorINSA_10device_ptrIsEEEEPS6_PKS6_NS0_5tupleIJSF_S6_EEENSJ_IJSG_SG_EEENS0_18inequality_wrapperINSA_8equal_toIsEEEEPmJS6_EEE10hipError_tPvRmT3_T4_T5_T6_T7_T9_mT8_P12ihipStream_tbDpT10_ENKUlT_T0_E_clISt17integral_constantIbLb0EES1A_EEDaS15_S16_EUlS15_E_NS1_11comp_targetILNS1_3genE5ELNS1_11target_archE942ELNS1_3gpuE9ELNS1_3repE0EEENS1_30default_config_static_selectorELNS0_4arch9wavefront6targetE1EEEvT1_.uses_vcc, 0
	.set _ZN7rocprim17ROCPRIM_400000_NS6detail17trampoline_kernelINS0_14default_configENS1_25partition_config_selectorILNS1_17partition_subalgoE8EsNS0_10empty_typeEbEEZZNS1_14partition_implILS5_8ELb0ES3_jN6thrust23THRUST_200600_302600_NS6detail15normal_iteratorINSA_10device_ptrIsEEEEPS6_PKS6_NS0_5tupleIJSF_S6_EEENSJ_IJSG_SG_EEENS0_18inequality_wrapperINSA_8equal_toIsEEEEPmJS6_EEE10hipError_tPvRmT3_T4_T5_T6_T7_T9_mT8_P12ihipStream_tbDpT10_ENKUlT_T0_E_clISt17integral_constantIbLb0EES1A_EEDaS15_S16_EUlS15_E_NS1_11comp_targetILNS1_3genE5ELNS1_11target_archE942ELNS1_3gpuE9ELNS1_3repE0EEENS1_30default_config_static_selectorELNS0_4arch9wavefront6targetE1EEEvT1_.uses_flat_scratch, 0
	.set _ZN7rocprim17ROCPRIM_400000_NS6detail17trampoline_kernelINS0_14default_configENS1_25partition_config_selectorILNS1_17partition_subalgoE8EsNS0_10empty_typeEbEEZZNS1_14partition_implILS5_8ELb0ES3_jN6thrust23THRUST_200600_302600_NS6detail15normal_iteratorINSA_10device_ptrIsEEEEPS6_PKS6_NS0_5tupleIJSF_S6_EEENSJ_IJSG_SG_EEENS0_18inequality_wrapperINSA_8equal_toIsEEEEPmJS6_EEE10hipError_tPvRmT3_T4_T5_T6_T7_T9_mT8_P12ihipStream_tbDpT10_ENKUlT_T0_E_clISt17integral_constantIbLb0EES1A_EEDaS15_S16_EUlS15_E_NS1_11comp_targetILNS1_3genE5ELNS1_11target_archE942ELNS1_3gpuE9ELNS1_3repE0EEENS1_30default_config_static_selectorELNS0_4arch9wavefront6targetE1EEEvT1_.has_dyn_sized_stack, 0
	.set _ZN7rocprim17ROCPRIM_400000_NS6detail17trampoline_kernelINS0_14default_configENS1_25partition_config_selectorILNS1_17partition_subalgoE8EsNS0_10empty_typeEbEEZZNS1_14partition_implILS5_8ELb0ES3_jN6thrust23THRUST_200600_302600_NS6detail15normal_iteratorINSA_10device_ptrIsEEEEPS6_PKS6_NS0_5tupleIJSF_S6_EEENSJ_IJSG_SG_EEENS0_18inequality_wrapperINSA_8equal_toIsEEEEPmJS6_EEE10hipError_tPvRmT3_T4_T5_T6_T7_T9_mT8_P12ihipStream_tbDpT10_ENKUlT_T0_E_clISt17integral_constantIbLb0EES1A_EEDaS15_S16_EUlS15_E_NS1_11comp_targetILNS1_3genE5ELNS1_11target_archE942ELNS1_3gpuE9ELNS1_3repE0EEENS1_30default_config_static_selectorELNS0_4arch9wavefront6targetE1EEEvT1_.has_recursion, 0
	.set _ZN7rocprim17ROCPRIM_400000_NS6detail17trampoline_kernelINS0_14default_configENS1_25partition_config_selectorILNS1_17partition_subalgoE8EsNS0_10empty_typeEbEEZZNS1_14partition_implILS5_8ELb0ES3_jN6thrust23THRUST_200600_302600_NS6detail15normal_iteratorINSA_10device_ptrIsEEEEPS6_PKS6_NS0_5tupleIJSF_S6_EEENSJ_IJSG_SG_EEENS0_18inequality_wrapperINSA_8equal_toIsEEEEPmJS6_EEE10hipError_tPvRmT3_T4_T5_T6_T7_T9_mT8_P12ihipStream_tbDpT10_ENKUlT_T0_E_clISt17integral_constantIbLb0EES1A_EEDaS15_S16_EUlS15_E_NS1_11comp_targetILNS1_3genE5ELNS1_11target_archE942ELNS1_3gpuE9ELNS1_3repE0EEENS1_30default_config_static_selectorELNS0_4arch9wavefront6targetE1EEEvT1_.has_indirect_call, 0
	.section	.AMDGPU.csdata,"",@progbits
; Kernel info:
; codeLenInByte = 0
; TotalNumSgprs: 4
; NumVgprs: 0
; ScratchSize: 0
; MemoryBound: 0
; FloatMode: 240
; IeeeMode: 1
; LDSByteSize: 0 bytes/workgroup (compile time only)
; SGPRBlocks: 0
; VGPRBlocks: 0
; NumSGPRsForWavesPerEU: 4
; NumVGPRsForWavesPerEU: 1
; Occupancy: 10
; WaveLimiterHint : 0
; COMPUTE_PGM_RSRC2:SCRATCH_EN: 0
; COMPUTE_PGM_RSRC2:USER_SGPR: 6
; COMPUTE_PGM_RSRC2:TRAP_HANDLER: 0
; COMPUTE_PGM_RSRC2:TGID_X_EN: 1
; COMPUTE_PGM_RSRC2:TGID_Y_EN: 0
; COMPUTE_PGM_RSRC2:TGID_Z_EN: 0
; COMPUTE_PGM_RSRC2:TIDIG_COMP_CNT: 0
	.section	.text._ZN7rocprim17ROCPRIM_400000_NS6detail17trampoline_kernelINS0_14default_configENS1_25partition_config_selectorILNS1_17partition_subalgoE8EsNS0_10empty_typeEbEEZZNS1_14partition_implILS5_8ELb0ES3_jN6thrust23THRUST_200600_302600_NS6detail15normal_iteratorINSA_10device_ptrIsEEEEPS6_PKS6_NS0_5tupleIJSF_S6_EEENSJ_IJSG_SG_EEENS0_18inequality_wrapperINSA_8equal_toIsEEEEPmJS6_EEE10hipError_tPvRmT3_T4_T5_T6_T7_T9_mT8_P12ihipStream_tbDpT10_ENKUlT_T0_E_clISt17integral_constantIbLb0EES1A_EEDaS15_S16_EUlS15_E_NS1_11comp_targetILNS1_3genE4ELNS1_11target_archE910ELNS1_3gpuE8ELNS1_3repE0EEENS1_30default_config_static_selectorELNS0_4arch9wavefront6targetE1EEEvT1_,"axG",@progbits,_ZN7rocprim17ROCPRIM_400000_NS6detail17trampoline_kernelINS0_14default_configENS1_25partition_config_selectorILNS1_17partition_subalgoE8EsNS0_10empty_typeEbEEZZNS1_14partition_implILS5_8ELb0ES3_jN6thrust23THRUST_200600_302600_NS6detail15normal_iteratorINSA_10device_ptrIsEEEEPS6_PKS6_NS0_5tupleIJSF_S6_EEENSJ_IJSG_SG_EEENS0_18inequality_wrapperINSA_8equal_toIsEEEEPmJS6_EEE10hipError_tPvRmT3_T4_T5_T6_T7_T9_mT8_P12ihipStream_tbDpT10_ENKUlT_T0_E_clISt17integral_constantIbLb0EES1A_EEDaS15_S16_EUlS15_E_NS1_11comp_targetILNS1_3genE4ELNS1_11target_archE910ELNS1_3gpuE8ELNS1_3repE0EEENS1_30default_config_static_selectorELNS0_4arch9wavefront6targetE1EEEvT1_,comdat
	.protected	_ZN7rocprim17ROCPRIM_400000_NS6detail17trampoline_kernelINS0_14default_configENS1_25partition_config_selectorILNS1_17partition_subalgoE8EsNS0_10empty_typeEbEEZZNS1_14partition_implILS5_8ELb0ES3_jN6thrust23THRUST_200600_302600_NS6detail15normal_iteratorINSA_10device_ptrIsEEEEPS6_PKS6_NS0_5tupleIJSF_S6_EEENSJ_IJSG_SG_EEENS0_18inequality_wrapperINSA_8equal_toIsEEEEPmJS6_EEE10hipError_tPvRmT3_T4_T5_T6_T7_T9_mT8_P12ihipStream_tbDpT10_ENKUlT_T0_E_clISt17integral_constantIbLb0EES1A_EEDaS15_S16_EUlS15_E_NS1_11comp_targetILNS1_3genE4ELNS1_11target_archE910ELNS1_3gpuE8ELNS1_3repE0EEENS1_30default_config_static_selectorELNS0_4arch9wavefront6targetE1EEEvT1_ ; -- Begin function _ZN7rocprim17ROCPRIM_400000_NS6detail17trampoline_kernelINS0_14default_configENS1_25partition_config_selectorILNS1_17partition_subalgoE8EsNS0_10empty_typeEbEEZZNS1_14partition_implILS5_8ELb0ES3_jN6thrust23THRUST_200600_302600_NS6detail15normal_iteratorINSA_10device_ptrIsEEEEPS6_PKS6_NS0_5tupleIJSF_S6_EEENSJ_IJSG_SG_EEENS0_18inequality_wrapperINSA_8equal_toIsEEEEPmJS6_EEE10hipError_tPvRmT3_T4_T5_T6_T7_T9_mT8_P12ihipStream_tbDpT10_ENKUlT_T0_E_clISt17integral_constantIbLb0EES1A_EEDaS15_S16_EUlS15_E_NS1_11comp_targetILNS1_3genE4ELNS1_11target_archE910ELNS1_3gpuE8ELNS1_3repE0EEENS1_30default_config_static_selectorELNS0_4arch9wavefront6targetE1EEEvT1_
	.globl	_ZN7rocprim17ROCPRIM_400000_NS6detail17trampoline_kernelINS0_14default_configENS1_25partition_config_selectorILNS1_17partition_subalgoE8EsNS0_10empty_typeEbEEZZNS1_14partition_implILS5_8ELb0ES3_jN6thrust23THRUST_200600_302600_NS6detail15normal_iteratorINSA_10device_ptrIsEEEEPS6_PKS6_NS0_5tupleIJSF_S6_EEENSJ_IJSG_SG_EEENS0_18inequality_wrapperINSA_8equal_toIsEEEEPmJS6_EEE10hipError_tPvRmT3_T4_T5_T6_T7_T9_mT8_P12ihipStream_tbDpT10_ENKUlT_T0_E_clISt17integral_constantIbLb0EES1A_EEDaS15_S16_EUlS15_E_NS1_11comp_targetILNS1_3genE4ELNS1_11target_archE910ELNS1_3gpuE8ELNS1_3repE0EEENS1_30default_config_static_selectorELNS0_4arch9wavefront6targetE1EEEvT1_
	.p2align	8
	.type	_ZN7rocprim17ROCPRIM_400000_NS6detail17trampoline_kernelINS0_14default_configENS1_25partition_config_selectorILNS1_17partition_subalgoE8EsNS0_10empty_typeEbEEZZNS1_14partition_implILS5_8ELb0ES3_jN6thrust23THRUST_200600_302600_NS6detail15normal_iteratorINSA_10device_ptrIsEEEEPS6_PKS6_NS0_5tupleIJSF_S6_EEENSJ_IJSG_SG_EEENS0_18inequality_wrapperINSA_8equal_toIsEEEEPmJS6_EEE10hipError_tPvRmT3_T4_T5_T6_T7_T9_mT8_P12ihipStream_tbDpT10_ENKUlT_T0_E_clISt17integral_constantIbLb0EES1A_EEDaS15_S16_EUlS15_E_NS1_11comp_targetILNS1_3genE4ELNS1_11target_archE910ELNS1_3gpuE8ELNS1_3repE0EEENS1_30default_config_static_selectorELNS0_4arch9wavefront6targetE1EEEvT1_,@function
_ZN7rocprim17ROCPRIM_400000_NS6detail17trampoline_kernelINS0_14default_configENS1_25partition_config_selectorILNS1_17partition_subalgoE8EsNS0_10empty_typeEbEEZZNS1_14partition_implILS5_8ELb0ES3_jN6thrust23THRUST_200600_302600_NS6detail15normal_iteratorINSA_10device_ptrIsEEEEPS6_PKS6_NS0_5tupleIJSF_S6_EEENSJ_IJSG_SG_EEENS0_18inequality_wrapperINSA_8equal_toIsEEEEPmJS6_EEE10hipError_tPvRmT3_T4_T5_T6_T7_T9_mT8_P12ihipStream_tbDpT10_ENKUlT_T0_E_clISt17integral_constantIbLb0EES1A_EEDaS15_S16_EUlS15_E_NS1_11comp_targetILNS1_3genE4ELNS1_11target_archE910ELNS1_3gpuE8ELNS1_3repE0EEENS1_30default_config_static_selectorELNS0_4arch9wavefront6targetE1EEEvT1_: ; @_ZN7rocprim17ROCPRIM_400000_NS6detail17trampoline_kernelINS0_14default_configENS1_25partition_config_selectorILNS1_17partition_subalgoE8EsNS0_10empty_typeEbEEZZNS1_14partition_implILS5_8ELb0ES3_jN6thrust23THRUST_200600_302600_NS6detail15normal_iteratorINSA_10device_ptrIsEEEEPS6_PKS6_NS0_5tupleIJSF_S6_EEENSJ_IJSG_SG_EEENS0_18inequality_wrapperINSA_8equal_toIsEEEEPmJS6_EEE10hipError_tPvRmT3_T4_T5_T6_T7_T9_mT8_P12ihipStream_tbDpT10_ENKUlT_T0_E_clISt17integral_constantIbLb0EES1A_EEDaS15_S16_EUlS15_E_NS1_11comp_targetILNS1_3genE4ELNS1_11target_archE910ELNS1_3gpuE8ELNS1_3repE0EEENS1_30default_config_static_selectorELNS0_4arch9wavefront6targetE1EEEvT1_
; %bb.0:
	.section	.rodata,"a",@progbits
	.p2align	6, 0x0
	.amdhsa_kernel _ZN7rocprim17ROCPRIM_400000_NS6detail17trampoline_kernelINS0_14default_configENS1_25partition_config_selectorILNS1_17partition_subalgoE8EsNS0_10empty_typeEbEEZZNS1_14partition_implILS5_8ELb0ES3_jN6thrust23THRUST_200600_302600_NS6detail15normal_iteratorINSA_10device_ptrIsEEEEPS6_PKS6_NS0_5tupleIJSF_S6_EEENSJ_IJSG_SG_EEENS0_18inequality_wrapperINSA_8equal_toIsEEEEPmJS6_EEE10hipError_tPvRmT3_T4_T5_T6_T7_T9_mT8_P12ihipStream_tbDpT10_ENKUlT_T0_E_clISt17integral_constantIbLb0EES1A_EEDaS15_S16_EUlS15_E_NS1_11comp_targetILNS1_3genE4ELNS1_11target_archE910ELNS1_3gpuE8ELNS1_3repE0EEENS1_30default_config_static_selectorELNS0_4arch9wavefront6targetE1EEEvT1_
		.amdhsa_group_segment_fixed_size 0
		.amdhsa_private_segment_fixed_size 0
		.amdhsa_kernarg_size 112
		.amdhsa_user_sgpr_count 6
		.amdhsa_user_sgpr_private_segment_buffer 1
		.amdhsa_user_sgpr_dispatch_ptr 0
		.amdhsa_user_sgpr_queue_ptr 0
		.amdhsa_user_sgpr_kernarg_segment_ptr 1
		.amdhsa_user_sgpr_dispatch_id 0
		.amdhsa_user_sgpr_flat_scratch_init 0
		.amdhsa_user_sgpr_private_segment_size 0
		.amdhsa_uses_dynamic_stack 0
		.amdhsa_system_sgpr_private_segment_wavefront_offset 0
		.amdhsa_system_sgpr_workgroup_id_x 1
		.amdhsa_system_sgpr_workgroup_id_y 0
		.amdhsa_system_sgpr_workgroup_id_z 0
		.amdhsa_system_sgpr_workgroup_info 0
		.amdhsa_system_vgpr_workitem_id 0
		.amdhsa_next_free_vgpr 1
		.amdhsa_next_free_sgpr 0
		.amdhsa_reserve_vcc 0
		.amdhsa_reserve_flat_scratch 0
		.amdhsa_float_round_mode_32 0
		.amdhsa_float_round_mode_16_64 0
		.amdhsa_float_denorm_mode_32 3
		.amdhsa_float_denorm_mode_16_64 3
		.amdhsa_dx10_clamp 1
		.amdhsa_ieee_mode 1
		.amdhsa_fp16_overflow 0
		.amdhsa_exception_fp_ieee_invalid_op 0
		.amdhsa_exception_fp_denorm_src 0
		.amdhsa_exception_fp_ieee_div_zero 0
		.amdhsa_exception_fp_ieee_overflow 0
		.amdhsa_exception_fp_ieee_underflow 0
		.amdhsa_exception_fp_ieee_inexact 0
		.amdhsa_exception_int_div_zero 0
	.end_amdhsa_kernel
	.section	.text._ZN7rocprim17ROCPRIM_400000_NS6detail17trampoline_kernelINS0_14default_configENS1_25partition_config_selectorILNS1_17partition_subalgoE8EsNS0_10empty_typeEbEEZZNS1_14partition_implILS5_8ELb0ES3_jN6thrust23THRUST_200600_302600_NS6detail15normal_iteratorINSA_10device_ptrIsEEEEPS6_PKS6_NS0_5tupleIJSF_S6_EEENSJ_IJSG_SG_EEENS0_18inequality_wrapperINSA_8equal_toIsEEEEPmJS6_EEE10hipError_tPvRmT3_T4_T5_T6_T7_T9_mT8_P12ihipStream_tbDpT10_ENKUlT_T0_E_clISt17integral_constantIbLb0EES1A_EEDaS15_S16_EUlS15_E_NS1_11comp_targetILNS1_3genE4ELNS1_11target_archE910ELNS1_3gpuE8ELNS1_3repE0EEENS1_30default_config_static_selectorELNS0_4arch9wavefront6targetE1EEEvT1_,"axG",@progbits,_ZN7rocprim17ROCPRIM_400000_NS6detail17trampoline_kernelINS0_14default_configENS1_25partition_config_selectorILNS1_17partition_subalgoE8EsNS0_10empty_typeEbEEZZNS1_14partition_implILS5_8ELb0ES3_jN6thrust23THRUST_200600_302600_NS6detail15normal_iteratorINSA_10device_ptrIsEEEEPS6_PKS6_NS0_5tupleIJSF_S6_EEENSJ_IJSG_SG_EEENS0_18inequality_wrapperINSA_8equal_toIsEEEEPmJS6_EEE10hipError_tPvRmT3_T4_T5_T6_T7_T9_mT8_P12ihipStream_tbDpT10_ENKUlT_T0_E_clISt17integral_constantIbLb0EES1A_EEDaS15_S16_EUlS15_E_NS1_11comp_targetILNS1_3genE4ELNS1_11target_archE910ELNS1_3gpuE8ELNS1_3repE0EEENS1_30default_config_static_selectorELNS0_4arch9wavefront6targetE1EEEvT1_,comdat
.Lfunc_end471:
	.size	_ZN7rocprim17ROCPRIM_400000_NS6detail17trampoline_kernelINS0_14default_configENS1_25partition_config_selectorILNS1_17partition_subalgoE8EsNS0_10empty_typeEbEEZZNS1_14partition_implILS5_8ELb0ES3_jN6thrust23THRUST_200600_302600_NS6detail15normal_iteratorINSA_10device_ptrIsEEEEPS6_PKS6_NS0_5tupleIJSF_S6_EEENSJ_IJSG_SG_EEENS0_18inequality_wrapperINSA_8equal_toIsEEEEPmJS6_EEE10hipError_tPvRmT3_T4_T5_T6_T7_T9_mT8_P12ihipStream_tbDpT10_ENKUlT_T0_E_clISt17integral_constantIbLb0EES1A_EEDaS15_S16_EUlS15_E_NS1_11comp_targetILNS1_3genE4ELNS1_11target_archE910ELNS1_3gpuE8ELNS1_3repE0EEENS1_30default_config_static_selectorELNS0_4arch9wavefront6targetE1EEEvT1_, .Lfunc_end471-_ZN7rocprim17ROCPRIM_400000_NS6detail17trampoline_kernelINS0_14default_configENS1_25partition_config_selectorILNS1_17partition_subalgoE8EsNS0_10empty_typeEbEEZZNS1_14partition_implILS5_8ELb0ES3_jN6thrust23THRUST_200600_302600_NS6detail15normal_iteratorINSA_10device_ptrIsEEEEPS6_PKS6_NS0_5tupleIJSF_S6_EEENSJ_IJSG_SG_EEENS0_18inequality_wrapperINSA_8equal_toIsEEEEPmJS6_EEE10hipError_tPvRmT3_T4_T5_T6_T7_T9_mT8_P12ihipStream_tbDpT10_ENKUlT_T0_E_clISt17integral_constantIbLb0EES1A_EEDaS15_S16_EUlS15_E_NS1_11comp_targetILNS1_3genE4ELNS1_11target_archE910ELNS1_3gpuE8ELNS1_3repE0EEENS1_30default_config_static_selectorELNS0_4arch9wavefront6targetE1EEEvT1_
                                        ; -- End function
	.set _ZN7rocprim17ROCPRIM_400000_NS6detail17trampoline_kernelINS0_14default_configENS1_25partition_config_selectorILNS1_17partition_subalgoE8EsNS0_10empty_typeEbEEZZNS1_14partition_implILS5_8ELb0ES3_jN6thrust23THRUST_200600_302600_NS6detail15normal_iteratorINSA_10device_ptrIsEEEEPS6_PKS6_NS0_5tupleIJSF_S6_EEENSJ_IJSG_SG_EEENS0_18inequality_wrapperINSA_8equal_toIsEEEEPmJS6_EEE10hipError_tPvRmT3_T4_T5_T6_T7_T9_mT8_P12ihipStream_tbDpT10_ENKUlT_T0_E_clISt17integral_constantIbLb0EES1A_EEDaS15_S16_EUlS15_E_NS1_11comp_targetILNS1_3genE4ELNS1_11target_archE910ELNS1_3gpuE8ELNS1_3repE0EEENS1_30default_config_static_selectorELNS0_4arch9wavefront6targetE1EEEvT1_.num_vgpr, 0
	.set _ZN7rocprim17ROCPRIM_400000_NS6detail17trampoline_kernelINS0_14default_configENS1_25partition_config_selectorILNS1_17partition_subalgoE8EsNS0_10empty_typeEbEEZZNS1_14partition_implILS5_8ELb0ES3_jN6thrust23THRUST_200600_302600_NS6detail15normal_iteratorINSA_10device_ptrIsEEEEPS6_PKS6_NS0_5tupleIJSF_S6_EEENSJ_IJSG_SG_EEENS0_18inequality_wrapperINSA_8equal_toIsEEEEPmJS6_EEE10hipError_tPvRmT3_T4_T5_T6_T7_T9_mT8_P12ihipStream_tbDpT10_ENKUlT_T0_E_clISt17integral_constantIbLb0EES1A_EEDaS15_S16_EUlS15_E_NS1_11comp_targetILNS1_3genE4ELNS1_11target_archE910ELNS1_3gpuE8ELNS1_3repE0EEENS1_30default_config_static_selectorELNS0_4arch9wavefront6targetE1EEEvT1_.num_agpr, 0
	.set _ZN7rocprim17ROCPRIM_400000_NS6detail17trampoline_kernelINS0_14default_configENS1_25partition_config_selectorILNS1_17partition_subalgoE8EsNS0_10empty_typeEbEEZZNS1_14partition_implILS5_8ELb0ES3_jN6thrust23THRUST_200600_302600_NS6detail15normal_iteratorINSA_10device_ptrIsEEEEPS6_PKS6_NS0_5tupleIJSF_S6_EEENSJ_IJSG_SG_EEENS0_18inequality_wrapperINSA_8equal_toIsEEEEPmJS6_EEE10hipError_tPvRmT3_T4_T5_T6_T7_T9_mT8_P12ihipStream_tbDpT10_ENKUlT_T0_E_clISt17integral_constantIbLb0EES1A_EEDaS15_S16_EUlS15_E_NS1_11comp_targetILNS1_3genE4ELNS1_11target_archE910ELNS1_3gpuE8ELNS1_3repE0EEENS1_30default_config_static_selectorELNS0_4arch9wavefront6targetE1EEEvT1_.numbered_sgpr, 0
	.set _ZN7rocprim17ROCPRIM_400000_NS6detail17trampoline_kernelINS0_14default_configENS1_25partition_config_selectorILNS1_17partition_subalgoE8EsNS0_10empty_typeEbEEZZNS1_14partition_implILS5_8ELb0ES3_jN6thrust23THRUST_200600_302600_NS6detail15normal_iteratorINSA_10device_ptrIsEEEEPS6_PKS6_NS0_5tupleIJSF_S6_EEENSJ_IJSG_SG_EEENS0_18inequality_wrapperINSA_8equal_toIsEEEEPmJS6_EEE10hipError_tPvRmT3_T4_T5_T6_T7_T9_mT8_P12ihipStream_tbDpT10_ENKUlT_T0_E_clISt17integral_constantIbLb0EES1A_EEDaS15_S16_EUlS15_E_NS1_11comp_targetILNS1_3genE4ELNS1_11target_archE910ELNS1_3gpuE8ELNS1_3repE0EEENS1_30default_config_static_selectorELNS0_4arch9wavefront6targetE1EEEvT1_.num_named_barrier, 0
	.set _ZN7rocprim17ROCPRIM_400000_NS6detail17trampoline_kernelINS0_14default_configENS1_25partition_config_selectorILNS1_17partition_subalgoE8EsNS0_10empty_typeEbEEZZNS1_14partition_implILS5_8ELb0ES3_jN6thrust23THRUST_200600_302600_NS6detail15normal_iteratorINSA_10device_ptrIsEEEEPS6_PKS6_NS0_5tupleIJSF_S6_EEENSJ_IJSG_SG_EEENS0_18inequality_wrapperINSA_8equal_toIsEEEEPmJS6_EEE10hipError_tPvRmT3_T4_T5_T6_T7_T9_mT8_P12ihipStream_tbDpT10_ENKUlT_T0_E_clISt17integral_constantIbLb0EES1A_EEDaS15_S16_EUlS15_E_NS1_11comp_targetILNS1_3genE4ELNS1_11target_archE910ELNS1_3gpuE8ELNS1_3repE0EEENS1_30default_config_static_selectorELNS0_4arch9wavefront6targetE1EEEvT1_.private_seg_size, 0
	.set _ZN7rocprim17ROCPRIM_400000_NS6detail17trampoline_kernelINS0_14default_configENS1_25partition_config_selectorILNS1_17partition_subalgoE8EsNS0_10empty_typeEbEEZZNS1_14partition_implILS5_8ELb0ES3_jN6thrust23THRUST_200600_302600_NS6detail15normal_iteratorINSA_10device_ptrIsEEEEPS6_PKS6_NS0_5tupleIJSF_S6_EEENSJ_IJSG_SG_EEENS0_18inequality_wrapperINSA_8equal_toIsEEEEPmJS6_EEE10hipError_tPvRmT3_T4_T5_T6_T7_T9_mT8_P12ihipStream_tbDpT10_ENKUlT_T0_E_clISt17integral_constantIbLb0EES1A_EEDaS15_S16_EUlS15_E_NS1_11comp_targetILNS1_3genE4ELNS1_11target_archE910ELNS1_3gpuE8ELNS1_3repE0EEENS1_30default_config_static_selectorELNS0_4arch9wavefront6targetE1EEEvT1_.uses_vcc, 0
	.set _ZN7rocprim17ROCPRIM_400000_NS6detail17trampoline_kernelINS0_14default_configENS1_25partition_config_selectorILNS1_17partition_subalgoE8EsNS0_10empty_typeEbEEZZNS1_14partition_implILS5_8ELb0ES3_jN6thrust23THRUST_200600_302600_NS6detail15normal_iteratorINSA_10device_ptrIsEEEEPS6_PKS6_NS0_5tupleIJSF_S6_EEENSJ_IJSG_SG_EEENS0_18inequality_wrapperINSA_8equal_toIsEEEEPmJS6_EEE10hipError_tPvRmT3_T4_T5_T6_T7_T9_mT8_P12ihipStream_tbDpT10_ENKUlT_T0_E_clISt17integral_constantIbLb0EES1A_EEDaS15_S16_EUlS15_E_NS1_11comp_targetILNS1_3genE4ELNS1_11target_archE910ELNS1_3gpuE8ELNS1_3repE0EEENS1_30default_config_static_selectorELNS0_4arch9wavefront6targetE1EEEvT1_.uses_flat_scratch, 0
	.set _ZN7rocprim17ROCPRIM_400000_NS6detail17trampoline_kernelINS0_14default_configENS1_25partition_config_selectorILNS1_17partition_subalgoE8EsNS0_10empty_typeEbEEZZNS1_14partition_implILS5_8ELb0ES3_jN6thrust23THRUST_200600_302600_NS6detail15normal_iteratorINSA_10device_ptrIsEEEEPS6_PKS6_NS0_5tupleIJSF_S6_EEENSJ_IJSG_SG_EEENS0_18inequality_wrapperINSA_8equal_toIsEEEEPmJS6_EEE10hipError_tPvRmT3_T4_T5_T6_T7_T9_mT8_P12ihipStream_tbDpT10_ENKUlT_T0_E_clISt17integral_constantIbLb0EES1A_EEDaS15_S16_EUlS15_E_NS1_11comp_targetILNS1_3genE4ELNS1_11target_archE910ELNS1_3gpuE8ELNS1_3repE0EEENS1_30default_config_static_selectorELNS0_4arch9wavefront6targetE1EEEvT1_.has_dyn_sized_stack, 0
	.set _ZN7rocprim17ROCPRIM_400000_NS6detail17trampoline_kernelINS0_14default_configENS1_25partition_config_selectorILNS1_17partition_subalgoE8EsNS0_10empty_typeEbEEZZNS1_14partition_implILS5_8ELb0ES3_jN6thrust23THRUST_200600_302600_NS6detail15normal_iteratorINSA_10device_ptrIsEEEEPS6_PKS6_NS0_5tupleIJSF_S6_EEENSJ_IJSG_SG_EEENS0_18inequality_wrapperINSA_8equal_toIsEEEEPmJS6_EEE10hipError_tPvRmT3_T4_T5_T6_T7_T9_mT8_P12ihipStream_tbDpT10_ENKUlT_T0_E_clISt17integral_constantIbLb0EES1A_EEDaS15_S16_EUlS15_E_NS1_11comp_targetILNS1_3genE4ELNS1_11target_archE910ELNS1_3gpuE8ELNS1_3repE0EEENS1_30default_config_static_selectorELNS0_4arch9wavefront6targetE1EEEvT1_.has_recursion, 0
	.set _ZN7rocprim17ROCPRIM_400000_NS6detail17trampoline_kernelINS0_14default_configENS1_25partition_config_selectorILNS1_17partition_subalgoE8EsNS0_10empty_typeEbEEZZNS1_14partition_implILS5_8ELb0ES3_jN6thrust23THRUST_200600_302600_NS6detail15normal_iteratorINSA_10device_ptrIsEEEEPS6_PKS6_NS0_5tupleIJSF_S6_EEENSJ_IJSG_SG_EEENS0_18inequality_wrapperINSA_8equal_toIsEEEEPmJS6_EEE10hipError_tPvRmT3_T4_T5_T6_T7_T9_mT8_P12ihipStream_tbDpT10_ENKUlT_T0_E_clISt17integral_constantIbLb0EES1A_EEDaS15_S16_EUlS15_E_NS1_11comp_targetILNS1_3genE4ELNS1_11target_archE910ELNS1_3gpuE8ELNS1_3repE0EEENS1_30default_config_static_selectorELNS0_4arch9wavefront6targetE1EEEvT1_.has_indirect_call, 0
	.section	.AMDGPU.csdata,"",@progbits
; Kernel info:
; codeLenInByte = 0
; TotalNumSgprs: 4
; NumVgprs: 0
; ScratchSize: 0
; MemoryBound: 0
; FloatMode: 240
; IeeeMode: 1
; LDSByteSize: 0 bytes/workgroup (compile time only)
; SGPRBlocks: 0
; VGPRBlocks: 0
; NumSGPRsForWavesPerEU: 4
; NumVGPRsForWavesPerEU: 1
; Occupancy: 10
; WaveLimiterHint : 0
; COMPUTE_PGM_RSRC2:SCRATCH_EN: 0
; COMPUTE_PGM_RSRC2:USER_SGPR: 6
; COMPUTE_PGM_RSRC2:TRAP_HANDLER: 0
; COMPUTE_PGM_RSRC2:TGID_X_EN: 1
; COMPUTE_PGM_RSRC2:TGID_Y_EN: 0
; COMPUTE_PGM_RSRC2:TGID_Z_EN: 0
; COMPUTE_PGM_RSRC2:TIDIG_COMP_CNT: 0
	.section	.text._ZN7rocprim17ROCPRIM_400000_NS6detail17trampoline_kernelINS0_14default_configENS1_25partition_config_selectorILNS1_17partition_subalgoE8EsNS0_10empty_typeEbEEZZNS1_14partition_implILS5_8ELb0ES3_jN6thrust23THRUST_200600_302600_NS6detail15normal_iteratorINSA_10device_ptrIsEEEEPS6_PKS6_NS0_5tupleIJSF_S6_EEENSJ_IJSG_SG_EEENS0_18inequality_wrapperINSA_8equal_toIsEEEEPmJS6_EEE10hipError_tPvRmT3_T4_T5_T6_T7_T9_mT8_P12ihipStream_tbDpT10_ENKUlT_T0_E_clISt17integral_constantIbLb0EES1A_EEDaS15_S16_EUlS15_E_NS1_11comp_targetILNS1_3genE3ELNS1_11target_archE908ELNS1_3gpuE7ELNS1_3repE0EEENS1_30default_config_static_selectorELNS0_4arch9wavefront6targetE1EEEvT1_,"axG",@progbits,_ZN7rocprim17ROCPRIM_400000_NS6detail17trampoline_kernelINS0_14default_configENS1_25partition_config_selectorILNS1_17partition_subalgoE8EsNS0_10empty_typeEbEEZZNS1_14partition_implILS5_8ELb0ES3_jN6thrust23THRUST_200600_302600_NS6detail15normal_iteratorINSA_10device_ptrIsEEEEPS6_PKS6_NS0_5tupleIJSF_S6_EEENSJ_IJSG_SG_EEENS0_18inequality_wrapperINSA_8equal_toIsEEEEPmJS6_EEE10hipError_tPvRmT3_T4_T5_T6_T7_T9_mT8_P12ihipStream_tbDpT10_ENKUlT_T0_E_clISt17integral_constantIbLb0EES1A_EEDaS15_S16_EUlS15_E_NS1_11comp_targetILNS1_3genE3ELNS1_11target_archE908ELNS1_3gpuE7ELNS1_3repE0EEENS1_30default_config_static_selectorELNS0_4arch9wavefront6targetE1EEEvT1_,comdat
	.protected	_ZN7rocprim17ROCPRIM_400000_NS6detail17trampoline_kernelINS0_14default_configENS1_25partition_config_selectorILNS1_17partition_subalgoE8EsNS0_10empty_typeEbEEZZNS1_14partition_implILS5_8ELb0ES3_jN6thrust23THRUST_200600_302600_NS6detail15normal_iteratorINSA_10device_ptrIsEEEEPS6_PKS6_NS0_5tupleIJSF_S6_EEENSJ_IJSG_SG_EEENS0_18inequality_wrapperINSA_8equal_toIsEEEEPmJS6_EEE10hipError_tPvRmT3_T4_T5_T6_T7_T9_mT8_P12ihipStream_tbDpT10_ENKUlT_T0_E_clISt17integral_constantIbLb0EES1A_EEDaS15_S16_EUlS15_E_NS1_11comp_targetILNS1_3genE3ELNS1_11target_archE908ELNS1_3gpuE7ELNS1_3repE0EEENS1_30default_config_static_selectorELNS0_4arch9wavefront6targetE1EEEvT1_ ; -- Begin function _ZN7rocprim17ROCPRIM_400000_NS6detail17trampoline_kernelINS0_14default_configENS1_25partition_config_selectorILNS1_17partition_subalgoE8EsNS0_10empty_typeEbEEZZNS1_14partition_implILS5_8ELb0ES3_jN6thrust23THRUST_200600_302600_NS6detail15normal_iteratorINSA_10device_ptrIsEEEEPS6_PKS6_NS0_5tupleIJSF_S6_EEENSJ_IJSG_SG_EEENS0_18inequality_wrapperINSA_8equal_toIsEEEEPmJS6_EEE10hipError_tPvRmT3_T4_T5_T6_T7_T9_mT8_P12ihipStream_tbDpT10_ENKUlT_T0_E_clISt17integral_constantIbLb0EES1A_EEDaS15_S16_EUlS15_E_NS1_11comp_targetILNS1_3genE3ELNS1_11target_archE908ELNS1_3gpuE7ELNS1_3repE0EEENS1_30default_config_static_selectorELNS0_4arch9wavefront6targetE1EEEvT1_
	.globl	_ZN7rocprim17ROCPRIM_400000_NS6detail17trampoline_kernelINS0_14default_configENS1_25partition_config_selectorILNS1_17partition_subalgoE8EsNS0_10empty_typeEbEEZZNS1_14partition_implILS5_8ELb0ES3_jN6thrust23THRUST_200600_302600_NS6detail15normal_iteratorINSA_10device_ptrIsEEEEPS6_PKS6_NS0_5tupleIJSF_S6_EEENSJ_IJSG_SG_EEENS0_18inequality_wrapperINSA_8equal_toIsEEEEPmJS6_EEE10hipError_tPvRmT3_T4_T5_T6_T7_T9_mT8_P12ihipStream_tbDpT10_ENKUlT_T0_E_clISt17integral_constantIbLb0EES1A_EEDaS15_S16_EUlS15_E_NS1_11comp_targetILNS1_3genE3ELNS1_11target_archE908ELNS1_3gpuE7ELNS1_3repE0EEENS1_30default_config_static_selectorELNS0_4arch9wavefront6targetE1EEEvT1_
	.p2align	8
	.type	_ZN7rocprim17ROCPRIM_400000_NS6detail17trampoline_kernelINS0_14default_configENS1_25partition_config_selectorILNS1_17partition_subalgoE8EsNS0_10empty_typeEbEEZZNS1_14partition_implILS5_8ELb0ES3_jN6thrust23THRUST_200600_302600_NS6detail15normal_iteratorINSA_10device_ptrIsEEEEPS6_PKS6_NS0_5tupleIJSF_S6_EEENSJ_IJSG_SG_EEENS0_18inequality_wrapperINSA_8equal_toIsEEEEPmJS6_EEE10hipError_tPvRmT3_T4_T5_T6_T7_T9_mT8_P12ihipStream_tbDpT10_ENKUlT_T0_E_clISt17integral_constantIbLb0EES1A_EEDaS15_S16_EUlS15_E_NS1_11comp_targetILNS1_3genE3ELNS1_11target_archE908ELNS1_3gpuE7ELNS1_3repE0EEENS1_30default_config_static_selectorELNS0_4arch9wavefront6targetE1EEEvT1_,@function
_ZN7rocprim17ROCPRIM_400000_NS6detail17trampoline_kernelINS0_14default_configENS1_25partition_config_selectorILNS1_17partition_subalgoE8EsNS0_10empty_typeEbEEZZNS1_14partition_implILS5_8ELb0ES3_jN6thrust23THRUST_200600_302600_NS6detail15normal_iteratorINSA_10device_ptrIsEEEEPS6_PKS6_NS0_5tupleIJSF_S6_EEENSJ_IJSG_SG_EEENS0_18inequality_wrapperINSA_8equal_toIsEEEEPmJS6_EEE10hipError_tPvRmT3_T4_T5_T6_T7_T9_mT8_P12ihipStream_tbDpT10_ENKUlT_T0_E_clISt17integral_constantIbLb0EES1A_EEDaS15_S16_EUlS15_E_NS1_11comp_targetILNS1_3genE3ELNS1_11target_archE908ELNS1_3gpuE7ELNS1_3repE0EEENS1_30default_config_static_selectorELNS0_4arch9wavefront6targetE1EEEvT1_: ; @_ZN7rocprim17ROCPRIM_400000_NS6detail17trampoline_kernelINS0_14default_configENS1_25partition_config_selectorILNS1_17partition_subalgoE8EsNS0_10empty_typeEbEEZZNS1_14partition_implILS5_8ELb0ES3_jN6thrust23THRUST_200600_302600_NS6detail15normal_iteratorINSA_10device_ptrIsEEEEPS6_PKS6_NS0_5tupleIJSF_S6_EEENSJ_IJSG_SG_EEENS0_18inequality_wrapperINSA_8equal_toIsEEEEPmJS6_EEE10hipError_tPvRmT3_T4_T5_T6_T7_T9_mT8_P12ihipStream_tbDpT10_ENKUlT_T0_E_clISt17integral_constantIbLb0EES1A_EEDaS15_S16_EUlS15_E_NS1_11comp_targetILNS1_3genE3ELNS1_11target_archE908ELNS1_3gpuE7ELNS1_3repE0EEENS1_30default_config_static_selectorELNS0_4arch9wavefront6targetE1EEEvT1_
; %bb.0:
	.section	.rodata,"a",@progbits
	.p2align	6, 0x0
	.amdhsa_kernel _ZN7rocprim17ROCPRIM_400000_NS6detail17trampoline_kernelINS0_14default_configENS1_25partition_config_selectorILNS1_17partition_subalgoE8EsNS0_10empty_typeEbEEZZNS1_14partition_implILS5_8ELb0ES3_jN6thrust23THRUST_200600_302600_NS6detail15normal_iteratorINSA_10device_ptrIsEEEEPS6_PKS6_NS0_5tupleIJSF_S6_EEENSJ_IJSG_SG_EEENS0_18inequality_wrapperINSA_8equal_toIsEEEEPmJS6_EEE10hipError_tPvRmT3_T4_T5_T6_T7_T9_mT8_P12ihipStream_tbDpT10_ENKUlT_T0_E_clISt17integral_constantIbLb0EES1A_EEDaS15_S16_EUlS15_E_NS1_11comp_targetILNS1_3genE3ELNS1_11target_archE908ELNS1_3gpuE7ELNS1_3repE0EEENS1_30default_config_static_selectorELNS0_4arch9wavefront6targetE1EEEvT1_
		.amdhsa_group_segment_fixed_size 0
		.amdhsa_private_segment_fixed_size 0
		.amdhsa_kernarg_size 112
		.amdhsa_user_sgpr_count 6
		.amdhsa_user_sgpr_private_segment_buffer 1
		.amdhsa_user_sgpr_dispatch_ptr 0
		.amdhsa_user_sgpr_queue_ptr 0
		.amdhsa_user_sgpr_kernarg_segment_ptr 1
		.amdhsa_user_sgpr_dispatch_id 0
		.amdhsa_user_sgpr_flat_scratch_init 0
		.amdhsa_user_sgpr_private_segment_size 0
		.amdhsa_uses_dynamic_stack 0
		.amdhsa_system_sgpr_private_segment_wavefront_offset 0
		.amdhsa_system_sgpr_workgroup_id_x 1
		.amdhsa_system_sgpr_workgroup_id_y 0
		.amdhsa_system_sgpr_workgroup_id_z 0
		.amdhsa_system_sgpr_workgroup_info 0
		.amdhsa_system_vgpr_workitem_id 0
		.amdhsa_next_free_vgpr 1
		.amdhsa_next_free_sgpr 0
		.amdhsa_reserve_vcc 0
		.amdhsa_reserve_flat_scratch 0
		.amdhsa_float_round_mode_32 0
		.amdhsa_float_round_mode_16_64 0
		.amdhsa_float_denorm_mode_32 3
		.amdhsa_float_denorm_mode_16_64 3
		.amdhsa_dx10_clamp 1
		.amdhsa_ieee_mode 1
		.amdhsa_fp16_overflow 0
		.amdhsa_exception_fp_ieee_invalid_op 0
		.amdhsa_exception_fp_denorm_src 0
		.amdhsa_exception_fp_ieee_div_zero 0
		.amdhsa_exception_fp_ieee_overflow 0
		.amdhsa_exception_fp_ieee_underflow 0
		.amdhsa_exception_fp_ieee_inexact 0
		.amdhsa_exception_int_div_zero 0
	.end_amdhsa_kernel
	.section	.text._ZN7rocprim17ROCPRIM_400000_NS6detail17trampoline_kernelINS0_14default_configENS1_25partition_config_selectorILNS1_17partition_subalgoE8EsNS0_10empty_typeEbEEZZNS1_14partition_implILS5_8ELb0ES3_jN6thrust23THRUST_200600_302600_NS6detail15normal_iteratorINSA_10device_ptrIsEEEEPS6_PKS6_NS0_5tupleIJSF_S6_EEENSJ_IJSG_SG_EEENS0_18inequality_wrapperINSA_8equal_toIsEEEEPmJS6_EEE10hipError_tPvRmT3_T4_T5_T6_T7_T9_mT8_P12ihipStream_tbDpT10_ENKUlT_T0_E_clISt17integral_constantIbLb0EES1A_EEDaS15_S16_EUlS15_E_NS1_11comp_targetILNS1_3genE3ELNS1_11target_archE908ELNS1_3gpuE7ELNS1_3repE0EEENS1_30default_config_static_selectorELNS0_4arch9wavefront6targetE1EEEvT1_,"axG",@progbits,_ZN7rocprim17ROCPRIM_400000_NS6detail17trampoline_kernelINS0_14default_configENS1_25partition_config_selectorILNS1_17partition_subalgoE8EsNS0_10empty_typeEbEEZZNS1_14partition_implILS5_8ELb0ES3_jN6thrust23THRUST_200600_302600_NS6detail15normal_iteratorINSA_10device_ptrIsEEEEPS6_PKS6_NS0_5tupleIJSF_S6_EEENSJ_IJSG_SG_EEENS0_18inequality_wrapperINSA_8equal_toIsEEEEPmJS6_EEE10hipError_tPvRmT3_T4_T5_T6_T7_T9_mT8_P12ihipStream_tbDpT10_ENKUlT_T0_E_clISt17integral_constantIbLb0EES1A_EEDaS15_S16_EUlS15_E_NS1_11comp_targetILNS1_3genE3ELNS1_11target_archE908ELNS1_3gpuE7ELNS1_3repE0EEENS1_30default_config_static_selectorELNS0_4arch9wavefront6targetE1EEEvT1_,comdat
.Lfunc_end472:
	.size	_ZN7rocprim17ROCPRIM_400000_NS6detail17trampoline_kernelINS0_14default_configENS1_25partition_config_selectorILNS1_17partition_subalgoE8EsNS0_10empty_typeEbEEZZNS1_14partition_implILS5_8ELb0ES3_jN6thrust23THRUST_200600_302600_NS6detail15normal_iteratorINSA_10device_ptrIsEEEEPS6_PKS6_NS0_5tupleIJSF_S6_EEENSJ_IJSG_SG_EEENS0_18inequality_wrapperINSA_8equal_toIsEEEEPmJS6_EEE10hipError_tPvRmT3_T4_T5_T6_T7_T9_mT8_P12ihipStream_tbDpT10_ENKUlT_T0_E_clISt17integral_constantIbLb0EES1A_EEDaS15_S16_EUlS15_E_NS1_11comp_targetILNS1_3genE3ELNS1_11target_archE908ELNS1_3gpuE7ELNS1_3repE0EEENS1_30default_config_static_selectorELNS0_4arch9wavefront6targetE1EEEvT1_, .Lfunc_end472-_ZN7rocprim17ROCPRIM_400000_NS6detail17trampoline_kernelINS0_14default_configENS1_25partition_config_selectorILNS1_17partition_subalgoE8EsNS0_10empty_typeEbEEZZNS1_14partition_implILS5_8ELb0ES3_jN6thrust23THRUST_200600_302600_NS6detail15normal_iteratorINSA_10device_ptrIsEEEEPS6_PKS6_NS0_5tupleIJSF_S6_EEENSJ_IJSG_SG_EEENS0_18inequality_wrapperINSA_8equal_toIsEEEEPmJS6_EEE10hipError_tPvRmT3_T4_T5_T6_T7_T9_mT8_P12ihipStream_tbDpT10_ENKUlT_T0_E_clISt17integral_constantIbLb0EES1A_EEDaS15_S16_EUlS15_E_NS1_11comp_targetILNS1_3genE3ELNS1_11target_archE908ELNS1_3gpuE7ELNS1_3repE0EEENS1_30default_config_static_selectorELNS0_4arch9wavefront6targetE1EEEvT1_
                                        ; -- End function
	.set _ZN7rocprim17ROCPRIM_400000_NS6detail17trampoline_kernelINS0_14default_configENS1_25partition_config_selectorILNS1_17partition_subalgoE8EsNS0_10empty_typeEbEEZZNS1_14partition_implILS5_8ELb0ES3_jN6thrust23THRUST_200600_302600_NS6detail15normal_iteratorINSA_10device_ptrIsEEEEPS6_PKS6_NS0_5tupleIJSF_S6_EEENSJ_IJSG_SG_EEENS0_18inequality_wrapperINSA_8equal_toIsEEEEPmJS6_EEE10hipError_tPvRmT3_T4_T5_T6_T7_T9_mT8_P12ihipStream_tbDpT10_ENKUlT_T0_E_clISt17integral_constantIbLb0EES1A_EEDaS15_S16_EUlS15_E_NS1_11comp_targetILNS1_3genE3ELNS1_11target_archE908ELNS1_3gpuE7ELNS1_3repE0EEENS1_30default_config_static_selectorELNS0_4arch9wavefront6targetE1EEEvT1_.num_vgpr, 0
	.set _ZN7rocprim17ROCPRIM_400000_NS6detail17trampoline_kernelINS0_14default_configENS1_25partition_config_selectorILNS1_17partition_subalgoE8EsNS0_10empty_typeEbEEZZNS1_14partition_implILS5_8ELb0ES3_jN6thrust23THRUST_200600_302600_NS6detail15normal_iteratorINSA_10device_ptrIsEEEEPS6_PKS6_NS0_5tupleIJSF_S6_EEENSJ_IJSG_SG_EEENS0_18inequality_wrapperINSA_8equal_toIsEEEEPmJS6_EEE10hipError_tPvRmT3_T4_T5_T6_T7_T9_mT8_P12ihipStream_tbDpT10_ENKUlT_T0_E_clISt17integral_constantIbLb0EES1A_EEDaS15_S16_EUlS15_E_NS1_11comp_targetILNS1_3genE3ELNS1_11target_archE908ELNS1_3gpuE7ELNS1_3repE0EEENS1_30default_config_static_selectorELNS0_4arch9wavefront6targetE1EEEvT1_.num_agpr, 0
	.set _ZN7rocprim17ROCPRIM_400000_NS6detail17trampoline_kernelINS0_14default_configENS1_25partition_config_selectorILNS1_17partition_subalgoE8EsNS0_10empty_typeEbEEZZNS1_14partition_implILS5_8ELb0ES3_jN6thrust23THRUST_200600_302600_NS6detail15normal_iteratorINSA_10device_ptrIsEEEEPS6_PKS6_NS0_5tupleIJSF_S6_EEENSJ_IJSG_SG_EEENS0_18inequality_wrapperINSA_8equal_toIsEEEEPmJS6_EEE10hipError_tPvRmT3_T4_T5_T6_T7_T9_mT8_P12ihipStream_tbDpT10_ENKUlT_T0_E_clISt17integral_constantIbLb0EES1A_EEDaS15_S16_EUlS15_E_NS1_11comp_targetILNS1_3genE3ELNS1_11target_archE908ELNS1_3gpuE7ELNS1_3repE0EEENS1_30default_config_static_selectorELNS0_4arch9wavefront6targetE1EEEvT1_.numbered_sgpr, 0
	.set _ZN7rocprim17ROCPRIM_400000_NS6detail17trampoline_kernelINS0_14default_configENS1_25partition_config_selectorILNS1_17partition_subalgoE8EsNS0_10empty_typeEbEEZZNS1_14partition_implILS5_8ELb0ES3_jN6thrust23THRUST_200600_302600_NS6detail15normal_iteratorINSA_10device_ptrIsEEEEPS6_PKS6_NS0_5tupleIJSF_S6_EEENSJ_IJSG_SG_EEENS0_18inequality_wrapperINSA_8equal_toIsEEEEPmJS6_EEE10hipError_tPvRmT3_T4_T5_T6_T7_T9_mT8_P12ihipStream_tbDpT10_ENKUlT_T0_E_clISt17integral_constantIbLb0EES1A_EEDaS15_S16_EUlS15_E_NS1_11comp_targetILNS1_3genE3ELNS1_11target_archE908ELNS1_3gpuE7ELNS1_3repE0EEENS1_30default_config_static_selectorELNS0_4arch9wavefront6targetE1EEEvT1_.num_named_barrier, 0
	.set _ZN7rocprim17ROCPRIM_400000_NS6detail17trampoline_kernelINS0_14default_configENS1_25partition_config_selectorILNS1_17partition_subalgoE8EsNS0_10empty_typeEbEEZZNS1_14partition_implILS5_8ELb0ES3_jN6thrust23THRUST_200600_302600_NS6detail15normal_iteratorINSA_10device_ptrIsEEEEPS6_PKS6_NS0_5tupleIJSF_S6_EEENSJ_IJSG_SG_EEENS0_18inequality_wrapperINSA_8equal_toIsEEEEPmJS6_EEE10hipError_tPvRmT3_T4_T5_T6_T7_T9_mT8_P12ihipStream_tbDpT10_ENKUlT_T0_E_clISt17integral_constantIbLb0EES1A_EEDaS15_S16_EUlS15_E_NS1_11comp_targetILNS1_3genE3ELNS1_11target_archE908ELNS1_3gpuE7ELNS1_3repE0EEENS1_30default_config_static_selectorELNS0_4arch9wavefront6targetE1EEEvT1_.private_seg_size, 0
	.set _ZN7rocprim17ROCPRIM_400000_NS6detail17trampoline_kernelINS0_14default_configENS1_25partition_config_selectorILNS1_17partition_subalgoE8EsNS0_10empty_typeEbEEZZNS1_14partition_implILS5_8ELb0ES3_jN6thrust23THRUST_200600_302600_NS6detail15normal_iteratorINSA_10device_ptrIsEEEEPS6_PKS6_NS0_5tupleIJSF_S6_EEENSJ_IJSG_SG_EEENS0_18inequality_wrapperINSA_8equal_toIsEEEEPmJS6_EEE10hipError_tPvRmT3_T4_T5_T6_T7_T9_mT8_P12ihipStream_tbDpT10_ENKUlT_T0_E_clISt17integral_constantIbLb0EES1A_EEDaS15_S16_EUlS15_E_NS1_11comp_targetILNS1_3genE3ELNS1_11target_archE908ELNS1_3gpuE7ELNS1_3repE0EEENS1_30default_config_static_selectorELNS0_4arch9wavefront6targetE1EEEvT1_.uses_vcc, 0
	.set _ZN7rocprim17ROCPRIM_400000_NS6detail17trampoline_kernelINS0_14default_configENS1_25partition_config_selectorILNS1_17partition_subalgoE8EsNS0_10empty_typeEbEEZZNS1_14partition_implILS5_8ELb0ES3_jN6thrust23THRUST_200600_302600_NS6detail15normal_iteratorINSA_10device_ptrIsEEEEPS6_PKS6_NS0_5tupleIJSF_S6_EEENSJ_IJSG_SG_EEENS0_18inequality_wrapperINSA_8equal_toIsEEEEPmJS6_EEE10hipError_tPvRmT3_T4_T5_T6_T7_T9_mT8_P12ihipStream_tbDpT10_ENKUlT_T0_E_clISt17integral_constantIbLb0EES1A_EEDaS15_S16_EUlS15_E_NS1_11comp_targetILNS1_3genE3ELNS1_11target_archE908ELNS1_3gpuE7ELNS1_3repE0EEENS1_30default_config_static_selectorELNS0_4arch9wavefront6targetE1EEEvT1_.uses_flat_scratch, 0
	.set _ZN7rocprim17ROCPRIM_400000_NS6detail17trampoline_kernelINS0_14default_configENS1_25partition_config_selectorILNS1_17partition_subalgoE8EsNS0_10empty_typeEbEEZZNS1_14partition_implILS5_8ELb0ES3_jN6thrust23THRUST_200600_302600_NS6detail15normal_iteratorINSA_10device_ptrIsEEEEPS6_PKS6_NS0_5tupleIJSF_S6_EEENSJ_IJSG_SG_EEENS0_18inequality_wrapperINSA_8equal_toIsEEEEPmJS6_EEE10hipError_tPvRmT3_T4_T5_T6_T7_T9_mT8_P12ihipStream_tbDpT10_ENKUlT_T0_E_clISt17integral_constantIbLb0EES1A_EEDaS15_S16_EUlS15_E_NS1_11comp_targetILNS1_3genE3ELNS1_11target_archE908ELNS1_3gpuE7ELNS1_3repE0EEENS1_30default_config_static_selectorELNS0_4arch9wavefront6targetE1EEEvT1_.has_dyn_sized_stack, 0
	.set _ZN7rocprim17ROCPRIM_400000_NS6detail17trampoline_kernelINS0_14default_configENS1_25partition_config_selectorILNS1_17partition_subalgoE8EsNS0_10empty_typeEbEEZZNS1_14partition_implILS5_8ELb0ES3_jN6thrust23THRUST_200600_302600_NS6detail15normal_iteratorINSA_10device_ptrIsEEEEPS6_PKS6_NS0_5tupleIJSF_S6_EEENSJ_IJSG_SG_EEENS0_18inequality_wrapperINSA_8equal_toIsEEEEPmJS6_EEE10hipError_tPvRmT3_T4_T5_T6_T7_T9_mT8_P12ihipStream_tbDpT10_ENKUlT_T0_E_clISt17integral_constantIbLb0EES1A_EEDaS15_S16_EUlS15_E_NS1_11comp_targetILNS1_3genE3ELNS1_11target_archE908ELNS1_3gpuE7ELNS1_3repE0EEENS1_30default_config_static_selectorELNS0_4arch9wavefront6targetE1EEEvT1_.has_recursion, 0
	.set _ZN7rocprim17ROCPRIM_400000_NS6detail17trampoline_kernelINS0_14default_configENS1_25partition_config_selectorILNS1_17partition_subalgoE8EsNS0_10empty_typeEbEEZZNS1_14partition_implILS5_8ELb0ES3_jN6thrust23THRUST_200600_302600_NS6detail15normal_iteratorINSA_10device_ptrIsEEEEPS6_PKS6_NS0_5tupleIJSF_S6_EEENSJ_IJSG_SG_EEENS0_18inequality_wrapperINSA_8equal_toIsEEEEPmJS6_EEE10hipError_tPvRmT3_T4_T5_T6_T7_T9_mT8_P12ihipStream_tbDpT10_ENKUlT_T0_E_clISt17integral_constantIbLb0EES1A_EEDaS15_S16_EUlS15_E_NS1_11comp_targetILNS1_3genE3ELNS1_11target_archE908ELNS1_3gpuE7ELNS1_3repE0EEENS1_30default_config_static_selectorELNS0_4arch9wavefront6targetE1EEEvT1_.has_indirect_call, 0
	.section	.AMDGPU.csdata,"",@progbits
; Kernel info:
; codeLenInByte = 0
; TotalNumSgprs: 4
; NumVgprs: 0
; ScratchSize: 0
; MemoryBound: 0
; FloatMode: 240
; IeeeMode: 1
; LDSByteSize: 0 bytes/workgroup (compile time only)
; SGPRBlocks: 0
; VGPRBlocks: 0
; NumSGPRsForWavesPerEU: 4
; NumVGPRsForWavesPerEU: 1
; Occupancy: 10
; WaveLimiterHint : 0
; COMPUTE_PGM_RSRC2:SCRATCH_EN: 0
; COMPUTE_PGM_RSRC2:USER_SGPR: 6
; COMPUTE_PGM_RSRC2:TRAP_HANDLER: 0
; COMPUTE_PGM_RSRC2:TGID_X_EN: 1
; COMPUTE_PGM_RSRC2:TGID_Y_EN: 0
; COMPUTE_PGM_RSRC2:TGID_Z_EN: 0
; COMPUTE_PGM_RSRC2:TIDIG_COMP_CNT: 0
	.section	.text._ZN7rocprim17ROCPRIM_400000_NS6detail17trampoline_kernelINS0_14default_configENS1_25partition_config_selectorILNS1_17partition_subalgoE8EsNS0_10empty_typeEbEEZZNS1_14partition_implILS5_8ELb0ES3_jN6thrust23THRUST_200600_302600_NS6detail15normal_iteratorINSA_10device_ptrIsEEEEPS6_PKS6_NS0_5tupleIJSF_S6_EEENSJ_IJSG_SG_EEENS0_18inequality_wrapperINSA_8equal_toIsEEEEPmJS6_EEE10hipError_tPvRmT3_T4_T5_T6_T7_T9_mT8_P12ihipStream_tbDpT10_ENKUlT_T0_E_clISt17integral_constantIbLb0EES1A_EEDaS15_S16_EUlS15_E_NS1_11comp_targetILNS1_3genE2ELNS1_11target_archE906ELNS1_3gpuE6ELNS1_3repE0EEENS1_30default_config_static_selectorELNS0_4arch9wavefront6targetE1EEEvT1_,"axG",@progbits,_ZN7rocprim17ROCPRIM_400000_NS6detail17trampoline_kernelINS0_14default_configENS1_25partition_config_selectorILNS1_17partition_subalgoE8EsNS0_10empty_typeEbEEZZNS1_14partition_implILS5_8ELb0ES3_jN6thrust23THRUST_200600_302600_NS6detail15normal_iteratorINSA_10device_ptrIsEEEEPS6_PKS6_NS0_5tupleIJSF_S6_EEENSJ_IJSG_SG_EEENS0_18inequality_wrapperINSA_8equal_toIsEEEEPmJS6_EEE10hipError_tPvRmT3_T4_T5_T6_T7_T9_mT8_P12ihipStream_tbDpT10_ENKUlT_T0_E_clISt17integral_constantIbLb0EES1A_EEDaS15_S16_EUlS15_E_NS1_11comp_targetILNS1_3genE2ELNS1_11target_archE906ELNS1_3gpuE6ELNS1_3repE0EEENS1_30default_config_static_selectorELNS0_4arch9wavefront6targetE1EEEvT1_,comdat
	.protected	_ZN7rocprim17ROCPRIM_400000_NS6detail17trampoline_kernelINS0_14default_configENS1_25partition_config_selectorILNS1_17partition_subalgoE8EsNS0_10empty_typeEbEEZZNS1_14partition_implILS5_8ELb0ES3_jN6thrust23THRUST_200600_302600_NS6detail15normal_iteratorINSA_10device_ptrIsEEEEPS6_PKS6_NS0_5tupleIJSF_S6_EEENSJ_IJSG_SG_EEENS0_18inequality_wrapperINSA_8equal_toIsEEEEPmJS6_EEE10hipError_tPvRmT3_T4_T5_T6_T7_T9_mT8_P12ihipStream_tbDpT10_ENKUlT_T0_E_clISt17integral_constantIbLb0EES1A_EEDaS15_S16_EUlS15_E_NS1_11comp_targetILNS1_3genE2ELNS1_11target_archE906ELNS1_3gpuE6ELNS1_3repE0EEENS1_30default_config_static_selectorELNS0_4arch9wavefront6targetE1EEEvT1_ ; -- Begin function _ZN7rocprim17ROCPRIM_400000_NS6detail17trampoline_kernelINS0_14default_configENS1_25partition_config_selectorILNS1_17partition_subalgoE8EsNS0_10empty_typeEbEEZZNS1_14partition_implILS5_8ELb0ES3_jN6thrust23THRUST_200600_302600_NS6detail15normal_iteratorINSA_10device_ptrIsEEEEPS6_PKS6_NS0_5tupleIJSF_S6_EEENSJ_IJSG_SG_EEENS0_18inequality_wrapperINSA_8equal_toIsEEEEPmJS6_EEE10hipError_tPvRmT3_T4_T5_T6_T7_T9_mT8_P12ihipStream_tbDpT10_ENKUlT_T0_E_clISt17integral_constantIbLb0EES1A_EEDaS15_S16_EUlS15_E_NS1_11comp_targetILNS1_3genE2ELNS1_11target_archE906ELNS1_3gpuE6ELNS1_3repE0EEENS1_30default_config_static_selectorELNS0_4arch9wavefront6targetE1EEEvT1_
	.globl	_ZN7rocprim17ROCPRIM_400000_NS6detail17trampoline_kernelINS0_14default_configENS1_25partition_config_selectorILNS1_17partition_subalgoE8EsNS0_10empty_typeEbEEZZNS1_14partition_implILS5_8ELb0ES3_jN6thrust23THRUST_200600_302600_NS6detail15normal_iteratorINSA_10device_ptrIsEEEEPS6_PKS6_NS0_5tupleIJSF_S6_EEENSJ_IJSG_SG_EEENS0_18inequality_wrapperINSA_8equal_toIsEEEEPmJS6_EEE10hipError_tPvRmT3_T4_T5_T6_T7_T9_mT8_P12ihipStream_tbDpT10_ENKUlT_T0_E_clISt17integral_constantIbLb0EES1A_EEDaS15_S16_EUlS15_E_NS1_11comp_targetILNS1_3genE2ELNS1_11target_archE906ELNS1_3gpuE6ELNS1_3repE0EEENS1_30default_config_static_selectorELNS0_4arch9wavefront6targetE1EEEvT1_
	.p2align	8
	.type	_ZN7rocprim17ROCPRIM_400000_NS6detail17trampoline_kernelINS0_14default_configENS1_25partition_config_selectorILNS1_17partition_subalgoE8EsNS0_10empty_typeEbEEZZNS1_14partition_implILS5_8ELb0ES3_jN6thrust23THRUST_200600_302600_NS6detail15normal_iteratorINSA_10device_ptrIsEEEEPS6_PKS6_NS0_5tupleIJSF_S6_EEENSJ_IJSG_SG_EEENS0_18inequality_wrapperINSA_8equal_toIsEEEEPmJS6_EEE10hipError_tPvRmT3_T4_T5_T6_T7_T9_mT8_P12ihipStream_tbDpT10_ENKUlT_T0_E_clISt17integral_constantIbLb0EES1A_EEDaS15_S16_EUlS15_E_NS1_11comp_targetILNS1_3genE2ELNS1_11target_archE906ELNS1_3gpuE6ELNS1_3repE0EEENS1_30default_config_static_selectorELNS0_4arch9wavefront6targetE1EEEvT1_,@function
_ZN7rocprim17ROCPRIM_400000_NS6detail17trampoline_kernelINS0_14default_configENS1_25partition_config_selectorILNS1_17partition_subalgoE8EsNS0_10empty_typeEbEEZZNS1_14partition_implILS5_8ELb0ES3_jN6thrust23THRUST_200600_302600_NS6detail15normal_iteratorINSA_10device_ptrIsEEEEPS6_PKS6_NS0_5tupleIJSF_S6_EEENSJ_IJSG_SG_EEENS0_18inequality_wrapperINSA_8equal_toIsEEEEPmJS6_EEE10hipError_tPvRmT3_T4_T5_T6_T7_T9_mT8_P12ihipStream_tbDpT10_ENKUlT_T0_E_clISt17integral_constantIbLb0EES1A_EEDaS15_S16_EUlS15_E_NS1_11comp_targetILNS1_3genE2ELNS1_11target_archE906ELNS1_3gpuE6ELNS1_3repE0EEENS1_30default_config_static_selectorELNS0_4arch9wavefront6targetE1EEEvT1_: ; @_ZN7rocprim17ROCPRIM_400000_NS6detail17trampoline_kernelINS0_14default_configENS1_25partition_config_selectorILNS1_17partition_subalgoE8EsNS0_10empty_typeEbEEZZNS1_14partition_implILS5_8ELb0ES3_jN6thrust23THRUST_200600_302600_NS6detail15normal_iteratorINSA_10device_ptrIsEEEEPS6_PKS6_NS0_5tupleIJSF_S6_EEENSJ_IJSG_SG_EEENS0_18inequality_wrapperINSA_8equal_toIsEEEEPmJS6_EEE10hipError_tPvRmT3_T4_T5_T6_T7_T9_mT8_P12ihipStream_tbDpT10_ENKUlT_T0_E_clISt17integral_constantIbLb0EES1A_EEDaS15_S16_EUlS15_E_NS1_11comp_targetILNS1_3genE2ELNS1_11target_archE906ELNS1_3gpuE6ELNS1_3repE0EEENS1_30default_config_static_selectorELNS0_4arch9wavefront6targetE1EEEvT1_
; %bb.0:
	s_load_dwordx4 s[0:3], s[4:5], 0x8
	s_load_dwordx4 s[40:43], s[4:5], 0x40
	s_load_dwordx2 s[8:9], s[4:5], 0x50
	s_load_dword s7, s[4:5], 0x68
	v_lshlrev_b32_e32 v47, 1, v0
	s_waitcnt lgkmcnt(0)
	s_lshl_b64 s[10:11], s[2:3], 1
	s_add_u32 s12, s0, s10
	s_addc_u32 s13, s1, s11
	s_mul_i32 s0, s7, 0xd80
	s_add_i32 s1, s0, s2
	s_add_i32 s14, s7, -1
	s_sub_i32 s7, s8, s1
	s_add_u32 s0, s2, s0
	s_addc_u32 s1, s3, 0
	v_mov_b32_e32 v2, s1
	v_mov_b32_e32 v1, s0
	v_cmp_le_u64_e32 vcc, s[8:9], v[1:2]
	s_cmp_eq_u32 s6, s14
	s_load_dwordx2 s[42:43], s[42:43], 0x0
	s_cselect_b64 s[44:45], -1, 0
	s_mul_i32 s10, s6, 0xd80
	s_mov_b32 s11, 0
	s_and_b64 s[48:49], s[44:45], vcc
	s_xor_b64 s[46:47], s[48:49], -1
	s_lshl_b64 s[8:9], s[10:11], 1
	s_add_u32 s8, s12, s8
	s_mov_b64 s[0:1], -1
	s_addc_u32 s9, s13, s9
	s_and_b64 vcc, exec, s[46:47]
	s_cbranch_vccz .LBB473_2
; %bb.1:
	v_lshlrev_b32_e32 v5, 1, v0
	v_mov_b32_e32 v2, s9
	v_add_co_u32_e32 v1, vcc, s8, v5
	v_addc_co_u32_e32 v2, vcc, 0, v2, vcc
	s_movk_i32 s0, 0x1000
	v_add_co_u32_e32 v3, vcc, s0, v1
	flat_load_ushort v6, v[1:2]
	flat_load_ushort v7, v[1:2] offset:384
	flat_load_ushort v8, v[1:2] offset:768
	;; [unrolled: 1-line block ×7, first 2 shown]
	v_addc_co_u32_e32 v4, vcc, 0, v2, vcc
	flat_load_ushort v14, v[1:2] offset:3072
	flat_load_ushort v15, v[1:2] offset:3456
	;; [unrolled: 1-line block ×10, first 2 shown]
	s_mov_b64 s[0:1], 0
	s_waitcnt vmcnt(0) lgkmcnt(0)
	ds_write_b16 v5, v6
	ds_write_b16 v5, v7 offset:384
	ds_write_b16 v5, v8 offset:768
	;; [unrolled: 1-line block ×17, first 2 shown]
	s_waitcnt lgkmcnt(0)
	s_barrier
.LBB473_2:
	s_andn2_b64 vcc, exec, s[0:1]
	s_addk_i32 s7, 0xd80
	s_cbranch_vccnz .LBB473_40
; %bb.3:
	v_mov_b32_e32 v1, 0
	v_cmp_gt_u32_e32 vcc, s7, v0
	v_mov_b32_e32 v2, v1
	v_mov_b32_e32 v3, v1
	;; [unrolled: 1-line block ×8, first 2 shown]
	s_and_saveexec_b64 s[0:1], vcc
	s_cbranch_execz .LBB473_5
; %bb.4:
	v_lshlrev_b32_e32 v2, 1, v0
	v_mov_b32_e32 v3, s9
	v_add_co_u32_e32 v2, vcc, s8, v2
	v_addc_co_u32_e32 v3, vcc, 0, v3, vcc
	flat_load_ushort v10, v[2:3]
	v_mov_b32_e32 v2, v1
	v_mov_b32_e32 v3, v1
	;; [unrolled: 1-line block ×8, first 2 shown]
	s_waitcnt vmcnt(0) lgkmcnt(0)
	v_and_b32_e32 v1, 0xffff, v10
.LBB473_5:
	s_or_b64 exec, exec, s[0:1]
	v_add_u32_e32 v10, 0xc0, v0
	v_cmp_gt_u32_e32 vcc, s7, v10
	s_and_saveexec_b64 s[0:1], vcc
	s_cbranch_execz .LBB473_7
; %bb.6:
	v_lshlrev_b32_e32 v10, 1, v0
	v_mov_b32_e32 v11, s9
	v_add_co_u32_e32 v10, vcc, s8, v10
	v_addc_co_u32_e32 v11, vcc, 0, v11, vcc
	flat_load_ushort v10, v[10:11] offset:384
	s_mov_b32 s10, 0x5040100
	s_waitcnt vmcnt(0) lgkmcnt(0)
	v_perm_b32 v1, v10, v1, s10
.LBB473_7:
	s_or_b64 exec, exec, s[0:1]
	v_add_u32_e32 v10, 0x180, v0
	v_cmp_gt_u32_e32 vcc, s7, v10
	s_and_saveexec_b64 s[0:1], vcc
	s_cbranch_execz .LBB473_9
; %bb.8:
	v_lshlrev_b32_e32 v10, 1, v0
	v_mov_b32_e32 v11, s9
	v_add_co_u32_e32 v10, vcc, s8, v10
	v_addc_co_u32_e32 v11, vcc, 0, v11, vcc
	flat_load_ushort v10, v[10:11] offset:768
	s_mov_b32 s10, 0xffff
	s_waitcnt vmcnt(0) lgkmcnt(0)
	v_bfi_b32 v2, s10, v10, v2
.LBB473_9:
	s_or_b64 exec, exec, s[0:1]
	v_add_u32_e32 v10, 0x240, v0
	v_cmp_gt_u32_e32 vcc, s7, v10
	s_and_saveexec_b64 s[0:1], vcc
	s_cbranch_execz .LBB473_11
; %bb.10:
	v_lshlrev_b32_e32 v10, 1, v0
	v_mov_b32_e32 v11, s9
	v_add_co_u32_e32 v10, vcc, s8, v10
	v_addc_co_u32_e32 v11, vcc, 0, v11, vcc
	flat_load_ushort v10, v[10:11] offset:1152
	s_mov_b32 s10, 0x5040100
	s_waitcnt vmcnt(0) lgkmcnt(0)
	v_perm_b32 v2, v10, v2, s10
.LBB473_11:
	s_or_b64 exec, exec, s[0:1]
	v_or_b32_e32 v10, 0x300, v0
	v_cmp_gt_u32_e32 vcc, s7, v10
	s_and_saveexec_b64 s[0:1], vcc
	s_cbranch_execz .LBB473_13
; %bb.12:
	v_lshlrev_b32_e32 v10, 1, v0
	v_mov_b32_e32 v11, s9
	v_add_co_u32_e32 v10, vcc, s8, v10
	v_addc_co_u32_e32 v11, vcc, 0, v11, vcc
	flat_load_ushort v10, v[10:11] offset:1536
	s_mov_b32 s10, 0xffff
	s_waitcnt vmcnt(0) lgkmcnt(0)
	v_bfi_b32 v3, s10, v10, v3
.LBB473_13:
	s_or_b64 exec, exec, s[0:1]
	v_add_u32_e32 v10, 0x3c0, v0
	v_cmp_gt_u32_e32 vcc, s7, v10
	s_and_saveexec_b64 s[0:1], vcc
	s_cbranch_execz .LBB473_15
; %bb.14:
	v_lshlrev_b32_e32 v10, 1, v0
	v_mov_b32_e32 v11, s9
	v_add_co_u32_e32 v10, vcc, s8, v10
	v_addc_co_u32_e32 v11, vcc, 0, v11, vcc
	flat_load_ushort v10, v[10:11] offset:1920
	s_mov_b32 s10, 0x5040100
	s_waitcnt vmcnt(0) lgkmcnt(0)
	v_perm_b32 v3, v10, v3, s10
.LBB473_15:
	s_or_b64 exec, exec, s[0:1]
	v_add_u32_e32 v10, 0x480, v0
	v_cmp_gt_u32_e32 vcc, s7, v10
	s_and_saveexec_b64 s[0:1], vcc
	s_cbranch_execz .LBB473_17
; %bb.16:
	v_lshlrev_b32_e32 v10, 1, v0
	v_mov_b32_e32 v11, s9
	v_add_co_u32_e32 v10, vcc, s8, v10
	v_addc_co_u32_e32 v11, vcc, 0, v11, vcc
	flat_load_ushort v10, v[10:11] offset:2304
	s_mov_b32 s10, 0xffff
	s_waitcnt vmcnt(0) lgkmcnt(0)
	v_bfi_b32 v4, s10, v10, v4
.LBB473_17:
	s_or_b64 exec, exec, s[0:1]
	v_add_u32_e32 v10, 0x540, v0
	v_cmp_gt_u32_e32 vcc, s7, v10
	s_and_saveexec_b64 s[0:1], vcc
	s_cbranch_execz .LBB473_19
; %bb.18:
	v_lshlrev_b32_e32 v10, 1, v0
	v_mov_b32_e32 v11, s9
	v_add_co_u32_e32 v10, vcc, s8, v10
	v_addc_co_u32_e32 v11, vcc, 0, v11, vcc
	flat_load_ushort v10, v[10:11] offset:2688
	s_mov_b32 s10, 0x5040100
	s_waitcnt vmcnt(0) lgkmcnt(0)
	v_perm_b32 v4, v10, v4, s10
.LBB473_19:
	s_or_b64 exec, exec, s[0:1]
	v_or_b32_e32 v10, 0x600, v0
	v_cmp_gt_u32_e32 vcc, s7, v10
	s_and_saveexec_b64 s[0:1], vcc
	s_cbranch_execz .LBB473_21
; %bb.20:
	v_lshlrev_b32_e32 v10, 1, v0
	v_mov_b32_e32 v11, s9
	v_add_co_u32_e32 v10, vcc, s8, v10
	v_addc_co_u32_e32 v11, vcc, 0, v11, vcc
	flat_load_ushort v10, v[10:11] offset:3072
	s_mov_b32 s10, 0xffff
	s_waitcnt vmcnt(0) lgkmcnt(0)
	v_bfi_b32 v5, s10, v10, v5
.LBB473_21:
	s_or_b64 exec, exec, s[0:1]
	v_add_u32_e32 v10, 0x6c0, v0
	v_cmp_gt_u32_e32 vcc, s7, v10
	s_and_saveexec_b64 s[0:1], vcc
	s_cbranch_execz .LBB473_23
; %bb.22:
	v_lshlrev_b32_e32 v10, 1, v0
	v_mov_b32_e32 v11, s9
	v_add_co_u32_e32 v10, vcc, s8, v10
	v_addc_co_u32_e32 v11, vcc, 0, v11, vcc
	flat_load_ushort v10, v[10:11] offset:3456
	s_mov_b32 s10, 0x5040100
	s_waitcnt vmcnt(0) lgkmcnt(0)
	v_perm_b32 v5, v10, v5, s10
.LBB473_23:
	s_or_b64 exec, exec, s[0:1]
	v_add_u32_e32 v10, 0x780, v0
	v_cmp_gt_u32_e32 vcc, s7, v10
	s_and_saveexec_b64 s[0:1], vcc
	s_cbranch_execz .LBB473_25
; %bb.24:
	v_lshlrev_b32_e32 v10, 1, v0
	v_mov_b32_e32 v11, s9
	v_add_co_u32_e32 v10, vcc, s8, v10
	v_addc_co_u32_e32 v11, vcc, 0, v11, vcc
	flat_load_ushort v10, v[10:11] offset:3840
	s_mov_b32 s10, 0xffff
	s_waitcnt vmcnt(0) lgkmcnt(0)
	v_bfi_b32 v6, s10, v10, v6
.LBB473_25:
	s_or_b64 exec, exec, s[0:1]
	v_add_u32_e32 v10, 0x840, v0
	v_cmp_gt_u32_e32 vcc, s7, v10
	s_and_saveexec_b64 s[0:1], vcc
	s_cbranch_execz .LBB473_27
; %bb.26:
	v_lshlrev_b32_e32 v10, 1, v10
	v_mov_b32_e32 v11, s9
	v_add_co_u32_e32 v10, vcc, s8, v10
	v_addc_co_u32_e32 v11, vcc, 0, v11, vcc
	flat_load_ushort v10, v[10:11]
	s_mov_b32 s10, 0x5040100
	s_waitcnt vmcnt(0) lgkmcnt(0)
	v_perm_b32 v6, v10, v6, s10
.LBB473_27:
	s_or_b64 exec, exec, s[0:1]
	v_or_b32_e32 v10, 0x900, v0
	v_cmp_gt_u32_e32 vcc, s7, v10
	s_and_saveexec_b64 s[0:1], vcc
	s_cbranch_execz .LBB473_29
; %bb.28:
	v_lshlrev_b32_e32 v10, 1, v10
	v_mov_b32_e32 v11, s9
	v_add_co_u32_e32 v10, vcc, s8, v10
	v_addc_co_u32_e32 v11, vcc, 0, v11, vcc
	flat_load_ushort v10, v[10:11]
	s_mov_b32 s10, 0xffff
	s_waitcnt vmcnt(0) lgkmcnt(0)
	v_bfi_b32 v7, s10, v10, v7
.LBB473_29:
	s_or_b64 exec, exec, s[0:1]
	v_add_u32_e32 v10, 0x9c0, v0
	v_cmp_gt_u32_e32 vcc, s7, v10
	s_and_saveexec_b64 s[0:1], vcc
	s_cbranch_execz .LBB473_31
; %bb.30:
	v_lshlrev_b32_e32 v10, 1, v10
	v_mov_b32_e32 v11, s9
	v_add_co_u32_e32 v10, vcc, s8, v10
	v_addc_co_u32_e32 v11, vcc, 0, v11, vcc
	flat_load_ushort v10, v[10:11]
	s_mov_b32 s10, 0x5040100
	s_waitcnt vmcnt(0) lgkmcnt(0)
	v_perm_b32 v7, v10, v7, s10
.LBB473_31:
	s_or_b64 exec, exec, s[0:1]
	v_add_u32_e32 v10, 0xa80, v0
	v_cmp_gt_u32_e32 vcc, s7, v10
	s_and_saveexec_b64 s[0:1], vcc
	s_cbranch_execz .LBB473_33
; %bb.32:
	v_lshlrev_b32_e32 v10, 1, v10
	v_mov_b32_e32 v11, s9
	v_add_co_u32_e32 v10, vcc, s8, v10
	v_addc_co_u32_e32 v11, vcc, 0, v11, vcc
	flat_load_ushort v10, v[10:11]
	s_mov_b32 s10, 0xffff
	s_waitcnt vmcnt(0) lgkmcnt(0)
	v_bfi_b32 v8, s10, v10, v8
.LBB473_33:
	s_or_b64 exec, exec, s[0:1]
	v_add_u32_e32 v10, 0xb40, v0
	v_cmp_gt_u32_e32 vcc, s7, v10
	s_and_saveexec_b64 s[0:1], vcc
	s_cbranch_execz .LBB473_35
; %bb.34:
	v_lshlrev_b32_e32 v10, 1, v10
	v_mov_b32_e32 v11, s9
	v_add_co_u32_e32 v10, vcc, s8, v10
	v_addc_co_u32_e32 v11, vcc, 0, v11, vcc
	flat_load_ushort v10, v[10:11]
	s_mov_b32 s10, 0x5040100
	s_waitcnt vmcnt(0) lgkmcnt(0)
	v_perm_b32 v8, v10, v8, s10
.LBB473_35:
	s_or_b64 exec, exec, s[0:1]
	v_or_b32_e32 v10, 0xc00, v0
	v_cmp_gt_u32_e32 vcc, s7, v10
	s_and_saveexec_b64 s[0:1], vcc
	s_cbranch_execz .LBB473_37
; %bb.36:
	v_lshlrev_b32_e32 v10, 1, v10
	v_mov_b32_e32 v11, s9
	v_add_co_u32_e32 v10, vcc, s8, v10
	v_addc_co_u32_e32 v11, vcc, 0, v11, vcc
	flat_load_ushort v10, v[10:11]
	s_mov_b32 s10, 0xffff
	s_waitcnt vmcnt(0) lgkmcnt(0)
	v_bfi_b32 v9, s10, v10, v9
.LBB473_37:
	s_or_b64 exec, exec, s[0:1]
	v_add_u32_e32 v10, 0xcc0, v0
	v_cmp_gt_u32_e32 vcc, s7, v10
	s_and_saveexec_b64 s[0:1], vcc
	s_cbranch_execz .LBB473_39
; %bb.38:
	v_lshlrev_b32_e32 v10, 1, v10
	v_mov_b32_e32 v11, s9
	v_add_co_u32_e32 v10, vcc, s8, v10
	v_addc_co_u32_e32 v11, vcc, 0, v11, vcc
	flat_load_ushort v10, v[10:11]
	s_mov_b32 s10, 0x5040100
	s_waitcnt vmcnt(0) lgkmcnt(0)
	v_perm_b32 v9, v10, v9, s10
.LBB473_39:
	s_or_b64 exec, exec, s[0:1]
	v_lshlrev_b32_e32 v10, 1, v0
	ds_write_b16 v10, v1
	ds_write_b16_d16_hi v10, v1 offset:384
	ds_write_b16 v10, v2 offset:768
	ds_write_b16_d16_hi v10, v2 offset:1152
	ds_write_b16 v10, v3 offset:1536
	;; [unrolled: 2-line block ×8, first 2 shown]
	ds_write_b16_d16_hi v10, v9 offset:6528
	s_waitcnt lgkmcnt(0)
	s_barrier
.LBB473_40:
	v_mul_u32_u24_e32 v9, 18, v0
	v_lshlrev_b32_e32 v10, 1, v9
	s_waitcnt lgkmcnt(0)
	ds_read2_b32 v[7:8], v10 offset1:1
	ds_read2_b32 v[5:6], v10 offset0:2 offset1:3
	ds_read2_b32 v[3:4], v10 offset0:4 offset1:5
	;; [unrolled: 1-line block ×3, first 2 shown]
	ds_read_b32 v49, v10 offset:32
	s_cmp_lg_u32 s6, 0
	s_cselect_b64 s[50:51], -1, 0
	s_cmp_lg_u64 s[2:3], 0
	s_cselect_b64 s[0:1], -1, 0
	s_or_b64 s[0:1], s[50:51], s[0:1]
	s_waitcnt lgkmcnt(4)
	v_lshrrev_b32_e32 v57, 16, v7
	v_lshrrev_b32_e32 v56, 16, v8
	s_waitcnt lgkmcnt(3)
	v_lshrrev_b32_e32 v55, 16, v5
	v_lshrrev_b32_e32 v54, 16, v6
	;; [unrolled: 3-line block ×4, first 2 shown]
	s_waitcnt lgkmcnt(0)
	v_lshrrev_b32_e32 v48, 16, v49
	s_mov_b64 s[54:55], 0
	s_and_b64 vcc, exec, s[0:1]
	s_barrier
	s_cbranch_vccz .LBB473_45
; %bb.41:
	v_mov_b32_e32 v12, s9
	v_add_co_u32_e64 v11, vcc, -2, s8
	v_addc_co_u32_e32 v12, vcc, -1, v12, vcc
	flat_load_ushort v11, v[11:12]
	v_lshlrev_b32_e32 v12, 1, v0
	s_and_b64 vcc, exec, s[46:47]
	ds_write_b16 v12, v48
	s_cbranch_vccz .LBB473_46
; %bb.42:
	v_cmp_ne_u32_e32 vcc, 0, v0
	s_waitcnt vmcnt(0) lgkmcnt(0)
	v_mov_b32_e32 v13, v11
	s_barrier
	s_and_saveexec_b64 s[0:1], vcc
; %bb.43:
	v_add_u32_e32 v13, -2, v12
	ds_read_u16 v13, v13
; %bb.44:
	s_or_b64 exec, exec, s[0:1]
	v_cmp_ne_u16_e32 vcc, v49, v48
	v_cndmask_b32_e64 v58, 0, 1, vcc
	v_cmp_ne_u16_e32 vcc, v50, v49
	v_cndmask_b32_e64 v59, 0, 1, vcc
	;; [unrolled: 2-line block ×17, first 2 shown]
	s_waitcnt lgkmcnt(0)
	v_cmp_ne_u16_e64 s[52:53], v13, v7
	s_branch .LBB473_50
.LBB473_45:
                                        ; implicit-def: $sgpr52_sgpr53
                                        ; implicit-def: $vgpr58
                                        ; implicit-def: $vgpr59
                                        ; implicit-def: $vgpr60
                                        ; implicit-def: $vgpr61
                                        ; implicit-def: $vgpr62
                                        ; implicit-def: $vgpr63
                                        ; implicit-def: $vgpr64
                                        ; implicit-def: $vgpr65
                                        ; implicit-def: $vgpr66
                                        ; implicit-def: $vgpr74
                                        ; implicit-def: $vgpr73
                                        ; implicit-def: $vgpr72
                                        ; implicit-def: $vgpr71
                                        ; implicit-def: $vgpr70
                                        ; implicit-def: $vgpr69
                                        ; implicit-def: $vgpr68
                                        ; implicit-def: $vgpr67
	s_branch .LBB473_51
.LBB473_46:
                                        ; implicit-def: $sgpr52_sgpr53
                                        ; implicit-def: $vgpr58
                                        ; implicit-def: $vgpr59
                                        ; implicit-def: $vgpr60
                                        ; implicit-def: $vgpr61
                                        ; implicit-def: $vgpr62
                                        ; implicit-def: $vgpr63
                                        ; implicit-def: $vgpr64
                                        ; implicit-def: $vgpr65
                                        ; implicit-def: $vgpr66
                                        ; implicit-def: $vgpr74
                                        ; implicit-def: $vgpr73
                                        ; implicit-def: $vgpr72
                                        ; implicit-def: $vgpr71
                                        ; implicit-def: $vgpr70
                                        ; implicit-def: $vgpr69
                                        ; implicit-def: $vgpr68
                                        ; implicit-def: $vgpr67
	s_cbranch_execz .LBB473_50
; %bb.47:
	v_cmp_ne_u32_e32 vcc, 0, v0
	s_waitcnt vmcnt(0) lgkmcnt(0)
	s_barrier
	s_and_saveexec_b64 s[0:1], vcc
; %bb.48:
	v_add_u32_e32 v11, -2, v12
	ds_read_u16 v11, v11
; %bb.49:
	s_or_b64 exec, exec, s[0:1]
	v_add_u32_e32 v12, 17, v9
	v_cmp_gt_u32_e32 vcc, s7, v12
	v_cmp_ne_u16_e64 s[0:1], v49, v48
	s_and_b64 s[0:1], vcc, s[0:1]
	v_add_u32_e32 v12, 16, v9
	v_cndmask_b32_e64 v58, 0, 1, s[0:1]
	v_cmp_gt_u32_e32 vcc, s7, v12
	v_cmp_ne_u16_e64 s[0:1], v50, v49
	s_and_b64 s[0:1], vcc, s[0:1]
	v_add_u32_e32 v12, 15, v9
	v_cndmask_b32_e64 v59, 0, 1, s[0:1]
	;; [unrolled: 5-line block ×15, first 2 shown]
	v_cmp_gt_u32_e32 vcc, s7, v12
	v_cmp_ne_u16_e64 s[0:1], v57, v8
	s_and_b64 s[0:1], vcc, s[0:1]
	v_or_b32_e32 v12, 1, v9
	v_cndmask_b32_e64 v73, 0, 1, s[0:1]
	v_cmp_gt_u32_e32 vcc, s7, v12
	v_cmp_ne_u16_e64 s[0:1], v7, v57
	s_and_b64 s[0:1], vcc, s[0:1]
	v_cndmask_b32_e64 v74, 0, 1, s[0:1]
	v_cmp_gt_u32_e32 vcc, s7, v9
	s_waitcnt lgkmcnt(0)
	v_cmp_ne_u16_e64 s[0:1], v11, v7
	s_and_b64 s[52:53], vcc, s[0:1]
.LBB473_50:
	s_mov_b64 s[54:55], -1
	s_cbranch_execnz .LBB473_59
.LBB473_51:
	s_movk_i32 s0, 0xffde
	v_mad_i32_i24 v10, v0, s0, v10
	s_and_b64 vcc, exec, s[46:47]
	v_cmp_ne_u16_e64 s[0:1], v49, v48
	v_cmp_ne_u16_e64 s[2:3], v50, v49
	;; [unrolled: 1-line block ×17, first 2 shown]
	ds_write_b16 v10, v48
	s_cbranch_vccz .LBB473_55
; %bb.52:
	v_cmp_ne_u32_e32 vcc, 0, v0
	s_waitcnt vmcnt(0) lgkmcnt(0)
	s_barrier
                                        ; implicit-def: $sgpr52_sgpr53
	s_and_saveexec_b64 s[56:57], vcc
	s_xor_b64 s[56:57], exec, s[56:57]
	s_cbranch_execz .LBB473_54
; %bb.53:
	v_add_u32_e32 v11, -2, v10
	ds_read_u16 v11, v11
	s_or_b64 s[54:55], s[54:55], exec
	s_waitcnt lgkmcnt(0)
	v_cmp_ne_u16_e64 s[52:53], v11, v7
.LBB473_54:
	s_or_b64 exec, exec, s[56:57]
	v_cndmask_b32_e64 v58, 0, 1, s[0:1]
	v_cndmask_b32_e64 v59, 0, 1, s[2:3]
	;; [unrolled: 1-line block ×17, first 2 shown]
	s_branch .LBB473_59
.LBB473_55:
                                        ; implicit-def: $sgpr52_sgpr53
                                        ; implicit-def: $vgpr58
                                        ; implicit-def: $vgpr59
                                        ; implicit-def: $vgpr60
                                        ; implicit-def: $vgpr61
                                        ; implicit-def: $vgpr62
                                        ; implicit-def: $vgpr63
                                        ; implicit-def: $vgpr64
                                        ; implicit-def: $vgpr65
                                        ; implicit-def: $vgpr66
                                        ; implicit-def: $vgpr74
                                        ; implicit-def: $vgpr73
                                        ; implicit-def: $vgpr72
                                        ; implicit-def: $vgpr71
                                        ; implicit-def: $vgpr70
                                        ; implicit-def: $vgpr69
                                        ; implicit-def: $vgpr68
                                        ; implicit-def: $vgpr67
	s_cbranch_execz .LBB473_59
; %bb.56:
	s_waitcnt vmcnt(0) lgkmcnt(0)
	v_add_u32_e32 v11, 17, v9
	v_cmp_gt_u32_e32 vcc, s7, v11
	v_cmp_ne_u16_e64 s[0:1], v49, v48
	v_add_u32_e32 v11, 16, v9
	s_and_b64 s[2:3], vcc, s[0:1]
	v_cmp_gt_u32_e32 vcc, s7, v11
	v_cmp_ne_u16_e64 s[0:1], v50, v49
	v_add_u32_e32 v11, 15, v9
	s_and_b64 s[8:9], vcc, s[0:1]
	;; [unrolled: 4-line block ×15, first 2 shown]
	v_cmp_gt_u32_e32 vcc, s7, v11
	v_cmp_ne_u16_e64 s[0:1], v57, v8
	v_or_b32_e32 v11, 1, v9
	s_and_b64 s[38:39], vcc, s[0:1]
	v_cmp_gt_u32_e32 vcc, s7, v11
	v_cmp_ne_u16_e64 s[0:1], v7, v57
	s_and_b64 s[56:57], vcc, s[0:1]
	v_cmp_ne_u32_e32 vcc, 0, v0
	s_barrier
                                        ; implicit-def: $sgpr52_sgpr53
	s_and_saveexec_b64 s[58:59], vcc
	s_cbranch_execz .LBB473_58
; %bb.57:
	v_add_u32_e32 v10, -2, v10
	ds_read_u16 v10, v10
	v_cmp_gt_u32_e32 vcc, s7, v9
	s_or_b64 s[54:55], s[54:55], exec
	s_waitcnt lgkmcnt(0)
	v_cmp_ne_u16_e64 s[0:1], v10, v7
	s_and_b64 s[52:53], vcc, s[0:1]
.LBB473_58:
	s_or_b64 exec, exec, s[58:59]
	v_cndmask_b32_e64 v58, 0, 1, s[2:3]
	v_cndmask_b32_e64 v59, 0, 1, s[8:9]
	;; [unrolled: 1-line block ×17, first 2 shown]
.LBB473_59:
	v_mov_b32_e32 v20, 1
	s_and_saveexec_b64 s[0:1], s[54:55]
; %bb.60:
	v_cndmask_b32_e64 v20, 0, 1, s[52:53]
; %bb.61:
	s_or_b64 exec, exec, s[0:1]
	s_load_dwordx2 s[22:23], s[4:5], 0x60
	s_andn2_b64 vcc, exec, s[48:49]
	s_cbranch_vccnz .LBB473_63
; %bb.62:
	v_cmp_gt_u32_e32 vcc, s7, v9
	v_or_b32_e32 v10, 1, v9
	v_cndmask_b32_e32 v20, 0, v20, vcc
	v_cmp_gt_u32_e32 vcc, s7, v10
	v_add_u32_e32 v10, 2, v9
	v_cndmask_b32_e32 v74, 0, v74, vcc
	v_cmp_gt_u32_e32 vcc, s7, v10
	v_add_u32_e32 v10, 3, v9
	;; [unrolled: 3-line block ×16, first 2 shown]
	v_cndmask_b32_e32 v59, 0, v59, vcc
	v_cmp_gt_u32_e32 vcc, s7, v9
	v_cndmask_b32_e32 v58, 0, v58, vcc
.LBB473_63:
	v_and_b32_e32 v33, 0xff, v70
	v_and_b32_e32 v34, 0xff, v69
	v_add_u32_sdwa v10, v68, v67 dst_sel:DWORD dst_unused:UNUSED_PAD src0_sel:BYTE_0 src1_sel:BYTE_0
	v_and_b32_e32 v29, 0xff, v72
	v_and_b32_e32 v31, 0xff, v71
	v_add3_u32 v10, v10, v34, v33
	v_and_b32_e32 v25, 0xff, v74
	v_and_b32_e32 v27, 0xff, v73
	v_add3_u32 v10, v10, v31, v29
	;; [unrolled: 3-line block ×7, first 2 shown]
	v_add3_u32 v37, v10, v32, v9
	v_mbcnt_lo_u32_b32 v9, -1, 0
	v_mbcnt_hi_u32_b32 v35, -1, v9
	v_and_b32_e32 v9, 15, v35
	v_cmp_eq_u32_e64 s[14:15], 0, v9
	v_cmp_lt_u32_e64 s[12:13], 1, v9
	v_cmp_lt_u32_e64 s[10:11], 3, v9
	;; [unrolled: 1-line block ×3, first 2 shown]
	v_and_b32_e32 v9, 16, v35
	v_cmp_eq_u32_e64 s[2:3], 0, v9
	v_and_b32_e32 v9, 0xc0, v0
	v_min_u32_e32 v9, 0x80, v9
	v_or_b32_e32 v9, 63, v9
	v_cmp_lt_u32_e64 s[0:1], 31, v35
	v_lshrrev_b32_e32 v36, 6, v0
	v_cmp_eq_u32_e64 s[18:19], v0, v9
	s_and_b64 vcc, exec, s[50:51]
	s_waitcnt vmcnt(0) lgkmcnt(0)
	s_barrier
	s_cbranch_vccz .LBB473_85
; %bb.64:
	v_mov_b32_dpp v9, v37 row_shr:1 row_mask:0xf bank_mask:0xf
	v_cndmask_b32_e64 v9, v9, 0, s[14:15]
	v_add_u32_e32 v9, v9, v37
	s_nop 1
	v_mov_b32_dpp v10, v9 row_shr:2 row_mask:0xf bank_mask:0xf
	v_cndmask_b32_e64 v10, 0, v10, s[12:13]
	v_add_u32_e32 v9, v9, v10
	s_nop 1
	;; [unrolled: 4-line block ×4, first 2 shown]
	v_mov_b32_dpp v10, v9 row_bcast:15 row_mask:0xf bank_mask:0xf
	v_cndmask_b32_e64 v10, v10, 0, s[2:3]
	v_add_u32_e32 v9, v9, v10
	s_nop 1
	v_mov_b32_dpp v10, v9 row_bcast:31 row_mask:0xf bank_mask:0xf
	v_cndmask_b32_e64 v10, 0, v10, s[0:1]
	v_add_u32_e32 v9, v9, v10
	s_and_saveexec_b64 s[16:17], s[18:19]
; %bb.65:
	v_lshlrev_b32_e32 v10, 2, v36
	ds_write_b32 v10, v9
; %bb.66:
	s_or_b64 exec, exec, s[16:17]
	v_cmp_gt_u32_e32 vcc, 3, v0
	s_waitcnt lgkmcnt(0)
	s_barrier
	s_and_saveexec_b64 s[16:17], vcc
	s_cbranch_execz .LBB473_68
; %bb.67:
	v_lshlrev_b32_e32 v10, 2, v0
	ds_read_b32 v11, v10
	v_and_b32_e32 v12, 3, v35
	v_cmp_ne_u32_e32 vcc, 0, v12
	s_waitcnt lgkmcnt(0)
	v_mov_b32_dpp v13, v11 row_shr:1 row_mask:0xf bank_mask:0xf
	v_cndmask_b32_e32 v13, 0, v13, vcc
	v_add_u32_e32 v11, v13, v11
	v_cmp_lt_u32_e32 vcc, 1, v12
	s_nop 0
	v_mov_b32_dpp v13, v11 row_shr:2 row_mask:0xf bank_mask:0xf
	v_cndmask_b32_e32 v12, 0, v13, vcc
	v_add_u32_e32 v11, v11, v12
	ds_write_b32 v10, v11
.LBB473_68:
	s_or_b64 exec, exec, s[16:17]
	v_cmp_gt_u32_e32 vcc, 64, v0
	v_cmp_lt_u32_e64 s[16:17], 63, v0
	s_waitcnt lgkmcnt(0)
	s_barrier
                                        ; implicit-def: $vgpr38
	s_and_saveexec_b64 s[20:21], s[16:17]
	s_cbranch_execz .LBB473_70
; %bb.69:
	v_lshl_add_u32 v10, v36, 2, -4
	ds_read_b32 v38, v10
	s_waitcnt lgkmcnt(0)
	v_add_u32_e32 v9, v38, v9
.LBB473_70:
	s_or_b64 exec, exec, s[20:21]
	v_subrev_co_u32_e64 v10, s[16:17], 1, v35
	v_and_b32_e32 v11, 64, v35
	v_cmp_lt_i32_e64 s[20:21], v10, v11
	v_cndmask_b32_e64 v10, v10, v35, s[20:21]
	v_lshlrev_b32_e32 v10, 2, v10
	ds_bpermute_b32 v39, v10, v9
	s_and_saveexec_b64 s[20:21], vcc
	s_cbranch_execz .LBB473_90
; %bb.71:
	v_mov_b32_e32 v15, 0
	ds_read_b32 v9, v15 offset:8
	s_and_saveexec_b64 s[24:25], s[16:17]
	s_cbranch_execz .LBB473_73
; %bb.72:
	s_add_i32 s26, s6, 64
	s_mov_b32 s27, 0
	s_lshl_b64 s[26:27], s[26:27], 3
	s_add_u32 s26, s22, s26
	v_mov_b32_e32 v10, 1
	s_addc_u32 s27, s23, s27
	s_waitcnt lgkmcnt(0)
	global_store_dwordx2 v15, v[9:10], s[26:27]
.LBB473_73:
	s_or_b64 exec, exec, s[24:25]
	v_xad_u32 v11, v35, -1, s6
	v_add_u32_e32 v14, 64, v11
	v_lshlrev_b64 v[12:13], 3, v[14:15]
	v_mov_b32_e32 v10, s23
	v_add_co_u32_e32 v16, vcc, s22, v12
	v_addc_co_u32_e32 v17, vcc, v10, v13, vcc
	global_load_dwordx2 v[13:14], v[16:17], off glc
	s_waitcnt vmcnt(0)
	v_cmp_eq_u16_sdwa s[26:27], v14, v15 src0_sel:BYTE_0 src1_sel:DWORD
	s_and_saveexec_b64 s[24:25], s[26:27]
	s_cbranch_execz .LBB473_77
; %bb.74:
	s_mov_b64 s[26:27], 0
	v_mov_b32_e32 v10, 0
.LBB473_75:                             ; =>This Inner Loop Header: Depth=1
	global_load_dwordx2 v[13:14], v[16:17], off glc
	s_waitcnt vmcnt(0)
	v_cmp_ne_u16_sdwa s[28:29], v14, v10 src0_sel:BYTE_0 src1_sel:DWORD
	s_or_b64 s[26:27], s[28:29], s[26:27]
	s_andn2_b64 exec, exec, s[26:27]
	s_cbranch_execnz .LBB473_75
; %bb.76:
	s_or_b64 exec, exec, s[26:27]
.LBB473_77:
	s_or_b64 exec, exec, s[24:25]
	v_and_b32_e32 v41, 63, v35
	v_mov_b32_e32 v40, 2
	v_lshlrev_b64 v[15:16], v35, -1
	v_cmp_ne_u32_e32 vcc, 63, v41
	v_cmp_eq_u16_sdwa s[24:25], v14, v40 src0_sel:BYTE_0 src1_sel:DWORD
	v_addc_co_u32_e32 v17, vcc, 0, v35, vcc
	v_and_b32_e32 v10, s25, v16
	v_lshlrev_b32_e32 v42, 2, v17
	v_or_b32_e32 v10, 0x80000000, v10
	ds_bpermute_b32 v17, v42, v13
	v_and_b32_e32 v12, s24, v15
	v_ffbl_b32_e32 v10, v10
	v_add_u32_e32 v10, 32, v10
	v_ffbl_b32_e32 v12, v12
	v_min_u32_e32 v10, v12, v10
	v_cmp_lt_u32_e32 vcc, v41, v10
	s_waitcnt lgkmcnt(0)
	v_cndmask_b32_e32 v12, 0, v17, vcc
	v_cmp_gt_u32_e32 vcc, 62, v41
	v_add_u32_e32 v12, v12, v13
	v_cndmask_b32_e64 v13, 0, 2, vcc
	v_add_lshl_u32 v43, v13, v35, 2
	ds_bpermute_b32 v13, v43, v12
	v_add_u32_e32 v44, 2, v41
	v_cmp_le_u32_e32 vcc, v44, v10
	v_add_u32_e32 v46, 4, v41
	v_add_u32_e32 v76, 8, v41
	s_waitcnt lgkmcnt(0)
	v_cndmask_b32_e32 v13, 0, v13, vcc
	v_cmp_gt_u32_e32 vcc, 60, v41
	v_add_u32_e32 v12, v12, v13
	v_cndmask_b32_e64 v13, 0, 4, vcc
	v_add_lshl_u32 v45, v13, v35, 2
	ds_bpermute_b32 v13, v45, v12
	v_cmp_le_u32_e32 vcc, v46, v10
	v_add_u32_e32 v78, 16, v41
	v_add_u32_e32 v80, 32, v41
	s_waitcnt lgkmcnt(0)
	v_cndmask_b32_e32 v13, 0, v13, vcc
	v_cmp_gt_u32_e32 vcc, 56, v41
	v_add_u32_e32 v12, v12, v13
	v_cndmask_b32_e64 v13, 0, 8, vcc
	v_add_lshl_u32 v75, v13, v35, 2
	ds_bpermute_b32 v13, v75, v12
	v_cmp_le_u32_e32 vcc, v76, v10
	s_waitcnt lgkmcnt(0)
	v_cndmask_b32_e32 v13, 0, v13, vcc
	v_cmp_gt_u32_e32 vcc, 48, v41
	v_add_u32_e32 v12, v12, v13
	v_cndmask_b32_e64 v13, 0, 16, vcc
	v_add_lshl_u32 v77, v13, v35, 2
	ds_bpermute_b32 v13, v77, v12
	v_cmp_le_u32_e32 vcc, v78, v10
	s_waitcnt lgkmcnt(0)
	v_cndmask_b32_e32 v13, 0, v13, vcc
	v_add_u32_e32 v12, v12, v13
	v_mov_b32_e32 v13, 0x80
	v_lshl_or_b32 v79, v35, 2, v13
	ds_bpermute_b32 v13, v79, v12
	v_cmp_le_u32_e32 vcc, v80, v10
	s_waitcnt lgkmcnt(0)
	v_cndmask_b32_e32 v10, 0, v13, vcc
	v_add_u32_e32 v13, v12, v10
	v_mov_b32_e32 v12, 0
	s_branch .LBB473_80
.LBB473_78:                             ;   in Loop: Header=BB473_80 Depth=1
	s_or_b64 exec, exec, s[24:25]
	v_cmp_eq_u16_sdwa s[24:25], v14, v40 src0_sel:BYTE_0 src1_sel:DWORD
	v_and_b32_e32 v17, s25, v16
	v_or_b32_e32 v17, 0x80000000, v17
	ds_bpermute_b32 v81, v42, v13
	v_and_b32_e32 v18, s24, v15
	v_ffbl_b32_e32 v17, v17
	v_add_u32_e32 v17, 32, v17
	v_ffbl_b32_e32 v18, v18
	v_min_u32_e32 v17, v18, v17
	v_cmp_lt_u32_e32 vcc, v41, v17
	s_waitcnt lgkmcnt(0)
	v_cndmask_b32_e32 v18, 0, v81, vcc
	v_add_u32_e32 v13, v18, v13
	ds_bpermute_b32 v18, v43, v13
	v_cmp_le_u32_e32 vcc, v44, v17
	v_subrev_u32_e32 v11, 64, v11
	s_mov_b64 s[24:25], 0
	s_waitcnt lgkmcnt(0)
	v_cndmask_b32_e32 v18, 0, v18, vcc
	v_add_u32_e32 v13, v13, v18
	ds_bpermute_b32 v18, v45, v13
	v_cmp_le_u32_e32 vcc, v46, v17
	s_waitcnt lgkmcnt(0)
	v_cndmask_b32_e32 v18, 0, v18, vcc
	v_add_u32_e32 v13, v13, v18
	ds_bpermute_b32 v18, v75, v13
	v_cmp_le_u32_e32 vcc, v76, v17
	;; [unrolled: 5-line block ×4, first 2 shown]
	s_waitcnt lgkmcnt(0)
	v_cndmask_b32_e32 v17, 0, v18, vcc
	v_add3_u32 v13, v17, v10, v13
.LBB473_79:                             ;   in Loop: Header=BB473_80 Depth=1
	s_and_b64 vcc, exec, s[24:25]
	s_cbranch_vccnz .LBB473_86
.LBB473_80:                             ; =>This Loop Header: Depth=1
                                        ;     Child Loop BB473_83 Depth 2
	v_cmp_ne_u16_sdwa s[24:25], v14, v40 src0_sel:BYTE_0 src1_sel:DWORD
	v_mov_b32_e32 v10, v13
	s_cmp_lg_u64 s[24:25], exec
	s_mov_b64 s[24:25], -1
                                        ; implicit-def: $vgpr13
                                        ; implicit-def: $vgpr14
	s_cbranch_scc1 .LBB473_79
; %bb.81:                               ;   in Loop: Header=BB473_80 Depth=1
	v_lshlrev_b64 v[13:14], 3, v[11:12]
	v_mov_b32_e32 v18, s23
	v_add_co_u32_e32 v17, vcc, s22, v13
	v_addc_co_u32_e32 v18, vcc, v18, v14, vcc
	global_load_dwordx2 v[13:14], v[17:18], off glc
	s_waitcnt vmcnt(0)
	v_cmp_eq_u16_sdwa s[26:27], v14, v12 src0_sel:BYTE_0 src1_sel:DWORD
	s_and_saveexec_b64 s[24:25], s[26:27]
	s_cbranch_execz .LBB473_78
; %bb.82:                               ;   in Loop: Header=BB473_80 Depth=1
	s_mov_b64 s[26:27], 0
.LBB473_83:                             ;   Parent Loop BB473_80 Depth=1
                                        ; =>  This Inner Loop Header: Depth=2
	global_load_dwordx2 v[13:14], v[17:18], off glc
	s_waitcnt vmcnt(0)
	v_cmp_ne_u16_sdwa s[28:29], v14, v12 src0_sel:BYTE_0 src1_sel:DWORD
	s_or_b64 s[26:27], s[28:29], s[26:27]
	s_andn2_b64 exec, exec, s[26:27]
	s_cbranch_execnz .LBB473_83
; %bb.84:                               ;   in Loop: Header=BB473_80 Depth=1
	s_or_b64 exec, exec, s[26:27]
	s_branch .LBB473_78
.LBB473_85:
                                        ; implicit-def: $vgpr10
                                        ; implicit-def: $vgpr9
                                        ; implicit-def: $vgpr39
	s_load_dwordx2 s[4:5], s[4:5], 0x28
	s_cbranch_execnz .LBB473_91
	s_branch .LBB473_100
.LBB473_86:
	s_and_saveexec_b64 s[24:25], s[16:17]
	s_cbranch_execz .LBB473_88
; %bb.87:
	s_add_i32 s6, s6, 64
	s_mov_b32 s7, 0
	s_lshl_b64 s[6:7], s[6:7], 3
	s_add_u32 s6, s22, s6
	v_add_u32_e32 v11, v10, v9
	v_mov_b32_e32 v12, 2
	s_addc_u32 s7, s23, s7
	v_mov_b32_e32 v13, 0
	global_store_dwordx2 v13, v[11:12], s[6:7]
	ds_write_b64 v13, v[9:10] offset:6912
.LBB473_88:
	s_or_b64 exec, exec, s[24:25]
	v_cmp_eq_u32_e32 vcc, 0, v0
	s_and_b64 exec, exec, vcc
; %bb.89:
	v_mov_b32_e32 v9, 0
	ds_write_b32 v9, v10 offset:8
.LBB473_90:
	s_or_b64 exec, exec, s[20:21]
	v_mov_b32_e32 v9, 0
	s_waitcnt vmcnt(0) lgkmcnt(0)
	s_barrier
	ds_read_b32 v12, v9 offset:8
	s_waitcnt lgkmcnt(0)
	s_barrier
	ds_read_b64 v[9:10], v9 offset:6912
	v_cndmask_b32_e64 v11, v39, v38, s[16:17]
	v_cmp_ne_u32_e32 vcc, 0, v0
	v_cndmask_b32_e32 v11, 0, v11, vcc
	v_add_u32_e32 v39, v12, v11
	s_load_dwordx2 s[4:5], s[4:5], 0x28
	s_branch .LBB473_100
.LBB473_91:
	s_waitcnt lgkmcnt(0)
	v_mov_b32_dpp v9, v37 row_shr:1 row_mask:0xf bank_mask:0xf
	v_cndmask_b32_e64 v9, v9, 0, s[14:15]
	v_add_u32_e32 v9, v9, v37
	s_nop 1
	v_mov_b32_dpp v10, v9 row_shr:2 row_mask:0xf bank_mask:0xf
	v_cndmask_b32_e64 v10, 0, v10, s[12:13]
	v_add_u32_e32 v9, v9, v10
	s_nop 1
	;; [unrolled: 4-line block ×4, first 2 shown]
	v_mov_b32_dpp v10, v9 row_bcast:15 row_mask:0xf bank_mask:0xf
	v_cndmask_b32_e64 v10, v10, 0, s[2:3]
	v_add_u32_e32 v9, v9, v10
	s_nop 1
	v_mov_b32_dpp v10, v9 row_bcast:31 row_mask:0xf bank_mask:0xf
	v_cndmask_b32_e64 v10, 0, v10, s[0:1]
	v_add_u32_e32 v9, v9, v10
	s_and_saveexec_b64 s[0:1], s[18:19]
; %bb.92:
	v_lshlrev_b32_e32 v10, 2, v36
	ds_write_b32 v10, v9
; %bb.93:
	s_or_b64 exec, exec, s[0:1]
	v_cmp_gt_u32_e32 vcc, 3, v0
	s_waitcnt lgkmcnt(0)
	s_barrier
	s_and_saveexec_b64 s[0:1], vcc
	s_cbranch_execz .LBB473_95
; %bb.94:
	v_lshlrev_b32_e32 v10, 2, v0
	ds_read_b32 v11, v10
	v_and_b32_e32 v12, 3, v35
	v_cmp_ne_u32_e32 vcc, 0, v12
	s_waitcnt lgkmcnt(0)
	v_mov_b32_dpp v13, v11 row_shr:1 row_mask:0xf bank_mask:0xf
	v_cndmask_b32_e32 v13, 0, v13, vcc
	v_add_u32_e32 v11, v13, v11
	v_cmp_lt_u32_e32 vcc, 1, v12
	s_nop 0
	v_mov_b32_dpp v13, v11 row_shr:2 row_mask:0xf bank_mask:0xf
	v_cndmask_b32_e32 v12, 0, v13, vcc
	v_add_u32_e32 v11, v11, v12
	ds_write_b32 v10, v11
.LBB473_95:
	s_or_b64 exec, exec, s[0:1]
	v_cmp_lt_u32_e32 vcc, 63, v0
	v_mov_b32_e32 v10, 0
	v_mov_b32_e32 v11, 0
	s_waitcnt lgkmcnt(0)
	s_barrier
	s_and_saveexec_b64 s[0:1], vcc
; %bb.96:
	v_lshl_add_u32 v11, v36, 2, -4
	ds_read_b32 v11, v11
; %bb.97:
	s_or_b64 exec, exec, s[0:1]
	v_subrev_co_u32_e32 v12, vcc, 1, v35
	v_and_b32_e32 v13, 64, v35
	v_cmp_lt_i32_e64 s[0:1], v12, v13
	v_cndmask_b32_e64 v12, v12, v35, s[0:1]
	s_waitcnt lgkmcnt(0)
	v_add_u32_e32 v9, v11, v9
	v_lshlrev_b32_e32 v12, 2, v12
	ds_bpermute_b32 v12, v12, v9
	ds_read_b32 v9, v10 offset:8
	v_cmp_eq_u32_e64 s[0:1], 0, v0
	s_and_saveexec_b64 s[2:3], s[0:1]
	s_cbranch_execz .LBB473_99
; %bb.98:
	v_mov_b32_e32 v13, 0
	v_mov_b32_e32 v10, 2
	s_waitcnt lgkmcnt(0)
	global_store_dwordx2 v13, v[9:10], s[22:23] offset:512
.LBB473_99:
	s_or_b64 exec, exec, s[2:3]
	s_waitcnt lgkmcnt(1)
	v_cndmask_b32_e32 v10, v12, v11, vcc
	v_cndmask_b32_e64 v39, v10, 0, s[0:1]
	s_waitcnt vmcnt(0) lgkmcnt(0)
	s_barrier
	v_mov_b32_e32 v10, 0
.LBB473_100:
	v_add_u32_e32 v45, v39, v23
	v_add_u32_e32 v43, v45, v25
	;; [unrolled: 1-line block ×7, first 2 shown]
	v_add_u32_sdwa v29, v31, v68 dst_sel:DWORD dst_unused:UNUSED_PAD src0_sel:DWORD src1_sel:BYTE_0
	v_add_u32_sdwa v27, v29, v67 dst_sel:DWORD dst_unused:UNUSED_PAD src0_sel:DWORD src1_sel:BYTE_0
	v_add_u32_e32 v25, v27, v19
	v_add_u32_e32 v23, v25, v21
	;; [unrolled: 1-line block ×6, first 2 shown]
	s_movk_i32 s2, 0xc1
	v_add_u32_e32 v13, v15, v30
	s_waitcnt lgkmcnt(0)
	v_cmp_gt_u32_e32 vcc, s2, v9
	v_add_u32_e32 v11, v13, v32
	s_mov_b64 s[0:1], -1
	v_and_b32_e32 v75, 1, v20
	s_cbranch_vccnz .LBB473_104
; %bb.101:
	s_and_b64 vcc, exec, s[0:1]
	s_cbranch_vccnz .LBB473_141
.LBB473_102:
	v_cmp_eq_u32_e32 vcc, 0, v0
	s_and_b64 s[0:1], vcc, s[44:45]
	s_and_saveexec_b64 s[2:3], s[0:1]
	s_cbranch_execnz .LBB473_180
.LBB473_103:
	s_endpgm
.LBB473_104:
	v_add_u32_e32 v12, v10, v9
	s_lshl_b64 s[0:1], s[42:43], 1
	s_add_u32 s2, s4, s0
	v_cmp_lt_u32_e32 vcc, v39, v12
	s_addc_u32 s3, s5, s1
	s_or_b64 s[0:1], s[46:47], vcc
	v_cmp_eq_u32_e32 vcc, 1, v75
	s_and_b64 s[6:7], s[0:1], vcc
	s_and_saveexec_b64 s[0:1], s[6:7]
	s_cbranch_execz .LBB473_106
; %bb.105:
	v_mov_b32_e32 v40, 0
	v_lshlrev_b64 v[76:77], 1, v[39:40]
	v_mov_b32_e32 v14, s3
	v_add_co_u32_e32 v76, vcc, s2, v76
	v_addc_co_u32_e32 v77, vcc, v14, v77, vcc
	global_store_short v[76:77], v7, off
.LBB473_106:
	s_or_b64 exec, exec, s[0:1]
	v_cmp_lt_u32_e32 vcc, v45, v12
	v_and_b32_e32 v14, 1, v74
	s_or_b64 s[0:1], s[46:47], vcc
	v_cmp_eq_u32_e32 vcc, 1, v14
	s_and_b64 s[6:7], s[0:1], vcc
	s_and_saveexec_b64 s[0:1], s[6:7]
	s_cbranch_execz .LBB473_108
; %bb.107:
	v_mov_b32_e32 v46, 0
	v_lshlrev_b64 v[76:77], 1, v[45:46]
	v_mov_b32_e32 v14, s3
	v_add_co_u32_e32 v76, vcc, s2, v76
	v_addc_co_u32_e32 v77, vcc, v14, v77, vcc
	global_store_short v[76:77], v57, off
.LBB473_108:
	s_or_b64 exec, exec, s[0:1]
	v_cmp_lt_u32_e32 vcc, v43, v12
	v_and_b32_e32 v14, 1, v73
	;; [unrolled: 16-line block ×17, first 2 shown]
	s_or_b64 s[0:1], s[46:47], vcc
	v_cmp_eq_u32_e32 vcc, 1, v12
	s_and_b64 s[6:7], s[0:1], vcc
	s_and_saveexec_b64 s[0:1], s[6:7]
	s_cbranch_execz .LBB473_140
; %bb.139:
	v_mov_b32_e32 v12, 0
	v_lshlrev_b64 v[76:77], 1, v[11:12]
	v_mov_b32_e32 v12, s3
	v_add_co_u32_e32 v76, vcc, s2, v76
	v_addc_co_u32_e32 v77, vcc, v12, v77, vcc
	global_store_short v[76:77], v48, off
.LBB473_140:
	s_or_b64 exec, exec, s[0:1]
	s_branch .LBB473_102
.LBB473_141:
	v_cmp_eq_u32_e32 vcc, 1, v75
	s_and_saveexec_b64 s[0:1], vcc
; %bb.142:
	v_sub_u32_e32 v12, v39, v10
	v_lshlrev_b32_e32 v12, 1, v12
	ds_write_b16 v12, v7
; %bb.143:
	s_or_b64 exec, exec, s[0:1]
	v_and_b32_e32 v7, 1, v74
	v_cmp_eq_u32_e32 vcc, 1, v7
	s_and_saveexec_b64 s[0:1], vcc
; %bb.144:
	v_sub_u32_e32 v7, v45, v10
	v_lshlrev_b32_e32 v7, 1, v7
	ds_write_b16 v7, v57
; %bb.145:
	s_or_b64 exec, exec, s[0:1]
	v_and_b32_e32 v7, 1, v73
	v_cmp_eq_u32_e32 vcc, 1, v7
	s_and_saveexec_b64 s[0:1], vcc
; %bb.146:
	v_sub_u32_e32 v7, v43, v10
	v_lshlrev_b32_e32 v7, 1, v7
	ds_write_b16 v7, v8
; %bb.147:
	s_or_b64 exec, exec, s[0:1]
	v_and_b32_e32 v7, 1, v72
	v_cmp_eq_u32_e32 vcc, 1, v7
	s_and_saveexec_b64 s[0:1], vcc
; %bb.148:
	v_sub_u32_e32 v7, v41, v10
	v_lshlrev_b32_e32 v7, 1, v7
	ds_write_b16 v7, v56
; %bb.149:
	s_or_b64 exec, exec, s[0:1]
	v_and_b32_e32 v7, 1, v71
	v_cmp_eq_u32_e32 vcc, 1, v7
	s_and_saveexec_b64 s[0:1], vcc
; %bb.150:
	v_sub_u32_e32 v7, v37, v10
	v_lshlrev_b32_e32 v7, 1, v7
	ds_write_b16 v7, v5
; %bb.151:
	s_or_b64 exec, exec, s[0:1]
	v_and_b32_e32 v5, 1, v70
	v_cmp_eq_u32_e32 vcc, 1, v5
	s_and_saveexec_b64 s[0:1], vcc
; %bb.152:
	v_sub_u32_e32 v5, v35, v10
	v_lshlrev_b32_e32 v5, 1, v5
	ds_write_b16 v5, v55
; %bb.153:
	s_or_b64 exec, exec, s[0:1]
	v_and_b32_e32 v5, 1, v69
	v_cmp_eq_u32_e32 vcc, 1, v5
	s_and_saveexec_b64 s[0:1], vcc
; %bb.154:
	v_sub_u32_e32 v5, v33, v10
	v_lshlrev_b32_e32 v5, 1, v5
	ds_write_b16 v5, v6
; %bb.155:
	s_or_b64 exec, exec, s[0:1]
	v_and_b32_e32 v5, 1, v68
	v_cmp_eq_u32_e32 vcc, 1, v5
	s_and_saveexec_b64 s[0:1], vcc
; %bb.156:
	v_sub_u32_e32 v5, v31, v10
	v_lshlrev_b32_e32 v5, 1, v5
	ds_write_b16 v5, v54
; %bb.157:
	s_or_b64 exec, exec, s[0:1]
	v_and_b32_e32 v5, 1, v67
	v_cmp_eq_u32_e32 vcc, 1, v5
	s_and_saveexec_b64 s[0:1], vcc
; %bb.158:
	v_sub_u32_e32 v5, v29, v10
	v_lshlrev_b32_e32 v5, 1, v5
	ds_write_b16 v5, v3
; %bb.159:
	s_or_b64 exec, exec, s[0:1]
	v_and_b32_e32 v3, 1, v66
	v_cmp_eq_u32_e32 vcc, 1, v3
	s_and_saveexec_b64 s[0:1], vcc
; %bb.160:
	v_sub_u32_e32 v3, v27, v10
	v_lshlrev_b32_e32 v3, 1, v3
	ds_write_b16 v3, v53
; %bb.161:
	s_or_b64 exec, exec, s[0:1]
	v_and_b32_e32 v3, 1, v65
	v_cmp_eq_u32_e32 vcc, 1, v3
	s_and_saveexec_b64 s[0:1], vcc
; %bb.162:
	v_sub_u32_e32 v3, v25, v10
	v_lshlrev_b32_e32 v3, 1, v3
	ds_write_b16 v3, v4
; %bb.163:
	s_or_b64 exec, exec, s[0:1]
	v_and_b32_e32 v3, 1, v64
	v_cmp_eq_u32_e32 vcc, 1, v3
	s_and_saveexec_b64 s[0:1], vcc
; %bb.164:
	v_sub_u32_e32 v3, v23, v10
	v_lshlrev_b32_e32 v3, 1, v3
	ds_write_b16 v3, v52
; %bb.165:
	s_or_b64 exec, exec, s[0:1]
	v_and_b32_e32 v3, 1, v63
	v_cmp_eq_u32_e32 vcc, 1, v3
	s_and_saveexec_b64 s[0:1], vcc
; %bb.166:
	v_sub_u32_e32 v3, v21, v10
	v_lshlrev_b32_e32 v3, 1, v3
	ds_write_b16 v3, v1
; %bb.167:
	s_or_b64 exec, exec, s[0:1]
	v_and_b32_e32 v1, 1, v62
	v_cmp_eq_u32_e32 vcc, 1, v1
	s_and_saveexec_b64 s[0:1], vcc
; %bb.168:
	v_sub_u32_e32 v1, v19, v10
	v_lshlrev_b32_e32 v1, 1, v1
	ds_write_b16 v1, v51
; %bb.169:
	s_or_b64 exec, exec, s[0:1]
	v_and_b32_e32 v1, 1, v61
	v_cmp_eq_u32_e32 vcc, 1, v1
	s_and_saveexec_b64 s[0:1], vcc
; %bb.170:
	v_sub_u32_e32 v1, v17, v10
	v_lshlrev_b32_e32 v1, 1, v1
	ds_write_b16 v1, v2
; %bb.171:
	s_or_b64 exec, exec, s[0:1]
	v_and_b32_e32 v1, 1, v60
	v_cmp_eq_u32_e32 vcc, 1, v1
	s_and_saveexec_b64 s[0:1], vcc
; %bb.172:
	v_sub_u32_e32 v1, v15, v10
	v_lshlrev_b32_e32 v1, 1, v1
	ds_write_b16 v1, v50
; %bb.173:
	s_or_b64 exec, exec, s[0:1]
	v_and_b32_e32 v1, 1, v59
	v_cmp_eq_u32_e32 vcc, 1, v1
	s_and_saveexec_b64 s[0:1], vcc
; %bb.174:
	v_sub_u32_e32 v1, v13, v10
	v_lshlrev_b32_e32 v1, 1, v1
	ds_write_b16 v1, v49
; %bb.175:
	s_or_b64 exec, exec, s[0:1]
	v_and_b32_e32 v1, 1, v58
	v_cmp_eq_u32_e32 vcc, 1, v1
	s_and_saveexec_b64 s[0:1], vcc
; %bb.176:
	v_sub_u32_e32 v1, v11, v10
	v_lshlrev_b32_e32 v1, 1, v1
	ds_write_b16 v1, v48
; %bb.177:
	s_or_b64 exec, exec, s[0:1]
	v_mov_b32_e32 v2, 0
	v_mov_b32_e32 v11, v2
	s_lshl_b64 s[0:1], s[42:43], 1
	s_add_u32 s0, s4, s0
	v_lshlrev_b64 v[3:4], 1, v[10:11]
	s_addc_u32 s1, s5, s1
	v_mov_b32_e32 v1, s1
	v_add_co_u32_e32 v3, vcc, s0, v3
	v_addc_co_u32_e32 v4, vcc, v1, v4, vcc
	s_mov_b64 s[2:3], 0
	v_mov_b32_e32 v1, v0
	s_waitcnt vmcnt(0) lgkmcnt(0)
	s_barrier
.LBB473_178:                            ; =>This Inner Loop Header: Depth=1
	ds_read_u16 v7, v47
	v_lshlrev_b64 v[5:6], 1, v[1:2]
	v_add_u32_e32 v1, 0xc0, v1
	v_cmp_ge_u32_e32 vcc, v1, v9
	v_add_co_u32_e64 v5, s[0:1], v3, v5
	v_add_u32_e32 v47, 0x180, v47
	v_addc_co_u32_e64 v6, s[0:1], v4, v6, s[0:1]
	s_or_b64 s[2:3], vcc, s[2:3]
	s_waitcnt lgkmcnt(0)
	global_store_short v[5:6], v7, off
	s_andn2_b64 exec, exec, s[2:3]
	s_cbranch_execnz .LBB473_178
; %bb.179:
	s_or_b64 exec, exec, s[2:3]
	v_cmp_eq_u32_e32 vcc, 0, v0
	s_and_b64 s[0:1], vcc, s[44:45]
	s_and_saveexec_b64 s[2:3], s[0:1]
	s_cbranch_execz .LBB473_103
.LBB473_180:
	v_mov_b32_e32 v0, s43
	v_add_co_u32_e32 v1, vcc, s42, v9
	v_addc_co_u32_e32 v3, vcc, 0, v0, vcc
	v_add_co_u32_e32 v0, vcc, v1, v10
	v_mov_b32_e32 v2, 0
	v_addc_co_u32_e32 v1, vcc, 0, v3, vcc
	global_store_dwordx2 v2, v[0:1], s[40:41]
	s_endpgm
	.section	.rodata,"a",@progbits
	.p2align	6, 0x0
	.amdhsa_kernel _ZN7rocprim17ROCPRIM_400000_NS6detail17trampoline_kernelINS0_14default_configENS1_25partition_config_selectorILNS1_17partition_subalgoE8EsNS0_10empty_typeEbEEZZNS1_14partition_implILS5_8ELb0ES3_jN6thrust23THRUST_200600_302600_NS6detail15normal_iteratorINSA_10device_ptrIsEEEEPS6_PKS6_NS0_5tupleIJSF_S6_EEENSJ_IJSG_SG_EEENS0_18inequality_wrapperINSA_8equal_toIsEEEEPmJS6_EEE10hipError_tPvRmT3_T4_T5_T6_T7_T9_mT8_P12ihipStream_tbDpT10_ENKUlT_T0_E_clISt17integral_constantIbLb0EES1A_EEDaS15_S16_EUlS15_E_NS1_11comp_targetILNS1_3genE2ELNS1_11target_archE906ELNS1_3gpuE6ELNS1_3repE0EEENS1_30default_config_static_selectorELNS0_4arch9wavefront6targetE1EEEvT1_
		.amdhsa_group_segment_fixed_size 6920
		.amdhsa_private_segment_fixed_size 0
		.amdhsa_kernarg_size 112
		.amdhsa_user_sgpr_count 6
		.amdhsa_user_sgpr_private_segment_buffer 1
		.amdhsa_user_sgpr_dispatch_ptr 0
		.amdhsa_user_sgpr_queue_ptr 0
		.amdhsa_user_sgpr_kernarg_segment_ptr 1
		.amdhsa_user_sgpr_dispatch_id 0
		.amdhsa_user_sgpr_flat_scratch_init 0
		.amdhsa_user_sgpr_private_segment_size 0
		.amdhsa_uses_dynamic_stack 0
		.amdhsa_system_sgpr_private_segment_wavefront_offset 0
		.amdhsa_system_sgpr_workgroup_id_x 1
		.amdhsa_system_sgpr_workgroup_id_y 0
		.amdhsa_system_sgpr_workgroup_id_z 0
		.amdhsa_system_sgpr_workgroup_info 0
		.amdhsa_system_vgpr_workitem_id 0
		.amdhsa_next_free_vgpr 82
		.amdhsa_next_free_sgpr 77
		.amdhsa_reserve_vcc 1
		.amdhsa_reserve_flat_scratch 0
		.amdhsa_float_round_mode_32 0
		.amdhsa_float_round_mode_16_64 0
		.amdhsa_float_denorm_mode_32 3
		.amdhsa_float_denorm_mode_16_64 3
		.amdhsa_dx10_clamp 1
		.amdhsa_ieee_mode 1
		.amdhsa_fp16_overflow 0
		.amdhsa_exception_fp_ieee_invalid_op 0
		.amdhsa_exception_fp_denorm_src 0
		.amdhsa_exception_fp_ieee_div_zero 0
		.amdhsa_exception_fp_ieee_overflow 0
		.amdhsa_exception_fp_ieee_underflow 0
		.amdhsa_exception_fp_ieee_inexact 0
		.amdhsa_exception_int_div_zero 0
	.end_amdhsa_kernel
	.section	.text._ZN7rocprim17ROCPRIM_400000_NS6detail17trampoline_kernelINS0_14default_configENS1_25partition_config_selectorILNS1_17partition_subalgoE8EsNS0_10empty_typeEbEEZZNS1_14partition_implILS5_8ELb0ES3_jN6thrust23THRUST_200600_302600_NS6detail15normal_iteratorINSA_10device_ptrIsEEEEPS6_PKS6_NS0_5tupleIJSF_S6_EEENSJ_IJSG_SG_EEENS0_18inequality_wrapperINSA_8equal_toIsEEEEPmJS6_EEE10hipError_tPvRmT3_T4_T5_T6_T7_T9_mT8_P12ihipStream_tbDpT10_ENKUlT_T0_E_clISt17integral_constantIbLb0EES1A_EEDaS15_S16_EUlS15_E_NS1_11comp_targetILNS1_3genE2ELNS1_11target_archE906ELNS1_3gpuE6ELNS1_3repE0EEENS1_30default_config_static_selectorELNS0_4arch9wavefront6targetE1EEEvT1_,"axG",@progbits,_ZN7rocprim17ROCPRIM_400000_NS6detail17trampoline_kernelINS0_14default_configENS1_25partition_config_selectorILNS1_17partition_subalgoE8EsNS0_10empty_typeEbEEZZNS1_14partition_implILS5_8ELb0ES3_jN6thrust23THRUST_200600_302600_NS6detail15normal_iteratorINSA_10device_ptrIsEEEEPS6_PKS6_NS0_5tupleIJSF_S6_EEENSJ_IJSG_SG_EEENS0_18inequality_wrapperINSA_8equal_toIsEEEEPmJS6_EEE10hipError_tPvRmT3_T4_T5_T6_T7_T9_mT8_P12ihipStream_tbDpT10_ENKUlT_T0_E_clISt17integral_constantIbLb0EES1A_EEDaS15_S16_EUlS15_E_NS1_11comp_targetILNS1_3genE2ELNS1_11target_archE906ELNS1_3gpuE6ELNS1_3repE0EEENS1_30default_config_static_selectorELNS0_4arch9wavefront6targetE1EEEvT1_,comdat
.Lfunc_end473:
	.size	_ZN7rocprim17ROCPRIM_400000_NS6detail17trampoline_kernelINS0_14default_configENS1_25partition_config_selectorILNS1_17partition_subalgoE8EsNS0_10empty_typeEbEEZZNS1_14partition_implILS5_8ELb0ES3_jN6thrust23THRUST_200600_302600_NS6detail15normal_iteratorINSA_10device_ptrIsEEEEPS6_PKS6_NS0_5tupleIJSF_S6_EEENSJ_IJSG_SG_EEENS0_18inequality_wrapperINSA_8equal_toIsEEEEPmJS6_EEE10hipError_tPvRmT3_T4_T5_T6_T7_T9_mT8_P12ihipStream_tbDpT10_ENKUlT_T0_E_clISt17integral_constantIbLb0EES1A_EEDaS15_S16_EUlS15_E_NS1_11comp_targetILNS1_3genE2ELNS1_11target_archE906ELNS1_3gpuE6ELNS1_3repE0EEENS1_30default_config_static_selectorELNS0_4arch9wavefront6targetE1EEEvT1_, .Lfunc_end473-_ZN7rocprim17ROCPRIM_400000_NS6detail17trampoline_kernelINS0_14default_configENS1_25partition_config_selectorILNS1_17partition_subalgoE8EsNS0_10empty_typeEbEEZZNS1_14partition_implILS5_8ELb0ES3_jN6thrust23THRUST_200600_302600_NS6detail15normal_iteratorINSA_10device_ptrIsEEEEPS6_PKS6_NS0_5tupleIJSF_S6_EEENSJ_IJSG_SG_EEENS0_18inequality_wrapperINSA_8equal_toIsEEEEPmJS6_EEE10hipError_tPvRmT3_T4_T5_T6_T7_T9_mT8_P12ihipStream_tbDpT10_ENKUlT_T0_E_clISt17integral_constantIbLb0EES1A_EEDaS15_S16_EUlS15_E_NS1_11comp_targetILNS1_3genE2ELNS1_11target_archE906ELNS1_3gpuE6ELNS1_3repE0EEENS1_30default_config_static_selectorELNS0_4arch9wavefront6targetE1EEEvT1_
                                        ; -- End function
	.set _ZN7rocprim17ROCPRIM_400000_NS6detail17trampoline_kernelINS0_14default_configENS1_25partition_config_selectorILNS1_17partition_subalgoE8EsNS0_10empty_typeEbEEZZNS1_14partition_implILS5_8ELb0ES3_jN6thrust23THRUST_200600_302600_NS6detail15normal_iteratorINSA_10device_ptrIsEEEEPS6_PKS6_NS0_5tupleIJSF_S6_EEENSJ_IJSG_SG_EEENS0_18inequality_wrapperINSA_8equal_toIsEEEEPmJS6_EEE10hipError_tPvRmT3_T4_T5_T6_T7_T9_mT8_P12ihipStream_tbDpT10_ENKUlT_T0_E_clISt17integral_constantIbLb0EES1A_EEDaS15_S16_EUlS15_E_NS1_11comp_targetILNS1_3genE2ELNS1_11target_archE906ELNS1_3gpuE6ELNS1_3repE0EEENS1_30default_config_static_selectorELNS0_4arch9wavefront6targetE1EEEvT1_.num_vgpr, 82
	.set _ZN7rocprim17ROCPRIM_400000_NS6detail17trampoline_kernelINS0_14default_configENS1_25partition_config_selectorILNS1_17partition_subalgoE8EsNS0_10empty_typeEbEEZZNS1_14partition_implILS5_8ELb0ES3_jN6thrust23THRUST_200600_302600_NS6detail15normal_iteratorINSA_10device_ptrIsEEEEPS6_PKS6_NS0_5tupleIJSF_S6_EEENSJ_IJSG_SG_EEENS0_18inequality_wrapperINSA_8equal_toIsEEEEPmJS6_EEE10hipError_tPvRmT3_T4_T5_T6_T7_T9_mT8_P12ihipStream_tbDpT10_ENKUlT_T0_E_clISt17integral_constantIbLb0EES1A_EEDaS15_S16_EUlS15_E_NS1_11comp_targetILNS1_3genE2ELNS1_11target_archE906ELNS1_3gpuE6ELNS1_3repE0EEENS1_30default_config_static_selectorELNS0_4arch9wavefront6targetE1EEEvT1_.num_agpr, 0
	.set _ZN7rocprim17ROCPRIM_400000_NS6detail17trampoline_kernelINS0_14default_configENS1_25partition_config_selectorILNS1_17partition_subalgoE8EsNS0_10empty_typeEbEEZZNS1_14partition_implILS5_8ELb0ES3_jN6thrust23THRUST_200600_302600_NS6detail15normal_iteratorINSA_10device_ptrIsEEEEPS6_PKS6_NS0_5tupleIJSF_S6_EEENSJ_IJSG_SG_EEENS0_18inequality_wrapperINSA_8equal_toIsEEEEPmJS6_EEE10hipError_tPvRmT3_T4_T5_T6_T7_T9_mT8_P12ihipStream_tbDpT10_ENKUlT_T0_E_clISt17integral_constantIbLb0EES1A_EEDaS15_S16_EUlS15_E_NS1_11comp_targetILNS1_3genE2ELNS1_11target_archE906ELNS1_3gpuE6ELNS1_3repE0EEENS1_30default_config_static_selectorELNS0_4arch9wavefront6targetE1EEEvT1_.numbered_sgpr, 60
	.set _ZN7rocprim17ROCPRIM_400000_NS6detail17trampoline_kernelINS0_14default_configENS1_25partition_config_selectorILNS1_17partition_subalgoE8EsNS0_10empty_typeEbEEZZNS1_14partition_implILS5_8ELb0ES3_jN6thrust23THRUST_200600_302600_NS6detail15normal_iteratorINSA_10device_ptrIsEEEEPS6_PKS6_NS0_5tupleIJSF_S6_EEENSJ_IJSG_SG_EEENS0_18inequality_wrapperINSA_8equal_toIsEEEEPmJS6_EEE10hipError_tPvRmT3_T4_T5_T6_T7_T9_mT8_P12ihipStream_tbDpT10_ENKUlT_T0_E_clISt17integral_constantIbLb0EES1A_EEDaS15_S16_EUlS15_E_NS1_11comp_targetILNS1_3genE2ELNS1_11target_archE906ELNS1_3gpuE6ELNS1_3repE0EEENS1_30default_config_static_selectorELNS0_4arch9wavefront6targetE1EEEvT1_.num_named_barrier, 0
	.set _ZN7rocprim17ROCPRIM_400000_NS6detail17trampoline_kernelINS0_14default_configENS1_25partition_config_selectorILNS1_17partition_subalgoE8EsNS0_10empty_typeEbEEZZNS1_14partition_implILS5_8ELb0ES3_jN6thrust23THRUST_200600_302600_NS6detail15normal_iteratorINSA_10device_ptrIsEEEEPS6_PKS6_NS0_5tupleIJSF_S6_EEENSJ_IJSG_SG_EEENS0_18inequality_wrapperINSA_8equal_toIsEEEEPmJS6_EEE10hipError_tPvRmT3_T4_T5_T6_T7_T9_mT8_P12ihipStream_tbDpT10_ENKUlT_T0_E_clISt17integral_constantIbLb0EES1A_EEDaS15_S16_EUlS15_E_NS1_11comp_targetILNS1_3genE2ELNS1_11target_archE906ELNS1_3gpuE6ELNS1_3repE0EEENS1_30default_config_static_selectorELNS0_4arch9wavefront6targetE1EEEvT1_.private_seg_size, 0
	.set _ZN7rocprim17ROCPRIM_400000_NS6detail17trampoline_kernelINS0_14default_configENS1_25partition_config_selectorILNS1_17partition_subalgoE8EsNS0_10empty_typeEbEEZZNS1_14partition_implILS5_8ELb0ES3_jN6thrust23THRUST_200600_302600_NS6detail15normal_iteratorINSA_10device_ptrIsEEEEPS6_PKS6_NS0_5tupleIJSF_S6_EEENSJ_IJSG_SG_EEENS0_18inequality_wrapperINSA_8equal_toIsEEEEPmJS6_EEE10hipError_tPvRmT3_T4_T5_T6_T7_T9_mT8_P12ihipStream_tbDpT10_ENKUlT_T0_E_clISt17integral_constantIbLb0EES1A_EEDaS15_S16_EUlS15_E_NS1_11comp_targetILNS1_3genE2ELNS1_11target_archE906ELNS1_3gpuE6ELNS1_3repE0EEENS1_30default_config_static_selectorELNS0_4arch9wavefront6targetE1EEEvT1_.uses_vcc, 1
	.set _ZN7rocprim17ROCPRIM_400000_NS6detail17trampoline_kernelINS0_14default_configENS1_25partition_config_selectorILNS1_17partition_subalgoE8EsNS0_10empty_typeEbEEZZNS1_14partition_implILS5_8ELb0ES3_jN6thrust23THRUST_200600_302600_NS6detail15normal_iteratorINSA_10device_ptrIsEEEEPS6_PKS6_NS0_5tupleIJSF_S6_EEENSJ_IJSG_SG_EEENS0_18inequality_wrapperINSA_8equal_toIsEEEEPmJS6_EEE10hipError_tPvRmT3_T4_T5_T6_T7_T9_mT8_P12ihipStream_tbDpT10_ENKUlT_T0_E_clISt17integral_constantIbLb0EES1A_EEDaS15_S16_EUlS15_E_NS1_11comp_targetILNS1_3genE2ELNS1_11target_archE906ELNS1_3gpuE6ELNS1_3repE0EEENS1_30default_config_static_selectorELNS0_4arch9wavefront6targetE1EEEvT1_.uses_flat_scratch, 0
	.set _ZN7rocprim17ROCPRIM_400000_NS6detail17trampoline_kernelINS0_14default_configENS1_25partition_config_selectorILNS1_17partition_subalgoE8EsNS0_10empty_typeEbEEZZNS1_14partition_implILS5_8ELb0ES3_jN6thrust23THRUST_200600_302600_NS6detail15normal_iteratorINSA_10device_ptrIsEEEEPS6_PKS6_NS0_5tupleIJSF_S6_EEENSJ_IJSG_SG_EEENS0_18inequality_wrapperINSA_8equal_toIsEEEEPmJS6_EEE10hipError_tPvRmT3_T4_T5_T6_T7_T9_mT8_P12ihipStream_tbDpT10_ENKUlT_T0_E_clISt17integral_constantIbLb0EES1A_EEDaS15_S16_EUlS15_E_NS1_11comp_targetILNS1_3genE2ELNS1_11target_archE906ELNS1_3gpuE6ELNS1_3repE0EEENS1_30default_config_static_selectorELNS0_4arch9wavefront6targetE1EEEvT1_.has_dyn_sized_stack, 0
	.set _ZN7rocprim17ROCPRIM_400000_NS6detail17trampoline_kernelINS0_14default_configENS1_25partition_config_selectorILNS1_17partition_subalgoE8EsNS0_10empty_typeEbEEZZNS1_14partition_implILS5_8ELb0ES3_jN6thrust23THRUST_200600_302600_NS6detail15normal_iteratorINSA_10device_ptrIsEEEEPS6_PKS6_NS0_5tupleIJSF_S6_EEENSJ_IJSG_SG_EEENS0_18inequality_wrapperINSA_8equal_toIsEEEEPmJS6_EEE10hipError_tPvRmT3_T4_T5_T6_T7_T9_mT8_P12ihipStream_tbDpT10_ENKUlT_T0_E_clISt17integral_constantIbLb0EES1A_EEDaS15_S16_EUlS15_E_NS1_11comp_targetILNS1_3genE2ELNS1_11target_archE906ELNS1_3gpuE6ELNS1_3repE0EEENS1_30default_config_static_selectorELNS0_4arch9wavefront6targetE1EEEvT1_.has_recursion, 0
	.set _ZN7rocprim17ROCPRIM_400000_NS6detail17trampoline_kernelINS0_14default_configENS1_25partition_config_selectorILNS1_17partition_subalgoE8EsNS0_10empty_typeEbEEZZNS1_14partition_implILS5_8ELb0ES3_jN6thrust23THRUST_200600_302600_NS6detail15normal_iteratorINSA_10device_ptrIsEEEEPS6_PKS6_NS0_5tupleIJSF_S6_EEENSJ_IJSG_SG_EEENS0_18inequality_wrapperINSA_8equal_toIsEEEEPmJS6_EEE10hipError_tPvRmT3_T4_T5_T6_T7_T9_mT8_P12ihipStream_tbDpT10_ENKUlT_T0_E_clISt17integral_constantIbLb0EES1A_EEDaS15_S16_EUlS15_E_NS1_11comp_targetILNS1_3genE2ELNS1_11target_archE906ELNS1_3gpuE6ELNS1_3repE0EEENS1_30default_config_static_selectorELNS0_4arch9wavefront6targetE1EEEvT1_.has_indirect_call, 0
	.section	.AMDGPU.csdata,"",@progbits
; Kernel info:
; codeLenInByte = 8220
; TotalNumSgprs: 64
; NumVgprs: 82
; ScratchSize: 0
; MemoryBound: 0
; FloatMode: 240
; IeeeMode: 1
; LDSByteSize: 6920 bytes/workgroup (compile time only)
; SGPRBlocks: 10
; VGPRBlocks: 20
; NumSGPRsForWavesPerEU: 81
; NumVGPRsForWavesPerEU: 82
; Occupancy: 3
; WaveLimiterHint : 1
; COMPUTE_PGM_RSRC2:SCRATCH_EN: 0
; COMPUTE_PGM_RSRC2:USER_SGPR: 6
; COMPUTE_PGM_RSRC2:TRAP_HANDLER: 0
; COMPUTE_PGM_RSRC2:TGID_X_EN: 1
; COMPUTE_PGM_RSRC2:TGID_Y_EN: 0
; COMPUTE_PGM_RSRC2:TGID_Z_EN: 0
; COMPUTE_PGM_RSRC2:TIDIG_COMP_CNT: 0
	.section	.text._ZN7rocprim17ROCPRIM_400000_NS6detail17trampoline_kernelINS0_14default_configENS1_25partition_config_selectorILNS1_17partition_subalgoE8EsNS0_10empty_typeEbEEZZNS1_14partition_implILS5_8ELb0ES3_jN6thrust23THRUST_200600_302600_NS6detail15normal_iteratorINSA_10device_ptrIsEEEEPS6_PKS6_NS0_5tupleIJSF_S6_EEENSJ_IJSG_SG_EEENS0_18inequality_wrapperINSA_8equal_toIsEEEEPmJS6_EEE10hipError_tPvRmT3_T4_T5_T6_T7_T9_mT8_P12ihipStream_tbDpT10_ENKUlT_T0_E_clISt17integral_constantIbLb0EES1A_EEDaS15_S16_EUlS15_E_NS1_11comp_targetILNS1_3genE10ELNS1_11target_archE1200ELNS1_3gpuE4ELNS1_3repE0EEENS1_30default_config_static_selectorELNS0_4arch9wavefront6targetE1EEEvT1_,"axG",@progbits,_ZN7rocprim17ROCPRIM_400000_NS6detail17trampoline_kernelINS0_14default_configENS1_25partition_config_selectorILNS1_17partition_subalgoE8EsNS0_10empty_typeEbEEZZNS1_14partition_implILS5_8ELb0ES3_jN6thrust23THRUST_200600_302600_NS6detail15normal_iteratorINSA_10device_ptrIsEEEEPS6_PKS6_NS0_5tupleIJSF_S6_EEENSJ_IJSG_SG_EEENS0_18inequality_wrapperINSA_8equal_toIsEEEEPmJS6_EEE10hipError_tPvRmT3_T4_T5_T6_T7_T9_mT8_P12ihipStream_tbDpT10_ENKUlT_T0_E_clISt17integral_constantIbLb0EES1A_EEDaS15_S16_EUlS15_E_NS1_11comp_targetILNS1_3genE10ELNS1_11target_archE1200ELNS1_3gpuE4ELNS1_3repE0EEENS1_30default_config_static_selectorELNS0_4arch9wavefront6targetE1EEEvT1_,comdat
	.protected	_ZN7rocprim17ROCPRIM_400000_NS6detail17trampoline_kernelINS0_14default_configENS1_25partition_config_selectorILNS1_17partition_subalgoE8EsNS0_10empty_typeEbEEZZNS1_14partition_implILS5_8ELb0ES3_jN6thrust23THRUST_200600_302600_NS6detail15normal_iteratorINSA_10device_ptrIsEEEEPS6_PKS6_NS0_5tupleIJSF_S6_EEENSJ_IJSG_SG_EEENS0_18inequality_wrapperINSA_8equal_toIsEEEEPmJS6_EEE10hipError_tPvRmT3_T4_T5_T6_T7_T9_mT8_P12ihipStream_tbDpT10_ENKUlT_T0_E_clISt17integral_constantIbLb0EES1A_EEDaS15_S16_EUlS15_E_NS1_11comp_targetILNS1_3genE10ELNS1_11target_archE1200ELNS1_3gpuE4ELNS1_3repE0EEENS1_30default_config_static_selectorELNS0_4arch9wavefront6targetE1EEEvT1_ ; -- Begin function _ZN7rocprim17ROCPRIM_400000_NS6detail17trampoline_kernelINS0_14default_configENS1_25partition_config_selectorILNS1_17partition_subalgoE8EsNS0_10empty_typeEbEEZZNS1_14partition_implILS5_8ELb0ES3_jN6thrust23THRUST_200600_302600_NS6detail15normal_iteratorINSA_10device_ptrIsEEEEPS6_PKS6_NS0_5tupleIJSF_S6_EEENSJ_IJSG_SG_EEENS0_18inequality_wrapperINSA_8equal_toIsEEEEPmJS6_EEE10hipError_tPvRmT3_T4_T5_T6_T7_T9_mT8_P12ihipStream_tbDpT10_ENKUlT_T0_E_clISt17integral_constantIbLb0EES1A_EEDaS15_S16_EUlS15_E_NS1_11comp_targetILNS1_3genE10ELNS1_11target_archE1200ELNS1_3gpuE4ELNS1_3repE0EEENS1_30default_config_static_selectorELNS0_4arch9wavefront6targetE1EEEvT1_
	.globl	_ZN7rocprim17ROCPRIM_400000_NS6detail17trampoline_kernelINS0_14default_configENS1_25partition_config_selectorILNS1_17partition_subalgoE8EsNS0_10empty_typeEbEEZZNS1_14partition_implILS5_8ELb0ES3_jN6thrust23THRUST_200600_302600_NS6detail15normal_iteratorINSA_10device_ptrIsEEEEPS6_PKS6_NS0_5tupleIJSF_S6_EEENSJ_IJSG_SG_EEENS0_18inequality_wrapperINSA_8equal_toIsEEEEPmJS6_EEE10hipError_tPvRmT3_T4_T5_T6_T7_T9_mT8_P12ihipStream_tbDpT10_ENKUlT_T0_E_clISt17integral_constantIbLb0EES1A_EEDaS15_S16_EUlS15_E_NS1_11comp_targetILNS1_3genE10ELNS1_11target_archE1200ELNS1_3gpuE4ELNS1_3repE0EEENS1_30default_config_static_selectorELNS0_4arch9wavefront6targetE1EEEvT1_
	.p2align	8
	.type	_ZN7rocprim17ROCPRIM_400000_NS6detail17trampoline_kernelINS0_14default_configENS1_25partition_config_selectorILNS1_17partition_subalgoE8EsNS0_10empty_typeEbEEZZNS1_14partition_implILS5_8ELb0ES3_jN6thrust23THRUST_200600_302600_NS6detail15normal_iteratorINSA_10device_ptrIsEEEEPS6_PKS6_NS0_5tupleIJSF_S6_EEENSJ_IJSG_SG_EEENS0_18inequality_wrapperINSA_8equal_toIsEEEEPmJS6_EEE10hipError_tPvRmT3_T4_T5_T6_T7_T9_mT8_P12ihipStream_tbDpT10_ENKUlT_T0_E_clISt17integral_constantIbLb0EES1A_EEDaS15_S16_EUlS15_E_NS1_11comp_targetILNS1_3genE10ELNS1_11target_archE1200ELNS1_3gpuE4ELNS1_3repE0EEENS1_30default_config_static_selectorELNS0_4arch9wavefront6targetE1EEEvT1_,@function
_ZN7rocprim17ROCPRIM_400000_NS6detail17trampoline_kernelINS0_14default_configENS1_25partition_config_selectorILNS1_17partition_subalgoE8EsNS0_10empty_typeEbEEZZNS1_14partition_implILS5_8ELb0ES3_jN6thrust23THRUST_200600_302600_NS6detail15normal_iteratorINSA_10device_ptrIsEEEEPS6_PKS6_NS0_5tupleIJSF_S6_EEENSJ_IJSG_SG_EEENS0_18inequality_wrapperINSA_8equal_toIsEEEEPmJS6_EEE10hipError_tPvRmT3_T4_T5_T6_T7_T9_mT8_P12ihipStream_tbDpT10_ENKUlT_T0_E_clISt17integral_constantIbLb0EES1A_EEDaS15_S16_EUlS15_E_NS1_11comp_targetILNS1_3genE10ELNS1_11target_archE1200ELNS1_3gpuE4ELNS1_3repE0EEENS1_30default_config_static_selectorELNS0_4arch9wavefront6targetE1EEEvT1_: ; @_ZN7rocprim17ROCPRIM_400000_NS6detail17trampoline_kernelINS0_14default_configENS1_25partition_config_selectorILNS1_17partition_subalgoE8EsNS0_10empty_typeEbEEZZNS1_14partition_implILS5_8ELb0ES3_jN6thrust23THRUST_200600_302600_NS6detail15normal_iteratorINSA_10device_ptrIsEEEEPS6_PKS6_NS0_5tupleIJSF_S6_EEENSJ_IJSG_SG_EEENS0_18inequality_wrapperINSA_8equal_toIsEEEEPmJS6_EEE10hipError_tPvRmT3_T4_T5_T6_T7_T9_mT8_P12ihipStream_tbDpT10_ENKUlT_T0_E_clISt17integral_constantIbLb0EES1A_EEDaS15_S16_EUlS15_E_NS1_11comp_targetILNS1_3genE10ELNS1_11target_archE1200ELNS1_3gpuE4ELNS1_3repE0EEENS1_30default_config_static_selectorELNS0_4arch9wavefront6targetE1EEEvT1_
; %bb.0:
	.section	.rodata,"a",@progbits
	.p2align	6, 0x0
	.amdhsa_kernel _ZN7rocprim17ROCPRIM_400000_NS6detail17trampoline_kernelINS0_14default_configENS1_25partition_config_selectorILNS1_17partition_subalgoE8EsNS0_10empty_typeEbEEZZNS1_14partition_implILS5_8ELb0ES3_jN6thrust23THRUST_200600_302600_NS6detail15normal_iteratorINSA_10device_ptrIsEEEEPS6_PKS6_NS0_5tupleIJSF_S6_EEENSJ_IJSG_SG_EEENS0_18inequality_wrapperINSA_8equal_toIsEEEEPmJS6_EEE10hipError_tPvRmT3_T4_T5_T6_T7_T9_mT8_P12ihipStream_tbDpT10_ENKUlT_T0_E_clISt17integral_constantIbLb0EES1A_EEDaS15_S16_EUlS15_E_NS1_11comp_targetILNS1_3genE10ELNS1_11target_archE1200ELNS1_3gpuE4ELNS1_3repE0EEENS1_30default_config_static_selectorELNS0_4arch9wavefront6targetE1EEEvT1_
		.amdhsa_group_segment_fixed_size 0
		.amdhsa_private_segment_fixed_size 0
		.amdhsa_kernarg_size 112
		.amdhsa_user_sgpr_count 6
		.amdhsa_user_sgpr_private_segment_buffer 1
		.amdhsa_user_sgpr_dispatch_ptr 0
		.amdhsa_user_sgpr_queue_ptr 0
		.amdhsa_user_sgpr_kernarg_segment_ptr 1
		.amdhsa_user_sgpr_dispatch_id 0
		.amdhsa_user_sgpr_flat_scratch_init 0
		.amdhsa_user_sgpr_private_segment_size 0
		.amdhsa_uses_dynamic_stack 0
		.amdhsa_system_sgpr_private_segment_wavefront_offset 0
		.amdhsa_system_sgpr_workgroup_id_x 1
		.amdhsa_system_sgpr_workgroup_id_y 0
		.amdhsa_system_sgpr_workgroup_id_z 0
		.amdhsa_system_sgpr_workgroup_info 0
		.amdhsa_system_vgpr_workitem_id 0
		.amdhsa_next_free_vgpr 1
		.amdhsa_next_free_sgpr 0
		.amdhsa_reserve_vcc 0
		.amdhsa_reserve_flat_scratch 0
		.amdhsa_float_round_mode_32 0
		.amdhsa_float_round_mode_16_64 0
		.amdhsa_float_denorm_mode_32 3
		.amdhsa_float_denorm_mode_16_64 3
		.amdhsa_dx10_clamp 1
		.amdhsa_ieee_mode 1
		.amdhsa_fp16_overflow 0
		.amdhsa_exception_fp_ieee_invalid_op 0
		.amdhsa_exception_fp_denorm_src 0
		.amdhsa_exception_fp_ieee_div_zero 0
		.amdhsa_exception_fp_ieee_overflow 0
		.amdhsa_exception_fp_ieee_underflow 0
		.amdhsa_exception_fp_ieee_inexact 0
		.amdhsa_exception_int_div_zero 0
	.end_amdhsa_kernel
	.section	.text._ZN7rocprim17ROCPRIM_400000_NS6detail17trampoline_kernelINS0_14default_configENS1_25partition_config_selectorILNS1_17partition_subalgoE8EsNS0_10empty_typeEbEEZZNS1_14partition_implILS5_8ELb0ES3_jN6thrust23THRUST_200600_302600_NS6detail15normal_iteratorINSA_10device_ptrIsEEEEPS6_PKS6_NS0_5tupleIJSF_S6_EEENSJ_IJSG_SG_EEENS0_18inequality_wrapperINSA_8equal_toIsEEEEPmJS6_EEE10hipError_tPvRmT3_T4_T5_T6_T7_T9_mT8_P12ihipStream_tbDpT10_ENKUlT_T0_E_clISt17integral_constantIbLb0EES1A_EEDaS15_S16_EUlS15_E_NS1_11comp_targetILNS1_3genE10ELNS1_11target_archE1200ELNS1_3gpuE4ELNS1_3repE0EEENS1_30default_config_static_selectorELNS0_4arch9wavefront6targetE1EEEvT1_,"axG",@progbits,_ZN7rocprim17ROCPRIM_400000_NS6detail17trampoline_kernelINS0_14default_configENS1_25partition_config_selectorILNS1_17partition_subalgoE8EsNS0_10empty_typeEbEEZZNS1_14partition_implILS5_8ELb0ES3_jN6thrust23THRUST_200600_302600_NS6detail15normal_iteratorINSA_10device_ptrIsEEEEPS6_PKS6_NS0_5tupleIJSF_S6_EEENSJ_IJSG_SG_EEENS0_18inequality_wrapperINSA_8equal_toIsEEEEPmJS6_EEE10hipError_tPvRmT3_T4_T5_T6_T7_T9_mT8_P12ihipStream_tbDpT10_ENKUlT_T0_E_clISt17integral_constantIbLb0EES1A_EEDaS15_S16_EUlS15_E_NS1_11comp_targetILNS1_3genE10ELNS1_11target_archE1200ELNS1_3gpuE4ELNS1_3repE0EEENS1_30default_config_static_selectorELNS0_4arch9wavefront6targetE1EEEvT1_,comdat
.Lfunc_end474:
	.size	_ZN7rocprim17ROCPRIM_400000_NS6detail17trampoline_kernelINS0_14default_configENS1_25partition_config_selectorILNS1_17partition_subalgoE8EsNS0_10empty_typeEbEEZZNS1_14partition_implILS5_8ELb0ES3_jN6thrust23THRUST_200600_302600_NS6detail15normal_iteratorINSA_10device_ptrIsEEEEPS6_PKS6_NS0_5tupleIJSF_S6_EEENSJ_IJSG_SG_EEENS0_18inequality_wrapperINSA_8equal_toIsEEEEPmJS6_EEE10hipError_tPvRmT3_T4_T5_T6_T7_T9_mT8_P12ihipStream_tbDpT10_ENKUlT_T0_E_clISt17integral_constantIbLb0EES1A_EEDaS15_S16_EUlS15_E_NS1_11comp_targetILNS1_3genE10ELNS1_11target_archE1200ELNS1_3gpuE4ELNS1_3repE0EEENS1_30default_config_static_selectorELNS0_4arch9wavefront6targetE1EEEvT1_, .Lfunc_end474-_ZN7rocprim17ROCPRIM_400000_NS6detail17trampoline_kernelINS0_14default_configENS1_25partition_config_selectorILNS1_17partition_subalgoE8EsNS0_10empty_typeEbEEZZNS1_14partition_implILS5_8ELb0ES3_jN6thrust23THRUST_200600_302600_NS6detail15normal_iteratorINSA_10device_ptrIsEEEEPS6_PKS6_NS0_5tupleIJSF_S6_EEENSJ_IJSG_SG_EEENS0_18inequality_wrapperINSA_8equal_toIsEEEEPmJS6_EEE10hipError_tPvRmT3_T4_T5_T6_T7_T9_mT8_P12ihipStream_tbDpT10_ENKUlT_T0_E_clISt17integral_constantIbLb0EES1A_EEDaS15_S16_EUlS15_E_NS1_11comp_targetILNS1_3genE10ELNS1_11target_archE1200ELNS1_3gpuE4ELNS1_3repE0EEENS1_30default_config_static_selectorELNS0_4arch9wavefront6targetE1EEEvT1_
                                        ; -- End function
	.set _ZN7rocprim17ROCPRIM_400000_NS6detail17trampoline_kernelINS0_14default_configENS1_25partition_config_selectorILNS1_17partition_subalgoE8EsNS0_10empty_typeEbEEZZNS1_14partition_implILS5_8ELb0ES3_jN6thrust23THRUST_200600_302600_NS6detail15normal_iteratorINSA_10device_ptrIsEEEEPS6_PKS6_NS0_5tupleIJSF_S6_EEENSJ_IJSG_SG_EEENS0_18inequality_wrapperINSA_8equal_toIsEEEEPmJS6_EEE10hipError_tPvRmT3_T4_T5_T6_T7_T9_mT8_P12ihipStream_tbDpT10_ENKUlT_T0_E_clISt17integral_constantIbLb0EES1A_EEDaS15_S16_EUlS15_E_NS1_11comp_targetILNS1_3genE10ELNS1_11target_archE1200ELNS1_3gpuE4ELNS1_3repE0EEENS1_30default_config_static_selectorELNS0_4arch9wavefront6targetE1EEEvT1_.num_vgpr, 0
	.set _ZN7rocprim17ROCPRIM_400000_NS6detail17trampoline_kernelINS0_14default_configENS1_25partition_config_selectorILNS1_17partition_subalgoE8EsNS0_10empty_typeEbEEZZNS1_14partition_implILS5_8ELb0ES3_jN6thrust23THRUST_200600_302600_NS6detail15normal_iteratorINSA_10device_ptrIsEEEEPS6_PKS6_NS0_5tupleIJSF_S6_EEENSJ_IJSG_SG_EEENS0_18inequality_wrapperINSA_8equal_toIsEEEEPmJS6_EEE10hipError_tPvRmT3_T4_T5_T6_T7_T9_mT8_P12ihipStream_tbDpT10_ENKUlT_T0_E_clISt17integral_constantIbLb0EES1A_EEDaS15_S16_EUlS15_E_NS1_11comp_targetILNS1_3genE10ELNS1_11target_archE1200ELNS1_3gpuE4ELNS1_3repE0EEENS1_30default_config_static_selectorELNS0_4arch9wavefront6targetE1EEEvT1_.num_agpr, 0
	.set _ZN7rocprim17ROCPRIM_400000_NS6detail17trampoline_kernelINS0_14default_configENS1_25partition_config_selectorILNS1_17partition_subalgoE8EsNS0_10empty_typeEbEEZZNS1_14partition_implILS5_8ELb0ES3_jN6thrust23THRUST_200600_302600_NS6detail15normal_iteratorINSA_10device_ptrIsEEEEPS6_PKS6_NS0_5tupleIJSF_S6_EEENSJ_IJSG_SG_EEENS0_18inequality_wrapperINSA_8equal_toIsEEEEPmJS6_EEE10hipError_tPvRmT3_T4_T5_T6_T7_T9_mT8_P12ihipStream_tbDpT10_ENKUlT_T0_E_clISt17integral_constantIbLb0EES1A_EEDaS15_S16_EUlS15_E_NS1_11comp_targetILNS1_3genE10ELNS1_11target_archE1200ELNS1_3gpuE4ELNS1_3repE0EEENS1_30default_config_static_selectorELNS0_4arch9wavefront6targetE1EEEvT1_.numbered_sgpr, 0
	.set _ZN7rocprim17ROCPRIM_400000_NS6detail17trampoline_kernelINS0_14default_configENS1_25partition_config_selectorILNS1_17partition_subalgoE8EsNS0_10empty_typeEbEEZZNS1_14partition_implILS5_8ELb0ES3_jN6thrust23THRUST_200600_302600_NS6detail15normal_iteratorINSA_10device_ptrIsEEEEPS6_PKS6_NS0_5tupleIJSF_S6_EEENSJ_IJSG_SG_EEENS0_18inequality_wrapperINSA_8equal_toIsEEEEPmJS6_EEE10hipError_tPvRmT3_T4_T5_T6_T7_T9_mT8_P12ihipStream_tbDpT10_ENKUlT_T0_E_clISt17integral_constantIbLb0EES1A_EEDaS15_S16_EUlS15_E_NS1_11comp_targetILNS1_3genE10ELNS1_11target_archE1200ELNS1_3gpuE4ELNS1_3repE0EEENS1_30default_config_static_selectorELNS0_4arch9wavefront6targetE1EEEvT1_.num_named_barrier, 0
	.set _ZN7rocprim17ROCPRIM_400000_NS6detail17trampoline_kernelINS0_14default_configENS1_25partition_config_selectorILNS1_17partition_subalgoE8EsNS0_10empty_typeEbEEZZNS1_14partition_implILS5_8ELb0ES3_jN6thrust23THRUST_200600_302600_NS6detail15normal_iteratorINSA_10device_ptrIsEEEEPS6_PKS6_NS0_5tupleIJSF_S6_EEENSJ_IJSG_SG_EEENS0_18inequality_wrapperINSA_8equal_toIsEEEEPmJS6_EEE10hipError_tPvRmT3_T4_T5_T6_T7_T9_mT8_P12ihipStream_tbDpT10_ENKUlT_T0_E_clISt17integral_constantIbLb0EES1A_EEDaS15_S16_EUlS15_E_NS1_11comp_targetILNS1_3genE10ELNS1_11target_archE1200ELNS1_3gpuE4ELNS1_3repE0EEENS1_30default_config_static_selectorELNS0_4arch9wavefront6targetE1EEEvT1_.private_seg_size, 0
	.set _ZN7rocprim17ROCPRIM_400000_NS6detail17trampoline_kernelINS0_14default_configENS1_25partition_config_selectorILNS1_17partition_subalgoE8EsNS0_10empty_typeEbEEZZNS1_14partition_implILS5_8ELb0ES3_jN6thrust23THRUST_200600_302600_NS6detail15normal_iteratorINSA_10device_ptrIsEEEEPS6_PKS6_NS0_5tupleIJSF_S6_EEENSJ_IJSG_SG_EEENS0_18inequality_wrapperINSA_8equal_toIsEEEEPmJS6_EEE10hipError_tPvRmT3_T4_T5_T6_T7_T9_mT8_P12ihipStream_tbDpT10_ENKUlT_T0_E_clISt17integral_constantIbLb0EES1A_EEDaS15_S16_EUlS15_E_NS1_11comp_targetILNS1_3genE10ELNS1_11target_archE1200ELNS1_3gpuE4ELNS1_3repE0EEENS1_30default_config_static_selectorELNS0_4arch9wavefront6targetE1EEEvT1_.uses_vcc, 0
	.set _ZN7rocprim17ROCPRIM_400000_NS6detail17trampoline_kernelINS0_14default_configENS1_25partition_config_selectorILNS1_17partition_subalgoE8EsNS0_10empty_typeEbEEZZNS1_14partition_implILS5_8ELb0ES3_jN6thrust23THRUST_200600_302600_NS6detail15normal_iteratorINSA_10device_ptrIsEEEEPS6_PKS6_NS0_5tupleIJSF_S6_EEENSJ_IJSG_SG_EEENS0_18inequality_wrapperINSA_8equal_toIsEEEEPmJS6_EEE10hipError_tPvRmT3_T4_T5_T6_T7_T9_mT8_P12ihipStream_tbDpT10_ENKUlT_T0_E_clISt17integral_constantIbLb0EES1A_EEDaS15_S16_EUlS15_E_NS1_11comp_targetILNS1_3genE10ELNS1_11target_archE1200ELNS1_3gpuE4ELNS1_3repE0EEENS1_30default_config_static_selectorELNS0_4arch9wavefront6targetE1EEEvT1_.uses_flat_scratch, 0
	.set _ZN7rocprim17ROCPRIM_400000_NS6detail17trampoline_kernelINS0_14default_configENS1_25partition_config_selectorILNS1_17partition_subalgoE8EsNS0_10empty_typeEbEEZZNS1_14partition_implILS5_8ELb0ES3_jN6thrust23THRUST_200600_302600_NS6detail15normal_iteratorINSA_10device_ptrIsEEEEPS6_PKS6_NS0_5tupleIJSF_S6_EEENSJ_IJSG_SG_EEENS0_18inequality_wrapperINSA_8equal_toIsEEEEPmJS6_EEE10hipError_tPvRmT3_T4_T5_T6_T7_T9_mT8_P12ihipStream_tbDpT10_ENKUlT_T0_E_clISt17integral_constantIbLb0EES1A_EEDaS15_S16_EUlS15_E_NS1_11comp_targetILNS1_3genE10ELNS1_11target_archE1200ELNS1_3gpuE4ELNS1_3repE0EEENS1_30default_config_static_selectorELNS0_4arch9wavefront6targetE1EEEvT1_.has_dyn_sized_stack, 0
	.set _ZN7rocprim17ROCPRIM_400000_NS6detail17trampoline_kernelINS0_14default_configENS1_25partition_config_selectorILNS1_17partition_subalgoE8EsNS0_10empty_typeEbEEZZNS1_14partition_implILS5_8ELb0ES3_jN6thrust23THRUST_200600_302600_NS6detail15normal_iteratorINSA_10device_ptrIsEEEEPS6_PKS6_NS0_5tupleIJSF_S6_EEENSJ_IJSG_SG_EEENS0_18inequality_wrapperINSA_8equal_toIsEEEEPmJS6_EEE10hipError_tPvRmT3_T4_T5_T6_T7_T9_mT8_P12ihipStream_tbDpT10_ENKUlT_T0_E_clISt17integral_constantIbLb0EES1A_EEDaS15_S16_EUlS15_E_NS1_11comp_targetILNS1_3genE10ELNS1_11target_archE1200ELNS1_3gpuE4ELNS1_3repE0EEENS1_30default_config_static_selectorELNS0_4arch9wavefront6targetE1EEEvT1_.has_recursion, 0
	.set _ZN7rocprim17ROCPRIM_400000_NS6detail17trampoline_kernelINS0_14default_configENS1_25partition_config_selectorILNS1_17partition_subalgoE8EsNS0_10empty_typeEbEEZZNS1_14partition_implILS5_8ELb0ES3_jN6thrust23THRUST_200600_302600_NS6detail15normal_iteratorINSA_10device_ptrIsEEEEPS6_PKS6_NS0_5tupleIJSF_S6_EEENSJ_IJSG_SG_EEENS0_18inequality_wrapperINSA_8equal_toIsEEEEPmJS6_EEE10hipError_tPvRmT3_T4_T5_T6_T7_T9_mT8_P12ihipStream_tbDpT10_ENKUlT_T0_E_clISt17integral_constantIbLb0EES1A_EEDaS15_S16_EUlS15_E_NS1_11comp_targetILNS1_3genE10ELNS1_11target_archE1200ELNS1_3gpuE4ELNS1_3repE0EEENS1_30default_config_static_selectorELNS0_4arch9wavefront6targetE1EEEvT1_.has_indirect_call, 0
	.section	.AMDGPU.csdata,"",@progbits
; Kernel info:
; codeLenInByte = 0
; TotalNumSgprs: 4
; NumVgprs: 0
; ScratchSize: 0
; MemoryBound: 0
; FloatMode: 240
; IeeeMode: 1
; LDSByteSize: 0 bytes/workgroup (compile time only)
; SGPRBlocks: 0
; VGPRBlocks: 0
; NumSGPRsForWavesPerEU: 4
; NumVGPRsForWavesPerEU: 1
; Occupancy: 10
; WaveLimiterHint : 0
; COMPUTE_PGM_RSRC2:SCRATCH_EN: 0
; COMPUTE_PGM_RSRC2:USER_SGPR: 6
; COMPUTE_PGM_RSRC2:TRAP_HANDLER: 0
; COMPUTE_PGM_RSRC2:TGID_X_EN: 1
; COMPUTE_PGM_RSRC2:TGID_Y_EN: 0
; COMPUTE_PGM_RSRC2:TGID_Z_EN: 0
; COMPUTE_PGM_RSRC2:TIDIG_COMP_CNT: 0
	.section	.text._ZN7rocprim17ROCPRIM_400000_NS6detail17trampoline_kernelINS0_14default_configENS1_25partition_config_selectorILNS1_17partition_subalgoE8EsNS0_10empty_typeEbEEZZNS1_14partition_implILS5_8ELb0ES3_jN6thrust23THRUST_200600_302600_NS6detail15normal_iteratorINSA_10device_ptrIsEEEEPS6_PKS6_NS0_5tupleIJSF_S6_EEENSJ_IJSG_SG_EEENS0_18inequality_wrapperINSA_8equal_toIsEEEEPmJS6_EEE10hipError_tPvRmT3_T4_T5_T6_T7_T9_mT8_P12ihipStream_tbDpT10_ENKUlT_T0_E_clISt17integral_constantIbLb0EES1A_EEDaS15_S16_EUlS15_E_NS1_11comp_targetILNS1_3genE9ELNS1_11target_archE1100ELNS1_3gpuE3ELNS1_3repE0EEENS1_30default_config_static_selectorELNS0_4arch9wavefront6targetE1EEEvT1_,"axG",@progbits,_ZN7rocprim17ROCPRIM_400000_NS6detail17trampoline_kernelINS0_14default_configENS1_25partition_config_selectorILNS1_17partition_subalgoE8EsNS0_10empty_typeEbEEZZNS1_14partition_implILS5_8ELb0ES3_jN6thrust23THRUST_200600_302600_NS6detail15normal_iteratorINSA_10device_ptrIsEEEEPS6_PKS6_NS0_5tupleIJSF_S6_EEENSJ_IJSG_SG_EEENS0_18inequality_wrapperINSA_8equal_toIsEEEEPmJS6_EEE10hipError_tPvRmT3_T4_T5_T6_T7_T9_mT8_P12ihipStream_tbDpT10_ENKUlT_T0_E_clISt17integral_constantIbLb0EES1A_EEDaS15_S16_EUlS15_E_NS1_11comp_targetILNS1_3genE9ELNS1_11target_archE1100ELNS1_3gpuE3ELNS1_3repE0EEENS1_30default_config_static_selectorELNS0_4arch9wavefront6targetE1EEEvT1_,comdat
	.protected	_ZN7rocprim17ROCPRIM_400000_NS6detail17trampoline_kernelINS0_14default_configENS1_25partition_config_selectorILNS1_17partition_subalgoE8EsNS0_10empty_typeEbEEZZNS1_14partition_implILS5_8ELb0ES3_jN6thrust23THRUST_200600_302600_NS6detail15normal_iteratorINSA_10device_ptrIsEEEEPS6_PKS6_NS0_5tupleIJSF_S6_EEENSJ_IJSG_SG_EEENS0_18inequality_wrapperINSA_8equal_toIsEEEEPmJS6_EEE10hipError_tPvRmT3_T4_T5_T6_T7_T9_mT8_P12ihipStream_tbDpT10_ENKUlT_T0_E_clISt17integral_constantIbLb0EES1A_EEDaS15_S16_EUlS15_E_NS1_11comp_targetILNS1_3genE9ELNS1_11target_archE1100ELNS1_3gpuE3ELNS1_3repE0EEENS1_30default_config_static_selectorELNS0_4arch9wavefront6targetE1EEEvT1_ ; -- Begin function _ZN7rocprim17ROCPRIM_400000_NS6detail17trampoline_kernelINS0_14default_configENS1_25partition_config_selectorILNS1_17partition_subalgoE8EsNS0_10empty_typeEbEEZZNS1_14partition_implILS5_8ELb0ES3_jN6thrust23THRUST_200600_302600_NS6detail15normal_iteratorINSA_10device_ptrIsEEEEPS6_PKS6_NS0_5tupleIJSF_S6_EEENSJ_IJSG_SG_EEENS0_18inequality_wrapperINSA_8equal_toIsEEEEPmJS6_EEE10hipError_tPvRmT3_T4_T5_T6_T7_T9_mT8_P12ihipStream_tbDpT10_ENKUlT_T0_E_clISt17integral_constantIbLb0EES1A_EEDaS15_S16_EUlS15_E_NS1_11comp_targetILNS1_3genE9ELNS1_11target_archE1100ELNS1_3gpuE3ELNS1_3repE0EEENS1_30default_config_static_selectorELNS0_4arch9wavefront6targetE1EEEvT1_
	.globl	_ZN7rocprim17ROCPRIM_400000_NS6detail17trampoline_kernelINS0_14default_configENS1_25partition_config_selectorILNS1_17partition_subalgoE8EsNS0_10empty_typeEbEEZZNS1_14partition_implILS5_8ELb0ES3_jN6thrust23THRUST_200600_302600_NS6detail15normal_iteratorINSA_10device_ptrIsEEEEPS6_PKS6_NS0_5tupleIJSF_S6_EEENSJ_IJSG_SG_EEENS0_18inequality_wrapperINSA_8equal_toIsEEEEPmJS6_EEE10hipError_tPvRmT3_T4_T5_T6_T7_T9_mT8_P12ihipStream_tbDpT10_ENKUlT_T0_E_clISt17integral_constantIbLb0EES1A_EEDaS15_S16_EUlS15_E_NS1_11comp_targetILNS1_3genE9ELNS1_11target_archE1100ELNS1_3gpuE3ELNS1_3repE0EEENS1_30default_config_static_selectorELNS0_4arch9wavefront6targetE1EEEvT1_
	.p2align	8
	.type	_ZN7rocprim17ROCPRIM_400000_NS6detail17trampoline_kernelINS0_14default_configENS1_25partition_config_selectorILNS1_17partition_subalgoE8EsNS0_10empty_typeEbEEZZNS1_14partition_implILS5_8ELb0ES3_jN6thrust23THRUST_200600_302600_NS6detail15normal_iteratorINSA_10device_ptrIsEEEEPS6_PKS6_NS0_5tupleIJSF_S6_EEENSJ_IJSG_SG_EEENS0_18inequality_wrapperINSA_8equal_toIsEEEEPmJS6_EEE10hipError_tPvRmT3_T4_T5_T6_T7_T9_mT8_P12ihipStream_tbDpT10_ENKUlT_T0_E_clISt17integral_constantIbLb0EES1A_EEDaS15_S16_EUlS15_E_NS1_11comp_targetILNS1_3genE9ELNS1_11target_archE1100ELNS1_3gpuE3ELNS1_3repE0EEENS1_30default_config_static_selectorELNS0_4arch9wavefront6targetE1EEEvT1_,@function
_ZN7rocprim17ROCPRIM_400000_NS6detail17trampoline_kernelINS0_14default_configENS1_25partition_config_selectorILNS1_17partition_subalgoE8EsNS0_10empty_typeEbEEZZNS1_14partition_implILS5_8ELb0ES3_jN6thrust23THRUST_200600_302600_NS6detail15normal_iteratorINSA_10device_ptrIsEEEEPS6_PKS6_NS0_5tupleIJSF_S6_EEENSJ_IJSG_SG_EEENS0_18inequality_wrapperINSA_8equal_toIsEEEEPmJS6_EEE10hipError_tPvRmT3_T4_T5_T6_T7_T9_mT8_P12ihipStream_tbDpT10_ENKUlT_T0_E_clISt17integral_constantIbLb0EES1A_EEDaS15_S16_EUlS15_E_NS1_11comp_targetILNS1_3genE9ELNS1_11target_archE1100ELNS1_3gpuE3ELNS1_3repE0EEENS1_30default_config_static_selectorELNS0_4arch9wavefront6targetE1EEEvT1_: ; @_ZN7rocprim17ROCPRIM_400000_NS6detail17trampoline_kernelINS0_14default_configENS1_25partition_config_selectorILNS1_17partition_subalgoE8EsNS0_10empty_typeEbEEZZNS1_14partition_implILS5_8ELb0ES3_jN6thrust23THRUST_200600_302600_NS6detail15normal_iteratorINSA_10device_ptrIsEEEEPS6_PKS6_NS0_5tupleIJSF_S6_EEENSJ_IJSG_SG_EEENS0_18inequality_wrapperINSA_8equal_toIsEEEEPmJS6_EEE10hipError_tPvRmT3_T4_T5_T6_T7_T9_mT8_P12ihipStream_tbDpT10_ENKUlT_T0_E_clISt17integral_constantIbLb0EES1A_EEDaS15_S16_EUlS15_E_NS1_11comp_targetILNS1_3genE9ELNS1_11target_archE1100ELNS1_3gpuE3ELNS1_3repE0EEENS1_30default_config_static_selectorELNS0_4arch9wavefront6targetE1EEEvT1_
; %bb.0:
	.section	.rodata,"a",@progbits
	.p2align	6, 0x0
	.amdhsa_kernel _ZN7rocprim17ROCPRIM_400000_NS6detail17trampoline_kernelINS0_14default_configENS1_25partition_config_selectorILNS1_17partition_subalgoE8EsNS0_10empty_typeEbEEZZNS1_14partition_implILS5_8ELb0ES3_jN6thrust23THRUST_200600_302600_NS6detail15normal_iteratorINSA_10device_ptrIsEEEEPS6_PKS6_NS0_5tupleIJSF_S6_EEENSJ_IJSG_SG_EEENS0_18inequality_wrapperINSA_8equal_toIsEEEEPmJS6_EEE10hipError_tPvRmT3_T4_T5_T6_T7_T9_mT8_P12ihipStream_tbDpT10_ENKUlT_T0_E_clISt17integral_constantIbLb0EES1A_EEDaS15_S16_EUlS15_E_NS1_11comp_targetILNS1_3genE9ELNS1_11target_archE1100ELNS1_3gpuE3ELNS1_3repE0EEENS1_30default_config_static_selectorELNS0_4arch9wavefront6targetE1EEEvT1_
		.amdhsa_group_segment_fixed_size 0
		.amdhsa_private_segment_fixed_size 0
		.amdhsa_kernarg_size 112
		.amdhsa_user_sgpr_count 6
		.amdhsa_user_sgpr_private_segment_buffer 1
		.amdhsa_user_sgpr_dispatch_ptr 0
		.amdhsa_user_sgpr_queue_ptr 0
		.amdhsa_user_sgpr_kernarg_segment_ptr 1
		.amdhsa_user_sgpr_dispatch_id 0
		.amdhsa_user_sgpr_flat_scratch_init 0
		.amdhsa_user_sgpr_private_segment_size 0
		.amdhsa_uses_dynamic_stack 0
		.amdhsa_system_sgpr_private_segment_wavefront_offset 0
		.amdhsa_system_sgpr_workgroup_id_x 1
		.amdhsa_system_sgpr_workgroup_id_y 0
		.amdhsa_system_sgpr_workgroup_id_z 0
		.amdhsa_system_sgpr_workgroup_info 0
		.amdhsa_system_vgpr_workitem_id 0
		.amdhsa_next_free_vgpr 1
		.amdhsa_next_free_sgpr 0
		.amdhsa_reserve_vcc 0
		.amdhsa_reserve_flat_scratch 0
		.amdhsa_float_round_mode_32 0
		.amdhsa_float_round_mode_16_64 0
		.amdhsa_float_denorm_mode_32 3
		.amdhsa_float_denorm_mode_16_64 3
		.amdhsa_dx10_clamp 1
		.amdhsa_ieee_mode 1
		.amdhsa_fp16_overflow 0
		.amdhsa_exception_fp_ieee_invalid_op 0
		.amdhsa_exception_fp_denorm_src 0
		.amdhsa_exception_fp_ieee_div_zero 0
		.amdhsa_exception_fp_ieee_overflow 0
		.amdhsa_exception_fp_ieee_underflow 0
		.amdhsa_exception_fp_ieee_inexact 0
		.amdhsa_exception_int_div_zero 0
	.end_amdhsa_kernel
	.section	.text._ZN7rocprim17ROCPRIM_400000_NS6detail17trampoline_kernelINS0_14default_configENS1_25partition_config_selectorILNS1_17partition_subalgoE8EsNS0_10empty_typeEbEEZZNS1_14partition_implILS5_8ELb0ES3_jN6thrust23THRUST_200600_302600_NS6detail15normal_iteratorINSA_10device_ptrIsEEEEPS6_PKS6_NS0_5tupleIJSF_S6_EEENSJ_IJSG_SG_EEENS0_18inequality_wrapperINSA_8equal_toIsEEEEPmJS6_EEE10hipError_tPvRmT3_T4_T5_T6_T7_T9_mT8_P12ihipStream_tbDpT10_ENKUlT_T0_E_clISt17integral_constantIbLb0EES1A_EEDaS15_S16_EUlS15_E_NS1_11comp_targetILNS1_3genE9ELNS1_11target_archE1100ELNS1_3gpuE3ELNS1_3repE0EEENS1_30default_config_static_selectorELNS0_4arch9wavefront6targetE1EEEvT1_,"axG",@progbits,_ZN7rocprim17ROCPRIM_400000_NS6detail17trampoline_kernelINS0_14default_configENS1_25partition_config_selectorILNS1_17partition_subalgoE8EsNS0_10empty_typeEbEEZZNS1_14partition_implILS5_8ELb0ES3_jN6thrust23THRUST_200600_302600_NS6detail15normal_iteratorINSA_10device_ptrIsEEEEPS6_PKS6_NS0_5tupleIJSF_S6_EEENSJ_IJSG_SG_EEENS0_18inequality_wrapperINSA_8equal_toIsEEEEPmJS6_EEE10hipError_tPvRmT3_T4_T5_T6_T7_T9_mT8_P12ihipStream_tbDpT10_ENKUlT_T0_E_clISt17integral_constantIbLb0EES1A_EEDaS15_S16_EUlS15_E_NS1_11comp_targetILNS1_3genE9ELNS1_11target_archE1100ELNS1_3gpuE3ELNS1_3repE0EEENS1_30default_config_static_selectorELNS0_4arch9wavefront6targetE1EEEvT1_,comdat
.Lfunc_end475:
	.size	_ZN7rocprim17ROCPRIM_400000_NS6detail17trampoline_kernelINS0_14default_configENS1_25partition_config_selectorILNS1_17partition_subalgoE8EsNS0_10empty_typeEbEEZZNS1_14partition_implILS5_8ELb0ES3_jN6thrust23THRUST_200600_302600_NS6detail15normal_iteratorINSA_10device_ptrIsEEEEPS6_PKS6_NS0_5tupleIJSF_S6_EEENSJ_IJSG_SG_EEENS0_18inequality_wrapperINSA_8equal_toIsEEEEPmJS6_EEE10hipError_tPvRmT3_T4_T5_T6_T7_T9_mT8_P12ihipStream_tbDpT10_ENKUlT_T0_E_clISt17integral_constantIbLb0EES1A_EEDaS15_S16_EUlS15_E_NS1_11comp_targetILNS1_3genE9ELNS1_11target_archE1100ELNS1_3gpuE3ELNS1_3repE0EEENS1_30default_config_static_selectorELNS0_4arch9wavefront6targetE1EEEvT1_, .Lfunc_end475-_ZN7rocprim17ROCPRIM_400000_NS6detail17trampoline_kernelINS0_14default_configENS1_25partition_config_selectorILNS1_17partition_subalgoE8EsNS0_10empty_typeEbEEZZNS1_14partition_implILS5_8ELb0ES3_jN6thrust23THRUST_200600_302600_NS6detail15normal_iteratorINSA_10device_ptrIsEEEEPS6_PKS6_NS0_5tupleIJSF_S6_EEENSJ_IJSG_SG_EEENS0_18inequality_wrapperINSA_8equal_toIsEEEEPmJS6_EEE10hipError_tPvRmT3_T4_T5_T6_T7_T9_mT8_P12ihipStream_tbDpT10_ENKUlT_T0_E_clISt17integral_constantIbLb0EES1A_EEDaS15_S16_EUlS15_E_NS1_11comp_targetILNS1_3genE9ELNS1_11target_archE1100ELNS1_3gpuE3ELNS1_3repE0EEENS1_30default_config_static_selectorELNS0_4arch9wavefront6targetE1EEEvT1_
                                        ; -- End function
	.set _ZN7rocprim17ROCPRIM_400000_NS6detail17trampoline_kernelINS0_14default_configENS1_25partition_config_selectorILNS1_17partition_subalgoE8EsNS0_10empty_typeEbEEZZNS1_14partition_implILS5_8ELb0ES3_jN6thrust23THRUST_200600_302600_NS6detail15normal_iteratorINSA_10device_ptrIsEEEEPS6_PKS6_NS0_5tupleIJSF_S6_EEENSJ_IJSG_SG_EEENS0_18inequality_wrapperINSA_8equal_toIsEEEEPmJS6_EEE10hipError_tPvRmT3_T4_T5_T6_T7_T9_mT8_P12ihipStream_tbDpT10_ENKUlT_T0_E_clISt17integral_constantIbLb0EES1A_EEDaS15_S16_EUlS15_E_NS1_11comp_targetILNS1_3genE9ELNS1_11target_archE1100ELNS1_3gpuE3ELNS1_3repE0EEENS1_30default_config_static_selectorELNS0_4arch9wavefront6targetE1EEEvT1_.num_vgpr, 0
	.set _ZN7rocprim17ROCPRIM_400000_NS6detail17trampoline_kernelINS0_14default_configENS1_25partition_config_selectorILNS1_17partition_subalgoE8EsNS0_10empty_typeEbEEZZNS1_14partition_implILS5_8ELb0ES3_jN6thrust23THRUST_200600_302600_NS6detail15normal_iteratorINSA_10device_ptrIsEEEEPS6_PKS6_NS0_5tupleIJSF_S6_EEENSJ_IJSG_SG_EEENS0_18inequality_wrapperINSA_8equal_toIsEEEEPmJS6_EEE10hipError_tPvRmT3_T4_T5_T6_T7_T9_mT8_P12ihipStream_tbDpT10_ENKUlT_T0_E_clISt17integral_constantIbLb0EES1A_EEDaS15_S16_EUlS15_E_NS1_11comp_targetILNS1_3genE9ELNS1_11target_archE1100ELNS1_3gpuE3ELNS1_3repE0EEENS1_30default_config_static_selectorELNS0_4arch9wavefront6targetE1EEEvT1_.num_agpr, 0
	.set _ZN7rocprim17ROCPRIM_400000_NS6detail17trampoline_kernelINS0_14default_configENS1_25partition_config_selectorILNS1_17partition_subalgoE8EsNS0_10empty_typeEbEEZZNS1_14partition_implILS5_8ELb0ES3_jN6thrust23THRUST_200600_302600_NS6detail15normal_iteratorINSA_10device_ptrIsEEEEPS6_PKS6_NS0_5tupleIJSF_S6_EEENSJ_IJSG_SG_EEENS0_18inequality_wrapperINSA_8equal_toIsEEEEPmJS6_EEE10hipError_tPvRmT3_T4_T5_T6_T7_T9_mT8_P12ihipStream_tbDpT10_ENKUlT_T0_E_clISt17integral_constantIbLb0EES1A_EEDaS15_S16_EUlS15_E_NS1_11comp_targetILNS1_3genE9ELNS1_11target_archE1100ELNS1_3gpuE3ELNS1_3repE0EEENS1_30default_config_static_selectorELNS0_4arch9wavefront6targetE1EEEvT1_.numbered_sgpr, 0
	.set _ZN7rocprim17ROCPRIM_400000_NS6detail17trampoline_kernelINS0_14default_configENS1_25partition_config_selectorILNS1_17partition_subalgoE8EsNS0_10empty_typeEbEEZZNS1_14partition_implILS5_8ELb0ES3_jN6thrust23THRUST_200600_302600_NS6detail15normal_iteratorINSA_10device_ptrIsEEEEPS6_PKS6_NS0_5tupleIJSF_S6_EEENSJ_IJSG_SG_EEENS0_18inequality_wrapperINSA_8equal_toIsEEEEPmJS6_EEE10hipError_tPvRmT3_T4_T5_T6_T7_T9_mT8_P12ihipStream_tbDpT10_ENKUlT_T0_E_clISt17integral_constantIbLb0EES1A_EEDaS15_S16_EUlS15_E_NS1_11comp_targetILNS1_3genE9ELNS1_11target_archE1100ELNS1_3gpuE3ELNS1_3repE0EEENS1_30default_config_static_selectorELNS0_4arch9wavefront6targetE1EEEvT1_.num_named_barrier, 0
	.set _ZN7rocprim17ROCPRIM_400000_NS6detail17trampoline_kernelINS0_14default_configENS1_25partition_config_selectorILNS1_17partition_subalgoE8EsNS0_10empty_typeEbEEZZNS1_14partition_implILS5_8ELb0ES3_jN6thrust23THRUST_200600_302600_NS6detail15normal_iteratorINSA_10device_ptrIsEEEEPS6_PKS6_NS0_5tupleIJSF_S6_EEENSJ_IJSG_SG_EEENS0_18inequality_wrapperINSA_8equal_toIsEEEEPmJS6_EEE10hipError_tPvRmT3_T4_T5_T6_T7_T9_mT8_P12ihipStream_tbDpT10_ENKUlT_T0_E_clISt17integral_constantIbLb0EES1A_EEDaS15_S16_EUlS15_E_NS1_11comp_targetILNS1_3genE9ELNS1_11target_archE1100ELNS1_3gpuE3ELNS1_3repE0EEENS1_30default_config_static_selectorELNS0_4arch9wavefront6targetE1EEEvT1_.private_seg_size, 0
	.set _ZN7rocprim17ROCPRIM_400000_NS6detail17trampoline_kernelINS0_14default_configENS1_25partition_config_selectorILNS1_17partition_subalgoE8EsNS0_10empty_typeEbEEZZNS1_14partition_implILS5_8ELb0ES3_jN6thrust23THRUST_200600_302600_NS6detail15normal_iteratorINSA_10device_ptrIsEEEEPS6_PKS6_NS0_5tupleIJSF_S6_EEENSJ_IJSG_SG_EEENS0_18inequality_wrapperINSA_8equal_toIsEEEEPmJS6_EEE10hipError_tPvRmT3_T4_T5_T6_T7_T9_mT8_P12ihipStream_tbDpT10_ENKUlT_T0_E_clISt17integral_constantIbLb0EES1A_EEDaS15_S16_EUlS15_E_NS1_11comp_targetILNS1_3genE9ELNS1_11target_archE1100ELNS1_3gpuE3ELNS1_3repE0EEENS1_30default_config_static_selectorELNS0_4arch9wavefront6targetE1EEEvT1_.uses_vcc, 0
	.set _ZN7rocprim17ROCPRIM_400000_NS6detail17trampoline_kernelINS0_14default_configENS1_25partition_config_selectorILNS1_17partition_subalgoE8EsNS0_10empty_typeEbEEZZNS1_14partition_implILS5_8ELb0ES3_jN6thrust23THRUST_200600_302600_NS6detail15normal_iteratorINSA_10device_ptrIsEEEEPS6_PKS6_NS0_5tupleIJSF_S6_EEENSJ_IJSG_SG_EEENS0_18inequality_wrapperINSA_8equal_toIsEEEEPmJS6_EEE10hipError_tPvRmT3_T4_T5_T6_T7_T9_mT8_P12ihipStream_tbDpT10_ENKUlT_T0_E_clISt17integral_constantIbLb0EES1A_EEDaS15_S16_EUlS15_E_NS1_11comp_targetILNS1_3genE9ELNS1_11target_archE1100ELNS1_3gpuE3ELNS1_3repE0EEENS1_30default_config_static_selectorELNS0_4arch9wavefront6targetE1EEEvT1_.uses_flat_scratch, 0
	.set _ZN7rocprim17ROCPRIM_400000_NS6detail17trampoline_kernelINS0_14default_configENS1_25partition_config_selectorILNS1_17partition_subalgoE8EsNS0_10empty_typeEbEEZZNS1_14partition_implILS5_8ELb0ES3_jN6thrust23THRUST_200600_302600_NS6detail15normal_iteratorINSA_10device_ptrIsEEEEPS6_PKS6_NS0_5tupleIJSF_S6_EEENSJ_IJSG_SG_EEENS0_18inequality_wrapperINSA_8equal_toIsEEEEPmJS6_EEE10hipError_tPvRmT3_T4_T5_T6_T7_T9_mT8_P12ihipStream_tbDpT10_ENKUlT_T0_E_clISt17integral_constantIbLb0EES1A_EEDaS15_S16_EUlS15_E_NS1_11comp_targetILNS1_3genE9ELNS1_11target_archE1100ELNS1_3gpuE3ELNS1_3repE0EEENS1_30default_config_static_selectorELNS0_4arch9wavefront6targetE1EEEvT1_.has_dyn_sized_stack, 0
	.set _ZN7rocprim17ROCPRIM_400000_NS6detail17trampoline_kernelINS0_14default_configENS1_25partition_config_selectorILNS1_17partition_subalgoE8EsNS0_10empty_typeEbEEZZNS1_14partition_implILS5_8ELb0ES3_jN6thrust23THRUST_200600_302600_NS6detail15normal_iteratorINSA_10device_ptrIsEEEEPS6_PKS6_NS0_5tupleIJSF_S6_EEENSJ_IJSG_SG_EEENS0_18inequality_wrapperINSA_8equal_toIsEEEEPmJS6_EEE10hipError_tPvRmT3_T4_T5_T6_T7_T9_mT8_P12ihipStream_tbDpT10_ENKUlT_T0_E_clISt17integral_constantIbLb0EES1A_EEDaS15_S16_EUlS15_E_NS1_11comp_targetILNS1_3genE9ELNS1_11target_archE1100ELNS1_3gpuE3ELNS1_3repE0EEENS1_30default_config_static_selectorELNS0_4arch9wavefront6targetE1EEEvT1_.has_recursion, 0
	.set _ZN7rocprim17ROCPRIM_400000_NS6detail17trampoline_kernelINS0_14default_configENS1_25partition_config_selectorILNS1_17partition_subalgoE8EsNS0_10empty_typeEbEEZZNS1_14partition_implILS5_8ELb0ES3_jN6thrust23THRUST_200600_302600_NS6detail15normal_iteratorINSA_10device_ptrIsEEEEPS6_PKS6_NS0_5tupleIJSF_S6_EEENSJ_IJSG_SG_EEENS0_18inequality_wrapperINSA_8equal_toIsEEEEPmJS6_EEE10hipError_tPvRmT3_T4_T5_T6_T7_T9_mT8_P12ihipStream_tbDpT10_ENKUlT_T0_E_clISt17integral_constantIbLb0EES1A_EEDaS15_S16_EUlS15_E_NS1_11comp_targetILNS1_3genE9ELNS1_11target_archE1100ELNS1_3gpuE3ELNS1_3repE0EEENS1_30default_config_static_selectorELNS0_4arch9wavefront6targetE1EEEvT1_.has_indirect_call, 0
	.section	.AMDGPU.csdata,"",@progbits
; Kernel info:
; codeLenInByte = 0
; TotalNumSgprs: 4
; NumVgprs: 0
; ScratchSize: 0
; MemoryBound: 0
; FloatMode: 240
; IeeeMode: 1
; LDSByteSize: 0 bytes/workgroup (compile time only)
; SGPRBlocks: 0
; VGPRBlocks: 0
; NumSGPRsForWavesPerEU: 4
; NumVGPRsForWavesPerEU: 1
; Occupancy: 10
; WaveLimiterHint : 0
; COMPUTE_PGM_RSRC2:SCRATCH_EN: 0
; COMPUTE_PGM_RSRC2:USER_SGPR: 6
; COMPUTE_PGM_RSRC2:TRAP_HANDLER: 0
; COMPUTE_PGM_RSRC2:TGID_X_EN: 1
; COMPUTE_PGM_RSRC2:TGID_Y_EN: 0
; COMPUTE_PGM_RSRC2:TGID_Z_EN: 0
; COMPUTE_PGM_RSRC2:TIDIG_COMP_CNT: 0
	.section	.text._ZN7rocprim17ROCPRIM_400000_NS6detail17trampoline_kernelINS0_14default_configENS1_25partition_config_selectorILNS1_17partition_subalgoE8EsNS0_10empty_typeEbEEZZNS1_14partition_implILS5_8ELb0ES3_jN6thrust23THRUST_200600_302600_NS6detail15normal_iteratorINSA_10device_ptrIsEEEEPS6_PKS6_NS0_5tupleIJSF_S6_EEENSJ_IJSG_SG_EEENS0_18inequality_wrapperINSA_8equal_toIsEEEEPmJS6_EEE10hipError_tPvRmT3_T4_T5_T6_T7_T9_mT8_P12ihipStream_tbDpT10_ENKUlT_T0_E_clISt17integral_constantIbLb0EES1A_EEDaS15_S16_EUlS15_E_NS1_11comp_targetILNS1_3genE8ELNS1_11target_archE1030ELNS1_3gpuE2ELNS1_3repE0EEENS1_30default_config_static_selectorELNS0_4arch9wavefront6targetE1EEEvT1_,"axG",@progbits,_ZN7rocprim17ROCPRIM_400000_NS6detail17trampoline_kernelINS0_14default_configENS1_25partition_config_selectorILNS1_17partition_subalgoE8EsNS0_10empty_typeEbEEZZNS1_14partition_implILS5_8ELb0ES3_jN6thrust23THRUST_200600_302600_NS6detail15normal_iteratorINSA_10device_ptrIsEEEEPS6_PKS6_NS0_5tupleIJSF_S6_EEENSJ_IJSG_SG_EEENS0_18inequality_wrapperINSA_8equal_toIsEEEEPmJS6_EEE10hipError_tPvRmT3_T4_T5_T6_T7_T9_mT8_P12ihipStream_tbDpT10_ENKUlT_T0_E_clISt17integral_constantIbLb0EES1A_EEDaS15_S16_EUlS15_E_NS1_11comp_targetILNS1_3genE8ELNS1_11target_archE1030ELNS1_3gpuE2ELNS1_3repE0EEENS1_30default_config_static_selectorELNS0_4arch9wavefront6targetE1EEEvT1_,comdat
	.protected	_ZN7rocprim17ROCPRIM_400000_NS6detail17trampoline_kernelINS0_14default_configENS1_25partition_config_selectorILNS1_17partition_subalgoE8EsNS0_10empty_typeEbEEZZNS1_14partition_implILS5_8ELb0ES3_jN6thrust23THRUST_200600_302600_NS6detail15normal_iteratorINSA_10device_ptrIsEEEEPS6_PKS6_NS0_5tupleIJSF_S6_EEENSJ_IJSG_SG_EEENS0_18inequality_wrapperINSA_8equal_toIsEEEEPmJS6_EEE10hipError_tPvRmT3_T4_T5_T6_T7_T9_mT8_P12ihipStream_tbDpT10_ENKUlT_T0_E_clISt17integral_constantIbLb0EES1A_EEDaS15_S16_EUlS15_E_NS1_11comp_targetILNS1_3genE8ELNS1_11target_archE1030ELNS1_3gpuE2ELNS1_3repE0EEENS1_30default_config_static_selectorELNS0_4arch9wavefront6targetE1EEEvT1_ ; -- Begin function _ZN7rocprim17ROCPRIM_400000_NS6detail17trampoline_kernelINS0_14default_configENS1_25partition_config_selectorILNS1_17partition_subalgoE8EsNS0_10empty_typeEbEEZZNS1_14partition_implILS5_8ELb0ES3_jN6thrust23THRUST_200600_302600_NS6detail15normal_iteratorINSA_10device_ptrIsEEEEPS6_PKS6_NS0_5tupleIJSF_S6_EEENSJ_IJSG_SG_EEENS0_18inequality_wrapperINSA_8equal_toIsEEEEPmJS6_EEE10hipError_tPvRmT3_T4_T5_T6_T7_T9_mT8_P12ihipStream_tbDpT10_ENKUlT_T0_E_clISt17integral_constantIbLb0EES1A_EEDaS15_S16_EUlS15_E_NS1_11comp_targetILNS1_3genE8ELNS1_11target_archE1030ELNS1_3gpuE2ELNS1_3repE0EEENS1_30default_config_static_selectorELNS0_4arch9wavefront6targetE1EEEvT1_
	.globl	_ZN7rocprim17ROCPRIM_400000_NS6detail17trampoline_kernelINS0_14default_configENS1_25partition_config_selectorILNS1_17partition_subalgoE8EsNS0_10empty_typeEbEEZZNS1_14partition_implILS5_8ELb0ES3_jN6thrust23THRUST_200600_302600_NS6detail15normal_iteratorINSA_10device_ptrIsEEEEPS6_PKS6_NS0_5tupleIJSF_S6_EEENSJ_IJSG_SG_EEENS0_18inequality_wrapperINSA_8equal_toIsEEEEPmJS6_EEE10hipError_tPvRmT3_T4_T5_T6_T7_T9_mT8_P12ihipStream_tbDpT10_ENKUlT_T0_E_clISt17integral_constantIbLb0EES1A_EEDaS15_S16_EUlS15_E_NS1_11comp_targetILNS1_3genE8ELNS1_11target_archE1030ELNS1_3gpuE2ELNS1_3repE0EEENS1_30default_config_static_selectorELNS0_4arch9wavefront6targetE1EEEvT1_
	.p2align	8
	.type	_ZN7rocprim17ROCPRIM_400000_NS6detail17trampoline_kernelINS0_14default_configENS1_25partition_config_selectorILNS1_17partition_subalgoE8EsNS0_10empty_typeEbEEZZNS1_14partition_implILS5_8ELb0ES3_jN6thrust23THRUST_200600_302600_NS6detail15normal_iteratorINSA_10device_ptrIsEEEEPS6_PKS6_NS0_5tupleIJSF_S6_EEENSJ_IJSG_SG_EEENS0_18inequality_wrapperINSA_8equal_toIsEEEEPmJS6_EEE10hipError_tPvRmT3_T4_T5_T6_T7_T9_mT8_P12ihipStream_tbDpT10_ENKUlT_T0_E_clISt17integral_constantIbLb0EES1A_EEDaS15_S16_EUlS15_E_NS1_11comp_targetILNS1_3genE8ELNS1_11target_archE1030ELNS1_3gpuE2ELNS1_3repE0EEENS1_30default_config_static_selectorELNS0_4arch9wavefront6targetE1EEEvT1_,@function
_ZN7rocprim17ROCPRIM_400000_NS6detail17trampoline_kernelINS0_14default_configENS1_25partition_config_selectorILNS1_17partition_subalgoE8EsNS0_10empty_typeEbEEZZNS1_14partition_implILS5_8ELb0ES3_jN6thrust23THRUST_200600_302600_NS6detail15normal_iteratorINSA_10device_ptrIsEEEEPS6_PKS6_NS0_5tupleIJSF_S6_EEENSJ_IJSG_SG_EEENS0_18inequality_wrapperINSA_8equal_toIsEEEEPmJS6_EEE10hipError_tPvRmT3_T4_T5_T6_T7_T9_mT8_P12ihipStream_tbDpT10_ENKUlT_T0_E_clISt17integral_constantIbLb0EES1A_EEDaS15_S16_EUlS15_E_NS1_11comp_targetILNS1_3genE8ELNS1_11target_archE1030ELNS1_3gpuE2ELNS1_3repE0EEENS1_30default_config_static_selectorELNS0_4arch9wavefront6targetE1EEEvT1_: ; @_ZN7rocprim17ROCPRIM_400000_NS6detail17trampoline_kernelINS0_14default_configENS1_25partition_config_selectorILNS1_17partition_subalgoE8EsNS0_10empty_typeEbEEZZNS1_14partition_implILS5_8ELb0ES3_jN6thrust23THRUST_200600_302600_NS6detail15normal_iteratorINSA_10device_ptrIsEEEEPS6_PKS6_NS0_5tupleIJSF_S6_EEENSJ_IJSG_SG_EEENS0_18inequality_wrapperINSA_8equal_toIsEEEEPmJS6_EEE10hipError_tPvRmT3_T4_T5_T6_T7_T9_mT8_P12ihipStream_tbDpT10_ENKUlT_T0_E_clISt17integral_constantIbLb0EES1A_EEDaS15_S16_EUlS15_E_NS1_11comp_targetILNS1_3genE8ELNS1_11target_archE1030ELNS1_3gpuE2ELNS1_3repE0EEENS1_30default_config_static_selectorELNS0_4arch9wavefront6targetE1EEEvT1_
; %bb.0:
	.section	.rodata,"a",@progbits
	.p2align	6, 0x0
	.amdhsa_kernel _ZN7rocprim17ROCPRIM_400000_NS6detail17trampoline_kernelINS0_14default_configENS1_25partition_config_selectorILNS1_17partition_subalgoE8EsNS0_10empty_typeEbEEZZNS1_14partition_implILS5_8ELb0ES3_jN6thrust23THRUST_200600_302600_NS6detail15normal_iteratorINSA_10device_ptrIsEEEEPS6_PKS6_NS0_5tupleIJSF_S6_EEENSJ_IJSG_SG_EEENS0_18inequality_wrapperINSA_8equal_toIsEEEEPmJS6_EEE10hipError_tPvRmT3_T4_T5_T6_T7_T9_mT8_P12ihipStream_tbDpT10_ENKUlT_T0_E_clISt17integral_constantIbLb0EES1A_EEDaS15_S16_EUlS15_E_NS1_11comp_targetILNS1_3genE8ELNS1_11target_archE1030ELNS1_3gpuE2ELNS1_3repE0EEENS1_30default_config_static_selectorELNS0_4arch9wavefront6targetE1EEEvT1_
		.amdhsa_group_segment_fixed_size 0
		.amdhsa_private_segment_fixed_size 0
		.amdhsa_kernarg_size 112
		.amdhsa_user_sgpr_count 6
		.amdhsa_user_sgpr_private_segment_buffer 1
		.amdhsa_user_sgpr_dispatch_ptr 0
		.amdhsa_user_sgpr_queue_ptr 0
		.amdhsa_user_sgpr_kernarg_segment_ptr 1
		.amdhsa_user_sgpr_dispatch_id 0
		.amdhsa_user_sgpr_flat_scratch_init 0
		.amdhsa_user_sgpr_private_segment_size 0
		.amdhsa_uses_dynamic_stack 0
		.amdhsa_system_sgpr_private_segment_wavefront_offset 0
		.amdhsa_system_sgpr_workgroup_id_x 1
		.amdhsa_system_sgpr_workgroup_id_y 0
		.amdhsa_system_sgpr_workgroup_id_z 0
		.amdhsa_system_sgpr_workgroup_info 0
		.amdhsa_system_vgpr_workitem_id 0
		.amdhsa_next_free_vgpr 1
		.amdhsa_next_free_sgpr 0
		.amdhsa_reserve_vcc 0
		.amdhsa_reserve_flat_scratch 0
		.amdhsa_float_round_mode_32 0
		.amdhsa_float_round_mode_16_64 0
		.amdhsa_float_denorm_mode_32 3
		.amdhsa_float_denorm_mode_16_64 3
		.amdhsa_dx10_clamp 1
		.amdhsa_ieee_mode 1
		.amdhsa_fp16_overflow 0
		.amdhsa_exception_fp_ieee_invalid_op 0
		.amdhsa_exception_fp_denorm_src 0
		.amdhsa_exception_fp_ieee_div_zero 0
		.amdhsa_exception_fp_ieee_overflow 0
		.amdhsa_exception_fp_ieee_underflow 0
		.amdhsa_exception_fp_ieee_inexact 0
		.amdhsa_exception_int_div_zero 0
	.end_amdhsa_kernel
	.section	.text._ZN7rocprim17ROCPRIM_400000_NS6detail17trampoline_kernelINS0_14default_configENS1_25partition_config_selectorILNS1_17partition_subalgoE8EsNS0_10empty_typeEbEEZZNS1_14partition_implILS5_8ELb0ES3_jN6thrust23THRUST_200600_302600_NS6detail15normal_iteratorINSA_10device_ptrIsEEEEPS6_PKS6_NS0_5tupleIJSF_S6_EEENSJ_IJSG_SG_EEENS0_18inequality_wrapperINSA_8equal_toIsEEEEPmJS6_EEE10hipError_tPvRmT3_T4_T5_T6_T7_T9_mT8_P12ihipStream_tbDpT10_ENKUlT_T0_E_clISt17integral_constantIbLb0EES1A_EEDaS15_S16_EUlS15_E_NS1_11comp_targetILNS1_3genE8ELNS1_11target_archE1030ELNS1_3gpuE2ELNS1_3repE0EEENS1_30default_config_static_selectorELNS0_4arch9wavefront6targetE1EEEvT1_,"axG",@progbits,_ZN7rocprim17ROCPRIM_400000_NS6detail17trampoline_kernelINS0_14default_configENS1_25partition_config_selectorILNS1_17partition_subalgoE8EsNS0_10empty_typeEbEEZZNS1_14partition_implILS5_8ELb0ES3_jN6thrust23THRUST_200600_302600_NS6detail15normal_iteratorINSA_10device_ptrIsEEEEPS6_PKS6_NS0_5tupleIJSF_S6_EEENSJ_IJSG_SG_EEENS0_18inequality_wrapperINSA_8equal_toIsEEEEPmJS6_EEE10hipError_tPvRmT3_T4_T5_T6_T7_T9_mT8_P12ihipStream_tbDpT10_ENKUlT_T0_E_clISt17integral_constantIbLb0EES1A_EEDaS15_S16_EUlS15_E_NS1_11comp_targetILNS1_3genE8ELNS1_11target_archE1030ELNS1_3gpuE2ELNS1_3repE0EEENS1_30default_config_static_selectorELNS0_4arch9wavefront6targetE1EEEvT1_,comdat
.Lfunc_end476:
	.size	_ZN7rocprim17ROCPRIM_400000_NS6detail17trampoline_kernelINS0_14default_configENS1_25partition_config_selectorILNS1_17partition_subalgoE8EsNS0_10empty_typeEbEEZZNS1_14partition_implILS5_8ELb0ES3_jN6thrust23THRUST_200600_302600_NS6detail15normal_iteratorINSA_10device_ptrIsEEEEPS6_PKS6_NS0_5tupleIJSF_S6_EEENSJ_IJSG_SG_EEENS0_18inequality_wrapperINSA_8equal_toIsEEEEPmJS6_EEE10hipError_tPvRmT3_T4_T5_T6_T7_T9_mT8_P12ihipStream_tbDpT10_ENKUlT_T0_E_clISt17integral_constantIbLb0EES1A_EEDaS15_S16_EUlS15_E_NS1_11comp_targetILNS1_3genE8ELNS1_11target_archE1030ELNS1_3gpuE2ELNS1_3repE0EEENS1_30default_config_static_selectorELNS0_4arch9wavefront6targetE1EEEvT1_, .Lfunc_end476-_ZN7rocprim17ROCPRIM_400000_NS6detail17trampoline_kernelINS0_14default_configENS1_25partition_config_selectorILNS1_17partition_subalgoE8EsNS0_10empty_typeEbEEZZNS1_14partition_implILS5_8ELb0ES3_jN6thrust23THRUST_200600_302600_NS6detail15normal_iteratorINSA_10device_ptrIsEEEEPS6_PKS6_NS0_5tupleIJSF_S6_EEENSJ_IJSG_SG_EEENS0_18inequality_wrapperINSA_8equal_toIsEEEEPmJS6_EEE10hipError_tPvRmT3_T4_T5_T6_T7_T9_mT8_P12ihipStream_tbDpT10_ENKUlT_T0_E_clISt17integral_constantIbLb0EES1A_EEDaS15_S16_EUlS15_E_NS1_11comp_targetILNS1_3genE8ELNS1_11target_archE1030ELNS1_3gpuE2ELNS1_3repE0EEENS1_30default_config_static_selectorELNS0_4arch9wavefront6targetE1EEEvT1_
                                        ; -- End function
	.set _ZN7rocprim17ROCPRIM_400000_NS6detail17trampoline_kernelINS0_14default_configENS1_25partition_config_selectorILNS1_17partition_subalgoE8EsNS0_10empty_typeEbEEZZNS1_14partition_implILS5_8ELb0ES3_jN6thrust23THRUST_200600_302600_NS6detail15normal_iteratorINSA_10device_ptrIsEEEEPS6_PKS6_NS0_5tupleIJSF_S6_EEENSJ_IJSG_SG_EEENS0_18inequality_wrapperINSA_8equal_toIsEEEEPmJS6_EEE10hipError_tPvRmT3_T4_T5_T6_T7_T9_mT8_P12ihipStream_tbDpT10_ENKUlT_T0_E_clISt17integral_constantIbLb0EES1A_EEDaS15_S16_EUlS15_E_NS1_11comp_targetILNS1_3genE8ELNS1_11target_archE1030ELNS1_3gpuE2ELNS1_3repE0EEENS1_30default_config_static_selectorELNS0_4arch9wavefront6targetE1EEEvT1_.num_vgpr, 0
	.set _ZN7rocprim17ROCPRIM_400000_NS6detail17trampoline_kernelINS0_14default_configENS1_25partition_config_selectorILNS1_17partition_subalgoE8EsNS0_10empty_typeEbEEZZNS1_14partition_implILS5_8ELb0ES3_jN6thrust23THRUST_200600_302600_NS6detail15normal_iteratorINSA_10device_ptrIsEEEEPS6_PKS6_NS0_5tupleIJSF_S6_EEENSJ_IJSG_SG_EEENS0_18inequality_wrapperINSA_8equal_toIsEEEEPmJS6_EEE10hipError_tPvRmT3_T4_T5_T6_T7_T9_mT8_P12ihipStream_tbDpT10_ENKUlT_T0_E_clISt17integral_constantIbLb0EES1A_EEDaS15_S16_EUlS15_E_NS1_11comp_targetILNS1_3genE8ELNS1_11target_archE1030ELNS1_3gpuE2ELNS1_3repE0EEENS1_30default_config_static_selectorELNS0_4arch9wavefront6targetE1EEEvT1_.num_agpr, 0
	.set _ZN7rocprim17ROCPRIM_400000_NS6detail17trampoline_kernelINS0_14default_configENS1_25partition_config_selectorILNS1_17partition_subalgoE8EsNS0_10empty_typeEbEEZZNS1_14partition_implILS5_8ELb0ES3_jN6thrust23THRUST_200600_302600_NS6detail15normal_iteratorINSA_10device_ptrIsEEEEPS6_PKS6_NS0_5tupleIJSF_S6_EEENSJ_IJSG_SG_EEENS0_18inequality_wrapperINSA_8equal_toIsEEEEPmJS6_EEE10hipError_tPvRmT3_T4_T5_T6_T7_T9_mT8_P12ihipStream_tbDpT10_ENKUlT_T0_E_clISt17integral_constantIbLb0EES1A_EEDaS15_S16_EUlS15_E_NS1_11comp_targetILNS1_3genE8ELNS1_11target_archE1030ELNS1_3gpuE2ELNS1_3repE0EEENS1_30default_config_static_selectorELNS0_4arch9wavefront6targetE1EEEvT1_.numbered_sgpr, 0
	.set _ZN7rocprim17ROCPRIM_400000_NS6detail17trampoline_kernelINS0_14default_configENS1_25partition_config_selectorILNS1_17partition_subalgoE8EsNS0_10empty_typeEbEEZZNS1_14partition_implILS5_8ELb0ES3_jN6thrust23THRUST_200600_302600_NS6detail15normal_iteratorINSA_10device_ptrIsEEEEPS6_PKS6_NS0_5tupleIJSF_S6_EEENSJ_IJSG_SG_EEENS0_18inequality_wrapperINSA_8equal_toIsEEEEPmJS6_EEE10hipError_tPvRmT3_T4_T5_T6_T7_T9_mT8_P12ihipStream_tbDpT10_ENKUlT_T0_E_clISt17integral_constantIbLb0EES1A_EEDaS15_S16_EUlS15_E_NS1_11comp_targetILNS1_3genE8ELNS1_11target_archE1030ELNS1_3gpuE2ELNS1_3repE0EEENS1_30default_config_static_selectorELNS0_4arch9wavefront6targetE1EEEvT1_.num_named_barrier, 0
	.set _ZN7rocprim17ROCPRIM_400000_NS6detail17trampoline_kernelINS0_14default_configENS1_25partition_config_selectorILNS1_17partition_subalgoE8EsNS0_10empty_typeEbEEZZNS1_14partition_implILS5_8ELb0ES3_jN6thrust23THRUST_200600_302600_NS6detail15normal_iteratorINSA_10device_ptrIsEEEEPS6_PKS6_NS0_5tupleIJSF_S6_EEENSJ_IJSG_SG_EEENS0_18inequality_wrapperINSA_8equal_toIsEEEEPmJS6_EEE10hipError_tPvRmT3_T4_T5_T6_T7_T9_mT8_P12ihipStream_tbDpT10_ENKUlT_T0_E_clISt17integral_constantIbLb0EES1A_EEDaS15_S16_EUlS15_E_NS1_11comp_targetILNS1_3genE8ELNS1_11target_archE1030ELNS1_3gpuE2ELNS1_3repE0EEENS1_30default_config_static_selectorELNS0_4arch9wavefront6targetE1EEEvT1_.private_seg_size, 0
	.set _ZN7rocprim17ROCPRIM_400000_NS6detail17trampoline_kernelINS0_14default_configENS1_25partition_config_selectorILNS1_17partition_subalgoE8EsNS0_10empty_typeEbEEZZNS1_14partition_implILS5_8ELb0ES3_jN6thrust23THRUST_200600_302600_NS6detail15normal_iteratorINSA_10device_ptrIsEEEEPS6_PKS6_NS0_5tupleIJSF_S6_EEENSJ_IJSG_SG_EEENS0_18inequality_wrapperINSA_8equal_toIsEEEEPmJS6_EEE10hipError_tPvRmT3_T4_T5_T6_T7_T9_mT8_P12ihipStream_tbDpT10_ENKUlT_T0_E_clISt17integral_constantIbLb0EES1A_EEDaS15_S16_EUlS15_E_NS1_11comp_targetILNS1_3genE8ELNS1_11target_archE1030ELNS1_3gpuE2ELNS1_3repE0EEENS1_30default_config_static_selectorELNS0_4arch9wavefront6targetE1EEEvT1_.uses_vcc, 0
	.set _ZN7rocprim17ROCPRIM_400000_NS6detail17trampoline_kernelINS0_14default_configENS1_25partition_config_selectorILNS1_17partition_subalgoE8EsNS0_10empty_typeEbEEZZNS1_14partition_implILS5_8ELb0ES3_jN6thrust23THRUST_200600_302600_NS6detail15normal_iteratorINSA_10device_ptrIsEEEEPS6_PKS6_NS0_5tupleIJSF_S6_EEENSJ_IJSG_SG_EEENS0_18inequality_wrapperINSA_8equal_toIsEEEEPmJS6_EEE10hipError_tPvRmT3_T4_T5_T6_T7_T9_mT8_P12ihipStream_tbDpT10_ENKUlT_T0_E_clISt17integral_constantIbLb0EES1A_EEDaS15_S16_EUlS15_E_NS1_11comp_targetILNS1_3genE8ELNS1_11target_archE1030ELNS1_3gpuE2ELNS1_3repE0EEENS1_30default_config_static_selectorELNS0_4arch9wavefront6targetE1EEEvT1_.uses_flat_scratch, 0
	.set _ZN7rocprim17ROCPRIM_400000_NS6detail17trampoline_kernelINS0_14default_configENS1_25partition_config_selectorILNS1_17partition_subalgoE8EsNS0_10empty_typeEbEEZZNS1_14partition_implILS5_8ELb0ES3_jN6thrust23THRUST_200600_302600_NS6detail15normal_iteratorINSA_10device_ptrIsEEEEPS6_PKS6_NS0_5tupleIJSF_S6_EEENSJ_IJSG_SG_EEENS0_18inequality_wrapperINSA_8equal_toIsEEEEPmJS6_EEE10hipError_tPvRmT3_T4_T5_T6_T7_T9_mT8_P12ihipStream_tbDpT10_ENKUlT_T0_E_clISt17integral_constantIbLb0EES1A_EEDaS15_S16_EUlS15_E_NS1_11comp_targetILNS1_3genE8ELNS1_11target_archE1030ELNS1_3gpuE2ELNS1_3repE0EEENS1_30default_config_static_selectorELNS0_4arch9wavefront6targetE1EEEvT1_.has_dyn_sized_stack, 0
	.set _ZN7rocprim17ROCPRIM_400000_NS6detail17trampoline_kernelINS0_14default_configENS1_25partition_config_selectorILNS1_17partition_subalgoE8EsNS0_10empty_typeEbEEZZNS1_14partition_implILS5_8ELb0ES3_jN6thrust23THRUST_200600_302600_NS6detail15normal_iteratorINSA_10device_ptrIsEEEEPS6_PKS6_NS0_5tupleIJSF_S6_EEENSJ_IJSG_SG_EEENS0_18inequality_wrapperINSA_8equal_toIsEEEEPmJS6_EEE10hipError_tPvRmT3_T4_T5_T6_T7_T9_mT8_P12ihipStream_tbDpT10_ENKUlT_T0_E_clISt17integral_constantIbLb0EES1A_EEDaS15_S16_EUlS15_E_NS1_11comp_targetILNS1_3genE8ELNS1_11target_archE1030ELNS1_3gpuE2ELNS1_3repE0EEENS1_30default_config_static_selectorELNS0_4arch9wavefront6targetE1EEEvT1_.has_recursion, 0
	.set _ZN7rocprim17ROCPRIM_400000_NS6detail17trampoline_kernelINS0_14default_configENS1_25partition_config_selectorILNS1_17partition_subalgoE8EsNS0_10empty_typeEbEEZZNS1_14partition_implILS5_8ELb0ES3_jN6thrust23THRUST_200600_302600_NS6detail15normal_iteratorINSA_10device_ptrIsEEEEPS6_PKS6_NS0_5tupleIJSF_S6_EEENSJ_IJSG_SG_EEENS0_18inequality_wrapperINSA_8equal_toIsEEEEPmJS6_EEE10hipError_tPvRmT3_T4_T5_T6_T7_T9_mT8_P12ihipStream_tbDpT10_ENKUlT_T0_E_clISt17integral_constantIbLb0EES1A_EEDaS15_S16_EUlS15_E_NS1_11comp_targetILNS1_3genE8ELNS1_11target_archE1030ELNS1_3gpuE2ELNS1_3repE0EEENS1_30default_config_static_selectorELNS0_4arch9wavefront6targetE1EEEvT1_.has_indirect_call, 0
	.section	.AMDGPU.csdata,"",@progbits
; Kernel info:
; codeLenInByte = 0
; TotalNumSgprs: 4
; NumVgprs: 0
; ScratchSize: 0
; MemoryBound: 0
; FloatMode: 240
; IeeeMode: 1
; LDSByteSize: 0 bytes/workgroup (compile time only)
; SGPRBlocks: 0
; VGPRBlocks: 0
; NumSGPRsForWavesPerEU: 4
; NumVGPRsForWavesPerEU: 1
; Occupancy: 10
; WaveLimiterHint : 0
; COMPUTE_PGM_RSRC2:SCRATCH_EN: 0
; COMPUTE_PGM_RSRC2:USER_SGPR: 6
; COMPUTE_PGM_RSRC2:TRAP_HANDLER: 0
; COMPUTE_PGM_RSRC2:TGID_X_EN: 1
; COMPUTE_PGM_RSRC2:TGID_Y_EN: 0
; COMPUTE_PGM_RSRC2:TGID_Z_EN: 0
; COMPUTE_PGM_RSRC2:TIDIG_COMP_CNT: 0
	.section	.text._ZN7rocprim17ROCPRIM_400000_NS6detail17trampoline_kernelINS0_14default_configENS1_25partition_config_selectorILNS1_17partition_subalgoE8EsNS0_10empty_typeEbEEZZNS1_14partition_implILS5_8ELb0ES3_jN6thrust23THRUST_200600_302600_NS6detail15normal_iteratorINSA_10device_ptrIsEEEEPS6_PKS6_NS0_5tupleIJSF_S6_EEENSJ_IJSG_SG_EEENS0_18inequality_wrapperINSA_8equal_toIsEEEEPmJS6_EEE10hipError_tPvRmT3_T4_T5_T6_T7_T9_mT8_P12ihipStream_tbDpT10_ENKUlT_T0_E_clISt17integral_constantIbLb1EES1A_EEDaS15_S16_EUlS15_E_NS1_11comp_targetILNS1_3genE0ELNS1_11target_archE4294967295ELNS1_3gpuE0ELNS1_3repE0EEENS1_30default_config_static_selectorELNS0_4arch9wavefront6targetE1EEEvT1_,"axG",@progbits,_ZN7rocprim17ROCPRIM_400000_NS6detail17trampoline_kernelINS0_14default_configENS1_25partition_config_selectorILNS1_17partition_subalgoE8EsNS0_10empty_typeEbEEZZNS1_14partition_implILS5_8ELb0ES3_jN6thrust23THRUST_200600_302600_NS6detail15normal_iteratorINSA_10device_ptrIsEEEEPS6_PKS6_NS0_5tupleIJSF_S6_EEENSJ_IJSG_SG_EEENS0_18inequality_wrapperINSA_8equal_toIsEEEEPmJS6_EEE10hipError_tPvRmT3_T4_T5_T6_T7_T9_mT8_P12ihipStream_tbDpT10_ENKUlT_T0_E_clISt17integral_constantIbLb1EES1A_EEDaS15_S16_EUlS15_E_NS1_11comp_targetILNS1_3genE0ELNS1_11target_archE4294967295ELNS1_3gpuE0ELNS1_3repE0EEENS1_30default_config_static_selectorELNS0_4arch9wavefront6targetE1EEEvT1_,comdat
	.protected	_ZN7rocprim17ROCPRIM_400000_NS6detail17trampoline_kernelINS0_14default_configENS1_25partition_config_selectorILNS1_17partition_subalgoE8EsNS0_10empty_typeEbEEZZNS1_14partition_implILS5_8ELb0ES3_jN6thrust23THRUST_200600_302600_NS6detail15normal_iteratorINSA_10device_ptrIsEEEEPS6_PKS6_NS0_5tupleIJSF_S6_EEENSJ_IJSG_SG_EEENS0_18inequality_wrapperINSA_8equal_toIsEEEEPmJS6_EEE10hipError_tPvRmT3_T4_T5_T6_T7_T9_mT8_P12ihipStream_tbDpT10_ENKUlT_T0_E_clISt17integral_constantIbLb1EES1A_EEDaS15_S16_EUlS15_E_NS1_11comp_targetILNS1_3genE0ELNS1_11target_archE4294967295ELNS1_3gpuE0ELNS1_3repE0EEENS1_30default_config_static_selectorELNS0_4arch9wavefront6targetE1EEEvT1_ ; -- Begin function _ZN7rocprim17ROCPRIM_400000_NS6detail17trampoline_kernelINS0_14default_configENS1_25partition_config_selectorILNS1_17partition_subalgoE8EsNS0_10empty_typeEbEEZZNS1_14partition_implILS5_8ELb0ES3_jN6thrust23THRUST_200600_302600_NS6detail15normal_iteratorINSA_10device_ptrIsEEEEPS6_PKS6_NS0_5tupleIJSF_S6_EEENSJ_IJSG_SG_EEENS0_18inequality_wrapperINSA_8equal_toIsEEEEPmJS6_EEE10hipError_tPvRmT3_T4_T5_T6_T7_T9_mT8_P12ihipStream_tbDpT10_ENKUlT_T0_E_clISt17integral_constantIbLb1EES1A_EEDaS15_S16_EUlS15_E_NS1_11comp_targetILNS1_3genE0ELNS1_11target_archE4294967295ELNS1_3gpuE0ELNS1_3repE0EEENS1_30default_config_static_selectorELNS0_4arch9wavefront6targetE1EEEvT1_
	.globl	_ZN7rocprim17ROCPRIM_400000_NS6detail17trampoline_kernelINS0_14default_configENS1_25partition_config_selectorILNS1_17partition_subalgoE8EsNS0_10empty_typeEbEEZZNS1_14partition_implILS5_8ELb0ES3_jN6thrust23THRUST_200600_302600_NS6detail15normal_iteratorINSA_10device_ptrIsEEEEPS6_PKS6_NS0_5tupleIJSF_S6_EEENSJ_IJSG_SG_EEENS0_18inequality_wrapperINSA_8equal_toIsEEEEPmJS6_EEE10hipError_tPvRmT3_T4_T5_T6_T7_T9_mT8_P12ihipStream_tbDpT10_ENKUlT_T0_E_clISt17integral_constantIbLb1EES1A_EEDaS15_S16_EUlS15_E_NS1_11comp_targetILNS1_3genE0ELNS1_11target_archE4294967295ELNS1_3gpuE0ELNS1_3repE0EEENS1_30default_config_static_selectorELNS0_4arch9wavefront6targetE1EEEvT1_
	.p2align	8
	.type	_ZN7rocprim17ROCPRIM_400000_NS6detail17trampoline_kernelINS0_14default_configENS1_25partition_config_selectorILNS1_17partition_subalgoE8EsNS0_10empty_typeEbEEZZNS1_14partition_implILS5_8ELb0ES3_jN6thrust23THRUST_200600_302600_NS6detail15normal_iteratorINSA_10device_ptrIsEEEEPS6_PKS6_NS0_5tupleIJSF_S6_EEENSJ_IJSG_SG_EEENS0_18inequality_wrapperINSA_8equal_toIsEEEEPmJS6_EEE10hipError_tPvRmT3_T4_T5_T6_T7_T9_mT8_P12ihipStream_tbDpT10_ENKUlT_T0_E_clISt17integral_constantIbLb1EES1A_EEDaS15_S16_EUlS15_E_NS1_11comp_targetILNS1_3genE0ELNS1_11target_archE4294967295ELNS1_3gpuE0ELNS1_3repE0EEENS1_30default_config_static_selectorELNS0_4arch9wavefront6targetE1EEEvT1_,@function
_ZN7rocprim17ROCPRIM_400000_NS6detail17trampoline_kernelINS0_14default_configENS1_25partition_config_selectorILNS1_17partition_subalgoE8EsNS0_10empty_typeEbEEZZNS1_14partition_implILS5_8ELb0ES3_jN6thrust23THRUST_200600_302600_NS6detail15normal_iteratorINSA_10device_ptrIsEEEEPS6_PKS6_NS0_5tupleIJSF_S6_EEENSJ_IJSG_SG_EEENS0_18inequality_wrapperINSA_8equal_toIsEEEEPmJS6_EEE10hipError_tPvRmT3_T4_T5_T6_T7_T9_mT8_P12ihipStream_tbDpT10_ENKUlT_T0_E_clISt17integral_constantIbLb1EES1A_EEDaS15_S16_EUlS15_E_NS1_11comp_targetILNS1_3genE0ELNS1_11target_archE4294967295ELNS1_3gpuE0ELNS1_3repE0EEENS1_30default_config_static_selectorELNS0_4arch9wavefront6targetE1EEEvT1_: ; @_ZN7rocprim17ROCPRIM_400000_NS6detail17trampoline_kernelINS0_14default_configENS1_25partition_config_selectorILNS1_17partition_subalgoE8EsNS0_10empty_typeEbEEZZNS1_14partition_implILS5_8ELb0ES3_jN6thrust23THRUST_200600_302600_NS6detail15normal_iteratorINSA_10device_ptrIsEEEEPS6_PKS6_NS0_5tupleIJSF_S6_EEENSJ_IJSG_SG_EEENS0_18inequality_wrapperINSA_8equal_toIsEEEEPmJS6_EEE10hipError_tPvRmT3_T4_T5_T6_T7_T9_mT8_P12ihipStream_tbDpT10_ENKUlT_T0_E_clISt17integral_constantIbLb1EES1A_EEDaS15_S16_EUlS15_E_NS1_11comp_targetILNS1_3genE0ELNS1_11target_archE4294967295ELNS1_3gpuE0ELNS1_3repE0EEENS1_30default_config_static_selectorELNS0_4arch9wavefront6targetE1EEEvT1_
; %bb.0:
	.section	.rodata,"a",@progbits
	.p2align	6, 0x0
	.amdhsa_kernel _ZN7rocprim17ROCPRIM_400000_NS6detail17trampoline_kernelINS0_14default_configENS1_25partition_config_selectorILNS1_17partition_subalgoE8EsNS0_10empty_typeEbEEZZNS1_14partition_implILS5_8ELb0ES3_jN6thrust23THRUST_200600_302600_NS6detail15normal_iteratorINSA_10device_ptrIsEEEEPS6_PKS6_NS0_5tupleIJSF_S6_EEENSJ_IJSG_SG_EEENS0_18inequality_wrapperINSA_8equal_toIsEEEEPmJS6_EEE10hipError_tPvRmT3_T4_T5_T6_T7_T9_mT8_P12ihipStream_tbDpT10_ENKUlT_T0_E_clISt17integral_constantIbLb1EES1A_EEDaS15_S16_EUlS15_E_NS1_11comp_targetILNS1_3genE0ELNS1_11target_archE4294967295ELNS1_3gpuE0ELNS1_3repE0EEENS1_30default_config_static_selectorELNS0_4arch9wavefront6targetE1EEEvT1_
		.amdhsa_group_segment_fixed_size 0
		.amdhsa_private_segment_fixed_size 0
		.amdhsa_kernarg_size 128
		.amdhsa_user_sgpr_count 6
		.amdhsa_user_sgpr_private_segment_buffer 1
		.amdhsa_user_sgpr_dispatch_ptr 0
		.amdhsa_user_sgpr_queue_ptr 0
		.amdhsa_user_sgpr_kernarg_segment_ptr 1
		.amdhsa_user_sgpr_dispatch_id 0
		.amdhsa_user_sgpr_flat_scratch_init 0
		.amdhsa_user_sgpr_private_segment_size 0
		.amdhsa_uses_dynamic_stack 0
		.amdhsa_system_sgpr_private_segment_wavefront_offset 0
		.amdhsa_system_sgpr_workgroup_id_x 1
		.amdhsa_system_sgpr_workgroup_id_y 0
		.amdhsa_system_sgpr_workgroup_id_z 0
		.amdhsa_system_sgpr_workgroup_info 0
		.amdhsa_system_vgpr_workitem_id 0
		.amdhsa_next_free_vgpr 1
		.amdhsa_next_free_sgpr 0
		.amdhsa_reserve_vcc 0
		.amdhsa_reserve_flat_scratch 0
		.amdhsa_float_round_mode_32 0
		.amdhsa_float_round_mode_16_64 0
		.amdhsa_float_denorm_mode_32 3
		.amdhsa_float_denorm_mode_16_64 3
		.amdhsa_dx10_clamp 1
		.amdhsa_ieee_mode 1
		.amdhsa_fp16_overflow 0
		.amdhsa_exception_fp_ieee_invalid_op 0
		.amdhsa_exception_fp_denorm_src 0
		.amdhsa_exception_fp_ieee_div_zero 0
		.amdhsa_exception_fp_ieee_overflow 0
		.amdhsa_exception_fp_ieee_underflow 0
		.amdhsa_exception_fp_ieee_inexact 0
		.amdhsa_exception_int_div_zero 0
	.end_amdhsa_kernel
	.section	.text._ZN7rocprim17ROCPRIM_400000_NS6detail17trampoline_kernelINS0_14default_configENS1_25partition_config_selectorILNS1_17partition_subalgoE8EsNS0_10empty_typeEbEEZZNS1_14partition_implILS5_8ELb0ES3_jN6thrust23THRUST_200600_302600_NS6detail15normal_iteratorINSA_10device_ptrIsEEEEPS6_PKS6_NS0_5tupleIJSF_S6_EEENSJ_IJSG_SG_EEENS0_18inequality_wrapperINSA_8equal_toIsEEEEPmJS6_EEE10hipError_tPvRmT3_T4_T5_T6_T7_T9_mT8_P12ihipStream_tbDpT10_ENKUlT_T0_E_clISt17integral_constantIbLb1EES1A_EEDaS15_S16_EUlS15_E_NS1_11comp_targetILNS1_3genE0ELNS1_11target_archE4294967295ELNS1_3gpuE0ELNS1_3repE0EEENS1_30default_config_static_selectorELNS0_4arch9wavefront6targetE1EEEvT1_,"axG",@progbits,_ZN7rocprim17ROCPRIM_400000_NS6detail17trampoline_kernelINS0_14default_configENS1_25partition_config_selectorILNS1_17partition_subalgoE8EsNS0_10empty_typeEbEEZZNS1_14partition_implILS5_8ELb0ES3_jN6thrust23THRUST_200600_302600_NS6detail15normal_iteratorINSA_10device_ptrIsEEEEPS6_PKS6_NS0_5tupleIJSF_S6_EEENSJ_IJSG_SG_EEENS0_18inequality_wrapperINSA_8equal_toIsEEEEPmJS6_EEE10hipError_tPvRmT3_T4_T5_T6_T7_T9_mT8_P12ihipStream_tbDpT10_ENKUlT_T0_E_clISt17integral_constantIbLb1EES1A_EEDaS15_S16_EUlS15_E_NS1_11comp_targetILNS1_3genE0ELNS1_11target_archE4294967295ELNS1_3gpuE0ELNS1_3repE0EEENS1_30default_config_static_selectorELNS0_4arch9wavefront6targetE1EEEvT1_,comdat
.Lfunc_end477:
	.size	_ZN7rocprim17ROCPRIM_400000_NS6detail17trampoline_kernelINS0_14default_configENS1_25partition_config_selectorILNS1_17partition_subalgoE8EsNS0_10empty_typeEbEEZZNS1_14partition_implILS5_8ELb0ES3_jN6thrust23THRUST_200600_302600_NS6detail15normal_iteratorINSA_10device_ptrIsEEEEPS6_PKS6_NS0_5tupleIJSF_S6_EEENSJ_IJSG_SG_EEENS0_18inequality_wrapperINSA_8equal_toIsEEEEPmJS6_EEE10hipError_tPvRmT3_T4_T5_T6_T7_T9_mT8_P12ihipStream_tbDpT10_ENKUlT_T0_E_clISt17integral_constantIbLb1EES1A_EEDaS15_S16_EUlS15_E_NS1_11comp_targetILNS1_3genE0ELNS1_11target_archE4294967295ELNS1_3gpuE0ELNS1_3repE0EEENS1_30default_config_static_selectorELNS0_4arch9wavefront6targetE1EEEvT1_, .Lfunc_end477-_ZN7rocprim17ROCPRIM_400000_NS6detail17trampoline_kernelINS0_14default_configENS1_25partition_config_selectorILNS1_17partition_subalgoE8EsNS0_10empty_typeEbEEZZNS1_14partition_implILS5_8ELb0ES3_jN6thrust23THRUST_200600_302600_NS6detail15normal_iteratorINSA_10device_ptrIsEEEEPS6_PKS6_NS0_5tupleIJSF_S6_EEENSJ_IJSG_SG_EEENS0_18inequality_wrapperINSA_8equal_toIsEEEEPmJS6_EEE10hipError_tPvRmT3_T4_T5_T6_T7_T9_mT8_P12ihipStream_tbDpT10_ENKUlT_T0_E_clISt17integral_constantIbLb1EES1A_EEDaS15_S16_EUlS15_E_NS1_11comp_targetILNS1_3genE0ELNS1_11target_archE4294967295ELNS1_3gpuE0ELNS1_3repE0EEENS1_30default_config_static_selectorELNS0_4arch9wavefront6targetE1EEEvT1_
                                        ; -- End function
	.set _ZN7rocprim17ROCPRIM_400000_NS6detail17trampoline_kernelINS0_14default_configENS1_25partition_config_selectorILNS1_17partition_subalgoE8EsNS0_10empty_typeEbEEZZNS1_14partition_implILS5_8ELb0ES3_jN6thrust23THRUST_200600_302600_NS6detail15normal_iteratorINSA_10device_ptrIsEEEEPS6_PKS6_NS0_5tupleIJSF_S6_EEENSJ_IJSG_SG_EEENS0_18inequality_wrapperINSA_8equal_toIsEEEEPmJS6_EEE10hipError_tPvRmT3_T4_T5_T6_T7_T9_mT8_P12ihipStream_tbDpT10_ENKUlT_T0_E_clISt17integral_constantIbLb1EES1A_EEDaS15_S16_EUlS15_E_NS1_11comp_targetILNS1_3genE0ELNS1_11target_archE4294967295ELNS1_3gpuE0ELNS1_3repE0EEENS1_30default_config_static_selectorELNS0_4arch9wavefront6targetE1EEEvT1_.num_vgpr, 0
	.set _ZN7rocprim17ROCPRIM_400000_NS6detail17trampoline_kernelINS0_14default_configENS1_25partition_config_selectorILNS1_17partition_subalgoE8EsNS0_10empty_typeEbEEZZNS1_14partition_implILS5_8ELb0ES3_jN6thrust23THRUST_200600_302600_NS6detail15normal_iteratorINSA_10device_ptrIsEEEEPS6_PKS6_NS0_5tupleIJSF_S6_EEENSJ_IJSG_SG_EEENS0_18inequality_wrapperINSA_8equal_toIsEEEEPmJS6_EEE10hipError_tPvRmT3_T4_T5_T6_T7_T9_mT8_P12ihipStream_tbDpT10_ENKUlT_T0_E_clISt17integral_constantIbLb1EES1A_EEDaS15_S16_EUlS15_E_NS1_11comp_targetILNS1_3genE0ELNS1_11target_archE4294967295ELNS1_3gpuE0ELNS1_3repE0EEENS1_30default_config_static_selectorELNS0_4arch9wavefront6targetE1EEEvT1_.num_agpr, 0
	.set _ZN7rocprim17ROCPRIM_400000_NS6detail17trampoline_kernelINS0_14default_configENS1_25partition_config_selectorILNS1_17partition_subalgoE8EsNS0_10empty_typeEbEEZZNS1_14partition_implILS5_8ELb0ES3_jN6thrust23THRUST_200600_302600_NS6detail15normal_iteratorINSA_10device_ptrIsEEEEPS6_PKS6_NS0_5tupleIJSF_S6_EEENSJ_IJSG_SG_EEENS0_18inequality_wrapperINSA_8equal_toIsEEEEPmJS6_EEE10hipError_tPvRmT3_T4_T5_T6_T7_T9_mT8_P12ihipStream_tbDpT10_ENKUlT_T0_E_clISt17integral_constantIbLb1EES1A_EEDaS15_S16_EUlS15_E_NS1_11comp_targetILNS1_3genE0ELNS1_11target_archE4294967295ELNS1_3gpuE0ELNS1_3repE0EEENS1_30default_config_static_selectorELNS0_4arch9wavefront6targetE1EEEvT1_.numbered_sgpr, 0
	.set _ZN7rocprim17ROCPRIM_400000_NS6detail17trampoline_kernelINS0_14default_configENS1_25partition_config_selectorILNS1_17partition_subalgoE8EsNS0_10empty_typeEbEEZZNS1_14partition_implILS5_8ELb0ES3_jN6thrust23THRUST_200600_302600_NS6detail15normal_iteratorINSA_10device_ptrIsEEEEPS6_PKS6_NS0_5tupleIJSF_S6_EEENSJ_IJSG_SG_EEENS0_18inequality_wrapperINSA_8equal_toIsEEEEPmJS6_EEE10hipError_tPvRmT3_T4_T5_T6_T7_T9_mT8_P12ihipStream_tbDpT10_ENKUlT_T0_E_clISt17integral_constantIbLb1EES1A_EEDaS15_S16_EUlS15_E_NS1_11comp_targetILNS1_3genE0ELNS1_11target_archE4294967295ELNS1_3gpuE0ELNS1_3repE0EEENS1_30default_config_static_selectorELNS0_4arch9wavefront6targetE1EEEvT1_.num_named_barrier, 0
	.set _ZN7rocprim17ROCPRIM_400000_NS6detail17trampoline_kernelINS0_14default_configENS1_25partition_config_selectorILNS1_17partition_subalgoE8EsNS0_10empty_typeEbEEZZNS1_14partition_implILS5_8ELb0ES3_jN6thrust23THRUST_200600_302600_NS6detail15normal_iteratorINSA_10device_ptrIsEEEEPS6_PKS6_NS0_5tupleIJSF_S6_EEENSJ_IJSG_SG_EEENS0_18inequality_wrapperINSA_8equal_toIsEEEEPmJS6_EEE10hipError_tPvRmT3_T4_T5_T6_T7_T9_mT8_P12ihipStream_tbDpT10_ENKUlT_T0_E_clISt17integral_constantIbLb1EES1A_EEDaS15_S16_EUlS15_E_NS1_11comp_targetILNS1_3genE0ELNS1_11target_archE4294967295ELNS1_3gpuE0ELNS1_3repE0EEENS1_30default_config_static_selectorELNS0_4arch9wavefront6targetE1EEEvT1_.private_seg_size, 0
	.set _ZN7rocprim17ROCPRIM_400000_NS6detail17trampoline_kernelINS0_14default_configENS1_25partition_config_selectorILNS1_17partition_subalgoE8EsNS0_10empty_typeEbEEZZNS1_14partition_implILS5_8ELb0ES3_jN6thrust23THRUST_200600_302600_NS6detail15normal_iteratorINSA_10device_ptrIsEEEEPS6_PKS6_NS0_5tupleIJSF_S6_EEENSJ_IJSG_SG_EEENS0_18inequality_wrapperINSA_8equal_toIsEEEEPmJS6_EEE10hipError_tPvRmT3_T4_T5_T6_T7_T9_mT8_P12ihipStream_tbDpT10_ENKUlT_T0_E_clISt17integral_constantIbLb1EES1A_EEDaS15_S16_EUlS15_E_NS1_11comp_targetILNS1_3genE0ELNS1_11target_archE4294967295ELNS1_3gpuE0ELNS1_3repE0EEENS1_30default_config_static_selectorELNS0_4arch9wavefront6targetE1EEEvT1_.uses_vcc, 0
	.set _ZN7rocprim17ROCPRIM_400000_NS6detail17trampoline_kernelINS0_14default_configENS1_25partition_config_selectorILNS1_17partition_subalgoE8EsNS0_10empty_typeEbEEZZNS1_14partition_implILS5_8ELb0ES3_jN6thrust23THRUST_200600_302600_NS6detail15normal_iteratorINSA_10device_ptrIsEEEEPS6_PKS6_NS0_5tupleIJSF_S6_EEENSJ_IJSG_SG_EEENS0_18inequality_wrapperINSA_8equal_toIsEEEEPmJS6_EEE10hipError_tPvRmT3_T4_T5_T6_T7_T9_mT8_P12ihipStream_tbDpT10_ENKUlT_T0_E_clISt17integral_constantIbLb1EES1A_EEDaS15_S16_EUlS15_E_NS1_11comp_targetILNS1_3genE0ELNS1_11target_archE4294967295ELNS1_3gpuE0ELNS1_3repE0EEENS1_30default_config_static_selectorELNS0_4arch9wavefront6targetE1EEEvT1_.uses_flat_scratch, 0
	.set _ZN7rocprim17ROCPRIM_400000_NS6detail17trampoline_kernelINS0_14default_configENS1_25partition_config_selectorILNS1_17partition_subalgoE8EsNS0_10empty_typeEbEEZZNS1_14partition_implILS5_8ELb0ES3_jN6thrust23THRUST_200600_302600_NS6detail15normal_iteratorINSA_10device_ptrIsEEEEPS6_PKS6_NS0_5tupleIJSF_S6_EEENSJ_IJSG_SG_EEENS0_18inequality_wrapperINSA_8equal_toIsEEEEPmJS6_EEE10hipError_tPvRmT3_T4_T5_T6_T7_T9_mT8_P12ihipStream_tbDpT10_ENKUlT_T0_E_clISt17integral_constantIbLb1EES1A_EEDaS15_S16_EUlS15_E_NS1_11comp_targetILNS1_3genE0ELNS1_11target_archE4294967295ELNS1_3gpuE0ELNS1_3repE0EEENS1_30default_config_static_selectorELNS0_4arch9wavefront6targetE1EEEvT1_.has_dyn_sized_stack, 0
	.set _ZN7rocprim17ROCPRIM_400000_NS6detail17trampoline_kernelINS0_14default_configENS1_25partition_config_selectorILNS1_17partition_subalgoE8EsNS0_10empty_typeEbEEZZNS1_14partition_implILS5_8ELb0ES3_jN6thrust23THRUST_200600_302600_NS6detail15normal_iteratorINSA_10device_ptrIsEEEEPS6_PKS6_NS0_5tupleIJSF_S6_EEENSJ_IJSG_SG_EEENS0_18inequality_wrapperINSA_8equal_toIsEEEEPmJS6_EEE10hipError_tPvRmT3_T4_T5_T6_T7_T9_mT8_P12ihipStream_tbDpT10_ENKUlT_T0_E_clISt17integral_constantIbLb1EES1A_EEDaS15_S16_EUlS15_E_NS1_11comp_targetILNS1_3genE0ELNS1_11target_archE4294967295ELNS1_3gpuE0ELNS1_3repE0EEENS1_30default_config_static_selectorELNS0_4arch9wavefront6targetE1EEEvT1_.has_recursion, 0
	.set _ZN7rocprim17ROCPRIM_400000_NS6detail17trampoline_kernelINS0_14default_configENS1_25partition_config_selectorILNS1_17partition_subalgoE8EsNS0_10empty_typeEbEEZZNS1_14partition_implILS5_8ELb0ES3_jN6thrust23THRUST_200600_302600_NS6detail15normal_iteratorINSA_10device_ptrIsEEEEPS6_PKS6_NS0_5tupleIJSF_S6_EEENSJ_IJSG_SG_EEENS0_18inequality_wrapperINSA_8equal_toIsEEEEPmJS6_EEE10hipError_tPvRmT3_T4_T5_T6_T7_T9_mT8_P12ihipStream_tbDpT10_ENKUlT_T0_E_clISt17integral_constantIbLb1EES1A_EEDaS15_S16_EUlS15_E_NS1_11comp_targetILNS1_3genE0ELNS1_11target_archE4294967295ELNS1_3gpuE0ELNS1_3repE0EEENS1_30default_config_static_selectorELNS0_4arch9wavefront6targetE1EEEvT1_.has_indirect_call, 0
	.section	.AMDGPU.csdata,"",@progbits
; Kernel info:
; codeLenInByte = 0
; TotalNumSgprs: 4
; NumVgprs: 0
; ScratchSize: 0
; MemoryBound: 0
; FloatMode: 240
; IeeeMode: 1
; LDSByteSize: 0 bytes/workgroup (compile time only)
; SGPRBlocks: 0
; VGPRBlocks: 0
; NumSGPRsForWavesPerEU: 4
; NumVGPRsForWavesPerEU: 1
; Occupancy: 10
; WaveLimiterHint : 0
; COMPUTE_PGM_RSRC2:SCRATCH_EN: 0
; COMPUTE_PGM_RSRC2:USER_SGPR: 6
; COMPUTE_PGM_RSRC2:TRAP_HANDLER: 0
; COMPUTE_PGM_RSRC2:TGID_X_EN: 1
; COMPUTE_PGM_RSRC2:TGID_Y_EN: 0
; COMPUTE_PGM_RSRC2:TGID_Z_EN: 0
; COMPUTE_PGM_RSRC2:TIDIG_COMP_CNT: 0
	.section	.text._ZN7rocprim17ROCPRIM_400000_NS6detail17trampoline_kernelINS0_14default_configENS1_25partition_config_selectorILNS1_17partition_subalgoE8EsNS0_10empty_typeEbEEZZNS1_14partition_implILS5_8ELb0ES3_jN6thrust23THRUST_200600_302600_NS6detail15normal_iteratorINSA_10device_ptrIsEEEEPS6_PKS6_NS0_5tupleIJSF_S6_EEENSJ_IJSG_SG_EEENS0_18inequality_wrapperINSA_8equal_toIsEEEEPmJS6_EEE10hipError_tPvRmT3_T4_T5_T6_T7_T9_mT8_P12ihipStream_tbDpT10_ENKUlT_T0_E_clISt17integral_constantIbLb1EES1A_EEDaS15_S16_EUlS15_E_NS1_11comp_targetILNS1_3genE5ELNS1_11target_archE942ELNS1_3gpuE9ELNS1_3repE0EEENS1_30default_config_static_selectorELNS0_4arch9wavefront6targetE1EEEvT1_,"axG",@progbits,_ZN7rocprim17ROCPRIM_400000_NS6detail17trampoline_kernelINS0_14default_configENS1_25partition_config_selectorILNS1_17partition_subalgoE8EsNS0_10empty_typeEbEEZZNS1_14partition_implILS5_8ELb0ES3_jN6thrust23THRUST_200600_302600_NS6detail15normal_iteratorINSA_10device_ptrIsEEEEPS6_PKS6_NS0_5tupleIJSF_S6_EEENSJ_IJSG_SG_EEENS0_18inequality_wrapperINSA_8equal_toIsEEEEPmJS6_EEE10hipError_tPvRmT3_T4_T5_T6_T7_T9_mT8_P12ihipStream_tbDpT10_ENKUlT_T0_E_clISt17integral_constantIbLb1EES1A_EEDaS15_S16_EUlS15_E_NS1_11comp_targetILNS1_3genE5ELNS1_11target_archE942ELNS1_3gpuE9ELNS1_3repE0EEENS1_30default_config_static_selectorELNS0_4arch9wavefront6targetE1EEEvT1_,comdat
	.protected	_ZN7rocprim17ROCPRIM_400000_NS6detail17trampoline_kernelINS0_14default_configENS1_25partition_config_selectorILNS1_17partition_subalgoE8EsNS0_10empty_typeEbEEZZNS1_14partition_implILS5_8ELb0ES3_jN6thrust23THRUST_200600_302600_NS6detail15normal_iteratorINSA_10device_ptrIsEEEEPS6_PKS6_NS0_5tupleIJSF_S6_EEENSJ_IJSG_SG_EEENS0_18inequality_wrapperINSA_8equal_toIsEEEEPmJS6_EEE10hipError_tPvRmT3_T4_T5_T6_T7_T9_mT8_P12ihipStream_tbDpT10_ENKUlT_T0_E_clISt17integral_constantIbLb1EES1A_EEDaS15_S16_EUlS15_E_NS1_11comp_targetILNS1_3genE5ELNS1_11target_archE942ELNS1_3gpuE9ELNS1_3repE0EEENS1_30default_config_static_selectorELNS0_4arch9wavefront6targetE1EEEvT1_ ; -- Begin function _ZN7rocprim17ROCPRIM_400000_NS6detail17trampoline_kernelINS0_14default_configENS1_25partition_config_selectorILNS1_17partition_subalgoE8EsNS0_10empty_typeEbEEZZNS1_14partition_implILS5_8ELb0ES3_jN6thrust23THRUST_200600_302600_NS6detail15normal_iteratorINSA_10device_ptrIsEEEEPS6_PKS6_NS0_5tupleIJSF_S6_EEENSJ_IJSG_SG_EEENS0_18inequality_wrapperINSA_8equal_toIsEEEEPmJS6_EEE10hipError_tPvRmT3_T4_T5_T6_T7_T9_mT8_P12ihipStream_tbDpT10_ENKUlT_T0_E_clISt17integral_constantIbLb1EES1A_EEDaS15_S16_EUlS15_E_NS1_11comp_targetILNS1_3genE5ELNS1_11target_archE942ELNS1_3gpuE9ELNS1_3repE0EEENS1_30default_config_static_selectorELNS0_4arch9wavefront6targetE1EEEvT1_
	.globl	_ZN7rocprim17ROCPRIM_400000_NS6detail17trampoline_kernelINS0_14default_configENS1_25partition_config_selectorILNS1_17partition_subalgoE8EsNS0_10empty_typeEbEEZZNS1_14partition_implILS5_8ELb0ES3_jN6thrust23THRUST_200600_302600_NS6detail15normal_iteratorINSA_10device_ptrIsEEEEPS6_PKS6_NS0_5tupleIJSF_S6_EEENSJ_IJSG_SG_EEENS0_18inequality_wrapperINSA_8equal_toIsEEEEPmJS6_EEE10hipError_tPvRmT3_T4_T5_T6_T7_T9_mT8_P12ihipStream_tbDpT10_ENKUlT_T0_E_clISt17integral_constantIbLb1EES1A_EEDaS15_S16_EUlS15_E_NS1_11comp_targetILNS1_3genE5ELNS1_11target_archE942ELNS1_3gpuE9ELNS1_3repE0EEENS1_30default_config_static_selectorELNS0_4arch9wavefront6targetE1EEEvT1_
	.p2align	8
	.type	_ZN7rocprim17ROCPRIM_400000_NS6detail17trampoline_kernelINS0_14default_configENS1_25partition_config_selectorILNS1_17partition_subalgoE8EsNS0_10empty_typeEbEEZZNS1_14partition_implILS5_8ELb0ES3_jN6thrust23THRUST_200600_302600_NS6detail15normal_iteratorINSA_10device_ptrIsEEEEPS6_PKS6_NS0_5tupleIJSF_S6_EEENSJ_IJSG_SG_EEENS0_18inequality_wrapperINSA_8equal_toIsEEEEPmJS6_EEE10hipError_tPvRmT3_T4_T5_T6_T7_T9_mT8_P12ihipStream_tbDpT10_ENKUlT_T0_E_clISt17integral_constantIbLb1EES1A_EEDaS15_S16_EUlS15_E_NS1_11comp_targetILNS1_3genE5ELNS1_11target_archE942ELNS1_3gpuE9ELNS1_3repE0EEENS1_30default_config_static_selectorELNS0_4arch9wavefront6targetE1EEEvT1_,@function
_ZN7rocprim17ROCPRIM_400000_NS6detail17trampoline_kernelINS0_14default_configENS1_25partition_config_selectorILNS1_17partition_subalgoE8EsNS0_10empty_typeEbEEZZNS1_14partition_implILS5_8ELb0ES3_jN6thrust23THRUST_200600_302600_NS6detail15normal_iteratorINSA_10device_ptrIsEEEEPS6_PKS6_NS0_5tupleIJSF_S6_EEENSJ_IJSG_SG_EEENS0_18inequality_wrapperINSA_8equal_toIsEEEEPmJS6_EEE10hipError_tPvRmT3_T4_T5_T6_T7_T9_mT8_P12ihipStream_tbDpT10_ENKUlT_T0_E_clISt17integral_constantIbLb1EES1A_EEDaS15_S16_EUlS15_E_NS1_11comp_targetILNS1_3genE5ELNS1_11target_archE942ELNS1_3gpuE9ELNS1_3repE0EEENS1_30default_config_static_selectorELNS0_4arch9wavefront6targetE1EEEvT1_: ; @_ZN7rocprim17ROCPRIM_400000_NS6detail17trampoline_kernelINS0_14default_configENS1_25partition_config_selectorILNS1_17partition_subalgoE8EsNS0_10empty_typeEbEEZZNS1_14partition_implILS5_8ELb0ES3_jN6thrust23THRUST_200600_302600_NS6detail15normal_iteratorINSA_10device_ptrIsEEEEPS6_PKS6_NS0_5tupleIJSF_S6_EEENSJ_IJSG_SG_EEENS0_18inequality_wrapperINSA_8equal_toIsEEEEPmJS6_EEE10hipError_tPvRmT3_T4_T5_T6_T7_T9_mT8_P12ihipStream_tbDpT10_ENKUlT_T0_E_clISt17integral_constantIbLb1EES1A_EEDaS15_S16_EUlS15_E_NS1_11comp_targetILNS1_3genE5ELNS1_11target_archE942ELNS1_3gpuE9ELNS1_3repE0EEENS1_30default_config_static_selectorELNS0_4arch9wavefront6targetE1EEEvT1_
; %bb.0:
	.section	.rodata,"a",@progbits
	.p2align	6, 0x0
	.amdhsa_kernel _ZN7rocprim17ROCPRIM_400000_NS6detail17trampoline_kernelINS0_14default_configENS1_25partition_config_selectorILNS1_17partition_subalgoE8EsNS0_10empty_typeEbEEZZNS1_14partition_implILS5_8ELb0ES3_jN6thrust23THRUST_200600_302600_NS6detail15normal_iteratorINSA_10device_ptrIsEEEEPS6_PKS6_NS0_5tupleIJSF_S6_EEENSJ_IJSG_SG_EEENS0_18inequality_wrapperINSA_8equal_toIsEEEEPmJS6_EEE10hipError_tPvRmT3_T4_T5_T6_T7_T9_mT8_P12ihipStream_tbDpT10_ENKUlT_T0_E_clISt17integral_constantIbLb1EES1A_EEDaS15_S16_EUlS15_E_NS1_11comp_targetILNS1_3genE5ELNS1_11target_archE942ELNS1_3gpuE9ELNS1_3repE0EEENS1_30default_config_static_selectorELNS0_4arch9wavefront6targetE1EEEvT1_
		.amdhsa_group_segment_fixed_size 0
		.amdhsa_private_segment_fixed_size 0
		.amdhsa_kernarg_size 128
		.amdhsa_user_sgpr_count 6
		.amdhsa_user_sgpr_private_segment_buffer 1
		.amdhsa_user_sgpr_dispatch_ptr 0
		.amdhsa_user_sgpr_queue_ptr 0
		.amdhsa_user_sgpr_kernarg_segment_ptr 1
		.amdhsa_user_sgpr_dispatch_id 0
		.amdhsa_user_sgpr_flat_scratch_init 0
		.amdhsa_user_sgpr_private_segment_size 0
		.amdhsa_uses_dynamic_stack 0
		.amdhsa_system_sgpr_private_segment_wavefront_offset 0
		.amdhsa_system_sgpr_workgroup_id_x 1
		.amdhsa_system_sgpr_workgroup_id_y 0
		.amdhsa_system_sgpr_workgroup_id_z 0
		.amdhsa_system_sgpr_workgroup_info 0
		.amdhsa_system_vgpr_workitem_id 0
		.amdhsa_next_free_vgpr 1
		.amdhsa_next_free_sgpr 0
		.amdhsa_reserve_vcc 0
		.amdhsa_reserve_flat_scratch 0
		.amdhsa_float_round_mode_32 0
		.amdhsa_float_round_mode_16_64 0
		.amdhsa_float_denorm_mode_32 3
		.amdhsa_float_denorm_mode_16_64 3
		.amdhsa_dx10_clamp 1
		.amdhsa_ieee_mode 1
		.amdhsa_fp16_overflow 0
		.amdhsa_exception_fp_ieee_invalid_op 0
		.amdhsa_exception_fp_denorm_src 0
		.amdhsa_exception_fp_ieee_div_zero 0
		.amdhsa_exception_fp_ieee_overflow 0
		.amdhsa_exception_fp_ieee_underflow 0
		.amdhsa_exception_fp_ieee_inexact 0
		.amdhsa_exception_int_div_zero 0
	.end_amdhsa_kernel
	.section	.text._ZN7rocprim17ROCPRIM_400000_NS6detail17trampoline_kernelINS0_14default_configENS1_25partition_config_selectorILNS1_17partition_subalgoE8EsNS0_10empty_typeEbEEZZNS1_14partition_implILS5_8ELb0ES3_jN6thrust23THRUST_200600_302600_NS6detail15normal_iteratorINSA_10device_ptrIsEEEEPS6_PKS6_NS0_5tupleIJSF_S6_EEENSJ_IJSG_SG_EEENS0_18inequality_wrapperINSA_8equal_toIsEEEEPmJS6_EEE10hipError_tPvRmT3_T4_T5_T6_T7_T9_mT8_P12ihipStream_tbDpT10_ENKUlT_T0_E_clISt17integral_constantIbLb1EES1A_EEDaS15_S16_EUlS15_E_NS1_11comp_targetILNS1_3genE5ELNS1_11target_archE942ELNS1_3gpuE9ELNS1_3repE0EEENS1_30default_config_static_selectorELNS0_4arch9wavefront6targetE1EEEvT1_,"axG",@progbits,_ZN7rocprim17ROCPRIM_400000_NS6detail17trampoline_kernelINS0_14default_configENS1_25partition_config_selectorILNS1_17partition_subalgoE8EsNS0_10empty_typeEbEEZZNS1_14partition_implILS5_8ELb0ES3_jN6thrust23THRUST_200600_302600_NS6detail15normal_iteratorINSA_10device_ptrIsEEEEPS6_PKS6_NS0_5tupleIJSF_S6_EEENSJ_IJSG_SG_EEENS0_18inequality_wrapperINSA_8equal_toIsEEEEPmJS6_EEE10hipError_tPvRmT3_T4_T5_T6_T7_T9_mT8_P12ihipStream_tbDpT10_ENKUlT_T0_E_clISt17integral_constantIbLb1EES1A_EEDaS15_S16_EUlS15_E_NS1_11comp_targetILNS1_3genE5ELNS1_11target_archE942ELNS1_3gpuE9ELNS1_3repE0EEENS1_30default_config_static_selectorELNS0_4arch9wavefront6targetE1EEEvT1_,comdat
.Lfunc_end478:
	.size	_ZN7rocprim17ROCPRIM_400000_NS6detail17trampoline_kernelINS0_14default_configENS1_25partition_config_selectorILNS1_17partition_subalgoE8EsNS0_10empty_typeEbEEZZNS1_14partition_implILS5_8ELb0ES3_jN6thrust23THRUST_200600_302600_NS6detail15normal_iteratorINSA_10device_ptrIsEEEEPS6_PKS6_NS0_5tupleIJSF_S6_EEENSJ_IJSG_SG_EEENS0_18inequality_wrapperINSA_8equal_toIsEEEEPmJS6_EEE10hipError_tPvRmT3_T4_T5_T6_T7_T9_mT8_P12ihipStream_tbDpT10_ENKUlT_T0_E_clISt17integral_constantIbLb1EES1A_EEDaS15_S16_EUlS15_E_NS1_11comp_targetILNS1_3genE5ELNS1_11target_archE942ELNS1_3gpuE9ELNS1_3repE0EEENS1_30default_config_static_selectorELNS0_4arch9wavefront6targetE1EEEvT1_, .Lfunc_end478-_ZN7rocprim17ROCPRIM_400000_NS6detail17trampoline_kernelINS0_14default_configENS1_25partition_config_selectorILNS1_17partition_subalgoE8EsNS0_10empty_typeEbEEZZNS1_14partition_implILS5_8ELb0ES3_jN6thrust23THRUST_200600_302600_NS6detail15normal_iteratorINSA_10device_ptrIsEEEEPS6_PKS6_NS0_5tupleIJSF_S6_EEENSJ_IJSG_SG_EEENS0_18inequality_wrapperINSA_8equal_toIsEEEEPmJS6_EEE10hipError_tPvRmT3_T4_T5_T6_T7_T9_mT8_P12ihipStream_tbDpT10_ENKUlT_T0_E_clISt17integral_constantIbLb1EES1A_EEDaS15_S16_EUlS15_E_NS1_11comp_targetILNS1_3genE5ELNS1_11target_archE942ELNS1_3gpuE9ELNS1_3repE0EEENS1_30default_config_static_selectorELNS0_4arch9wavefront6targetE1EEEvT1_
                                        ; -- End function
	.set _ZN7rocprim17ROCPRIM_400000_NS6detail17trampoline_kernelINS0_14default_configENS1_25partition_config_selectorILNS1_17partition_subalgoE8EsNS0_10empty_typeEbEEZZNS1_14partition_implILS5_8ELb0ES3_jN6thrust23THRUST_200600_302600_NS6detail15normal_iteratorINSA_10device_ptrIsEEEEPS6_PKS6_NS0_5tupleIJSF_S6_EEENSJ_IJSG_SG_EEENS0_18inequality_wrapperINSA_8equal_toIsEEEEPmJS6_EEE10hipError_tPvRmT3_T4_T5_T6_T7_T9_mT8_P12ihipStream_tbDpT10_ENKUlT_T0_E_clISt17integral_constantIbLb1EES1A_EEDaS15_S16_EUlS15_E_NS1_11comp_targetILNS1_3genE5ELNS1_11target_archE942ELNS1_3gpuE9ELNS1_3repE0EEENS1_30default_config_static_selectorELNS0_4arch9wavefront6targetE1EEEvT1_.num_vgpr, 0
	.set _ZN7rocprim17ROCPRIM_400000_NS6detail17trampoline_kernelINS0_14default_configENS1_25partition_config_selectorILNS1_17partition_subalgoE8EsNS0_10empty_typeEbEEZZNS1_14partition_implILS5_8ELb0ES3_jN6thrust23THRUST_200600_302600_NS6detail15normal_iteratorINSA_10device_ptrIsEEEEPS6_PKS6_NS0_5tupleIJSF_S6_EEENSJ_IJSG_SG_EEENS0_18inequality_wrapperINSA_8equal_toIsEEEEPmJS6_EEE10hipError_tPvRmT3_T4_T5_T6_T7_T9_mT8_P12ihipStream_tbDpT10_ENKUlT_T0_E_clISt17integral_constantIbLb1EES1A_EEDaS15_S16_EUlS15_E_NS1_11comp_targetILNS1_3genE5ELNS1_11target_archE942ELNS1_3gpuE9ELNS1_3repE0EEENS1_30default_config_static_selectorELNS0_4arch9wavefront6targetE1EEEvT1_.num_agpr, 0
	.set _ZN7rocprim17ROCPRIM_400000_NS6detail17trampoline_kernelINS0_14default_configENS1_25partition_config_selectorILNS1_17partition_subalgoE8EsNS0_10empty_typeEbEEZZNS1_14partition_implILS5_8ELb0ES3_jN6thrust23THRUST_200600_302600_NS6detail15normal_iteratorINSA_10device_ptrIsEEEEPS6_PKS6_NS0_5tupleIJSF_S6_EEENSJ_IJSG_SG_EEENS0_18inequality_wrapperINSA_8equal_toIsEEEEPmJS6_EEE10hipError_tPvRmT3_T4_T5_T6_T7_T9_mT8_P12ihipStream_tbDpT10_ENKUlT_T0_E_clISt17integral_constantIbLb1EES1A_EEDaS15_S16_EUlS15_E_NS1_11comp_targetILNS1_3genE5ELNS1_11target_archE942ELNS1_3gpuE9ELNS1_3repE0EEENS1_30default_config_static_selectorELNS0_4arch9wavefront6targetE1EEEvT1_.numbered_sgpr, 0
	.set _ZN7rocprim17ROCPRIM_400000_NS6detail17trampoline_kernelINS0_14default_configENS1_25partition_config_selectorILNS1_17partition_subalgoE8EsNS0_10empty_typeEbEEZZNS1_14partition_implILS5_8ELb0ES3_jN6thrust23THRUST_200600_302600_NS6detail15normal_iteratorINSA_10device_ptrIsEEEEPS6_PKS6_NS0_5tupleIJSF_S6_EEENSJ_IJSG_SG_EEENS0_18inequality_wrapperINSA_8equal_toIsEEEEPmJS6_EEE10hipError_tPvRmT3_T4_T5_T6_T7_T9_mT8_P12ihipStream_tbDpT10_ENKUlT_T0_E_clISt17integral_constantIbLb1EES1A_EEDaS15_S16_EUlS15_E_NS1_11comp_targetILNS1_3genE5ELNS1_11target_archE942ELNS1_3gpuE9ELNS1_3repE0EEENS1_30default_config_static_selectorELNS0_4arch9wavefront6targetE1EEEvT1_.num_named_barrier, 0
	.set _ZN7rocprim17ROCPRIM_400000_NS6detail17trampoline_kernelINS0_14default_configENS1_25partition_config_selectorILNS1_17partition_subalgoE8EsNS0_10empty_typeEbEEZZNS1_14partition_implILS5_8ELb0ES3_jN6thrust23THRUST_200600_302600_NS6detail15normal_iteratorINSA_10device_ptrIsEEEEPS6_PKS6_NS0_5tupleIJSF_S6_EEENSJ_IJSG_SG_EEENS0_18inequality_wrapperINSA_8equal_toIsEEEEPmJS6_EEE10hipError_tPvRmT3_T4_T5_T6_T7_T9_mT8_P12ihipStream_tbDpT10_ENKUlT_T0_E_clISt17integral_constantIbLb1EES1A_EEDaS15_S16_EUlS15_E_NS1_11comp_targetILNS1_3genE5ELNS1_11target_archE942ELNS1_3gpuE9ELNS1_3repE0EEENS1_30default_config_static_selectorELNS0_4arch9wavefront6targetE1EEEvT1_.private_seg_size, 0
	.set _ZN7rocprim17ROCPRIM_400000_NS6detail17trampoline_kernelINS0_14default_configENS1_25partition_config_selectorILNS1_17partition_subalgoE8EsNS0_10empty_typeEbEEZZNS1_14partition_implILS5_8ELb0ES3_jN6thrust23THRUST_200600_302600_NS6detail15normal_iteratorINSA_10device_ptrIsEEEEPS6_PKS6_NS0_5tupleIJSF_S6_EEENSJ_IJSG_SG_EEENS0_18inequality_wrapperINSA_8equal_toIsEEEEPmJS6_EEE10hipError_tPvRmT3_T4_T5_T6_T7_T9_mT8_P12ihipStream_tbDpT10_ENKUlT_T0_E_clISt17integral_constantIbLb1EES1A_EEDaS15_S16_EUlS15_E_NS1_11comp_targetILNS1_3genE5ELNS1_11target_archE942ELNS1_3gpuE9ELNS1_3repE0EEENS1_30default_config_static_selectorELNS0_4arch9wavefront6targetE1EEEvT1_.uses_vcc, 0
	.set _ZN7rocprim17ROCPRIM_400000_NS6detail17trampoline_kernelINS0_14default_configENS1_25partition_config_selectorILNS1_17partition_subalgoE8EsNS0_10empty_typeEbEEZZNS1_14partition_implILS5_8ELb0ES3_jN6thrust23THRUST_200600_302600_NS6detail15normal_iteratorINSA_10device_ptrIsEEEEPS6_PKS6_NS0_5tupleIJSF_S6_EEENSJ_IJSG_SG_EEENS0_18inequality_wrapperINSA_8equal_toIsEEEEPmJS6_EEE10hipError_tPvRmT3_T4_T5_T6_T7_T9_mT8_P12ihipStream_tbDpT10_ENKUlT_T0_E_clISt17integral_constantIbLb1EES1A_EEDaS15_S16_EUlS15_E_NS1_11comp_targetILNS1_3genE5ELNS1_11target_archE942ELNS1_3gpuE9ELNS1_3repE0EEENS1_30default_config_static_selectorELNS0_4arch9wavefront6targetE1EEEvT1_.uses_flat_scratch, 0
	.set _ZN7rocprim17ROCPRIM_400000_NS6detail17trampoline_kernelINS0_14default_configENS1_25partition_config_selectorILNS1_17partition_subalgoE8EsNS0_10empty_typeEbEEZZNS1_14partition_implILS5_8ELb0ES3_jN6thrust23THRUST_200600_302600_NS6detail15normal_iteratorINSA_10device_ptrIsEEEEPS6_PKS6_NS0_5tupleIJSF_S6_EEENSJ_IJSG_SG_EEENS0_18inequality_wrapperINSA_8equal_toIsEEEEPmJS6_EEE10hipError_tPvRmT3_T4_T5_T6_T7_T9_mT8_P12ihipStream_tbDpT10_ENKUlT_T0_E_clISt17integral_constantIbLb1EES1A_EEDaS15_S16_EUlS15_E_NS1_11comp_targetILNS1_3genE5ELNS1_11target_archE942ELNS1_3gpuE9ELNS1_3repE0EEENS1_30default_config_static_selectorELNS0_4arch9wavefront6targetE1EEEvT1_.has_dyn_sized_stack, 0
	.set _ZN7rocprim17ROCPRIM_400000_NS6detail17trampoline_kernelINS0_14default_configENS1_25partition_config_selectorILNS1_17partition_subalgoE8EsNS0_10empty_typeEbEEZZNS1_14partition_implILS5_8ELb0ES3_jN6thrust23THRUST_200600_302600_NS6detail15normal_iteratorINSA_10device_ptrIsEEEEPS6_PKS6_NS0_5tupleIJSF_S6_EEENSJ_IJSG_SG_EEENS0_18inequality_wrapperINSA_8equal_toIsEEEEPmJS6_EEE10hipError_tPvRmT3_T4_T5_T6_T7_T9_mT8_P12ihipStream_tbDpT10_ENKUlT_T0_E_clISt17integral_constantIbLb1EES1A_EEDaS15_S16_EUlS15_E_NS1_11comp_targetILNS1_3genE5ELNS1_11target_archE942ELNS1_3gpuE9ELNS1_3repE0EEENS1_30default_config_static_selectorELNS0_4arch9wavefront6targetE1EEEvT1_.has_recursion, 0
	.set _ZN7rocprim17ROCPRIM_400000_NS6detail17trampoline_kernelINS0_14default_configENS1_25partition_config_selectorILNS1_17partition_subalgoE8EsNS0_10empty_typeEbEEZZNS1_14partition_implILS5_8ELb0ES3_jN6thrust23THRUST_200600_302600_NS6detail15normal_iteratorINSA_10device_ptrIsEEEEPS6_PKS6_NS0_5tupleIJSF_S6_EEENSJ_IJSG_SG_EEENS0_18inequality_wrapperINSA_8equal_toIsEEEEPmJS6_EEE10hipError_tPvRmT3_T4_T5_T6_T7_T9_mT8_P12ihipStream_tbDpT10_ENKUlT_T0_E_clISt17integral_constantIbLb1EES1A_EEDaS15_S16_EUlS15_E_NS1_11comp_targetILNS1_3genE5ELNS1_11target_archE942ELNS1_3gpuE9ELNS1_3repE0EEENS1_30default_config_static_selectorELNS0_4arch9wavefront6targetE1EEEvT1_.has_indirect_call, 0
	.section	.AMDGPU.csdata,"",@progbits
; Kernel info:
; codeLenInByte = 0
; TotalNumSgprs: 4
; NumVgprs: 0
; ScratchSize: 0
; MemoryBound: 0
; FloatMode: 240
; IeeeMode: 1
; LDSByteSize: 0 bytes/workgroup (compile time only)
; SGPRBlocks: 0
; VGPRBlocks: 0
; NumSGPRsForWavesPerEU: 4
; NumVGPRsForWavesPerEU: 1
; Occupancy: 10
; WaveLimiterHint : 0
; COMPUTE_PGM_RSRC2:SCRATCH_EN: 0
; COMPUTE_PGM_RSRC2:USER_SGPR: 6
; COMPUTE_PGM_RSRC2:TRAP_HANDLER: 0
; COMPUTE_PGM_RSRC2:TGID_X_EN: 1
; COMPUTE_PGM_RSRC2:TGID_Y_EN: 0
; COMPUTE_PGM_RSRC2:TGID_Z_EN: 0
; COMPUTE_PGM_RSRC2:TIDIG_COMP_CNT: 0
	.section	.text._ZN7rocprim17ROCPRIM_400000_NS6detail17trampoline_kernelINS0_14default_configENS1_25partition_config_selectorILNS1_17partition_subalgoE8EsNS0_10empty_typeEbEEZZNS1_14partition_implILS5_8ELb0ES3_jN6thrust23THRUST_200600_302600_NS6detail15normal_iteratorINSA_10device_ptrIsEEEEPS6_PKS6_NS0_5tupleIJSF_S6_EEENSJ_IJSG_SG_EEENS0_18inequality_wrapperINSA_8equal_toIsEEEEPmJS6_EEE10hipError_tPvRmT3_T4_T5_T6_T7_T9_mT8_P12ihipStream_tbDpT10_ENKUlT_T0_E_clISt17integral_constantIbLb1EES1A_EEDaS15_S16_EUlS15_E_NS1_11comp_targetILNS1_3genE4ELNS1_11target_archE910ELNS1_3gpuE8ELNS1_3repE0EEENS1_30default_config_static_selectorELNS0_4arch9wavefront6targetE1EEEvT1_,"axG",@progbits,_ZN7rocprim17ROCPRIM_400000_NS6detail17trampoline_kernelINS0_14default_configENS1_25partition_config_selectorILNS1_17partition_subalgoE8EsNS0_10empty_typeEbEEZZNS1_14partition_implILS5_8ELb0ES3_jN6thrust23THRUST_200600_302600_NS6detail15normal_iteratorINSA_10device_ptrIsEEEEPS6_PKS6_NS0_5tupleIJSF_S6_EEENSJ_IJSG_SG_EEENS0_18inequality_wrapperINSA_8equal_toIsEEEEPmJS6_EEE10hipError_tPvRmT3_T4_T5_T6_T7_T9_mT8_P12ihipStream_tbDpT10_ENKUlT_T0_E_clISt17integral_constantIbLb1EES1A_EEDaS15_S16_EUlS15_E_NS1_11comp_targetILNS1_3genE4ELNS1_11target_archE910ELNS1_3gpuE8ELNS1_3repE0EEENS1_30default_config_static_selectorELNS0_4arch9wavefront6targetE1EEEvT1_,comdat
	.protected	_ZN7rocprim17ROCPRIM_400000_NS6detail17trampoline_kernelINS0_14default_configENS1_25partition_config_selectorILNS1_17partition_subalgoE8EsNS0_10empty_typeEbEEZZNS1_14partition_implILS5_8ELb0ES3_jN6thrust23THRUST_200600_302600_NS6detail15normal_iteratorINSA_10device_ptrIsEEEEPS6_PKS6_NS0_5tupleIJSF_S6_EEENSJ_IJSG_SG_EEENS0_18inequality_wrapperINSA_8equal_toIsEEEEPmJS6_EEE10hipError_tPvRmT3_T4_T5_T6_T7_T9_mT8_P12ihipStream_tbDpT10_ENKUlT_T0_E_clISt17integral_constantIbLb1EES1A_EEDaS15_S16_EUlS15_E_NS1_11comp_targetILNS1_3genE4ELNS1_11target_archE910ELNS1_3gpuE8ELNS1_3repE0EEENS1_30default_config_static_selectorELNS0_4arch9wavefront6targetE1EEEvT1_ ; -- Begin function _ZN7rocprim17ROCPRIM_400000_NS6detail17trampoline_kernelINS0_14default_configENS1_25partition_config_selectorILNS1_17partition_subalgoE8EsNS0_10empty_typeEbEEZZNS1_14partition_implILS5_8ELb0ES3_jN6thrust23THRUST_200600_302600_NS6detail15normal_iteratorINSA_10device_ptrIsEEEEPS6_PKS6_NS0_5tupleIJSF_S6_EEENSJ_IJSG_SG_EEENS0_18inequality_wrapperINSA_8equal_toIsEEEEPmJS6_EEE10hipError_tPvRmT3_T4_T5_T6_T7_T9_mT8_P12ihipStream_tbDpT10_ENKUlT_T0_E_clISt17integral_constantIbLb1EES1A_EEDaS15_S16_EUlS15_E_NS1_11comp_targetILNS1_3genE4ELNS1_11target_archE910ELNS1_3gpuE8ELNS1_3repE0EEENS1_30default_config_static_selectorELNS0_4arch9wavefront6targetE1EEEvT1_
	.globl	_ZN7rocprim17ROCPRIM_400000_NS6detail17trampoline_kernelINS0_14default_configENS1_25partition_config_selectorILNS1_17partition_subalgoE8EsNS0_10empty_typeEbEEZZNS1_14partition_implILS5_8ELb0ES3_jN6thrust23THRUST_200600_302600_NS6detail15normal_iteratorINSA_10device_ptrIsEEEEPS6_PKS6_NS0_5tupleIJSF_S6_EEENSJ_IJSG_SG_EEENS0_18inequality_wrapperINSA_8equal_toIsEEEEPmJS6_EEE10hipError_tPvRmT3_T4_T5_T6_T7_T9_mT8_P12ihipStream_tbDpT10_ENKUlT_T0_E_clISt17integral_constantIbLb1EES1A_EEDaS15_S16_EUlS15_E_NS1_11comp_targetILNS1_3genE4ELNS1_11target_archE910ELNS1_3gpuE8ELNS1_3repE0EEENS1_30default_config_static_selectorELNS0_4arch9wavefront6targetE1EEEvT1_
	.p2align	8
	.type	_ZN7rocprim17ROCPRIM_400000_NS6detail17trampoline_kernelINS0_14default_configENS1_25partition_config_selectorILNS1_17partition_subalgoE8EsNS0_10empty_typeEbEEZZNS1_14partition_implILS5_8ELb0ES3_jN6thrust23THRUST_200600_302600_NS6detail15normal_iteratorINSA_10device_ptrIsEEEEPS6_PKS6_NS0_5tupleIJSF_S6_EEENSJ_IJSG_SG_EEENS0_18inequality_wrapperINSA_8equal_toIsEEEEPmJS6_EEE10hipError_tPvRmT3_T4_T5_T6_T7_T9_mT8_P12ihipStream_tbDpT10_ENKUlT_T0_E_clISt17integral_constantIbLb1EES1A_EEDaS15_S16_EUlS15_E_NS1_11comp_targetILNS1_3genE4ELNS1_11target_archE910ELNS1_3gpuE8ELNS1_3repE0EEENS1_30default_config_static_selectorELNS0_4arch9wavefront6targetE1EEEvT1_,@function
_ZN7rocprim17ROCPRIM_400000_NS6detail17trampoline_kernelINS0_14default_configENS1_25partition_config_selectorILNS1_17partition_subalgoE8EsNS0_10empty_typeEbEEZZNS1_14partition_implILS5_8ELb0ES3_jN6thrust23THRUST_200600_302600_NS6detail15normal_iteratorINSA_10device_ptrIsEEEEPS6_PKS6_NS0_5tupleIJSF_S6_EEENSJ_IJSG_SG_EEENS0_18inequality_wrapperINSA_8equal_toIsEEEEPmJS6_EEE10hipError_tPvRmT3_T4_T5_T6_T7_T9_mT8_P12ihipStream_tbDpT10_ENKUlT_T0_E_clISt17integral_constantIbLb1EES1A_EEDaS15_S16_EUlS15_E_NS1_11comp_targetILNS1_3genE4ELNS1_11target_archE910ELNS1_3gpuE8ELNS1_3repE0EEENS1_30default_config_static_selectorELNS0_4arch9wavefront6targetE1EEEvT1_: ; @_ZN7rocprim17ROCPRIM_400000_NS6detail17trampoline_kernelINS0_14default_configENS1_25partition_config_selectorILNS1_17partition_subalgoE8EsNS0_10empty_typeEbEEZZNS1_14partition_implILS5_8ELb0ES3_jN6thrust23THRUST_200600_302600_NS6detail15normal_iteratorINSA_10device_ptrIsEEEEPS6_PKS6_NS0_5tupleIJSF_S6_EEENSJ_IJSG_SG_EEENS0_18inequality_wrapperINSA_8equal_toIsEEEEPmJS6_EEE10hipError_tPvRmT3_T4_T5_T6_T7_T9_mT8_P12ihipStream_tbDpT10_ENKUlT_T0_E_clISt17integral_constantIbLb1EES1A_EEDaS15_S16_EUlS15_E_NS1_11comp_targetILNS1_3genE4ELNS1_11target_archE910ELNS1_3gpuE8ELNS1_3repE0EEENS1_30default_config_static_selectorELNS0_4arch9wavefront6targetE1EEEvT1_
; %bb.0:
	.section	.rodata,"a",@progbits
	.p2align	6, 0x0
	.amdhsa_kernel _ZN7rocprim17ROCPRIM_400000_NS6detail17trampoline_kernelINS0_14default_configENS1_25partition_config_selectorILNS1_17partition_subalgoE8EsNS0_10empty_typeEbEEZZNS1_14partition_implILS5_8ELb0ES3_jN6thrust23THRUST_200600_302600_NS6detail15normal_iteratorINSA_10device_ptrIsEEEEPS6_PKS6_NS0_5tupleIJSF_S6_EEENSJ_IJSG_SG_EEENS0_18inequality_wrapperINSA_8equal_toIsEEEEPmJS6_EEE10hipError_tPvRmT3_T4_T5_T6_T7_T9_mT8_P12ihipStream_tbDpT10_ENKUlT_T0_E_clISt17integral_constantIbLb1EES1A_EEDaS15_S16_EUlS15_E_NS1_11comp_targetILNS1_3genE4ELNS1_11target_archE910ELNS1_3gpuE8ELNS1_3repE0EEENS1_30default_config_static_selectorELNS0_4arch9wavefront6targetE1EEEvT1_
		.amdhsa_group_segment_fixed_size 0
		.amdhsa_private_segment_fixed_size 0
		.amdhsa_kernarg_size 128
		.amdhsa_user_sgpr_count 6
		.amdhsa_user_sgpr_private_segment_buffer 1
		.amdhsa_user_sgpr_dispatch_ptr 0
		.amdhsa_user_sgpr_queue_ptr 0
		.amdhsa_user_sgpr_kernarg_segment_ptr 1
		.amdhsa_user_sgpr_dispatch_id 0
		.amdhsa_user_sgpr_flat_scratch_init 0
		.amdhsa_user_sgpr_private_segment_size 0
		.amdhsa_uses_dynamic_stack 0
		.amdhsa_system_sgpr_private_segment_wavefront_offset 0
		.amdhsa_system_sgpr_workgroup_id_x 1
		.amdhsa_system_sgpr_workgroup_id_y 0
		.amdhsa_system_sgpr_workgroup_id_z 0
		.amdhsa_system_sgpr_workgroup_info 0
		.amdhsa_system_vgpr_workitem_id 0
		.amdhsa_next_free_vgpr 1
		.amdhsa_next_free_sgpr 0
		.amdhsa_reserve_vcc 0
		.amdhsa_reserve_flat_scratch 0
		.amdhsa_float_round_mode_32 0
		.amdhsa_float_round_mode_16_64 0
		.amdhsa_float_denorm_mode_32 3
		.amdhsa_float_denorm_mode_16_64 3
		.amdhsa_dx10_clamp 1
		.amdhsa_ieee_mode 1
		.amdhsa_fp16_overflow 0
		.amdhsa_exception_fp_ieee_invalid_op 0
		.amdhsa_exception_fp_denorm_src 0
		.amdhsa_exception_fp_ieee_div_zero 0
		.amdhsa_exception_fp_ieee_overflow 0
		.amdhsa_exception_fp_ieee_underflow 0
		.amdhsa_exception_fp_ieee_inexact 0
		.amdhsa_exception_int_div_zero 0
	.end_amdhsa_kernel
	.section	.text._ZN7rocprim17ROCPRIM_400000_NS6detail17trampoline_kernelINS0_14default_configENS1_25partition_config_selectorILNS1_17partition_subalgoE8EsNS0_10empty_typeEbEEZZNS1_14partition_implILS5_8ELb0ES3_jN6thrust23THRUST_200600_302600_NS6detail15normal_iteratorINSA_10device_ptrIsEEEEPS6_PKS6_NS0_5tupleIJSF_S6_EEENSJ_IJSG_SG_EEENS0_18inequality_wrapperINSA_8equal_toIsEEEEPmJS6_EEE10hipError_tPvRmT3_T4_T5_T6_T7_T9_mT8_P12ihipStream_tbDpT10_ENKUlT_T0_E_clISt17integral_constantIbLb1EES1A_EEDaS15_S16_EUlS15_E_NS1_11comp_targetILNS1_3genE4ELNS1_11target_archE910ELNS1_3gpuE8ELNS1_3repE0EEENS1_30default_config_static_selectorELNS0_4arch9wavefront6targetE1EEEvT1_,"axG",@progbits,_ZN7rocprim17ROCPRIM_400000_NS6detail17trampoline_kernelINS0_14default_configENS1_25partition_config_selectorILNS1_17partition_subalgoE8EsNS0_10empty_typeEbEEZZNS1_14partition_implILS5_8ELb0ES3_jN6thrust23THRUST_200600_302600_NS6detail15normal_iteratorINSA_10device_ptrIsEEEEPS6_PKS6_NS0_5tupleIJSF_S6_EEENSJ_IJSG_SG_EEENS0_18inequality_wrapperINSA_8equal_toIsEEEEPmJS6_EEE10hipError_tPvRmT3_T4_T5_T6_T7_T9_mT8_P12ihipStream_tbDpT10_ENKUlT_T0_E_clISt17integral_constantIbLb1EES1A_EEDaS15_S16_EUlS15_E_NS1_11comp_targetILNS1_3genE4ELNS1_11target_archE910ELNS1_3gpuE8ELNS1_3repE0EEENS1_30default_config_static_selectorELNS0_4arch9wavefront6targetE1EEEvT1_,comdat
.Lfunc_end479:
	.size	_ZN7rocprim17ROCPRIM_400000_NS6detail17trampoline_kernelINS0_14default_configENS1_25partition_config_selectorILNS1_17partition_subalgoE8EsNS0_10empty_typeEbEEZZNS1_14partition_implILS5_8ELb0ES3_jN6thrust23THRUST_200600_302600_NS6detail15normal_iteratorINSA_10device_ptrIsEEEEPS6_PKS6_NS0_5tupleIJSF_S6_EEENSJ_IJSG_SG_EEENS0_18inequality_wrapperINSA_8equal_toIsEEEEPmJS6_EEE10hipError_tPvRmT3_T4_T5_T6_T7_T9_mT8_P12ihipStream_tbDpT10_ENKUlT_T0_E_clISt17integral_constantIbLb1EES1A_EEDaS15_S16_EUlS15_E_NS1_11comp_targetILNS1_3genE4ELNS1_11target_archE910ELNS1_3gpuE8ELNS1_3repE0EEENS1_30default_config_static_selectorELNS0_4arch9wavefront6targetE1EEEvT1_, .Lfunc_end479-_ZN7rocprim17ROCPRIM_400000_NS6detail17trampoline_kernelINS0_14default_configENS1_25partition_config_selectorILNS1_17partition_subalgoE8EsNS0_10empty_typeEbEEZZNS1_14partition_implILS5_8ELb0ES3_jN6thrust23THRUST_200600_302600_NS6detail15normal_iteratorINSA_10device_ptrIsEEEEPS6_PKS6_NS0_5tupleIJSF_S6_EEENSJ_IJSG_SG_EEENS0_18inequality_wrapperINSA_8equal_toIsEEEEPmJS6_EEE10hipError_tPvRmT3_T4_T5_T6_T7_T9_mT8_P12ihipStream_tbDpT10_ENKUlT_T0_E_clISt17integral_constantIbLb1EES1A_EEDaS15_S16_EUlS15_E_NS1_11comp_targetILNS1_3genE4ELNS1_11target_archE910ELNS1_3gpuE8ELNS1_3repE0EEENS1_30default_config_static_selectorELNS0_4arch9wavefront6targetE1EEEvT1_
                                        ; -- End function
	.set _ZN7rocprim17ROCPRIM_400000_NS6detail17trampoline_kernelINS0_14default_configENS1_25partition_config_selectorILNS1_17partition_subalgoE8EsNS0_10empty_typeEbEEZZNS1_14partition_implILS5_8ELb0ES3_jN6thrust23THRUST_200600_302600_NS6detail15normal_iteratorINSA_10device_ptrIsEEEEPS6_PKS6_NS0_5tupleIJSF_S6_EEENSJ_IJSG_SG_EEENS0_18inequality_wrapperINSA_8equal_toIsEEEEPmJS6_EEE10hipError_tPvRmT3_T4_T5_T6_T7_T9_mT8_P12ihipStream_tbDpT10_ENKUlT_T0_E_clISt17integral_constantIbLb1EES1A_EEDaS15_S16_EUlS15_E_NS1_11comp_targetILNS1_3genE4ELNS1_11target_archE910ELNS1_3gpuE8ELNS1_3repE0EEENS1_30default_config_static_selectorELNS0_4arch9wavefront6targetE1EEEvT1_.num_vgpr, 0
	.set _ZN7rocprim17ROCPRIM_400000_NS6detail17trampoline_kernelINS0_14default_configENS1_25partition_config_selectorILNS1_17partition_subalgoE8EsNS0_10empty_typeEbEEZZNS1_14partition_implILS5_8ELb0ES3_jN6thrust23THRUST_200600_302600_NS6detail15normal_iteratorINSA_10device_ptrIsEEEEPS6_PKS6_NS0_5tupleIJSF_S6_EEENSJ_IJSG_SG_EEENS0_18inequality_wrapperINSA_8equal_toIsEEEEPmJS6_EEE10hipError_tPvRmT3_T4_T5_T6_T7_T9_mT8_P12ihipStream_tbDpT10_ENKUlT_T0_E_clISt17integral_constantIbLb1EES1A_EEDaS15_S16_EUlS15_E_NS1_11comp_targetILNS1_3genE4ELNS1_11target_archE910ELNS1_3gpuE8ELNS1_3repE0EEENS1_30default_config_static_selectorELNS0_4arch9wavefront6targetE1EEEvT1_.num_agpr, 0
	.set _ZN7rocprim17ROCPRIM_400000_NS6detail17trampoline_kernelINS0_14default_configENS1_25partition_config_selectorILNS1_17partition_subalgoE8EsNS0_10empty_typeEbEEZZNS1_14partition_implILS5_8ELb0ES3_jN6thrust23THRUST_200600_302600_NS6detail15normal_iteratorINSA_10device_ptrIsEEEEPS6_PKS6_NS0_5tupleIJSF_S6_EEENSJ_IJSG_SG_EEENS0_18inequality_wrapperINSA_8equal_toIsEEEEPmJS6_EEE10hipError_tPvRmT3_T4_T5_T6_T7_T9_mT8_P12ihipStream_tbDpT10_ENKUlT_T0_E_clISt17integral_constantIbLb1EES1A_EEDaS15_S16_EUlS15_E_NS1_11comp_targetILNS1_3genE4ELNS1_11target_archE910ELNS1_3gpuE8ELNS1_3repE0EEENS1_30default_config_static_selectorELNS0_4arch9wavefront6targetE1EEEvT1_.numbered_sgpr, 0
	.set _ZN7rocprim17ROCPRIM_400000_NS6detail17trampoline_kernelINS0_14default_configENS1_25partition_config_selectorILNS1_17partition_subalgoE8EsNS0_10empty_typeEbEEZZNS1_14partition_implILS5_8ELb0ES3_jN6thrust23THRUST_200600_302600_NS6detail15normal_iteratorINSA_10device_ptrIsEEEEPS6_PKS6_NS0_5tupleIJSF_S6_EEENSJ_IJSG_SG_EEENS0_18inequality_wrapperINSA_8equal_toIsEEEEPmJS6_EEE10hipError_tPvRmT3_T4_T5_T6_T7_T9_mT8_P12ihipStream_tbDpT10_ENKUlT_T0_E_clISt17integral_constantIbLb1EES1A_EEDaS15_S16_EUlS15_E_NS1_11comp_targetILNS1_3genE4ELNS1_11target_archE910ELNS1_3gpuE8ELNS1_3repE0EEENS1_30default_config_static_selectorELNS0_4arch9wavefront6targetE1EEEvT1_.num_named_barrier, 0
	.set _ZN7rocprim17ROCPRIM_400000_NS6detail17trampoline_kernelINS0_14default_configENS1_25partition_config_selectorILNS1_17partition_subalgoE8EsNS0_10empty_typeEbEEZZNS1_14partition_implILS5_8ELb0ES3_jN6thrust23THRUST_200600_302600_NS6detail15normal_iteratorINSA_10device_ptrIsEEEEPS6_PKS6_NS0_5tupleIJSF_S6_EEENSJ_IJSG_SG_EEENS0_18inequality_wrapperINSA_8equal_toIsEEEEPmJS6_EEE10hipError_tPvRmT3_T4_T5_T6_T7_T9_mT8_P12ihipStream_tbDpT10_ENKUlT_T0_E_clISt17integral_constantIbLb1EES1A_EEDaS15_S16_EUlS15_E_NS1_11comp_targetILNS1_3genE4ELNS1_11target_archE910ELNS1_3gpuE8ELNS1_3repE0EEENS1_30default_config_static_selectorELNS0_4arch9wavefront6targetE1EEEvT1_.private_seg_size, 0
	.set _ZN7rocprim17ROCPRIM_400000_NS6detail17trampoline_kernelINS0_14default_configENS1_25partition_config_selectorILNS1_17partition_subalgoE8EsNS0_10empty_typeEbEEZZNS1_14partition_implILS5_8ELb0ES3_jN6thrust23THRUST_200600_302600_NS6detail15normal_iteratorINSA_10device_ptrIsEEEEPS6_PKS6_NS0_5tupleIJSF_S6_EEENSJ_IJSG_SG_EEENS0_18inequality_wrapperINSA_8equal_toIsEEEEPmJS6_EEE10hipError_tPvRmT3_T4_T5_T6_T7_T9_mT8_P12ihipStream_tbDpT10_ENKUlT_T0_E_clISt17integral_constantIbLb1EES1A_EEDaS15_S16_EUlS15_E_NS1_11comp_targetILNS1_3genE4ELNS1_11target_archE910ELNS1_3gpuE8ELNS1_3repE0EEENS1_30default_config_static_selectorELNS0_4arch9wavefront6targetE1EEEvT1_.uses_vcc, 0
	.set _ZN7rocprim17ROCPRIM_400000_NS6detail17trampoline_kernelINS0_14default_configENS1_25partition_config_selectorILNS1_17partition_subalgoE8EsNS0_10empty_typeEbEEZZNS1_14partition_implILS5_8ELb0ES3_jN6thrust23THRUST_200600_302600_NS6detail15normal_iteratorINSA_10device_ptrIsEEEEPS6_PKS6_NS0_5tupleIJSF_S6_EEENSJ_IJSG_SG_EEENS0_18inequality_wrapperINSA_8equal_toIsEEEEPmJS6_EEE10hipError_tPvRmT3_T4_T5_T6_T7_T9_mT8_P12ihipStream_tbDpT10_ENKUlT_T0_E_clISt17integral_constantIbLb1EES1A_EEDaS15_S16_EUlS15_E_NS1_11comp_targetILNS1_3genE4ELNS1_11target_archE910ELNS1_3gpuE8ELNS1_3repE0EEENS1_30default_config_static_selectorELNS0_4arch9wavefront6targetE1EEEvT1_.uses_flat_scratch, 0
	.set _ZN7rocprim17ROCPRIM_400000_NS6detail17trampoline_kernelINS0_14default_configENS1_25partition_config_selectorILNS1_17partition_subalgoE8EsNS0_10empty_typeEbEEZZNS1_14partition_implILS5_8ELb0ES3_jN6thrust23THRUST_200600_302600_NS6detail15normal_iteratorINSA_10device_ptrIsEEEEPS6_PKS6_NS0_5tupleIJSF_S6_EEENSJ_IJSG_SG_EEENS0_18inequality_wrapperINSA_8equal_toIsEEEEPmJS6_EEE10hipError_tPvRmT3_T4_T5_T6_T7_T9_mT8_P12ihipStream_tbDpT10_ENKUlT_T0_E_clISt17integral_constantIbLb1EES1A_EEDaS15_S16_EUlS15_E_NS1_11comp_targetILNS1_3genE4ELNS1_11target_archE910ELNS1_3gpuE8ELNS1_3repE0EEENS1_30default_config_static_selectorELNS0_4arch9wavefront6targetE1EEEvT1_.has_dyn_sized_stack, 0
	.set _ZN7rocprim17ROCPRIM_400000_NS6detail17trampoline_kernelINS0_14default_configENS1_25partition_config_selectorILNS1_17partition_subalgoE8EsNS0_10empty_typeEbEEZZNS1_14partition_implILS5_8ELb0ES3_jN6thrust23THRUST_200600_302600_NS6detail15normal_iteratorINSA_10device_ptrIsEEEEPS6_PKS6_NS0_5tupleIJSF_S6_EEENSJ_IJSG_SG_EEENS0_18inequality_wrapperINSA_8equal_toIsEEEEPmJS6_EEE10hipError_tPvRmT3_T4_T5_T6_T7_T9_mT8_P12ihipStream_tbDpT10_ENKUlT_T0_E_clISt17integral_constantIbLb1EES1A_EEDaS15_S16_EUlS15_E_NS1_11comp_targetILNS1_3genE4ELNS1_11target_archE910ELNS1_3gpuE8ELNS1_3repE0EEENS1_30default_config_static_selectorELNS0_4arch9wavefront6targetE1EEEvT1_.has_recursion, 0
	.set _ZN7rocprim17ROCPRIM_400000_NS6detail17trampoline_kernelINS0_14default_configENS1_25partition_config_selectorILNS1_17partition_subalgoE8EsNS0_10empty_typeEbEEZZNS1_14partition_implILS5_8ELb0ES3_jN6thrust23THRUST_200600_302600_NS6detail15normal_iteratorINSA_10device_ptrIsEEEEPS6_PKS6_NS0_5tupleIJSF_S6_EEENSJ_IJSG_SG_EEENS0_18inequality_wrapperINSA_8equal_toIsEEEEPmJS6_EEE10hipError_tPvRmT3_T4_T5_T6_T7_T9_mT8_P12ihipStream_tbDpT10_ENKUlT_T0_E_clISt17integral_constantIbLb1EES1A_EEDaS15_S16_EUlS15_E_NS1_11comp_targetILNS1_3genE4ELNS1_11target_archE910ELNS1_3gpuE8ELNS1_3repE0EEENS1_30default_config_static_selectorELNS0_4arch9wavefront6targetE1EEEvT1_.has_indirect_call, 0
	.section	.AMDGPU.csdata,"",@progbits
; Kernel info:
; codeLenInByte = 0
; TotalNumSgprs: 4
; NumVgprs: 0
; ScratchSize: 0
; MemoryBound: 0
; FloatMode: 240
; IeeeMode: 1
; LDSByteSize: 0 bytes/workgroup (compile time only)
; SGPRBlocks: 0
; VGPRBlocks: 0
; NumSGPRsForWavesPerEU: 4
; NumVGPRsForWavesPerEU: 1
; Occupancy: 10
; WaveLimiterHint : 0
; COMPUTE_PGM_RSRC2:SCRATCH_EN: 0
; COMPUTE_PGM_RSRC2:USER_SGPR: 6
; COMPUTE_PGM_RSRC2:TRAP_HANDLER: 0
; COMPUTE_PGM_RSRC2:TGID_X_EN: 1
; COMPUTE_PGM_RSRC2:TGID_Y_EN: 0
; COMPUTE_PGM_RSRC2:TGID_Z_EN: 0
; COMPUTE_PGM_RSRC2:TIDIG_COMP_CNT: 0
	.section	.text._ZN7rocprim17ROCPRIM_400000_NS6detail17trampoline_kernelINS0_14default_configENS1_25partition_config_selectorILNS1_17partition_subalgoE8EsNS0_10empty_typeEbEEZZNS1_14partition_implILS5_8ELb0ES3_jN6thrust23THRUST_200600_302600_NS6detail15normal_iteratorINSA_10device_ptrIsEEEEPS6_PKS6_NS0_5tupleIJSF_S6_EEENSJ_IJSG_SG_EEENS0_18inequality_wrapperINSA_8equal_toIsEEEEPmJS6_EEE10hipError_tPvRmT3_T4_T5_T6_T7_T9_mT8_P12ihipStream_tbDpT10_ENKUlT_T0_E_clISt17integral_constantIbLb1EES1A_EEDaS15_S16_EUlS15_E_NS1_11comp_targetILNS1_3genE3ELNS1_11target_archE908ELNS1_3gpuE7ELNS1_3repE0EEENS1_30default_config_static_selectorELNS0_4arch9wavefront6targetE1EEEvT1_,"axG",@progbits,_ZN7rocprim17ROCPRIM_400000_NS6detail17trampoline_kernelINS0_14default_configENS1_25partition_config_selectorILNS1_17partition_subalgoE8EsNS0_10empty_typeEbEEZZNS1_14partition_implILS5_8ELb0ES3_jN6thrust23THRUST_200600_302600_NS6detail15normal_iteratorINSA_10device_ptrIsEEEEPS6_PKS6_NS0_5tupleIJSF_S6_EEENSJ_IJSG_SG_EEENS0_18inequality_wrapperINSA_8equal_toIsEEEEPmJS6_EEE10hipError_tPvRmT3_T4_T5_T6_T7_T9_mT8_P12ihipStream_tbDpT10_ENKUlT_T0_E_clISt17integral_constantIbLb1EES1A_EEDaS15_S16_EUlS15_E_NS1_11comp_targetILNS1_3genE3ELNS1_11target_archE908ELNS1_3gpuE7ELNS1_3repE0EEENS1_30default_config_static_selectorELNS0_4arch9wavefront6targetE1EEEvT1_,comdat
	.protected	_ZN7rocprim17ROCPRIM_400000_NS6detail17trampoline_kernelINS0_14default_configENS1_25partition_config_selectorILNS1_17partition_subalgoE8EsNS0_10empty_typeEbEEZZNS1_14partition_implILS5_8ELb0ES3_jN6thrust23THRUST_200600_302600_NS6detail15normal_iteratorINSA_10device_ptrIsEEEEPS6_PKS6_NS0_5tupleIJSF_S6_EEENSJ_IJSG_SG_EEENS0_18inequality_wrapperINSA_8equal_toIsEEEEPmJS6_EEE10hipError_tPvRmT3_T4_T5_T6_T7_T9_mT8_P12ihipStream_tbDpT10_ENKUlT_T0_E_clISt17integral_constantIbLb1EES1A_EEDaS15_S16_EUlS15_E_NS1_11comp_targetILNS1_3genE3ELNS1_11target_archE908ELNS1_3gpuE7ELNS1_3repE0EEENS1_30default_config_static_selectorELNS0_4arch9wavefront6targetE1EEEvT1_ ; -- Begin function _ZN7rocprim17ROCPRIM_400000_NS6detail17trampoline_kernelINS0_14default_configENS1_25partition_config_selectorILNS1_17partition_subalgoE8EsNS0_10empty_typeEbEEZZNS1_14partition_implILS5_8ELb0ES3_jN6thrust23THRUST_200600_302600_NS6detail15normal_iteratorINSA_10device_ptrIsEEEEPS6_PKS6_NS0_5tupleIJSF_S6_EEENSJ_IJSG_SG_EEENS0_18inequality_wrapperINSA_8equal_toIsEEEEPmJS6_EEE10hipError_tPvRmT3_T4_T5_T6_T7_T9_mT8_P12ihipStream_tbDpT10_ENKUlT_T0_E_clISt17integral_constantIbLb1EES1A_EEDaS15_S16_EUlS15_E_NS1_11comp_targetILNS1_3genE3ELNS1_11target_archE908ELNS1_3gpuE7ELNS1_3repE0EEENS1_30default_config_static_selectorELNS0_4arch9wavefront6targetE1EEEvT1_
	.globl	_ZN7rocprim17ROCPRIM_400000_NS6detail17trampoline_kernelINS0_14default_configENS1_25partition_config_selectorILNS1_17partition_subalgoE8EsNS0_10empty_typeEbEEZZNS1_14partition_implILS5_8ELb0ES3_jN6thrust23THRUST_200600_302600_NS6detail15normal_iteratorINSA_10device_ptrIsEEEEPS6_PKS6_NS0_5tupleIJSF_S6_EEENSJ_IJSG_SG_EEENS0_18inequality_wrapperINSA_8equal_toIsEEEEPmJS6_EEE10hipError_tPvRmT3_T4_T5_T6_T7_T9_mT8_P12ihipStream_tbDpT10_ENKUlT_T0_E_clISt17integral_constantIbLb1EES1A_EEDaS15_S16_EUlS15_E_NS1_11comp_targetILNS1_3genE3ELNS1_11target_archE908ELNS1_3gpuE7ELNS1_3repE0EEENS1_30default_config_static_selectorELNS0_4arch9wavefront6targetE1EEEvT1_
	.p2align	8
	.type	_ZN7rocprim17ROCPRIM_400000_NS6detail17trampoline_kernelINS0_14default_configENS1_25partition_config_selectorILNS1_17partition_subalgoE8EsNS0_10empty_typeEbEEZZNS1_14partition_implILS5_8ELb0ES3_jN6thrust23THRUST_200600_302600_NS6detail15normal_iteratorINSA_10device_ptrIsEEEEPS6_PKS6_NS0_5tupleIJSF_S6_EEENSJ_IJSG_SG_EEENS0_18inequality_wrapperINSA_8equal_toIsEEEEPmJS6_EEE10hipError_tPvRmT3_T4_T5_T6_T7_T9_mT8_P12ihipStream_tbDpT10_ENKUlT_T0_E_clISt17integral_constantIbLb1EES1A_EEDaS15_S16_EUlS15_E_NS1_11comp_targetILNS1_3genE3ELNS1_11target_archE908ELNS1_3gpuE7ELNS1_3repE0EEENS1_30default_config_static_selectorELNS0_4arch9wavefront6targetE1EEEvT1_,@function
_ZN7rocprim17ROCPRIM_400000_NS6detail17trampoline_kernelINS0_14default_configENS1_25partition_config_selectorILNS1_17partition_subalgoE8EsNS0_10empty_typeEbEEZZNS1_14partition_implILS5_8ELb0ES3_jN6thrust23THRUST_200600_302600_NS6detail15normal_iteratorINSA_10device_ptrIsEEEEPS6_PKS6_NS0_5tupleIJSF_S6_EEENSJ_IJSG_SG_EEENS0_18inequality_wrapperINSA_8equal_toIsEEEEPmJS6_EEE10hipError_tPvRmT3_T4_T5_T6_T7_T9_mT8_P12ihipStream_tbDpT10_ENKUlT_T0_E_clISt17integral_constantIbLb1EES1A_EEDaS15_S16_EUlS15_E_NS1_11comp_targetILNS1_3genE3ELNS1_11target_archE908ELNS1_3gpuE7ELNS1_3repE0EEENS1_30default_config_static_selectorELNS0_4arch9wavefront6targetE1EEEvT1_: ; @_ZN7rocprim17ROCPRIM_400000_NS6detail17trampoline_kernelINS0_14default_configENS1_25partition_config_selectorILNS1_17partition_subalgoE8EsNS0_10empty_typeEbEEZZNS1_14partition_implILS5_8ELb0ES3_jN6thrust23THRUST_200600_302600_NS6detail15normal_iteratorINSA_10device_ptrIsEEEEPS6_PKS6_NS0_5tupleIJSF_S6_EEENSJ_IJSG_SG_EEENS0_18inequality_wrapperINSA_8equal_toIsEEEEPmJS6_EEE10hipError_tPvRmT3_T4_T5_T6_T7_T9_mT8_P12ihipStream_tbDpT10_ENKUlT_T0_E_clISt17integral_constantIbLb1EES1A_EEDaS15_S16_EUlS15_E_NS1_11comp_targetILNS1_3genE3ELNS1_11target_archE908ELNS1_3gpuE7ELNS1_3repE0EEENS1_30default_config_static_selectorELNS0_4arch9wavefront6targetE1EEEvT1_
; %bb.0:
	.section	.rodata,"a",@progbits
	.p2align	6, 0x0
	.amdhsa_kernel _ZN7rocprim17ROCPRIM_400000_NS6detail17trampoline_kernelINS0_14default_configENS1_25partition_config_selectorILNS1_17partition_subalgoE8EsNS0_10empty_typeEbEEZZNS1_14partition_implILS5_8ELb0ES3_jN6thrust23THRUST_200600_302600_NS6detail15normal_iteratorINSA_10device_ptrIsEEEEPS6_PKS6_NS0_5tupleIJSF_S6_EEENSJ_IJSG_SG_EEENS0_18inequality_wrapperINSA_8equal_toIsEEEEPmJS6_EEE10hipError_tPvRmT3_T4_T5_T6_T7_T9_mT8_P12ihipStream_tbDpT10_ENKUlT_T0_E_clISt17integral_constantIbLb1EES1A_EEDaS15_S16_EUlS15_E_NS1_11comp_targetILNS1_3genE3ELNS1_11target_archE908ELNS1_3gpuE7ELNS1_3repE0EEENS1_30default_config_static_selectorELNS0_4arch9wavefront6targetE1EEEvT1_
		.amdhsa_group_segment_fixed_size 0
		.amdhsa_private_segment_fixed_size 0
		.amdhsa_kernarg_size 128
		.amdhsa_user_sgpr_count 6
		.amdhsa_user_sgpr_private_segment_buffer 1
		.amdhsa_user_sgpr_dispatch_ptr 0
		.amdhsa_user_sgpr_queue_ptr 0
		.amdhsa_user_sgpr_kernarg_segment_ptr 1
		.amdhsa_user_sgpr_dispatch_id 0
		.amdhsa_user_sgpr_flat_scratch_init 0
		.amdhsa_user_sgpr_private_segment_size 0
		.amdhsa_uses_dynamic_stack 0
		.amdhsa_system_sgpr_private_segment_wavefront_offset 0
		.amdhsa_system_sgpr_workgroup_id_x 1
		.amdhsa_system_sgpr_workgroup_id_y 0
		.amdhsa_system_sgpr_workgroup_id_z 0
		.amdhsa_system_sgpr_workgroup_info 0
		.amdhsa_system_vgpr_workitem_id 0
		.amdhsa_next_free_vgpr 1
		.amdhsa_next_free_sgpr 0
		.amdhsa_reserve_vcc 0
		.amdhsa_reserve_flat_scratch 0
		.amdhsa_float_round_mode_32 0
		.amdhsa_float_round_mode_16_64 0
		.amdhsa_float_denorm_mode_32 3
		.amdhsa_float_denorm_mode_16_64 3
		.amdhsa_dx10_clamp 1
		.amdhsa_ieee_mode 1
		.amdhsa_fp16_overflow 0
		.amdhsa_exception_fp_ieee_invalid_op 0
		.amdhsa_exception_fp_denorm_src 0
		.amdhsa_exception_fp_ieee_div_zero 0
		.amdhsa_exception_fp_ieee_overflow 0
		.amdhsa_exception_fp_ieee_underflow 0
		.amdhsa_exception_fp_ieee_inexact 0
		.amdhsa_exception_int_div_zero 0
	.end_amdhsa_kernel
	.section	.text._ZN7rocprim17ROCPRIM_400000_NS6detail17trampoline_kernelINS0_14default_configENS1_25partition_config_selectorILNS1_17partition_subalgoE8EsNS0_10empty_typeEbEEZZNS1_14partition_implILS5_8ELb0ES3_jN6thrust23THRUST_200600_302600_NS6detail15normal_iteratorINSA_10device_ptrIsEEEEPS6_PKS6_NS0_5tupleIJSF_S6_EEENSJ_IJSG_SG_EEENS0_18inequality_wrapperINSA_8equal_toIsEEEEPmJS6_EEE10hipError_tPvRmT3_T4_T5_T6_T7_T9_mT8_P12ihipStream_tbDpT10_ENKUlT_T0_E_clISt17integral_constantIbLb1EES1A_EEDaS15_S16_EUlS15_E_NS1_11comp_targetILNS1_3genE3ELNS1_11target_archE908ELNS1_3gpuE7ELNS1_3repE0EEENS1_30default_config_static_selectorELNS0_4arch9wavefront6targetE1EEEvT1_,"axG",@progbits,_ZN7rocprim17ROCPRIM_400000_NS6detail17trampoline_kernelINS0_14default_configENS1_25partition_config_selectorILNS1_17partition_subalgoE8EsNS0_10empty_typeEbEEZZNS1_14partition_implILS5_8ELb0ES3_jN6thrust23THRUST_200600_302600_NS6detail15normal_iteratorINSA_10device_ptrIsEEEEPS6_PKS6_NS0_5tupleIJSF_S6_EEENSJ_IJSG_SG_EEENS0_18inequality_wrapperINSA_8equal_toIsEEEEPmJS6_EEE10hipError_tPvRmT3_T4_T5_T6_T7_T9_mT8_P12ihipStream_tbDpT10_ENKUlT_T0_E_clISt17integral_constantIbLb1EES1A_EEDaS15_S16_EUlS15_E_NS1_11comp_targetILNS1_3genE3ELNS1_11target_archE908ELNS1_3gpuE7ELNS1_3repE0EEENS1_30default_config_static_selectorELNS0_4arch9wavefront6targetE1EEEvT1_,comdat
.Lfunc_end480:
	.size	_ZN7rocprim17ROCPRIM_400000_NS6detail17trampoline_kernelINS0_14default_configENS1_25partition_config_selectorILNS1_17partition_subalgoE8EsNS0_10empty_typeEbEEZZNS1_14partition_implILS5_8ELb0ES3_jN6thrust23THRUST_200600_302600_NS6detail15normal_iteratorINSA_10device_ptrIsEEEEPS6_PKS6_NS0_5tupleIJSF_S6_EEENSJ_IJSG_SG_EEENS0_18inequality_wrapperINSA_8equal_toIsEEEEPmJS6_EEE10hipError_tPvRmT3_T4_T5_T6_T7_T9_mT8_P12ihipStream_tbDpT10_ENKUlT_T0_E_clISt17integral_constantIbLb1EES1A_EEDaS15_S16_EUlS15_E_NS1_11comp_targetILNS1_3genE3ELNS1_11target_archE908ELNS1_3gpuE7ELNS1_3repE0EEENS1_30default_config_static_selectorELNS0_4arch9wavefront6targetE1EEEvT1_, .Lfunc_end480-_ZN7rocprim17ROCPRIM_400000_NS6detail17trampoline_kernelINS0_14default_configENS1_25partition_config_selectorILNS1_17partition_subalgoE8EsNS0_10empty_typeEbEEZZNS1_14partition_implILS5_8ELb0ES3_jN6thrust23THRUST_200600_302600_NS6detail15normal_iteratorINSA_10device_ptrIsEEEEPS6_PKS6_NS0_5tupleIJSF_S6_EEENSJ_IJSG_SG_EEENS0_18inequality_wrapperINSA_8equal_toIsEEEEPmJS6_EEE10hipError_tPvRmT3_T4_T5_T6_T7_T9_mT8_P12ihipStream_tbDpT10_ENKUlT_T0_E_clISt17integral_constantIbLb1EES1A_EEDaS15_S16_EUlS15_E_NS1_11comp_targetILNS1_3genE3ELNS1_11target_archE908ELNS1_3gpuE7ELNS1_3repE0EEENS1_30default_config_static_selectorELNS0_4arch9wavefront6targetE1EEEvT1_
                                        ; -- End function
	.set _ZN7rocprim17ROCPRIM_400000_NS6detail17trampoline_kernelINS0_14default_configENS1_25partition_config_selectorILNS1_17partition_subalgoE8EsNS0_10empty_typeEbEEZZNS1_14partition_implILS5_8ELb0ES3_jN6thrust23THRUST_200600_302600_NS6detail15normal_iteratorINSA_10device_ptrIsEEEEPS6_PKS6_NS0_5tupleIJSF_S6_EEENSJ_IJSG_SG_EEENS0_18inequality_wrapperINSA_8equal_toIsEEEEPmJS6_EEE10hipError_tPvRmT3_T4_T5_T6_T7_T9_mT8_P12ihipStream_tbDpT10_ENKUlT_T0_E_clISt17integral_constantIbLb1EES1A_EEDaS15_S16_EUlS15_E_NS1_11comp_targetILNS1_3genE3ELNS1_11target_archE908ELNS1_3gpuE7ELNS1_3repE0EEENS1_30default_config_static_selectorELNS0_4arch9wavefront6targetE1EEEvT1_.num_vgpr, 0
	.set _ZN7rocprim17ROCPRIM_400000_NS6detail17trampoline_kernelINS0_14default_configENS1_25partition_config_selectorILNS1_17partition_subalgoE8EsNS0_10empty_typeEbEEZZNS1_14partition_implILS5_8ELb0ES3_jN6thrust23THRUST_200600_302600_NS6detail15normal_iteratorINSA_10device_ptrIsEEEEPS6_PKS6_NS0_5tupleIJSF_S6_EEENSJ_IJSG_SG_EEENS0_18inequality_wrapperINSA_8equal_toIsEEEEPmJS6_EEE10hipError_tPvRmT3_T4_T5_T6_T7_T9_mT8_P12ihipStream_tbDpT10_ENKUlT_T0_E_clISt17integral_constantIbLb1EES1A_EEDaS15_S16_EUlS15_E_NS1_11comp_targetILNS1_3genE3ELNS1_11target_archE908ELNS1_3gpuE7ELNS1_3repE0EEENS1_30default_config_static_selectorELNS0_4arch9wavefront6targetE1EEEvT1_.num_agpr, 0
	.set _ZN7rocprim17ROCPRIM_400000_NS6detail17trampoline_kernelINS0_14default_configENS1_25partition_config_selectorILNS1_17partition_subalgoE8EsNS0_10empty_typeEbEEZZNS1_14partition_implILS5_8ELb0ES3_jN6thrust23THRUST_200600_302600_NS6detail15normal_iteratorINSA_10device_ptrIsEEEEPS6_PKS6_NS0_5tupleIJSF_S6_EEENSJ_IJSG_SG_EEENS0_18inequality_wrapperINSA_8equal_toIsEEEEPmJS6_EEE10hipError_tPvRmT3_T4_T5_T6_T7_T9_mT8_P12ihipStream_tbDpT10_ENKUlT_T0_E_clISt17integral_constantIbLb1EES1A_EEDaS15_S16_EUlS15_E_NS1_11comp_targetILNS1_3genE3ELNS1_11target_archE908ELNS1_3gpuE7ELNS1_3repE0EEENS1_30default_config_static_selectorELNS0_4arch9wavefront6targetE1EEEvT1_.numbered_sgpr, 0
	.set _ZN7rocprim17ROCPRIM_400000_NS6detail17trampoline_kernelINS0_14default_configENS1_25partition_config_selectorILNS1_17partition_subalgoE8EsNS0_10empty_typeEbEEZZNS1_14partition_implILS5_8ELb0ES3_jN6thrust23THRUST_200600_302600_NS6detail15normal_iteratorINSA_10device_ptrIsEEEEPS6_PKS6_NS0_5tupleIJSF_S6_EEENSJ_IJSG_SG_EEENS0_18inequality_wrapperINSA_8equal_toIsEEEEPmJS6_EEE10hipError_tPvRmT3_T4_T5_T6_T7_T9_mT8_P12ihipStream_tbDpT10_ENKUlT_T0_E_clISt17integral_constantIbLb1EES1A_EEDaS15_S16_EUlS15_E_NS1_11comp_targetILNS1_3genE3ELNS1_11target_archE908ELNS1_3gpuE7ELNS1_3repE0EEENS1_30default_config_static_selectorELNS0_4arch9wavefront6targetE1EEEvT1_.num_named_barrier, 0
	.set _ZN7rocprim17ROCPRIM_400000_NS6detail17trampoline_kernelINS0_14default_configENS1_25partition_config_selectorILNS1_17partition_subalgoE8EsNS0_10empty_typeEbEEZZNS1_14partition_implILS5_8ELb0ES3_jN6thrust23THRUST_200600_302600_NS6detail15normal_iteratorINSA_10device_ptrIsEEEEPS6_PKS6_NS0_5tupleIJSF_S6_EEENSJ_IJSG_SG_EEENS0_18inequality_wrapperINSA_8equal_toIsEEEEPmJS6_EEE10hipError_tPvRmT3_T4_T5_T6_T7_T9_mT8_P12ihipStream_tbDpT10_ENKUlT_T0_E_clISt17integral_constantIbLb1EES1A_EEDaS15_S16_EUlS15_E_NS1_11comp_targetILNS1_3genE3ELNS1_11target_archE908ELNS1_3gpuE7ELNS1_3repE0EEENS1_30default_config_static_selectorELNS0_4arch9wavefront6targetE1EEEvT1_.private_seg_size, 0
	.set _ZN7rocprim17ROCPRIM_400000_NS6detail17trampoline_kernelINS0_14default_configENS1_25partition_config_selectorILNS1_17partition_subalgoE8EsNS0_10empty_typeEbEEZZNS1_14partition_implILS5_8ELb0ES3_jN6thrust23THRUST_200600_302600_NS6detail15normal_iteratorINSA_10device_ptrIsEEEEPS6_PKS6_NS0_5tupleIJSF_S6_EEENSJ_IJSG_SG_EEENS0_18inequality_wrapperINSA_8equal_toIsEEEEPmJS6_EEE10hipError_tPvRmT3_T4_T5_T6_T7_T9_mT8_P12ihipStream_tbDpT10_ENKUlT_T0_E_clISt17integral_constantIbLb1EES1A_EEDaS15_S16_EUlS15_E_NS1_11comp_targetILNS1_3genE3ELNS1_11target_archE908ELNS1_3gpuE7ELNS1_3repE0EEENS1_30default_config_static_selectorELNS0_4arch9wavefront6targetE1EEEvT1_.uses_vcc, 0
	.set _ZN7rocprim17ROCPRIM_400000_NS6detail17trampoline_kernelINS0_14default_configENS1_25partition_config_selectorILNS1_17partition_subalgoE8EsNS0_10empty_typeEbEEZZNS1_14partition_implILS5_8ELb0ES3_jN6thrust23THRUST_200600_302600_NS6detail15normal_iteratorINSA_10device_ptrIsEEEEPS6_PKS6_NS0_5tupleIJSF_S6_EEENSJ_IJSG_SG_EEENS0_18inequality_wrapperINSA_8equal_toIsEEEEPmJS6_EEE10hipError_tPvRmT3_T4_T5_T6_T7_T9_mT8_P12ihipStream_tbDpT10_ENKUlT_T0_E_clISt17integral_constantIbLb1EES1A_EEDaS15_S16_EUlS15_E_NS1_11comp_targetILNS1_3genE3ELNS1_11target_archE908ELNS1_3gpuE7ELNS1_3repE0EEENS1_30default_config_static_selectorELNS0_4arch9wavefront6targetE1EEEvT1_.uses_flat_scratch, 0
	.set _ZN7rocprim17ROCPRIM_400000_NS6detail17trampoline_kernelINS0_14default_configENS1_25partition_config_selectorILNS1_17partition_subalgoE8EsNS0_10empty_typeEbEEZZNS1_14partition_implILS5_8ELb0ES3_jN6thrust23THRUST_200600_302600_NS6detail15normal_iteratorINSA_10device_ptrIsEEEEPS6_PKS6_NS0_5tupleIJSF_S6_EEENSJ_IJSG_SG_EEENS0_18inequality_wrapperINSA_8equal_toIsEEEEPmJS6_EEE10hipError_tPvRmT3_T4_T5_T6_T7_T9_mT8_P12ihipStream_tbDpT10_ENKUlT_T0_E_clISt17integral_constantIbLb1EES1A_EEDaS15_S16_EUlS15_E_NS1_11comp_targetILNS1_3genE3ELNS1_11target_archE908ELNS1_3gpuE7ELNS1_3repE0EEENS1_30default_config_static_selectorELNS0_4arch9wavefront6targetE1EEEvT1_.has_dyn_sized_stack, 0
	.set _ZN7rocprim17ROCPRIM_400000_NS6detail17trampoline_kernelINS0_14default_configENS1_25partition_config_selectorILNS1_17partition_subalgoE8EsNS0_10empty_typeEbEEZZNS1_14partition_implILS5_8ELb0ES3_jN6thrust23THRUST_200600_302600_NS6detail15normal_iteratorINSA_10device_ptrIsEEEEPS6_PKS6_NS0_5tupleIJSF_S6_EEENSJ_IJSG_SG_EEENS0_18inequality_wrapperINSA_8equal_toIsEEEEPmJS6_EEE10hipError_tPvRmT3_T4_T5_T6_T7_T9_mT8_P12ihipStream_tbDpT10_ENKUlT_T0_E_clISt17integral_constantIbLb1EES1A_EEDaS15_S16_EUlS15_E_NS1_11comp_targetILNS1_3genE3ELNS1_11target_archE908ELNS1_3gpuE7ELNS1_3repE0EEENS1_30default_config_static_selectorELNS0_4arch9wavefront6targetE1EEEvT1_.has_recursion, 0
	.set _ZN7rocprim17ROCPRIM_400000_NS6detail17trampoline_kernelINS0_14default_configENS1_25partition_config_selectorILNS1_17partition_subalgoE8EsNS0_10empty_typeEbEEZZNS1_14partition_implILS5_8ELb0ES3_jN6thrust23THRUST_200600_302600_NS6detail15normal_iteratorINSA_10device_ptrIsEEEEPS6_PKS6_NS0_5tupleIJSF_S6_EEENSJ_IJSG_SG_EEENS0_18inequality_wrapperINSA_8equal_toIsEEEEPmJS6_EEE10hipError_tPvRmT3_T4_T5_T6_T7_T9_mT8_P12ihipStream_tbDpT10_ENKUlT_T0_E_clISt17integral_constantIbLb1EES1A_EEDaS15_S16_EUlS15_E_NS1_11comp_targetILNS1_3genE3ELNS1_11target_archE908ELNS1_3gpuE7ELNS1_3repE0EEENS1_30default_config_static_selectorELNS0_4arch9wavefront6targetE1EEEvT1_.has_indirect_call, 0
	.section	.AMDGPU.csdata,"",@progbits
; Kernel info:
; codeLenInByte = 0
; TotalNumSgprs: 4
; NumVgprs: 0
; ScratchSize: 0
; MemoryBound: 0
; FloatMode: 240
; IeeeMode: 1
; LDSByteSize: 0 bytes/workgroup (compile time only)
; SGPRBlocks: 0
; VGPRBlocks: 0
; NumSGPRsForWavesPerEU: 4
; NumVGPRsForWavesPerEU: 1
; Occupancy: 10
; WaveLimiterHint : 0
; COMPUTE_PGM_RSRC2:SCRATCH_EN: 0
; COMPUTE_PGM_RSRC2:USER_SGPR: 6
; COMPUTE_PGM_RSRC2:TRAP_HANDLER: 0
; COMPUTE_PGM_RSRC2:TGID_X_EN: 1
; COMPUTE_PGM_RSRC2:TGID_Y_EN: 0
; COMPUTE_PGM_RSRC2:TGID_Z_EN: 0
; COMPUTE_PGM_RSRC2:TIDIG_COMP_CNT: 0
	.section	.text._ZN7rocprim17ROCPRIM_400000_NS6detail17trampoline_kernelINS0_14default_configENS1_25partition_config_selectorILNS1_17partition_subalgoE8EsNS0_10empty_typeEbEEZZNS1_14partition_implILS5_8ELb0ES3_jN6thrust23THRUST_200600_302600_NS6detail15normal_iteratorINSA_10device_ptrIsEEEEPS6_PKS6_NS0_5tupleIJSF_S6_EEENSJ_IJSG_SG_EEENS0_18inequality_wrapperINSA_8equal_toIsEEEEPmJS6_EEE10hipError_tPvRmT3_T4_T5_T6_T7_T9_mT8_P12ihipStream_tbDpT10_ENKUlT_T0_E_clISt17integral_constantIbLb1EES1A_EEDaS15_S16_EUlS15_E_NS1_11comp_targetILNS1_3genE2ELNS1_11target_archE906ELNS1_3gpuE6ELNS1_3repE0EEENS1_30default_config_static_selectorELNS0_4arch9wavefront6targetE1EEEvT1_,"axG",@progbits,_ZN7rocprim17ROCPRIM_400000_NS6detail17trampoline_kernelINS0_14default_configENS1_25partition_config_selectorILNS1_17partition_subalgoE8EsNS0_10empty_typeEbEEZZNS1_14partition_implILS5_8ELb0ES3_jN6thrust23THRUST_200600_302600_NS6detail15normal_iteratorINSA_10device_ptrIsEEEEPS6_PKS6_NS0_5tupleIJSF_S6_EEENSJ_IJSG_SG_EEENS0_18inequality_wrapperINSA_8equal_toIsEEEEPmJS6_EEE10hipError_tPvRmT3_T4_T5_T6_T7_T9_mT8_P12ihipStream_tbDpT10_ENKUlT_T0_E_clISt17integral_constantIbLb1EES1A_EEDaS15_S16_EUlS15_E_NS1_11comp_targetILNS1_3genE2ELNS1_11target_archE906ELNS1_3gpuE6ELNS1_3repE0EEENS1_30default_config_static_selectorELNS0_4arch9wavefront6targetE1EEEvT1_,comdat
	.protected	_ZN7rocprim17ROCPRIM_400000_NS6detail17trampoline_kernelINS0_14default_configENS1_25partition_config_selectorILNS1_17partition_subalgoE8EsNS0_10empty_typeEbEEZZNS1_14partition_implILS5_8ELb0ES3_jN6thrust23THRUST_200600_302600_NS6detail15normal_iteratorINSA_10device_ptrIsEEEEPS6_PKS6_NS0_5tupleIJSF_S6_EEENSJ_IJSG_SG_EEENS0_18inequality_wrapperINSA_8equal_toIsEEEEPmJS6_EEE10hipError_tPvRmT3_T4_T5_T6_T7_T9_mT8_P12ihipStream_tbDpT10_ENKUlT_T0_E_clISt17integral_constantIbLb1EES1A_EEDaS15_S16_EUlS15_E_NS1_11comp_targetILNS1_3genE2ELNS1_11target_archE906ELNS1_3gpuE6ELNS1_3repE0EEENS1_30default_config_static_selectorELNS0_4arch9wavefront6targetE1EEEvT1_ ; -- Begin function _ZN7rocprim17ROCPRIM_400000_NS6detail17trampoline_kernelINS0_14default_configENS1_25partition_config_selectorILNS1_17partition_subalgoE8EsNS0_10empty_typeEbEEZZNS1_14partition_implILS5_8ELb0ES3_jN6thrust23THRUST_200600_302600_NS6detail15normal_iteratorINSA_10device_ptrIsEEEEPS6_PKS6_NS0_5tupleIJSF_S6_EEENSJ_IJSG_SG_EEENS0_18inequality_wrapperINSA_8equal_toIsEEEEPmJS6_EEE10hipError_tPvRmT3_T4_T5_T6_T7_T9_mT8_P12ihipStream_tbDpT10_ENKUlT_T0_E_clISt17integral_constantIbLb1EES1A_EEDaS15_S16_EUlS15_E_NS1_11comp_targetILNS1_3genE2ELNS1_11target_archE906ELNS1_3gpuE6ELNS1_3repE0EEENS1_30default_config_static_selectorELNS0_4arch9wavefront6targetE1EEEvT1_
	.globl	_ZN7rocprim17ROCPRIM_400000_NS6detail17trampoline_kernelINS0_14default_configENS1_25partition_config_selectorILNS1_17partition_subalgoE8EsNS0_10empty_typeEbEEZZNS1_14partition_implILS5_8ELb0ES3_jN6thrust23THRUST_200600_302600_NS6detail15normal_iteratorINSA_10device_ptrIsEEEEPS6_PKS6_NS0_5tupleIJSF_S6_EEENSJ_IJSG_SG_EEENS0_18inequality_wrapperINSA_8equal_toIsEEEEPmJS6_EEE10hipError_tPvRmT3_T4_T5_T6_T7_T9_mT8_P12ihipStream_tbDpT10_ENKUlT_T0_E_clISt17integral_constantIbLb1EES1A_EEDaS15_S16_EUlS15_E_NS1_11comp_targetILNS1_3genE2ELNS1_11target_archE906ELNS1_3gpuE6ELNS1_3repE0EEENS1_30default_config_static_selectorELNS0_4arch9wavefront6targetE1EEEvT1_
	.p2align	8
	.type	_ZN7rocprim17ROCPRIM_400000_NS6detail17trampoline_kernelINS0_14default_configENS1_25partition_config_selectorILNS1_17partition_subalgoE8EsNS0_10empty_typeEbEEZZNS1_14partition_implILS5_8ELb0ES3_jN6thrust23THRUST_200600_302600_NS6detail15normal_iteratorINSA_10device_ptrIsEEEEPS6_PKS6_NS0_5tupleIJSF_S6_EEENSJ_IJSG_SG_EEENS0_18inequality_wrapperINSA_8equal_toIsEEEEPmJS6_EEE10hipError_tPvRmT3_T4_T5_T6_T7_T9_mT8_P12ihipStream_tbDpT10_ENKUlT_T0_E_clISt17integral_constantIbLb1EES1A_EEDaS15_S16_EUlS15_E_NS1_11comp_targetILNS1_3genE2ELNS1_11target_archE906ELNS1_3gpuE6ELNS1_3repE0EEENS1_30default_config_static_selectorELNS0_4arch9wavefront6targetE1EEEvT1_,@function
_ZN7rocprim17ROCPRIM_400000_NS6detail17trampoline_kernelINS0_14default_configENS1_25partition_config_selectorILNS1_17partition_subalgoE8EsNS0_10empty_typeEbEEZZNS1_14partition_implILS5_8ELb0ES3_jN6thrust23THRUST_200600_302600_NS6detail15normal_iteratorINSA_10device_ptrIsEEEEPS6_PKS6_NS0_5tupleIJSF_S6_EEENSJ_IJSG_SG_EEENS0_18inequality_wrapperINSA_8equal_toIsEEEEPmJS6_EEE10hipError_tPvRmT3_T4_T5_T6_T7_T9_mT8_P12ihipStream_tbDpT10_ENKUlT_T0_E_clISt17integral_constantIbLb1EES1A_EEDaS15_S16_EUlS15_E_NS1_11comp_targetILNS1_3genE2ELNS1_11target_archE906ELNS1_3gpuE6ELNS1_3repE0EEENS1_30default_config_static_selectorELNS0_4arch9wavefront6targetE1EEEvT1_: ; @_ZN7rocprim17ROCPRIM_400000_NS6detail17trampoline_kernelINS0_14default_configENS1_25partition_config_selectorILNS1_17partition_subalgoE8EsNS0_10empty_typeEbEEZZNS1_14partition_implILS5_8ELb0ES3_jN6thrust23THRUST_200600_302600_NS6detail15normal_iteratorINSA_10device_ptrIsEEEEPS6_PKS6_NS0_5tupleIJSF_S6_EEENSJ_IJSG_SG_EEENS0_18inequality_wrapperINSA_8equal_toIsEEEEPmJS6_EEE10hipError_tPvRmT3_T4_T5_T6_T7_T9_mT8_P12ihipStream_tbDpT10_ENKUlT_T0_E_clISt17integral_constantIbLb1EES1A_EEDaS15_S16_EUlS15_E_NS1_11comp_targetILNS1_3genE2ELNS1_11target_archE906ELNS1_3gpuE6ELNS1_3repE0EEENS1_30default_config_static_selectorELNS0_4arch9wavefront6targetE1EEEvT1_
; %bb.0:
	s_endpgm
	.section	.rodata,"a",@progbits
	.p2align	6, 0x0
	.amdhsa_kernel _ZN7rocprim17ROCPRIM_400000_NS6detail17trampoline_kernelINS0_14default_configENS1_25partition_config_selectorILNS1_17partition_subalgoE8EsNS0_10empty_typeEbEEZZNS1_14partition_implILS5_8ELb0ES3_jN6thrust23THRUST_200600_302600_NS6detail15normal_iteratorINSA_10device_ptrIsEEEEPS6_PKS6_NS0_5tupleIJSF_S6_EEENSJ_IJSG_SG_EEENS0_18inequality_wrapperINSA_8equal_toIsEEEEPmJS6_EEE10hipError_tPvRmT3_T4_T5_T6_T7_T9_mT8_P12ihipStream_tbDpT10_ENKUlT_T0_E_clISt17integral_constantIbLb1EES1A_EEDaS15_S16_EUlS15_E_NS1_11comp_targetILNS1_3genE2ELNS1_11target_archE906ELNS1_3gpuE6ELNS1_3repE0EEENS1_30default_config_static_selectorELNS0_4arch9wavefront6targetE1EEEvT1_
		.amdhsa_group_segment_fixed_size 0
		.amdhsa_private_segment_fixed_size 0
		.amdhsa_kernarg_size 128
		.amdhsa_user_sgpr_count 6
		.amdhsa_user_sgpr_private_segment_buffer 1
		.amdhsa_user_sgpr_dispatch_ptr 0
		.amdhsa_user_sgpr_queue_ptr 0
		.amdhsa_user_sgpr_kernarg_segment_ptr 1
		.amdhsa_user_sgpr_dispatch_id 0
		.amdhsa_user_sgpr_flat_scratch_init 0
		.amdhsa_user_sgpr_private_segment_size 0
		.amdhsa_uses_dynamic_stack 0
		.amdhsa_system_sgpr_private_segment_wavefront_offset 0
		.amdhsa_system_sgpr_workgroup_id_x 1
		.amdhsa_system_sgpr_workgroup_id_y 0
		.amdhsa_system_sgpr_workgroup_id_z 0
		.amdhsa_system_sgpr_workgroup_info 0
		.amdhsa_system_vgpr_workitem_id 0
		.amdhsa_next_free_vgpr 1
		.amdhsa_next_free_sgpr 0
		.amdhsa_reserve_vcc 0
		.amdhsa_reserve_flat_scratch 0
		.amdhsa_float_round_mode_32 0
		.amdhsa_float_round_mode_16_64 0
		.amdhsa_float_denorm_mode_32 3
		.amdhsa_float_denorm_mode_16_64 3
		.amdhsa_dx10_clamp 1
		.amdhsa_ieee_mode 1
		.amdhsa_fp16_overflow 0
		.amdhsa_exception_fp_ieee_invalid_op 0
		.amdhsa_exception_fp_denorm_src 0
		.amdhsa_exception_fp_ieee_div_zero 0
		.amdhsa_exception_fp_ieee_overflow 0
		.amdhsa_exception_fp_ieee_underflow 0
		.amdhsa_exception_fp_ieee_inexact 0
		.amdhsa_exception_int_div_zero 0
	.end_amdhsa_kernel
	.section	.text._ZN7rocprim17ROCPRIM_400000_NS6detail17trampoline_kernelINS0_14default_configENS1_25partition_config_selectorILNS1_17partition_subalgoE8EsNS0_10empty_typeEbEEZZNS1_14partition_implILS5_8ELb0ES3_jN6thrust23THRUST_200600_302600_NS6detail15normal_iteratorINSA_10device_ptrIsEEEEPS6_PKS6_NS0_5tupleIJSF_S6_EEENSJ_IJSG_SG_EEENS0_18inequality_wrapperINSA_8equal_toIsEEEEPmJS6_EEE10hipError_tPvRmT3_T4_T5_T6_T7_T9_mT8_P12ihipStream_tbDpT10_ENKUlT_T0_E_clISt17integral_constantIbLb1EES1A_EEDaS15_S16_EUlS15_E_NS1_11comp_targetILNS1_3genE2ELNS1_11target_archE906ELNS1_3gpuE6ELNS1_3repE0EEENS1_30default_config_static_selectorELNS0_4arch9wavefront6targetE1EEEvT1_,"axG",@progbits,_ZN7rocprim17ROCPRIM_400000_NS6detail17trampoline_kernelINS0_14default_configENS1_25partition_config_selectorILNS1_17partition_subalgoE8EsNS0_10empty_typeEbEEZZNS1_14partition_implILS5_8ELb0ES3_jN6thrust23THRUST_200600_302600_NS6detail15normal_iteratorINSA_10device_ptrIsEEEEPS6_PKS6_NS0_5tupleIJSF_S6_EEENSJ_IJSG_SG_EEENS0_18inequality_wrapperINSA_8equal_toIsEEEEPmJS6_EEE10hipError_tPvRmT3_T4_T5_T6_T7_T9_mT8_P12ihipStream_tbDpT10_ENKUlT_T0_E_clISt17integral_constantIbLb1EES1A_EEDaS15_S16_EUlS15_E_NS1_11comp_targetILNS1_3genE2ELNS1_11target_archE906ELNS1_3gpuE6ELNS1_3repE0EEENS1_30default_config_static_selectorELNS0_4arch9wavefront6targetE1EEEvT1_,comdat
.Lfunc_end481:
	.size	_ZN7rocprim17ROCPRIM_400000_NS6detail17trampoline_kernelINS0_14default_configENS1_25partition_config_selectorILNS1_17partition_subalgoE8EsNS0_10empty_typeEbEEZZNS1_14partition_implILS5_8ELb0ES3_jN6thrust23THRUST_200600_302600_NS6detail15normal_iteratorINSA_10device_ptrIsEEEEPS6_PKS6_NS0_5tupleIJSF_S6_EEENSJ_IJSG_SG_EEENS0_18inequality_wrapperINSA_8equal_toIsEEEEPmJS6_EEE10hipError_tPvRmT3_T4_T5_T6_T7_T9_mT8_P12ihipStream_tbDpT10_ENKUlT_T0_E_clISt17integral_constantIbLb1EES1A_EEDaS15_S16_EUlS15_E_NS1_11comp_targetILNS1_3genE2ELNS1_11target_archE906ELNS1_3gpuE6ELNS1_3repE0EEENS1_30default_config_static_selectorELNS0_4arch9wavefront6targetE1EEEvT1_, .Lfunc_end481-_ZN7rocprim17ROCPRIM_400000_NS6detail17trampoline_kernelINS0_14default_configENS1_25partition_config_selectorILNS1_17partition_subalgoE8EsNS0_10empty_typeEbEEZZNS1_14partition_implILS5_8ELb0ES3_jN6thrust23THRUST_200600_302600_NS6detail15normal_iteratorINSA_10device_ptrIsEEEEPS6_PKS6_NS0_5tupleIJSF_S6_EEENSJ_IJSG_SG_EEENS0_18inequality_wrapperINSA_8equal_toIsEEEEPmJS6_EEE10hipError_tPvRmT3_T4_T5_T6_T7_T9_mT8_P12ihipStream_tbDpT10_ENKUlT_T0_E_clISt17integral_constantIbLb1EES1A_EEDaS15_S16_EUlS15_E_NS1_11comp_targetILNS1_3genE2ELNS1_11target_archE906ELNS1_3gpuE6ELNS1_3repE0EEENS1_30default_config_static_selectorELNS0_4arch9wavefront6targetE1EEEvT1_
                                        ; -- End function
	.set _ZN7rocprim17ROCPRIM_400000_NS6detail17trampoline_kernelINS0_14default_configENS1_25partition_config_selectorILNS1_17partition_subalgoE8EsNS0_10empty_typeEbEEZZNS1_14partition_implILS5_8ELb0ES3_jN6thrust23THRUST_200600_302600_NS6detail15normal_iteratorINSA_10device_ptrIsEEEEPS6_PKS6_NS0_5tupleIJSF_S6_EEENSJ_IJSG_SG_EEENS0_18inequality_wrapperINSA_8equal_toIsEEEEPmJS6_EEE10hipError_tPvRmT3_T4_T5_T6_T7_T9_mT8_P12ihipStream_tbDpT10_ENKUlT_T0_E_clISt17integral_constantIbLb1EES1A_EEDaS15_S16_EUlS15_E_NS1_11comp_targetILNS1_3genE2ELNS1_11target_archE906ELNS1_3gpuE6ELNS1_3repE0EEENS1_30default_config_static_selectorELNS0_4arch9wavefront6targetE1EEEvT1_.num_vgpr, 0
	.set _ZN7rocprim17ROCPRIM_400000_NS6detail17trampoline_kernelINS0_14default_configENS1_25partition_config_selectorILNS1_17partition_subalgoE8EsNS0_10empty_typeEbEEZZNS1_14partition_implILS5_8ELb0ES3_jN6thrust23THRUST_200600_302600_NS6detail15normal_iteratorINSA_10device_ptrIsEEEEPS6_PKS6_NS0_5tupleIJSF_S6_EEENSJ_IJSG_SG_EEENS0_18inequality_wrapperINSA_8equal_toIsEEEEPmJS6_EEE10hipError_tPvRmT3_T4_T5_T6_T7_T9_mT8_P12ihipStream_tbDpT10_ENKUlT_T0_E_clISt17integral_constantIbLb1EES1A_EEDaS15_S16_EUlS15_E_NS1_11comp_targetILNS1_3genE2ELNS1_11target_archE906ELNS1_3gpuE6ELNS1_3repE0EEENS1_30default_config_static_selectorELNS0_4arch9wavefront6targetE1EEEvT1_.num_agpr, 0
	.set _ZN7rocprim17ROCPRIM_400000_NS6detail17trampoline_kernelINS0_14default_configENS1_25partition_config_selectorILNS1_17partition_subalgoE8EsNS0_10empty_typeEbEEZZNS1_14partition_implILS5_8ELb0ES3_jN6thrust23THRUST_200600_302600_NS6detail15normal_iteratorINSA_10device_ptrIsEEEEPS6_PKS6_NS0_5tupleIJSF_S6_EEENSJ_IJSG_SG_EEENS0_18inequality_wrapperINSA_8equal_toIsEEEEPmJS6_EEE10hipError_tPvRmT3_T4_T5_T6_T7_T9_mT8_P12ihipStream_tbDpT10_ENKUlT_T0_E_clISt17integral_constantIbLb1EES1A_EEDaS15_S16_EUlS15_E_NS1_11comp_targetILNS1_3genE2ELNS1_11target_archE906ELNS1_3gpuE6ELNS1_3repE0EEENS1_30default_config_static_selectorELNS0_4arch9wavefront6targetE1EEEvT1_.numbered_sgpr, 0
	.set _ZN7rocprim17ROCPRIM_400000_NS6detail17trampoline_kernelINS0_14default_configENS1_25partition_config_selectorILNS1_17partition_subalgoE8EsNS0_10empty_typeEbEEZZNS1_14partition_implILS5_8ELb0ES3_jN6thrust23THRUST_200600_302600_NS6detail15normal_iteratorINSA_10device_ptrIsEEEEPS6_PKS6_NS0_5tupleIJSF_S6_EEENSJ_IJSG_SG_EEENS0_18inequality_wrapperINSA_8equal_toIsEEEEPmJS6_EEE10hipError_tPvRmT3_T4_T5_T6_T7_T9_mT8_P12ihipStream_tbDpT10_ENKUlT_T0_E_clISt17integral_constantIbLb1EES1A_EEDaS15_S16_EUlS15_E_NS1_11comp_targetILNS1_3genE2ELNS1_11target_archE906ELNS1_3gpuE6ELNS1_3repE0EEENS1_30default_config_static_selectorELNS0_4arch9wavefront6targetE1EEEvT1_.num_named_barrier, 0
	.set _ZN7rocprim17ROCPRIM_400000_NS6detail17trampoline_kernelINS0_14default_configENS1_25partition_config_selectorILNS1_17partition_subalgoE8EsNS0_10empty_typeEbEEZZNS1_14partition_implILS5_8ELb0ES3_jN6thrust23THRUST_200600_302600_NS6detail15normal_iteratorINSA_10device_ptrIsEEEEPS6_PKS6_NS0_5tupleIJSF_S6_EEENSJ_IJSG_SG_EEENS0_18inequality_wrapperINSA_8equal_toIsEEEEPmJS6_EEE10hipError_tPvRmT3_T4_T5_T6_T7_T9_mT8_P12ihipStream_tbDpT10_ENKUlT_T0_E_clISt17integral_constantIbLb1EES1A_EEDaS15_S16_EUlS15_E_NS1_11comp_targetILNS1_3genE2ELNS1_11target_archE906ELNS1_3gpuE6ELNS1_3repE0EEENS1_30default_config_static_selectorELNS0_4arch9wavefront6targetE1EEEvT1_.private_seg_size, 0
	.set _ZN7rocprim17ROCPRIM_400000_NS6detail17trampoline_kernelINS0_14default_configENS1_25partition_config_selectorILNS1_17partition_subalgoE8EsNS0_10empty_typeEbEEZZNS1_14partition_implILS5_8ELb0ES3_jN6thrust23THRUST_200600_302600_NS6detail15normal_iteratorINSA_10device_ptrIsEEEEPS6_PKS6_NS0_5tupleIJSF_S6_EEENSJ_IJSG_SG_EEENS0_18inequality_wrapperINSA_8equal_toIsEEEEPmJS6_EEE10hipError_tPvRmT3_T4_T5_T6_T7_T9_mT8_P12ihipStream_tbDpT10_ENKUlT_T0_E_clISt17integral_constantIbLb1EES1A_EEDaS15_S16_EUlS15_E_NS1_11comp_targetILNS1_3genE2ELNS1_11target_archE906ELNS1_3gpuE6ELNS1_3repE0EEENS1_30default_config_static_selectorELNS0_4arch9wavefront6targetE1EEEvT1_.uses_vcc, 0
	.set _ZN7rocprim17ROCPRIM_400000_NS6detail17trampoline_kernelINS0_14default_configENS1_25partition_config_selectorILNS1_17partition_subalgoE8EsNS0_10empty_typeEbEEZZNS1_14partition_implILS5_8ELb0ES3_jN6thrust23THRUST_200600_302600_NS6detail15normal_iteratorINSA_10device_ptrIsEEEEPS6_PKS6_NS0_5tupleIJSF_S6_EEENSJ_IJSG_SG_EEENS0_18inequality_wrapperINSA_8equal_toIsEEEEPmJS6_EEE10hipError_tPvRmT3_T4_T5_T6_T7_T9_mT8_P12ihipStream_tbDpT10_ENKUlT_T0_E_clISt17integral_constantIbLb1EES1A_EEDaS15_S16_EUlS15_E_NS1_11comp_targetILNS1_3genE2ELNS1_11target_archE906ELNS1_3gpuE6ELNS1_3repE0EEENS1_30default_config_static_selectorELNS0_4arch9wavefront6targetE1EEEvT1_.uses_flat_scratch, 0
	.set _ZN7rocprim17ROCPRIM_400000_NS6detail17trampoline_kernelINS0_14default_configENS1_25partition_config_selectorILNS1_17partition_subalgoE8EsNS0_10empty_typeEbEEZZNS1_14partition_implILS5_8ELb0ES3_jN6thrust23THRUST_200600_302600_NS6detail15normal_iteratorINSA_10device_ptrIsEEEEPS6_PKS6_NS0_5tupleIJSF_S6_EEENSJ_IJSG_SG_EEENS0_18inequality_wrapperINSA_8equal_toIsEEEEPmJS6_EEE10hipError_tPvRmT3_T4_T5_T6_T7_T9_mT8_P12ihipStream_tbDpT10_ENKUlT_T0_E_clISt17integral_constantIbLb1EES1A_EEDaS15_S16_EUlS15_E_NS1_11comp_targetILNS1_3genE2ELNS1_11target_archE906ELNS1_3gpuE6ELNS1_3repE0EEENS1_30default_config_static_selectorELNS0_4arch9wavefront6targetE1EEEvT1_.has_dyn_sized_stack, 0
	.set _ZN7rocprim17ROCPRIM_400000_NS6detail17trampoline_kernelINS0_14default_configENS1_25partition_config_selectorILNS1_17partition_subalgoE8EsNS0_10empty_typeEbEEZZNS1_14partition_implILS5_8ELb0ES3_jN6thrust23THRUST_200600_302600_NS6detail15normal_iteratorINSA_10device_ptrIsEEEEPS6_PKS6_NS0_5tupleIJSF_S6_EEENSJ_IJSG_SG_EEENS0_18inequality_wrapperINSA_8equal_toIsEEEEPmJS6_EEE10hipError_tPvRmT3_T4_T5_T6_T7_T9_mT8_P12ihipStream_tbDpT10_ENKUlT_T0_E_clISt17integral_constantIbLb1EES1A_EEDaS15_S16_EUlS15_E_NS1_11comp_targetILNS1_3genE2ELNS1_11target_archE906ELNS1_3gpuE6ELNS1_3repE0EEENS1_30default_config_static_selectorELNS0_4arch9wavefront6targetE1EEEvT1_.has_recursion, 0
	.set _ZN7rocprim17ROCPRIM_400000_NS6detail17trampoline_kernelINS0_14default_configENS1_25partition_config_selectorILNS1_17partition_subalgoE8EsNS0_10empty_typeEbEEZZNS1_14partition_implILS5_8ELb0ES3_jN6thrust23THRUST_200600_302600_NS6detail15normal_iteratorINSA_10device_ptrIsEEEEPS6_PKS6_NS0_5tupleIJSF_S6_EEENSJ_IJSG_SG_EEENS0_18inequality_wrapperINSA_8equal_toIsEEEEPmJS6_EEE10hipError_tPvRmT3_T4_T5_T6_T7_T9_mT8_P12ihipStream_tbDpT10_ENKUlT_T0_E_clISt17integral_constantIbLb1EES1A_EEDaS15_S16_EUlS15_E_NS1_11comp_targetILNS1_3genE2ELNS1_11target_archE906ELNS1_3gpuE6ELNS1_3repE0EEENS1_30default_config_static_selectorELNS0_4arch9wavefront6targetE1EEEvT1_.has_indirect_call, 0
	.section	.AMDGPU.csdata,"",@progbits
; Kernel info:
; codeLenInByte = 4
; TotalNumSgprs: 4
; NumVgprs: 0
; ScratchSize: 0
; MemoryBound: 0
; FloatMode: 240
; IeeeMode: 1
; LDSByteSize: 0 bytes/workgroup (compile time only)
; SGPRBlocks: 0
; VGPRBlocks: 0
; NumSGPRsForWavesPerEU: 4
; NumVGPRsForWavesPerEU: 1
; Occupancy: 10
; WaveLimiterHint : 0
; COMPUTE_PGM_RSRC2:SCRATCH_EN: 0
; COMPUTE_PGM_RSRC2:USER_SGPR: 6
; COMPUTE_PGM_RSRC2:TRAP_HANDLER: 0
; COMPUTE_PGM_RSRC2:TGID_X_EN: 1
; COMPUTE_PGM_RSRC2:TGID_Y_EN: 0
; COMPUTE_PGM_RSRC2:TGID_Z_EN: 0
; COMPUTE_PGM_RSRC2:TIDIG_COMP_CNT: 0
	.section	.text._ZN7rocprim17ROCPRIM_400000_NS6detail17trampoline_kernelINS0_14default_configENS1_25partition_config_selectorILNS1_17partition_subalgoE8EsNS0_10empty_typeEbEEZZNS1_14partition_implILS5_8ELb0ES3_jN6thrust23THRUST_200600_302600_NS6detail15normal_iteratorINSA_10device_ptrIsEEEEPS6_PKS6_NS0_5tupleIJSF_S6_EEENSJ_IJSG_SG_EEENS0_18inequality_wrapperINSA_8equal_toIsEEEEPmJS6_EEE10hipError_tPvRmT3_T4_T5_T6_T7_T9_mT8_P12ihipStream_tbDpT10_ENKUlT_T0_E_clISt17integral_constantIbLb1EES1A_EEDaS15_S16_EUlS15_E_NS1_11comp_targetILNS1_3genE10ELNS1_11target_archE1200ELNS1_3gpuE4ELNS1_3repE0EEENS1_30default_config_static_selectorELNS0_4arch9wavefront6targetE1EEEvT1_,"axG",@progbits,_ZN7rocprim17ROCPRIM_400000_NS6detail17trampoline_kernelINS0_14default_configENS1_25partition_config_selectorILNS1_17partition_subalgoE8EsNS0_10empty_typeEbEEZZNS1_14partition_implILS5_8ELb0ES3_jN6thrust23THRUST_200600_302600_NS6detail15normal_iteratorINSA_10device_ptrIsEEEEPS6_PKS6_NS0_5tupleIJSF_S6_EEENSJ_IJSG_SG_EEENS0_18inequality_wrapperINSA_8equal_toIsEEEEPmJS6_EEE10hipError_tPvRmT3_T4_T5_T6_T7_T9_mT8_P12ihipStream_tbDpT10_ENKUlT_T0_E_clISt17integral_constantIbLb1EES1A_EEDaS15_S16_EUlS15_E_NS1_11comp_targetILNS1_3genE10ELNS1_11target_archE1200ELNS1_3gpuE4ELNS1_3repE0EEENS1_30default_config_static_selectorELNS0_4arch9wavefront6targetE1EEEvT1_,comdat
	.protected	_ZN7rocprim17ROCPRIM_400000_NS6detail17trampoline_kernelINS0_14default_configENS1_25partition_config_selectorILNS1_17partition_subalgoE8EsNS0_10empty_typeEbEEZZNS1_14partition_implILS5_8ELb0ES3_jN6thrust23THRUST_200600_302600_NS6detail15normal_iteratorINSA_10device_ptrIsEEEEPS6_PKS6_NS0_5tupleIJSF_S6_EEENSJ_IJSG_SG_EEENS0_18inequality_wrapperINSA_8equal_toIsEEEEPmJS6_EEE10hipError_tPvRmT3_T4_T5_T6_T7_T9_mT8_P12ihipStream_tbDpT10_ENKUlT_T0_E_clISt17integral_constantIbLb1EES1A_EEDaS15_S16_EUlS15_E_NS1_11comp_targetILNS1_3genE10ELNS1_11target_archE1200ELNS1_3gpuE4ELNS1_3repE0EEENS1_30default_config_static_selectorELNS0_4arch9wavefront6targetE1EEEvT1_ ; -- Begin function _ZN7rocprim17ROCPRIM_400000_NS6detail17trampoline_kernelINS0_14default_configENS1_25partition_config_selectorILNS1_17partition_subalgoE8EsNS0_10empty_typeEbEEZZNS1_14partition_implILS5_8ELb0ES3_jN6thrust23THRUST_200600_302600_NS6detail15normal_iteratorINSA_10device_ptrIsEEEEPS6_PKS6_NS0_5tupleIJSF_S6_EEENSJ_IJSG_SG_EEENS0_18inequality_wrapperINSA_8equal_toIsEEEEPmJS6_EEE10hipError_tPvRmT3_T4_T5_T6_T7_T9_mT8_P12ihipStream_tbDpT10_ENKUlT_T0_E_clISt17integral_constantIbLb1EES1A_EEDaS15_S16_EUlS15_E_NS1_11comp_targetILNS1_3genE10ELNS1_11target_archE1200ELNS1_3gpuE4ELNS1_3repE0EEENS1_30default_config_static_selectorELNS0_4arch9wavefront6targetE1EEEvT1_
	.globl	_ZN7rocprim17ROCPRIM_400000_NS6detail17trampoline_kernelINS0_14default_configENS1_25partition_config_selectorILNS1_17partition_subalgoE8EsNS0_10empty_typeEbEEZZNS1_14partition_implILS5_8ELb0ES3_jN6thrust23THRUST_200600_302600_NS6detail15normal_iteratorINSA_10device_ptrIsEEEEPS6_PKS6_NS0_5tupleIJSF_S6_EEENSJ_IJSG_SG_EEENS0_18inequality_wrapperINSA_8equal_toIsEEEEPmJS6_EEE10hipError_tPvRmT3_T4_T5_T6_T7_T9_mT8_P12ihipStream_tbDpT10_ENKUlT_T0_E_clISt17integral_constantIbLb1EES1A_EEDaS15_S16_EUlS15_E_NS1_11comp_targetILNS1_3genE10ELNS1_11target_archE1200ELNS1_3gpuE4ELNS1_3repE0EEENS1_30default_config_static_selectorELNS0_4arch9wavefront6targetE1EEEvT1_
	.p2align	8
	.type	_ZN7rocprim17ROCPRIM_400000_NS6detail17trampoline_kernelINS0_14default_configENS1_25partition_config_selectorILNS1_17partition_subalgoE8EsNS0_10empty_typeEbEEZZNS1_14partition_implILS5_8ELb0ES3_jN6thrust23THRUST_200600_302600_NS6detail15normal_iteratorINSA_10device_ptrIsEEEEPS6_PKS6_NS0_5tupleIJSF_S6_EEENSJ_IJSG_SG_EEENS0_18inequality_wrapperINSA_8equal_toIsEEEEPmJS6_EEE10hipError_tPvRmT3_T4_T5_T6_T7_T9_mT8_P12ihipStream_tbDpT10_ENKUlT_T0_E_clISt17integral_constantIbLb1EES1A_EEDaS15_S16_EUlS15_E_NS1_11comp_targetILNS1_3genE10ELNS1_11target_archE1200ELNS1_3gpuE4ELNS1_3repE0EEENS1_30default_config_static_selectorELNS0_4arch9wavefront6targetE1EEEvT1_,@function
_ZN7rocprim17ROCPRIM_400000_NS6detail17trampoline_kernelINS0_14default_configENS1_25partition_config_selectorILNS1_17partition_subalgoE8EsNS0_10empty_typeEbEEZZNS1_14partition_implILS5_8ELb0ES3_jN6thrust23THRUST_200600_302600_NS6detail15normal_iteratorINSA_10device_ptrIsEEEEPS6_PKS6_NS0_5tupleIJSF_S6_EEENSJ_IJSG_SG_EEENS0_18inequality_wrapperINSA_8equal_toIsEEEEPmJS6_EEE10hipError_tPvRmT3_T4_T5_T6_T7_T9_mT8_P12ihipStream_tbDpT10_ENKUlT_T0_E_clISt17integral_constantIbLb1EES1A_EEDaS15_S16_EUlS15_E_NS1_11comp_targetILNS1_3genE10ELNS1_11target_archE1200ELNS1_3gpuE4ELNS1_3repE0EEENS1_30default_config_static_selectorELNS0_4arch9wavefront6targetE1EEEvT1_: ; @_ZN7rocprim17ROCPRIM_400000_NS6detail17trampoline_kernelINS0_14default_configENS1_25partition_config_selectorILNS1_17partition_subalgoE8EsNS0_10empty_typeEbEEZZNS1_14partition_implILS5_8ELb0ES3_jN6thrust23THRUST_200600_302600_NS6detail15normal_iteratorINSA_10device_ptrIsEEEEPS6_PKS6_NS0_5tupleIJSF_S6_EEENSJ_IJSG_SG_EEENS0_18inequality_wrapperINSA_8equal_toIsEEEEPmJS6_EEE10hipError_tPvRmT3_T4_T5_T6_T7_T9_mT8_P12ihipStream_tbDpT10_ENKUlT_T0_E_clISt17integral_constantIbLb1EES1A_EEDaS15_S16_EUlS15_E_NS1_11comp_targetILNS1_3genE10ELNS1_11target_archE1200ELNS1_3gpuE4ELNS1_3repE0EEENS1_30default_config_static_selectorELNS0_4arch9wavefront6targetE1EEEvT1_
; %bb.0:
	.section	.rodata,"a",@progbits
	.p2align	6, 0x0
	.amdhsa_kernel _ZN7rocprim17ROCPRIM_400000_NS6detail17trampoline_kernelINS0_14default_configENS1_25partition_config_selectorILNS1_17partition_subalgoE8EsNS0_10empty_typeEbEEZZNS1_14partition_implILS5_8ELb0ES3_jN6thrust23THRUST_200600_302600_NS6detail15normal_iteratorINSA_10device_ptrIsEEEEPS6_PKS6_NS0_5tupleIJSF_S6_EEENSJ_IJSG_SG_EEENS0_18inequality_wrapperINSA_8equal_toIsEEEEPmJS6_EEE10hipError_tPvRmT3_T4_T5_T6_T7_T9_mT8_P12ihipStream_tbDpT10_ENKUlT_T0_E_clISt17integral_constantIbLb1EES1A_EEDaS15_S16_EUlS15_E_NS1_11comp_targetILNS1_3genE10ELNS1_11target_archE1200ELNS1_3gpuE4ELNS1_3repE0EEENS1_30default_config_static_selectorELNS0_4arch9wavefront6targetE1EEEvT1_
		.amdhsa_group_segment_fixed_size 0
		.amdhsa_private_segment_fixed_size 0
		.amdhsa_kernarg_size 128
		.amdhsa_user_sgpr_count 6
		.amdhsa_user_sgpr_private_segment_buffer 1
		.amdhsa_user_sgpr_dispatch_ptr 0
		.amdhsa_user_sgpr_queue_ptr 0
		.amdhsa_user_sgpr_kernarg_segment_ptr 1
		.amdhsa_user_sgpr_dispatch_id 0
		.amdhsa_user_sgpr_flat_scratch_init 0
		.amdhsa_user_sgpr_private_segment_size 0
		.amdhsa_uses_dynamic_stack 0
		.amdhsa_system_sgpr_private_segment_wavefront_offset 0
		.amdhsa_system_sgpr_workgroup_id_x 1
		.amdhsa_system_sgpr_workgroup_id_y 0
		.amdhsa_system_sgpr_workgroup_id_z 0
		.amdhsa_system_sgpr_workgroup_info 0
		.amdhsa_system_vgpr_workitem_id 0
		.amdhsa_next_free_vgpr 1
		.amdhsa_next_free_sgpr 0
		.amdhsa_reserve_vcc 0
		.amdhsa_reserve_flat_scratch 0
		.amdhsa_float_round_mode_32 0
		.amdhsa_float_round_mode_16_64 0
		.amdhsa_float_denorm_mode_32 3
		.amdhsa_float_denorm_mode_16_64 3
		.amdhsa_dx10_clamp 1
		.amdhsa_ieee_mode 1
		.amdhsa_fp16_overflow 0
		.amdhsa_exception_fp_ieee_invalid_op 0
		.amdhsa_exception_fp_denorm_src 0
		.amdhsa_exception_fp_ieee_div_zero 0
		.amdhsa_exception_fp_ieee_overflow 0
		.amdhsa_exception_fp_ieee_underflow 0
		.amdhsa_exception_fp_ieee_inexact 0
		.amdhsa_exception_int_div_zero 0
	.end_amdhsa_kernel
	.section	.text._ZN7rocprim17ROCPRIM_400000_NS6detail17trampoline_kernelINS0_14default_configENS1_25partition_config_selectorILNS1_17partition_subalgoE8EsNS0_10empty_typeEbEEZZNS1_14partition_implILS5_8ELb0ES3_jN6thrust23THRUST_200600_302600_NS6detail15normal_iteratorINSA_10device_ptrIsEEEEPS6_PKS6_NS0_5tupleIJSF_S6_EEENSJ_IJSG_SG_EEENS0_18inequality_wrapperINSA_8equal_toIsEEEEPmJS6_EEE10hipError_tPvRmT3_T4_T5_T6_T7_T9_mT8_P12ihipStream_tbDpT10_ENKUlT_T0_E_clISt17integral_constantIbLb1EES1A_EEDaS15_S16_EUlS15_E_NS1_11comp_targetILNS1_3genE10ELNS1_11target_archE1200ELNS1_3gpuE4ELNS1_3repE0EEENS1_30default_config_static_selectorELNS0_4arch9wavefront6targetE1EEEvT1_,"axG",@progbits,_ZN7rocprim17ROCPRIM_400000_NS6detail17trampoline_kernelINS0_14default_configENS1_25partition_config_selectorILNS1_17partition_subalgoE8EsNS0_10empty_typeEbEEZZNS1_14partition_implILS5_8ELb0ES3_jN6thrust23THRUST_200600_302600_NS6detail15normal_iteratorINSA_10device_ptrIsEEEEPS6_PKS6_NS0_5tupleIJSF_S6_EEENSJ_IJSG_SG_EEENS0_18inequality_wrapperINSA_8equal_toIsEEEEPmJS6_EEE10hipError_tPvRmT3_T4_T5_T6_T7_T9_mT8_P12ihipStream_tbDpT10_ENKUlT_T0_E_clISt17integral_constantIbLb1EES1A_EEDaS15_S16_EUlS15_E_NS1_11comp_targetILNS1_3genE10ELNS1_11target_archE1200ELNS1_3gpuE4ELNS1_3repE0EEENS1_30default_config_static_selectorELNS0_4arch9wavefront6targetE1EEEvT1_,comdat
.Lfunc_end482:
	.size	_ZN7rocprim17ROCPRIM_400000_NS6detail17trampoline_kernelINS0_14default_configENS1_25partition_config_selectorILNS1_17partition_subalgoE8EsNS0_10empty_typeEbEEZZNS1_14partition_implILS5_8ELb0ES3_jN6thrust23THRUST_200600_302600_NS6detail15normal_iteratorINSA_10device_ptrIsEEEEPS6_PKS6_NS0_5tupleIJSF_S6_EEENSJ_IJSG_SG_EEENS0_18inequality_wrapperINSA_8equal_toIsEEEEPmJS6_EEE10hipError_tPvRmT3_T4_T5_T6_T7_T9_mT8_P12ihipStream_tbDpT10_ENKUlT_T0_E_clISt17integral_constantIbLb1EES1A_EEDaS15_S16_EUlS15_E_NS1_11comp_targetILNS1_3genE10ELNS1_11target_archE1200ELNS1_3gpuE4ELNS1_3repE0EEENS1_30default_config_static_selectorELNS0_4arch9wavefront6targetE1EEEvT1_, .Lfunc_end482-_ZN7rocprim17ROCPRIM_400000_NS6detail17trampoline_kernelINS0_14default_configENS1_25partition_config_selectorILNS1_17partition_subalgoE8EsNS0_10empty_typeEbEEZZNS1_14partition_implILS5_8ELb0ES3_jN6thrust23THRUST_200600_302600_NS6detail15normal_iteratorINSA_10device_ptrIsEEEEPS6_PKS6_NS0_5tupleIJSF_S6_EEENSJ_IJSG_SG_EEENS0_18inequality_wrapperINSA_8equal_toIsEEEEPmJS6_EEE10hipError_tPvRmT3_T4_T5_T6_T7_T9_mT8_P12ihipStream_tbDpT10_ENKUlT_T0_E_clISt17integral_constantIbLb1EES1A_EEDaS15_S16_EUlS15_E_NS1_11comp_targetILNS1_3genE10ELNS1_11target_archE1200ELNS1_3gpuE4ELNS1_3repE0EEENS1_30default_config_static_selectorELNS0_4arch9wavefront6targetE1EEEvT1_
                                        ; -- End function
	.set _ZN7rocprim17ROCPRIM_400000_NS6detail17trampoline_kernelINS0_14default_configENS1_25partition_config_selectorILNS1_17partition_subalgoE8EsNS0_10empty_typeEbEEZZNS1_14partition_implILS5_8ELb0ES3_jN6thrust23THRUST_200600_302600_NS6detail15normal_iteratorINSA_10device_ptrIsEEEEPS6_PKS6_NS0_5tupleIJSF_S6_EEENSJ_IJSG_SG_EEENS0_18inequality_wrapperINSA_8equal_toIsEEEEPmJS6_EEE10hipError_tPvRmT3_T4_T5_T6_T7_T9_mT8_P12ihipStream_tbDpT10_ENKUlT_T0_E_clISt17integral_constantIbLb1EES1A_EEDaS15_S16_EUlS15_E_NS1_11comp_targetILNS1_3genE10ELNS1_11target_archE1200ELNS1_3gpuE4ELNS1_3repE0EEENS1_30default_config_static_selectorELNS0_4arch9wavefront6targetE1EEEvT1_.num_vgpr, 0
	.set _ZN7rocprim17ROCPRIM_400000_NS6detail17trampoline_kernelINS0_14default_configENS1_25partition_config_selectorILNS1_17partition_subalgoE8EsNS0_10empty_typeEbEEZZNS1_14partition_implILS5_8ELb0ES3_jN6thrust23THRUST_200600_302600_NS6detail15normal_iteratorINSA_10device_ptrIsEEEEPS6_PKS6_NS0_5tupleIJSF_S6_EEENSJ_IJSG_SG_EEENS0_18inequality_wrapperINSA_8equal_toIsEEEEPmJS6_EEE10hipError_tPvRmT3_T4_T5_T6_T7_T9_mT8_P12ihipStream_tbDpT10_ENKUlT_T0_E_clISt17integral_constantIbLb1EES1A_EEDaS15_S16_EUlS15_E_NS1_11comp_targetILNS1_3genE10ELNS1_11target_archE1200ELNS1_3gpuE4ELNS1_3repE0EEENS1_30default_config_static_selectorELNS0_4arch9wavefront6targetE1EEEvT1_.num_agpr, 0
	.set _ZN7rocprim17ROCPRIM_400000_NS6detail17trampoline_kernelINS0_14default_configENS1_25partition_config_selectorILNS1_17partition_subalgoE8EsNS0_10empty_typeEbEEZZNS1_14partition_implILS5_8ELb0ES3_jN6thrust23THRUST_200600_302600_NS6detail15normal_iteratorINSA_10device_ptrIsEEEEPS6_PKS6_NS0_5tupleIJSF_S6_EEENSJ_IJSG_SG_EEENS0_18inequality_wrapperINSA_8equal_toIsEEEEPmJS6_EEE10hipError_tPvRmT3_T4_T5_T6_T7_T9_mT8_P12ihipStream_tbDpT10_ENKUlT_T0_E_clISt17integral_constantIbLb1EES1A_EEDaS15_S16_EUlS15_E_NS1_11comp_targetILNS1_3genE10ELNS1_11target_archE1200ELNS1_3gpuE4ELNS1_3repE0EEENS1_30default_config_static_selectorELNS0_4arch9wavefront6targetE1EEEvT1_.numbered_sgpr, 0
	.set _ZN7rocprim17ROCPRIM_400000_NS6detail17trampoline_kernelINS0_14default_configENS1_25partition_config_selectorILNS1_17partition_subalgoE8EsNS0_10empty_typeEbEEZZNS1_14partition_implILS5_8ELb0ES3_jN6thrust23THRUST_200600_302600_NS6detail15normal_iteratorINSA_10device_ptrIsEEEEPS6_PKS6_NS0_5tupleIJSF_S6_EEENSJ_IJSG_SG_EEENS0_18inequality_wrapperINSA_8equal_toIsEEEEPmJS6_EEE10hipError_tPvRmT3_T4_T5_T6_T7_T9_mT8_P12ihipStream_tbDpT10_ENKUlT_T0_E_clISt17integral_constantIbLb1EES1A_EEDaS15_S16_EUlS15_E_NS1_11comp_targetILNS1_3genE10ELNS1_11target_archE1200ELNS1_3gpuE4ELNS1_3repE0EEENS1_30default_config_static_selectorELNS0_4arch9wavefront6targetE1EEEvT1_.num_named_barrier, 0
	.set _ZN7rocprim17ROCPRIM_400000_NS6detail17trampoline_kernelINS0_14default_configENS1_25partition_config_selectorILNS1_17partition_subalgoE8EsNS0_10empty_typeEbEEZZNS1_14partition_implILS5_8ELb0ES3_jN6thrust23THRUST_200600_302600_NS6detail15normal_iteratorINSA_10device_ptrIsEEEEPS6_PKS6_NS0_5tupleIJSF_S6_EEENSJ_IJSG_SG_EEENS0_18inequality_wrapperINSA_8equal_toIsEEEEPmJS6_EEE10hipError_tPvRmT3_T4_T5_T6_T7_T9_mT8_P12ihipStream_tbDpT10_ENKUlT_T0_E_clISt17integral_constantIbLb1EES1A_EEDaS15_S16_EUlS15_E_NS1_11comp_targetILNS1_3genE10ELNS1_11target_archE1200ELNS1_3gpuE4ELNS1_3repE0EEENS1_30default_config_static_selectorELNS0_4arch9wavefront6targetE1EEEvT1_.private_seg_size, 0
	.set _ZN7rocprim17ROCPRIM_400000_NS6detail17trampoline_kernelINS0_14default_configENS1_25partition_config_selectorILNS1_17partition_subalgoE8EsNS0_10empty_typeEbEEZZNS1_14partition_implILS5_8ELb0ES3_jN6thrust23THRUST_200600_302600_NS6detail15normal_iteratorINSA_10device_ptrIsEEEEPS6_PKS6_NS0_5tupleIJSF_S6_EEENSJ_IJSG_SG_EEENS0_18inequality_wrapperINSA_8equal_toIsEEEEPmJS6_EEE10hipError_tPvRmT3_T4_T5_T6_T7_T9_mT8_P12ihipStream_tbDpT10_ENKUlT_T0_E_clISt17integral_constantIbLb1EES1A_EEDaS15_S16_EUlS15_E_NS1_11comp_targetILNS1_3genE10ELNS1_11target_archE1200ELNS1_3gpuE4ELNS1_3repE0EEENS1_30default_config_static_selectorELNS0_4arch9wavefront6targetE1EEEvT1_.uses_vcc, 0
	.set _ZN7rocprim17ROCPRIM_400000_NS6detail17trampoline_kernelINS0_14default_configENS1_25partition_config_selectorILNS1_17partition_subalgoE8EsNS0_10empty_typeEbEEZZNS1_14partition_implILS5_8ELb0ES3_jN6thrust23THRUST_200600_302600_NS6detail15normal_iteratorINSA_10device_ptrIsEEEEPS6_PKS6_NS0_5tupleIJSF_S6_EEENSJ_IJSG_SG_EEENS0_18inequality_wrapperINSA_8equal_toIsEEEEPmJS6_EEE10hipError_tPvRmT3_T4_T5_T6_T7_T9_mT8_P12ihipStream_tbDpT10_ENKUlT_T0_E_clISt17integral_constantIbLb1EES1A_EEDaS15_S16_EUlS15_E_NS1_11comp_targetILNS1_3genE10ELNS1_11target_archE1200ELNS1_3gpuE4ELNS1_3repE0EEENS1_30default_config_static_selectorELNS0_4arch9wavefront6targetE1EEEvT1_.uses_flat_scratch, 0
	.set _ZN7rocprim17ROCPRIM_400000_NS6detail17trampoline_kernelINS0_14default_configENS1_25partition_config_selectorILNS1_17partition_subalgoE8EsNS0_10empty_typeEbEEZZNS1_14partition_implILS5_8ELb0ES3_jN6thrust23THRUST_200600_302600_NS6detail15normal_iteratorINSA_10device_ptrIsEEEEPS6_PKS6_NS0_5tupleIJSF_S6_EEENSJ_IJSG_SG_EEENS0_18inequality_wrapperINSA_8equal_toIsEEEEPmJS6_EEE10hipError_tPvRmT3_T4_T5_T6_T7_T9_mT8_P12ihipStream_tbDpT10_ENKUlT_T0_E_clISt17integral_constantIbLb1EES1A_EEDaS15_S16_EUlS15_E_NS1_11comp_targetILNS1_3genE10ELNS1_11target_archE1200ELNS1_3gpuE4ELNS1_3repE0EEENS1_30default_config_static_selectorELNS0_4arch9wavefront6targetE1EEEvT1_.has_dyn_sized_stack, 0
	.set _ZN7rocprim17ROCPRIM_400000_NS6detail17trampoline_kernelINS0_14default_configENS1_25partition_config_selectorILNS1_17partition_subalgoE8EsNS0_10empty_typeEbEEZZNS1_14partition_implILS5_8ELb0ES3_jN6thrust23THRUST_200600_302600_NS6detail15normal_iteratorINSA_10device_ptrIsEEEEPS6_PKS6_NS0_5tupleIJSF_S6_EEENSJ_IJSG_SG_EEENS0_18inequality_wrapperINSA_8equal_toIsEEEEPmJS6_EEE10hipError_tPvRmT3_T4_T5_T6_T7_T9_mT8_P12ihipStream_tbDpT10_ENKUlT_T0_E_clISt17integral_constantIbLb1EES1A_EEDaS15_S16_EUlS15_E_NS1_11comp_targetILNS1_3genE10ELNS1_11target_archE1200ELNS1_3gpuE4ELNS1_3repE0EEENS1_30default_config_static_selectorELNS0_4arch9wavefront6targetE1EEEvT1_.has_recursion, 0
	.set _ZN7rocprim17ROCPRIM_400000_NS6detail17trampoline_kernelINS0_14default_configENS1_25partition_config_selectorILNS1_17partition_subalgoE8EsNS0_10empty_typeEbEEZZNS1_14partition_implILS5_8ELb0ES3_jN6thrust23THRUST_200600_302600_NS6detail15normal_iteratorINSA_10device_ptrIsEEEEPS6_PKS6_NS0_5tupleIJSF_S6_EEENSJ_IJSG_SG_EEENS0_18inequality_wrapperINSA_8equal_toIsEEEEPmJS6_EEE10hipError_tPvRmT3_T4_T5_T6_T7_T9_mT8_P12ihipStream_tbDpT10_ENKUlT_T0_E_clISt17integral_constantIbLb1EES1A_EEDaS15_S16_EUlS15_E_NS1_11comp_targetILNS1_3genE10ELNS1_11target_archE1200ELNS1_3gpuE4ELNS1_3repE0EEENS1_30default_config_static_selectorELNS0_4arch9wavefront6targetE1EEEvT1_.has_indirect_call, 0
	.section	.AMDGPU.csdata,"",@progbits
; Kernel info:
; codeLenInByte = 0
; TotalNumSgprs: 4
; NumVgprs: 0
; ScratchSize: 0
; MemoryBound: 0
; FloatMode: 240
; IeeeMode: 1
; LDSByteSize: 0 bytes/workgroup (compile time only)
; SGPRBlocks: 0
; VGPRBlocks: 0
; NumSGPRsForWavesPerEU: 4
; NumVGPRsForWavesPerEU: 1
; Occupancy: 10
; WaveLimiterHint : 0
; COMPUTE_PGM_RSRC2:SCRATCH_EN: 0
; COMPUTE_PGM_RSRC2:USER_SGPR: 6
; COMPUTE_PGM_RSRC2:TRAP_HANDLER: 0
; COMPUTE_PGM_RSRC2:TGID_X_EN: 1
; COMPUTE_PGM_RSRC2:TGID_Y_EN: 0
; COMPUTE_PGM_RSRC2:TGID_Z_EN: 0
; COMPUTE_PGM_RSRC2:TIDIG_COMP_CNT: 0
	.section	.text._ZN7rocprim17ROCPRIM_400000_NS6detail17trampoline_kernelINS0_14default_configENS1_25partition_config_selectorILNS1_17partition_subalgoE8EsNS0_10empty_typeEbEEZZNS1_14partition_implILS5_8ELb0ES3_jN6thrust23THRUST_200600_302600_NS6detail15normal_iteratorINSA_10device_ptrIsEEEEPS6_PKS6_NS0_5tupleIJSF_S6_EEENSJ_IJSG_SG_EEENS0_18inequality_wrapperINSA_8equal_toIsEEEEPmJS6_EEE10hipError_tPvRmT3_T4_T5_T6_T7_T9_mT8_P12ihipStream_tbDpT10_ENKUlT_T0_E_clISt17integral_constantIbLb1EES1A_EEDaS15_S16_EUlS15_E_NS1_11comp_targetILNS1_3genE9ELNS1_11target_archE1100ELNS1_3gpuE3ELNS1_3repE0EEENS1_30default_config_static_selectorELNS0_4arch9wavefront6targetE1EEEvT1_,"axG",@progbits,_ZN7rocprim17ROCPRIM_400000_NS6detail17trampoline_kernelINS0_14default_configENS1_25partition_config_selectorILNS1_17partition_subalgoE8EsNS0_10empty_typeEbEEZZNS1_14partition_implILS5_8ELb0ES3_jN6thrust23THRUST_200600_302600_NS6detail15normal_iteratorINSA_10device_ptrIsEEEEPS6_PKS6_NS0_5tupleIJSF_S6_EEENSJ_IJSG_SG_EEENS0_18inequality_wrapperINSA_8equal_toIsEEEEPmJS6_EEE10hipError_tPvRmT3_T4_T5_T6_T7_T9_mT8_P12ihipStream_tbDpT10_ENKUlT_T0_E_clISt17integral_constantIbLb1EES1A_EEDaS15_S16_EUlS15_E_NS1_11comp_targetILNS1_3genE9ELNS1_11target_archE1100ELNS1_3gpuE3ELNS1_3repE0EEENS1_30default_config_static_selectorELNS0_4arch9wavefront6targetE1EEEvT1_,comdat
	.protected	_ZN7rocprim17ROCPRIM_400000_NS6detail17trampoline_kernelINS0_14default_configENS1_25partition_config_selectorILNS1_17partition_subalgoE8EsNS0_10empty_typeEbEEZZNS1_14partition_implILS5_8ELb0ES3_jN6thrust23THRUST_200600_302600_NS6detail15normal_iteratorINSA_10device_ptrIsEEEEPS6_PKS6_NS0_5tupleIJSF_S6_EEENSJ_IJSG_SG_EEENS0_18inequality_wrapperINSA_8equal_toIsEEEEPmJS6_EEE10hipError_tPvRmT3_T4_T5_T6_T7_T9_mT8_P12ihipStream_tbDpT10_ENKUlT_T0_E_clISt17integral_constantIbLb1EES1A_EEDaS15_S16_EUlS15_E_NS1_11comp_targetILNS1_3genE9ELNS1_11target_archE1100ELNS1_3gpuE3ELNS1_3repE0EEENS1_30default_config_static_selectorELNS0_4arch9wavefront6targetE1EEEvT1_ ; -- Begin function _ZN7rocprim17ROCPRIM_400000_NS6detail17trampoline_kernelINS0_14default_configENS1_25partition_config_selectorILNS1_17partition_subalgoE8EsNS0_10empty_typeEbEEZZNS1_14partition_implILS5_8ELb0ES3_jN6thrust23THRUST_200600_302600_NS6detail15normal_iteratorINSA_10device_ptrIsEEEEPS6_PKS6_NS0_5tupleIJSF_S6_EEENSJ_IJSG_SG_EEENS0_18inequality_wrapperINSA_8equal_toIsEEEEPmJS6_EEE10hipError_tPvRmT3_T4_T5_T6_T7_T9_mT8_P12ihipStream_tbDpT10_ENKUlT_T0_E_clISt17integral_constantIbLb1EES1A_EEDaS15_S16_EUlS15_E_NS1_11comp_targetILNS1_3genE9ELNS1_11target_archE1100ELNS1_3gpuE3ELNS1_3repE0EEENS1_30default_config_static_selectorELNS0_4arch9wavefront6targetE1EEEvT1_
	.globl	_ZN7rocprim17ROCPRIM_400000_NS6detail17trampoline_kernelINS0_14default_configENS1_25partition_config_selectorILNS1_17partition_subalgoE8EsNS0_10empty_typeEbEEZZNS1_14partition_implILS5_8ELb0ES3_jN6thrust23THRUST_200600_302600_NS6detail15normal_iteratorINSA_10device_ptrIsEEEEPS6_PKS6_NS0_5tupleIJSF_S6_EEENSJ_IJSG_SG_EEENS0_18inequality_wrapperINSA_8equal_toIsEEEEPmJS6_EEE10hipError_tPvRmT3_T4_T5_T6_T7_T9_mT8_P12ihipStream_tbDpT10_ENKUlT_T0_E_clISt17integral_constantIbLb1EES1A_EEDaS15_S16_EUlS15_E_NS1_11comp_targetILNS1_3genE9ELNS1_11target_archE1100ELNS1_3gpuE3ELNS1_3repE0EEENS1_30default_config_static_selectorELNS0_4arch9wavefront6targetE1EEEvT1_
	.p2align	8
	.type	_ZN7rocprim17ROCPRIM_400000_NS6detail17trampoline_kernelINS0_14default_configENS1_25partition_config_selectorILNS1_17partition_subalgoE8EsNS0_10empty_typeEbEEZZNS1_14partition_implILS5_8ELb0ES3_jN6thrust23THRUST_200600_302600_NS6detail15normal_iteratorINSA_10device_ptrIsEEEEPS6_PKS6_NS0_5tupleIJSF_S6_EEENSJ_IJSG_SG_EEENS0_18inequality_wrapperINSA_8equal_toIsEEEEPmJS6_EEE10hipError_tPvRmT3_T4_T5_T6_T7_T9_mT8_P12ihipStream_tbDpT10_ENKUlT_T0_E_clISt17integral_constantIbLb1EES1A_EEDaS15_S16_EUlS15_E_NS1_11comp_targetILNS1_3genE9ELNS1_11target_archE1100ELNS1_3gpuE3ELNS1_3repE0EEENS1_30default_config_static_selectorELNS0_4arch9wavefront6targetE1EEEvT1_,@function
_ZN7rocprim17ROCPRIM_400000_NS6detail17trampoline_kernelINS0_14default_configENS1_25partition_config_selectorILNS1_17partition_subalgoE8EsNS0_10empty_typeEbEEZZNS1_14partition_implILS5_8ELb0ES3_jN6thrust23THRUST_200600_302600_NS6detail15normal_iteratorINSA_10device_ptrIsEEEEPS6_PKS6_NS0_5tupleIJSF_S6_EEENSJ_IJSG_SG_EEENS0_18inequality_wrapperINSA_8equal_toIsEEEEPmJS6_EEE10hipError_tPvRmT3_T4_T5_T6_T7_T9_mT8_P12ihipStream_tbDpT10_ENKUlT_T0_E_clISt17integral_constantIbLb1EES1A_EEDaS15_S16_EUlS15_E_NS1_11comp_targetILNS1_3genE9ELNS1_11target_archE1100ELNS1_3gpuE3ELNS1_3repE0EEENS1_30default_config_static_selectorELNS0_4arch9wavefront6targetE1EEEvT1_: ; @_ZN7rocprim17ROCPRIM_400000_NS6detail17trampoline_kernelINS0_14default_configENS1_25partition_config_selectorILNS1_17partition_subalgoE8EsNS0_10empty_typeEbEEZZNS1_14partition_implILS5_8ELb0ES3_jN6thrust23THRUST_200600_302600_NS6detail15normal_iteratorINSA_10device_ptrIsEEEEPS6_PKS6_NS0_5tupleIJSF_S6_EEENSJ_IJSG_SG_EEENS0_18inequality_wrapperINSA_8equal_toIsEEEEPmJS6_EEE10hipError_tPvRmT3_T4_T5_T6_T7_T9_mT8_P12ihipStream_tbDpT10_ENKUlT_T0_E_clISt17integral_constantIbLb1EES1A_EEDaS15_S16_EUlS15_E_NS1_11comp_targetILNS1_3genE9ELNS1_11target_archE1100ELNS1_3gpuE3ELNS1_3repE0EEENS1_30default_config_static_selectorELNS0_4arch9wavefront6targetE1EEEvT1_
; %bb.0:
	.section	.rodata,"a",@progbits
	.p2align	6, 0x0
	.amdhsa_kernel _ZN7rocprim17ROCPRIM_400000_NS6detail17trampoline_kernelINS0_14default_configENS1_25partition_config_selectorILNS1_17partition_subalgoE8EsNS0_10empty_typeEbEEZZNS1_14partition_implILS5_8ELb0ES3_jN6thrust23THRUST_200600_302600_NS6detail15normal_iteratorINSA_10device_ptrIsEEEEPS6_PKS6_NS0_5tupleIJSF_S6_EEENSJ_IJSG_SG_EEENS0_18inequality_wrapperINSA_8equal_toIsEEEEPmJS6_EEE10hipError_tPvRmT3_T4_T5_T6_T7_T9_mT8_P12ihipStream_tbDpT10_ENKUlT_T0_E_clISt17integral_constantIbLb1EES1A_EEDaS15_S16_EUlS15_E_NS1_11comp_targetILNS1_3genE9ELNS1_11target_archE1100ELNS1_3gpuE3ELNS1_3repE0EEENS1_30default_config_static_selectorELNS0_4arch9wavefront6targetE1EEEvT1_
		.amdhsa_group_segment_fixed_size 0
		.amdhsa_private_segment_fixed_size 0
		.amdhsa_kernarg_size 128
		.amdhsa_user_sgpr_count 6
		.amdhsa_user_sgpr_private_segment_buffer 1
		.amdhsa_user_sgpr_dispatch_ptr 0
		.amdhsa_user_sgpr_queue_ptr 0
		.amdhsa_user_sgpr_kernarg_segment_ptr 1
		.amdhsa_user_sgpr_dispatch_id 0
		.amdhsa_user_sgpr_flat_scratch_init 0
		.amdhsa_user_sgpr_private_segment_size 0
		.amdhsa_uses_dynamic_stack 0
		.amdhsa_system_sgpr_private_segment_wavefront_offset 0
		.amdhsa_system_sgpr_workgroup_id_x 1
		.amdhsa_system_sgpr_workgroup_id_y 0
		.amdhsa_system_sgpr_workgroup_id_z 0
		.amdhsa_system_sgpr_workgroup_info 0
		.amdhsa_system_vgpr_workitem_id 0
		.amdhsa_next_free_vgpr 1
		.amdhsa_next_free_sgpr 0
		.amdhsa_reserve_vcc 0
		.amdhsa_reserve_flat_scratch 0
		.amdhsa_float_round_mode_32 0
		.amdhsa_float_round_mode_16_64 0
		.amdhsa_float_denorm_mode_32 3
		.amdhsa_float_denorm_mode_16_64 3
		.amdhsa_dx10_clamp 1
		.amdhsa_ieee_mode 1
		.amdhsa_fp16_overflow 0
		.amdhsa_exception_fp_ieee_invalid_op 0
		.amdhsa_exception_fp_denorm_src 0
		.amdhsa_exception_fp_ieee_div_zero 0
		.amdhsa_exception_fp_ieee_overflow 0
		.amdhsa_exception_fp_ieee_underflow 0
		.amdhsa_exception_fp_ieee_inexact 0
		.amdhsa_exception_int_div_zero 0
	.end_amdhsa_kernel
	.section	.text._ZN7rocprim17ROCPRIM_400000_NS6detail17trampoline_kernelINS0_14default_configENS1_25partition_config_selectorILNS1_17partition_subalgoE8EsNS0_10empty_typeEbEEZZNS1_14partition_implILS5_8ELb0ES3_jN6thrust23THRUST_200600_302600_NS6detail15normal_iteratorINSA_10device_ptrIsEEEEPS6_PKS6_NS0_5tupleIJSF_S6_EEENSJ_IJSG_SG_EEENS0_18inequality_wrapperINSA_8equal_toIsEEEEPmJS6_EEE10hipError_tPvRmT3_T4_T5_T6_T7_T9_mT8_P12ihipStream_tbDpT10_ENKUlT_T0_E_clISt17integral_constantIbLb1EES1A_EEDaS15_S16_EUlS15_E_NS1_11comp_targetILNS1_3genE9ELNS1_11target_archE1100ELNS1_3gpuE3ELNS1_3repE0EEENS1_30default_config_static_selectorELNS0_4arch9wavefront6targetE1EEEvT1_,"axG",@progbits,_ZN7rocprim17ROCPRIM_400000_NS6detail17trampoline_kernelINS0_14default_configENS1_25partition_config_selectorILNS1_17partition_subalgoE8EsNS0_10empty_typeEbEEZZNS1_14partition_implILS5_8ELb0ES3_jN6thrust23THRUST_200600_302600_NS6detail15normal_iteratorINSA_10device_ptrIsEEEEPS6_PKS6_NS0_5tupleIJSF_S6_EEENSJ_IJSG_SG_EEENS0_18inequality_wrapperINSA_8equal_toIsEEEEPmJS6_EEE10hipError_tPvRmT3_T4_T5_T6_T7_T9_mT8_P12ihipStream_tbDpT10_ENKUlT_T0_E_clISt17integral_constantIbLb1EES1A_EEDaS15_S16_EUlS15_E_NS1_11comp_targetILNS1_3genE9ELNS1_11target_archE1100ELNS1_3gpuE3ELNS1_3repE0EEENS1_30default_config_static_selectorELNS0_4arch9wavefront6targetE1EEEvT1_,comdat
.Lfunc_end483:
	.size	_ZN7rocprim17ROCPRIM_400000_NS6detail17trampoline_kernelINS0_14default_configENS1_25partition_config_selectorILNS1_17partition_subalgoE8EsNS0_10empty_typeEbEEZZNS1_14partition_implILS5_8ELb0ES3_jN6thrust23THRUST_200600_302600_NS6detail15normal_iteratorINSA_10device_ptrIsEEEEPS6_PKS6_NS0_5tupleIJSF_S6_EEENSJ_IJSG_SG_EEENS0_18inequality_wrapperINSA_8equal_toIsEEEEPmJS6_EEE10hipError_tPvRmT3_T4_T5_T6_T7_T9_mT8_P12ihipStream_tbDpT10_ENKUlT_T0_E_clISt17integral_constantIbLb1EES1A_EEDaS15_S16_EUlS15_E_NS1_11comp_targetILNS1_3genE9ELNS1_11target_archE1100ELNS1_3gpuE3ELNS1_3repE0EEENS1_30default_config_static_selectorELNS0_4arch9wavefront6targetE1EEEvT1_, .Lfunc_end483-_ZN7rocprim17ROCPRIM_400000_NS6detail17trampoline_kernelINS0_14default_configENS1_25partition_config_selectorILNS1_17partition_subalgoE8EsNS0_10empty_typeEbEEZZNS1_14partition_implILS5_8ELb0ES3_jN6thrust23THRUST_200600_302600_NS6detail15normal_iteratorINSA_10device_ptrIsEEEEPS6_PKS6_NS0_5tupleIJSF_S6_EEENSJ_IJSG_SG_EEENS0_18inequality_wrapperINSA_8equal_toIsEEEEPmJS6_EEE10hipError_tPvRmT3_T4_T5_T6_T7_T9_mT8_P12ihipStream_tbDpT10_ENKUlT_T0_E_clISt17integral_constantIbLb1EES1A_EEDaS15_S16_EUlS15_E_NS1_11comp_targetILNS1_3genE9ELNS1_11target_archE1100ELNS1_3gpuE3ELNS1_3repE0EEENS1_30default_config_static_selectorELNS0_4arch9wavefront6targetE1EEEvT1_
                                        ; -- End function
	.set _ZN7rocprim17ROCPRIM_400000_NS6detail17trampoline_kernelINS0_14default_configENS1_25partition_config_selectorILNS1_17partition_subalgoE8EsNS0_10empty_typeEbEEZZNS1_14partition_implILS5_8ELb0ES3_jN6thrust23THRUST_200600_302600_NS6detail15normal_iteratorINSA_10device_ptrIsEEEEPS6_PKS6_NS0_5tupleIJSF_S6_EEENSJ_IJSG_SG_EEENS0_18inequality_wrapperINSA_8equal_toIsEEEEPmJS6_EEE10hipError_tPvRmT3_T4_T5_T6_T7_T9_mT8_P12ihipStream_tbDpT10_ENKUlT_T0_E_clISt17integral_constantIbLb1EES1A_EEDaS15_S16_EUlS15_E_NS1_11comp_targetILNS1_3genE9ELNS1_11target_archE1100ELNS1_3gpuE3ELNS1_3repE0EEENS1_30default_config_static_selectorELNS0_4arch9wavefront6targetE1EEEvT1_.num_vgpr, 0
	.set _ZN7rocprim17ROCPRIM_400000_NS6detail17trampoline_kernelINS0_14default_configENS1_25partition_config_selectorILNS1_17partition_subalgoE8EsNS0_10empty_typeEbEEZZNS1_14partition_implILS5_8ELb0ES3_jN6thrust23THRUST_200600_302600_NS6detail15normal_iteratorINSA_10device_ptrIsEEEEPS6_PKS6_NS0_5tupleIJSF_S6_EEENSJ_IJSG_SG_EEENS0_18inequality_wrapperINSA_8equal_toIsEEEEPmJS6_EEE10hipError_tPvRmT3_T4_T5_T6_T7_T9_mT8_P12ihipStream_tbDpT10_ENKUlT_T0_E_clISt17integral_constantIbLb1EES1A_EEDaS15_S16_EUlS15_E_NS1_11comp_targetILNS1_3genE9ELNS1_11target_archE1100ELNS1_3gpuE3ELNS1_3repE0EEENS1_30default_config_static_selectorELNS0_4arch9wavefront6targetE1EEEvT1_.num_agpr, 0
	.set _ZN7rocprim17ROCPRIM_400000_NS6detail17trampoline_kernelINS0_14default_configENS1_25partition_config_selectorILNS1_17partition_subalgoE8EsNS0_10empty_typeEbEEZZNS1_14partition_implILS5_8ELb0ES3_jN6thrust23THRUST_200600_302600_NS6detail15normal_iteratorINSA_10device_ptrIsEEEEPS6_PKS6_NS0_5tupleIJSF_S6_EEENSJ_IJSG_SG_EEENS0_18inequality_wrapperINSA_8equal_toIsEEEEPmJS6_EEE10hipError_tPvRmT3_T4_T5_T6_T7_T9_mT8_P12ihipStream_tbDpT10_ENKUlT_T0_E_clISt17integral_constantIbLb1EES1A_EEDaS15_S16_EUlS15_E_NS1_11comp_targetILNS1_3genE9ELNS1_11target_archE1100ELNS1_3gpuE3ELNS1_3repE0EEENS1_30default_config_static_selectorELNS0_4arch9wavefront6targetE1EEEvT1_.numbered_sgpr, 0
	.set _ZN7rocprim17ROCPRIM_400000_NS6detail17trampoline_kernelINS0_14default_configENS1_25partition_config_selectorILNS1_17partition_subalgoE8EsNS0_10empty_typeEbEEZZNS1_14partition_implILS5_8ELb0ES3_jN6thrust23THRUST_200600_302600_NS6detail15normal_iteratorINSA_10device_ptrIsEEEEPS6_PKS6_NS0_5tupleIJSF_S6_EEENSJ_IJSG_SG_EEENS0_18inequality_wrapperINSA_8equal_toIsEEEEPmJS6_EEE10hipError_tPvRmT3_T4_T5_T6_T7_T9_mT8_P12ihipStream_tbDpT10_ENKUlT_T0_E_clISt17integral_constantIbLb1EES1A_EEDaS15_S16_EUlS15_E_NS1_11comp_targetILNS1_3genE9ELNS1_11target_archE1100ELNS1_3gpuE3ELNS1_3repE0EEENS1_30default_config_static_selectorELNS0_4arch9wavefront6targetE1EEEvT1_.num_named_barrier, 0
	.set _ZN7rocprim17ROCPRIM_400000_NS6detail17trampoline_kernelINS0_14default_configENS1_25partition_config_selectorILNS1_17partition_subalgoE8EsNS0_10empty_typeEbEEZZNS1_14partition_implILS5_8ELb0ES3_jN6thrust23THRUST_200600_302600_NS6detail15normal_iteratorINSA_10device_ptrIsEEEEPS6_PKS6_NS0_5tupleIJSF_S6_EEENSJ_IJSG_SG_EEENS0_18inequality_wrapperINSA_8equal_toIsEEEEPmJS6_EEE10hipError_tPvRmT3_T4_T5_T6_T7_T9_mT8_P12ihipStream_tbDpT10_ENKUlT_T0_E_clISt17integral_constantIbLb1EES1A_EEDaS15_S16_EUlS15_E_NS1_11comp_targetILNS1_3genE9ELNS1_11target_archE1100ELNS1_3gpuE3ELNS1_3repE0EEENS1_30default_config_static_selectorELNS0_4arch9wavefront6targetE1EEEvT1_.private_seg_size, 0
	.set _ZN7rocprim17ROCPRIM_400000_NS6detail17trampoline_kernelINS0_14default_configENS1_25partition_config_selectorILNS1_17partition_subalgoE8EsNS0_10empty_typeEbEEZZNS1_14partition_implILS5_8ELb0ES3_jN6thrust23THRUST_200600_302600_NS6detail15normal_iteratorINSA_10device_ptrIsEEEEPS6_PKS6_NS0_5tupleIJSF_S6_EEENSJ_IJSG_SG_EEENS0_18inequality_wrapperINSA_8equal_toIsEEEEPmJS6_EEE10hipError_tPvRmT3_T4_T5_T6_T7_T9_mT8_P12ihipStream_tbDpT10_ENKUlT_T0_E_clISt17integral_constantIbLb1EES1A_EEDaS15_S16_EUlS15_E_NS1_11comp_targetILNS1_3genE9ELNS1_11target_archE1100ELNS1_3gpuE3ELNS1_3repE0EEENS1_30default_config_static_selectorELNS0_4arch9wavefront6targetE1EEEvT1_.uses_vcc, 0
	.set _ZN7rocprim17ROCPRIM_400000_NS6detail17trampoline_kernelINS0_14default_configENS1_25partition_config_selectorILNS1_17partition_subalgoE8EsNS0_10empty_typeEbEEZZNS1_14partition_implILS5_8ELb0ES3_jN6thrust23THRUST_200600_302600_NS6detail15normal_iteratorINSA_10device_ptrIsEEEEPS6_PKS6_NS0_5tupleIJSF_S6_EEENSJ_IJSG_SG_EEENS0_18inequality_wrapperINSA_8equal_toIsEEEEPmJS6_EEE10hipError_tPvRmT3_T4_T5_T6_T7_T9_mT8_P12ihipStream_tbDpT10_ENKUlT_T0_E_clISt17integral_constantIbLb1EES1A_EEDaS15_S16_EUlS15_E_NS1_11comp_targetILNS1_3genE9ELNS1_11target_archE1100ELNS1_3gpuE3ELNS1_3repE0EEENS1_30default_config_static_selectorELNS0_4arch9wavefront6targetE1EEEvT1_.uses_flat_scratch, 0
	.set _ZN7rocprim17ROCPRIM_400000_NS6detail17trampoline_kernelINS0_14default_configENS1_25partition_config_selectorILNS1_17partition_subalgoE8EsNS0_10empty_typeEbEEZZNS1_14partition_implILS5_8ELb0ES3_jN6thrust23THRUST_200600_302600_NS6detail15normal_iteratorINSA_10device_ptrIsEEEEPS6_PKS6_NS0_5tupleIJSF_S6_EEENSJ_IJSG_SG_EEENS0_18inequality_wrapperINSA_8equal_toIsEEEEPmJS6_EEE10hipError_tPvRmT3_T4_T5_T6_T7_T9_mT8_P12ihipStream_tbDpT10_ENKUlT_T0_E_clISt17integral_constantIbLb1EES1A_EEDaS15_S16_EUlS15_E_NS1_11comp_targetILNS1_3genE9ELNS1_11target_archE1100ELNS1_3gpuE3ELNS1_3repE0EEENS1_30default_config_static_selectorELNS0_4arch9wavefront6targetE1EEEvT1_.has_dyn_sized_stack, 0
	.set _ZN7rocprim17ROCPRIM_400000_NS6detail17trampoline_kernelINS0_14default_configENS1_25partition_config_selectorILNS1_17partition_subalgoE8EsNS0_10empty_typeEbEEZZNS1_14partition_implILS5_8ELb0ES3_jN6thrust23THRUST_200600_302600_NS6detail15normal_iteratorINSA_10device_ptrIsEEEEPS6_PKS6_NS0_5tupleIJSF_S6_EEENSJ_IJSG_SG_EEENS0_18inequality_wrapperINSA_8equal_toIsEEEEPmJS6_EEE10hipError_tPvRmT3_T4_T5_T6_T7_T9_mT8_P12ihipStream_tbDpT10_ENKUlT_T0_E_clISt17integral_constantIbLb1EES1A_EEDaS15_S16_EUlS15_E_NS1_11comp_targetILNS1_3genE9ELNS1_11target_archE1100ELNS1_3gpuE3ELNS1_3repE0EEENS1_30default_config_static_selectorELNS0_4arch9wavefront6targetE1EEEvT1_.has_recursion, 0
	.set _ZN7rocprim17ROCPRIM_400000_NS6detail17trampoline_kernelINS0_14default_configENS1_25partition_config_selectorILNS1_17partition_subalgoE8EsNS0_10empty_typeEbEEZZNS1_14partition_implILS5_8ELb0ES3_jN6thrust23THRUST_200600_302600_NS6detail15normal_iteratorINSA_10device_ptrIsEEEEPS6_PKS6_NS0_5tupleIJSF_S6_EEENSJ_IJSG_SG_EEENS0_18inequality_wrapperINSA_8equal_toIsEEEEPmJS6_EEE10hipError_tPvRmT3_T4_T5_T6_T7_T9_mT8_P12ihipStream_tbDpT10_ENKUlT_T0_E_clISt17integral_constantIbLb1EES1A_EEDaS15_S16_EUlS15_E_NS1_11comp_targetILNS1_3genE9ELNS1_11target_archE1100ELNS1_3gpuE3ELNS1_3repE0EEENS1_30default_config_static_selectorELNS0_4arch9wavefront6targetE1EEEvT1_.has_indirect_call, 0
	.section	.AMDGPU.csdata,"",@progbits
; Kernel info:
; codeLenInByte = 0
; TotalNumSgprs: 4
; NumVgprs: 0
; ScratchSize: 0
; MemoryBound: 0
; FloatMode: 240
; IeeeMode: 1
; LDSByteSize: 0 bytes/workgroup (compile time only)
; SGPRBlocks: 0
; VGPRBlocks: 0
; NumSGPRsForWavesPerEU: 4
; NumVGPRsForWavesPerEU: 1
; Occupancy: 10
; WaveLimiterHint : 0
; COMPUTE_PGM_RSRC2:SCRATCH_EN: 0
; COMPUTE_PGM_RSRC2:USER_SGPR: 6
; COMPUTE_PGM_RSRC2:TRAP_HANDLER: 0
; COMPUTE_PGM_RSRC2:TGID_X_EN: 1
; COMPUTE_PGM_RSRC2:TGID_Y_EN: 0
; COMPUTE_PGM_RSRC2:TGID_Z_EN: 0
; COMPUTE_PGM_RSRC2:TIDIG_COMP_CNT: 0
	.section	.text._ZN7rocprim17ROCPRIM_400000_NS6detail17trampoline_kernelINS0_14default_configENS1_25partition_config_selectorILNS1_17partition_subalgoE8EsNS0_10empty_typeEbEEZZNS1_14partition_implILS5_8ELb0ES3_jN6thrust23THRUST_200600_302600_NS6detail15normal_iteratorINSA_10device_ptrIsEEEEPS6_PKS6_NS0_5tupleIJSF_S6_EEENSJ_IJSG_SG_EEENS0_18inequality_wrapperINSA_8equal_toIsEEEEPmJS6_EEE10hipError_tPvRmT3_T4_T5_T6_T7_T9_mT8_P12ihipStream_tbDpT10_ENKUlT_T0_E_clISt17integral_constantIbLb1EES1A_EEDaS15_S16_EUlS15_E_NS1_11comp_targetILNS1_3genE8ELNS1_11target_archE1030ELNS1_3gpuE2ELNS1_3repE0EEENS1_30default_config_static_selectorELNS0_4arch9wavefront6targetE1EEEvT1_,"axG",@progbits,_ZN7rocprim17ROCPRIM_400000_NS6detail17trampoline_kernelINS0_14default_configENS1_25partition_config_selectorILNS1_17partition_subalgoE8EsNS0_10empty_typeEbEEZZNS1_14partition_implILS5_8ELb0ES3_jN6thrust23THRUST_200600_302600_NS6detail15normal_iteratorINSA_10device_ptrIsEEEEPS6_PKS6_NS0_5tupleIJSF_S6_EEENSJ_IJSG_SG_EEENS0_18inequality_wrapperINSA_8equal_toIsEEEEPmJS6_EEE10hipError_tPvRmT3_T4_T5_T6_T7_T9_mT8_P12ihipStream_tbDpT10_ENKUlT_T0_E_clISt17integral_constantIbLb1EES1A_EEDaS15_S16_EUlS15_E_NS1_11comp_targetILNS1_3genE8ELNS1_11target_archE1030ELNS1_3gpuE2ELNS1_3repE0EEENS1_30default_config_static_selectorELNS0_4arch9wavefront6targetE1EEEvT1_,comdat
	.protected	_ZN7rocprim17ROCPRIM_400000_NS6detail17trampoline_kernelINS0_14default_configENS1_25partition_config_selectorILNS1_17partition_subalgoE8EsNS0_10empty_typeEbEEZZNS1_14partition_implILS5_8ELb0ES3_jN6thrust23THRUST_200600_302600_NS6detail15normal_iteratorINSA_10device_ptrIsEEEEPS6_PKS6_NS0_5tupleIJSF_S6_EEENSJ_IJSG_SG_EEENS0_18inequality_wrapperINSA_8equal_toIsEEEEPmJS6_EEE10hipError_tPvRmT3_T4_T5_T6_T7_T9_mT8_P12ihipStream_tbDpT10_ENKUlT_T0_E_clISt17integral_constantIbLb1EES1A_EEDaS15_S16_EUlS15_E_NS1_11comp_targetILNS1_3genE8ELNS1_11target_archE1030ELNS1_3gpuE2ELNS1_3repE0EEENS1_30default_config_static_selectorELNS0_4arch9wavefront6targetE1EEEvT1_ ; -- Begin function _ZN7rocprim17ROCPRIM_400000_NS6detail17trampoline_kernelINS0_14default_configENS1_25partition_config_selectorILNS1_17partition_subalgoE8EsNS0_10empty_typeEbEEZZNS1_14partition_implILS5_8ELb0ES3_jN6thrust23THRUST_200600_302600_NS6detail15normal_iteratorINSA_10device_ptrIsEEEEPS6_PKS6_NS0_5tupleIJSF_S6_EEENSJ_IJSG_SG_EEENS0_18inequality_wrapperINSA_8equal_toIsEEEEPmJS6_EEE10hipError_tPvRmT3_T4_T5_T6_T7_T9_mT8_P12ihipStream_tbDpT10_ENKUlT_T0_E_clISt17integral_constantIbLb1EES1A_EEDaS15_S16_EUlS15_E_NS1_11comp_targetILNS1_3genE8ELNS1_11target_archE1030ELNS1_3gpuE2ELNS1_3repE0EEENS1_30default_config_static_selectorELNS0_4arch9wavefront6targetE1EEEvT1_
	.globl	_ZN7rocprim17ROCPRIM_400000_NS6detail17trampoline_kernelINS0_14default_configENS1_25partition_config_selectorILNS1_17partition_subalgoE8EsNS0_10empty_typeEbEEZZNS1_14partition_implILS5_8ELb0ES3_jN6thrust23THRUST_200600_302600_NS6detail15normal_iteratorINSA_10device_ptrIsEEEEPS6_PKS6_NS0_5tupleIJSF_S6_EEENSJ_IJSG_SG_EEENS0_18inequality_wrapperINSA_8equal_toIsEEEEPmJS6_EEE10hipError_tPvRmT3_T4_T5_T6_T7_T9_mT8_P12ihipStream_tbDpT10_ENKUlT_T0_E_clISt17integral_constantIbLb1EES1A_EEDaS15_S16_EUlS15_E_NS1_11comp_targetILNS1_3genE8ELNS1_11target_archE1030ELNS1_3gpuE2ELNS1_3repE0EEENS1_30default_config_static_selectorELNS0_4arch9wavefront6targetE1EEEvT1_
	.p2align	8
	.type	_ZN7rocprim17ROCPRIM_400000_NS6detail17trampoline_kernelINS0_14default_configENS1_25partition_config_selectorILNS1_17partition_subalgoE8EsNS0_10empty_typeEbEEZZNS1_14partition_implILS5_8ELb0ES3_jN6thrust23THRUST_200600_302600_NS6detail15normal_iteratorINSA_10device_ptrIsEEEEPS6_PKS6_NS0_5tupleIJSF_S6_EEENSJ_IJSG_SG_EEENS0_18inequality_wrapperINSA_8equal_toIsEEEEPmJS6_EEE10hipError_tPvRmT3_T4_T5_T6_T7_T9_mT8_P12ihipStream_tbDpT10_ENKUlT_T0_E_clISt17integral_constantIbLb1EES1A_EEDaS15_S16_EUlS15_E_NS1_11comp_targetILNS1_3genE8ELNS1_11target_archE1030ELNS1_3gpuE2ELNS1_3repE0EEENS1_30default_config_static_selectorELNS0_4arch9wavefront6targetE1EEEvT1_,@function
_ZN7rocprim17ROCPRIM_400000_NS6detail17trampoline_kernelINS0_14default_configENS1_25partition_config_selectorILNS1_17partition_subalgoE8EsNS0_10empty_typeEbEEZZNS1_14partition_implILS5_8ELb0ES3_jN6thrust23THRUST_200600_302600_NS6detail15normal_iteratorINSA_10device_ptrIsEEEEPS6_PKS6_NS0_5tupleIJSF_S6_EEENSJ_IJSG_SG_EEENS0_18inequality_wrapperINSA_8equal_toIsEEEEPmJS6_EEE10hipError_tPvRmT3_T4_T5_T6_T7_T9_mT8_P12ihipStream_tbDpT10_ENKUlT_T0_E_clISt17integral_constantIbLb1EES1A_EEDaS15_S16_EUlS15_E_NS1_11comp_targetILNS1_3genE8ELNS1_11target_archE1030ELNS1_3gpuE2ELNS1_3repE0EEENS1_30default_config_static_selectorELNS0_4arch9wavefront6targetE1EEEvT1_: ; @_ZN7rocprim17ROCPRIM_400000_NS6detail17trampoline_kernelINS0_14default_configENS1_25partition_config_selectorILNS1_17partition_subalgoE8EsNS0_10empty_typeEbEEZZNS1_14partition_implILS5_8ELb0ES3_jN6thrust23THRUST_200600_302600_NS6detail15normal_iteratorINSA_10device_ptrIsEEEEPS6_PKS6_NS0_5tupleIJSF_S6_EEENSJ_IJSG_SG_EEENS0_18inequality_wrapperINSA_8equal_toIsEEEEPmJS6_EEE10hipError_tPvRmT3_T4_T5_T6_T7_T9_mT8_P12ihipStream_tbDpT10_ENKUlT_T0_E_clISt17integral_constantIbLb1EES1A_EEDaS15_S16_EUlS15_E_NS1_11comp_targetILNS1_3genE8ELNS1_11target_archE1030ELNS1_3gpuE2ELNS1_3repE0EEENS1_30default_config_static_selectorELNS0_4arch9wavefront6targetE1EEEvT1_
; %bb.0:
	.section	.rodata,"a",@progbits
	.p2align	6, 0x0
	.amdhsa_kernel _ZN7rocprim17ROCPRIM_400000_NS6detail17trampoline_kernelINS0_14default_configENS1_25partition_config_selectorILNS1_17partition_subalgoE8EsNS0_10empty_typeEbEEZZNS1_14partition_implILS5_8ELb0ES3_jN6thrust23THRUST_200600_302600_NS6detail15normal_iteratorINSA_10device_ptrIsEEEEPS6_PKS6_NS0_5tupleIJSF_S6_EEENSJ_IJSG_SG_EEENS0_18inequality_wrapperINSA_8equal_toIsEEEEPmJS6_EEE10hipError_tPvRmT3_T4_T5_T6_T7_T9_mT8_P12ihipStream_tbDpT10_ENKUlT_T0_E_clISt17integral_constantIbLb1EES1A_EEDaS15_S16_EUlS15_E_NS1_11comp_targetILNS1_3genE8ELNS1_11target_archE1030ELNS1_3gpuE2ELNS1_3repE0EEENS1_30default_config_static_selectorELNS0_4arch9wavefront6targetE1EEEvT1_
		.amdhsa_group_segment_fixed_size 0
		.amdhsa_private_segment_fixed_size 0
		.amdhsa_kernarg_size 128
		.amdhsa_user_sgpr_count 6
		.amdhsa_user_sgpr_private_segment_buffer 1
		.amdhsa_user_sgpr_dispatch_ptr 0
		.amdhsa_user_sgpr_queue_ptr 0
		.amdhsa_user_sgpr_kernarg_segment_ptr 1
		.amdhsa_user_sgpr_dispatch_id 0
		.amdhsa_user_sgpr_flat_scratch_init 0
		.amdhsa_user_sgpr_private_segment_size 0
		.amdhsa_uses_dynamic_stack 0
		.amdhsa_system_sgpr_private_segment_wavefront_offset 0
		.amdhsa_system_sgpr_workgroup_id_x 1
		.amdhsa_system_sgpr_workgroup_id_y 0
		.amdhsa_system_sgpr_workgroup_id_z 0
		.amdhsa_system_sgpr_workgroup_info 0
		.amdhsa_system_vgpr_workitem_id 0
		.amdhsa_next_free_vgpr 1
		.amdhsa_next_free_sgpr 0
		.amdhsa_reserve_vcc 0
		.amdhsa_reserve_flat_scratch 0
		.amdhsa_float_round_mode_32 0
		.amdhsa_float_round_mode_16_64 0
		.amdhsa_float_denorm_mode_32 3
		.amdhsa_float_denorm_mode_16_64 3
		.amdhsa_dx10_clamp 1
		.amdhsa_ieee_mode 1
		.amdhsa_fp16_overflow 0
		.amdhsa_exception_fp_ieee_invalid_op 0
		.amdhsa_exception_fp_denorm_src 0
		.amdhsa_exception_fp_ieee_div_zero 0
		.amdhsa_exception_fp_ieee_overflow 0
		.amdhsa_exception_fp_ieee_underflow 0
		.amdhsa_exception_fp_ieee_inexact 0
		.amdhsa_exception_int_div_zero 0
	.end_amdhsa_kernel
	.section	.text._ZN7rocprim17ROCPRIM_400000_NS6detail17trampoline_kernelINS0_14default_configENS1_25partition_config_selectorILNS1_17partition_subalgoE8EsNS0_10empty_typeEbEEZZNS1_14partition_implILS5_8ELb0ES3_jN6thrust23THRUST_200600_302600_NS6detail15normal_iteratorINSA_10device_ptrIsEEEEPS6_PKS6_NS0_5tupleIJSF_S6_EEENSJ_IJSG_SG_EEENS0_18inequality_wrapperINSA_8equal_toIsEEEEPmJS6_EEE10hipError_tPvRmT3_T4_T5_T6_T7_T9_mT8_P12ihipStream_tbDpT10_ENKUlT_T0_E_clISt17integral_constantIbLb1EES1A_EEDaS15_S16_EUlS15_E_NS1_11comp_targetILNS1_3genE8ELNS1_11target_archE1030ELNS1_3gpuE2ELNS1_3repE0EEENS1_30default_config_static_selectorELNS0_4arch9wavefront6targetE1EEEvT1_,"axG",@progbits,_ZN7rocprim17ROCPRIM_400000_NS6detail17trampoline_kernelINS0_14default_configENS1_25partition_config_selectorILNS1_17partition_subalgoE8EsNS0_10empty_typeEbEEZZNS1_14partition_implILS5_8ELb0ES3_jN6thrust23THRUST_200600_302600_NS6detail15normal_iteratorINSA_10device_ptrIsEEEEPS6_PKS6_NS0_5tupleIJSF_S6_EEENSJ_IJSG_SG_EEENS0_18inequality_wrapperINSA_8equal_toIsEEEEPmJS6_EEE10hipError_tPvRmT3_T4_T5_T6_T7_T9_mT8_P12ihipStream_tbDpT10_ENKUlT_T0_E_clISt17integral_constantIbLb1EES1A_EEDaS15_S16_EUlS15_E_NS1_11comp_targetILNS1_3genE8ELNS1_11target_archE1030ELNS1_3gpuE2ELNS1_3repE0EEENS1_30default_config_static_selectorELNS0_4arch9wavefront6targetE1EEEvT1_,comdat
.Lfunc_end484:
	.size	_ZN7rocprim17ROCPRIM_400000_NS6detail17trampoline_kernelINS0_14default_configENS1_25partition_config_selectorILNS1_17partition_subalgoE8EsNS0_10empty_typeEbEEZZNS1_14partition_implILS5_8ELb0ES3_jN6thrust23THRUST_200600_302600_NS6detail15normal_iteratorINSA_10device_ptrIsEEEEPS6_PKS6_NS0_5tupleIJSF_S6_EEENSJ_IJSG_SG_EEENS0_18inequality_wrapperINSA_8equal_toIsEEEEPmJS6_EEE10hipError_tPvRmT3_T4_T5_T6_T7_T9_mT8_P12ihipStream_tbDpT10_ENKUlT_T0_E_clISt17integral_constantIbLb1EES1A_EEDaS15_S16_EUlS15_E_NS1_11comp_targetILNS1_3genE8ELNS1_11target_archE1030ELNS1_3gpuE2ELNS1_3repE0EEENS1_30default_config_static_selectorELNS0_4arch9wavefront6targetE1EEEvT1_, .Lfunc_end484-_ZN7rocprim17ROCPRIM_400000_NS6detail17trampoline_kernelINS0_14default_configENS1_25partition_config_selectorILNS1_17partition_subalgoE8EsNS0_10empty_typeEbEEZZNS1_14partition_implILS5_8ELb0ES3_jN6thrust23THRUST_200600_302600_NS6detail15normal_iteratorINSA_10device_ptrIsEEEEPS6_PKS6_NS0_5tupleIJSF_S6_EEENSJ_IJSG_SG_EEENS0_18inequality_wrapperINSA_8equal_toIsEEEEPmJS6_EEE10hipError_tPvRmT3_T4_T5_T6_T7_T9_mT8_P12ihipStream_tbDpT10_ENKUlT_T0_E_clISt17integral_constantIbLb1EES1A_EEDaS15_S16_EUlS15_E_NS1_11comp_targetILNS1_3genE8ELNS1_11target_archE1030ELNS1_3gpuE2ELNS1_3repE0EEENS1_30default_config_static_selectorELNS0_4arch9wavefront6targetE1EEEvT1_
                                        ; -- End function
	.set _ZN7rocprim17ROCPRIM_400000_NS6detail17trampoline_kernelINS0_14default_configENS1_25partition_config_selectorILNS1_17partition_subalgoE8EsNS0_10empty_typeEbEEZZNS1_14partition_implILS5_8ELb0ES3_jN6thrust23THRUST_200600_302600_NS6detail15normal_iteratorINSA_10device_ptrIsEEEEPS6_PKS6_NS0_5tupleIJSF_S6_EEENSJ_IJSG_SG_EEENS0_18inequality_wrapperINSA_8equal_toIsEEEEPmJS6_EEE10hipError_tPvRmT3_T4_T5_T6_T7_T9_mT8_P12ihipStream_tbDpT10_ENKUlT_T0_E_clISt17integral_constantIbLb1EES1A_EEDaS15_S16_EUlS15_E_NS1_11comp_targetILNS1_3genE8ELNS1_11target_archE1030ELNS1_3gpuE2ELNS1_3repE0EEENS1_30default_config_static_selectorELNS0_4arch9wavefront6targetE1EEEvT1_.num_vgpr, 0
	.set _ZN7rocprim17ROCPRIM_400000_NS6detail17trampoline_kernelINS0_14default_configENS1_25partition_config_selectorILNS1_17partition_subalgoE8EsNS0_10empty_typeEbEEZZNS1_14partition_implILS5_8ELb0ES3_jN6thrust23THRUST_200600_302600_NS6detail15normal_iteratorINSA_10device_ptrIsEEEEPS6_PKS6_NS0_5tupleIJSF_S6_EEENSJ_IJSG_SG_EEENS0_18inequality_wrapperINSA_8equal_toIsEEEEPmJS6_EEE10hipError_tPvRmT3_T4_T5_T6_T7_T9_mT8_P12ihipStream_tbDpT10_ENKUlT_T0_E_clISt17integral_constantIbLb1EES1A_EEDaS15_S16_EUlS15_E_NS1_11comp_targetILNS1_3genE8ELNS1_11target_archE1030ELNS1_3gpuE2ELNS1_3repE0EEENS1_30default_config_static_selectorELNS0_4arch9wavefront6targetE1EEEvT1_.num_agpr, 0
	.set _ZN7rocprim17ROCPRIM_400000_NS6detail17trampoline_kernelINS0_14default_configENS1_25partition_config_selectorILNS1_17partition_subalgoE8EsNS0_10empty_typeEbEEZZNS1_14partition_implILS5_8ELb0ES3_jN6thrust23THRUST_200600_302600_NS6detail15normal_iteratorINSA_10device_ptrIsEEEEPS6_PKS6_NS0_5tupleIJSF_S6_EEENSJ_IJSG_SG_EEENS0_18inequality_wrapperINSA_8equal_toIsEEEEPmJS6_EEE10hipError_tPvRmT3_T4_T5_T6_T7_T9_mT8_P12ihipStream_tbDpT10_ENKUlT_T0_E_clISt17integral_constantIbLb1EES1A_EEDaS15_S16_EUlS15_E_NS1_11comp_targetILNS1_3genE8ELNS1_11target_archE1030ELNS1_3gpuE2ELNS1_3repE0EEENS1_30default_config_static_selectorELNS0_4arch9wavefront6targetE1EEEvT1_.numbered_sgpr, 0
	.set _ZN7rocprim17ROCPRIM_400000_NS6detail17trampoline_kernelINS0_14default_configENS1_25partition_config_selectorILNS1_17partition_subalgoE8EsNS0_10empty_typeEbEEZZNS1_14partition_implILS5_8ELb0ES3_jN6thrust23THRUST_200600_302600_NS6detail15normal_iteratorINSA_10device_ptrIsEEEEPS6_PKS6_NS0_5tupleIJSF_S6_EEENSJ_IJSG_SG_EEENS0_18inequality_wrapperINSA_8equal_toIsEEEEPmJS6_EEE10hipError_tPvRmT3_T4_T5_T6_T7_T9_mT8_P12ihipStream_tbDpT10_ENKUlT_T0_E_clISt17integral_constantIbLb1EES1A_EEDaS15_S16_EUlS15_E_NS1_11comp_targetILNS1_3genE8ELNS1_11target_archE1030ELNS1_3gpuE2ELNS1_3repE0EEENS1_30default_config_static_selectorELNS0_4arch9wavefront6targetE1EEEvT1_.num_named_barrier, 0
	.set _ZN7rocprim17ROCPRIM_400000_NS6detail17trampoline_kernelINS0_14default_configENS1_25partition_config_selectorILNS1_17partition_subalgoE8EsNS0_10empty_typeEbEEZZNS1_14partition_implILS5_8ELb0ES3_jN6thrust23THRUST_200600_302600_NS6detail15normal_iteratorINSA_10device_ptrIsEEEEPS6_PKS6_NS0_5tupleIJSF_S6_EEENSJ_IJSG_SG_EEENS0_18inequality_wrapperINSA_8equal_toIsEEEEPmJS6_EEE10hipError_tPvRmT3_T4_T5_T6_T7_T9_mT8_P12ihipStream_tbDpT10_ENKUlT_T0_E_clISt17integral_constantIbLb1EES1A_EEDaS15_S16_EUlS15_E_NS1_11comp_targetILNS1_3genE8ELNS1_11target_archE1030ELNS1_3gpuE2ELNS1_3repE0EEENS1_30default_config_static_selectorELNS0_4arch9wavefront6targetE1EEEvT1_.private_seg_size, 0
	.set _ZN7rocprim17ROCPRIM_400000_NS6detail17trampoline_kernelINS0_14default_configENS1_25partition_config_selectorILNS1_17partition_subalgoE8EsNS0_10empty_typeEbEEZZNS1_14partition_implILS5_8ELb0ES3_jN6thrust23THRUST_200600_302600_NS6detail15normal_iteratorINSA_10device_ptrIsEEEEPS6_PKS6_NS0_5tupleIJSF_S6_EEENSJ_IJSG_SG_EEENS0_18inequality_wrapperINSA_8equal_toIsEEEEPmJS6_EEE10hipError_tPvRmT3_T4_T5_T6_T7_T9_mT8_P12ihipStream_tbDpT10_ENKUlT_T0_E_clISt17integral_constantIbLb1EES1A_EEDaS15_S16_EUlS15_E_NS1_11comp_targetILNS1_3genE8ELNS1_11target_archE1030ELNS1_3gpuE2ELNS1_3repE0EEENS1_30default_config_static_selectorELNS0_4arch9wavefront6targetE1EEEvT1_.uses_vcc, 0
	.set _ZN7rocprim17ROCPRIM_400000_NS6detail17trampoline_kernelINS0_14default_configENS1_25partition_config_selectorILNS1_17partition_subalgoE8EsNS0_10empty_typeEbEEZZNS1_14partition_implILS5_8ELb0ES3_jN6thrust23THRUST_200600_302600_NS6detail15normal_iteratorINSA_10device_ptrIsEEEEPS6_PKS6_NS0_5tupleIJSF_S6_EEENSJ_IJSG_SG_EEENS0_18inequality_wrapperINSA_8equal_toIsEEEEPmJS6_EEE10hipError_tPvRmT3_T4_T5_T6_T7_T9_mT8_P12ihipStream_tbDpT10_ENKUlT_T0_E_clISt17integral_constantIbLb1EES1A_EEDaS15_S16_EUlS15_E_NS1_11comp_targetILNS1_3genE8ELNS1_11target_archE1030ELNS1_3gpuE2ELNS1_3repE0EEENS1_30default_config_static_selectorELNS0_4arch9wavefront6targetE1EEEvT1_.uses_flat_scratch, 0
	.set _ZN7rocprim17ROCPRIM_400000_NS6detail17trampoline_kernelINS0_14default_configENS1_25partition_config_selectorILNS1_17partition_subalgoE8EsNS0_10empty_typeEbEEZZNS1_14partition_implILS5_8ELb0ES3_jN6thrust23THRUST_200600_302600_NS6detail15normal_iteratorINSA_10device_ptrIsEEEEPS6_PKS6_NS0_5tupleIJSF_S6_EEENSJ_IJSG_SG_EEENS0_18inequality_wrapperINSA_8equal_toIsEEEEPmJS6_EEE10hipError_tPvRmT3_T4_T5_T6_T7_T9_mT8_P12ihipStream_tbDpT10_ENKUlT_T0_E_clISt17integral_constantIbLb1EES1A_EEDaS15_S16_EUlS15_E_NS1_11comp_targetILNS1_3genE8ELNS1_11target_archE1030ELNS1_3gpuE2ELNS1_3repE0EEENS1_30default_config_static_selectorELNS0_4arch9wavefront6targetE1EEEvT1_.has_dyn_sized_stack, 0
	.set _ZN7rocprim17ROCPRIM_400000_NS6detail17trampoline_kernelINS0_14default_configENS1_25partition_config_selectorILNS1_17partition_subalgoE8EsNS0_10empty_typeEbEEZZNS1_14partition_implILS5_8ELb0ES3_jN6thrust23THRUST_200600_302600_NS6detail15normal_iteratorINSA_10device_ptrIsEEEEPS6_PKS6_NS0_5tupleIJSF_S6_EEENSJ_IJSG_SG_EEENS0_18inequality_wrapperINSA_8equal_toIsEEEEPmJS6_EEE10hipError_tPvRmT3_T4_T5_T6_T7_T9_mT8_P12ihipStream_tbDpT10_ENKUlT_T0_E_clISt17integral_constantIbLb1EES1A_EEDaS15_S16_EUlS15_E_NS1_11comp_targetILNS1_3genE8ELNS1_11target_archE1030ELNS1_3gpuE2ELNS1_3repE0EEENS1_30default_config_static_selectorELNS0_4arch9wavefront6targetE1EEEvT1_.has_recursion, 0
	.set _ZN7rocprim17ROCPRIM_400000_NS6detail17trampoline_kernelINS0_14default_configENS1_25partition_config_selectorILNS1_17partition_subalgoE8EsNS0_10empty_typeEbEEZZNS1_14partition_implILS5_8ELb0ES3_jN6thrust23THRUST_200600_302600_NS6detail15normal_iteratorINSA_10device_ptrIsEEEEPS6_PKS6_NS0_5tupleIJSF_S6_EEENSJ_IJSG_SG_EEENS0_18inequality_wrapperINSA_8equal_toIsEEEEPmJS6_EEE10hipError_tPvRmT3_T4_T5_T6_T7_T9_mT8_P12ihipStream_tbDpT10_ENKUlT_T0_E_clISt17integral_constantIbLb1EES1A_EEDaS15_S16_EUlS15_E_NS1_11comp_targetILNS1_3genE8ELNS1_11target_archE1030ELNS1_3gpuE2ELNS1_3repE0EEENS1_30default_config_static_selectorELNS0_4arch9wavefront6targetE1EEEvT1_.has_indirect_call, 0
	.section	.AMDGPU.csdata,"",@progbits
; Kernel info:
; codeLenInByte = 0
; TotalNumSgprs: 4
; NumVgprs: 0
; ScratchSize: 0
; MemoryBound: 0
; FloatMode: 240
; IeeeMode: 1
; LDSByteSize: 0 bytes/workgroup (compile time only)
; SGPRBlocks: 0
; VGPRBlocks: 0
; NumSGPRsForWavesPerEU: 4
; NumVGPRsForWavesPerEU: 1
; Occupancy: 10
; WaveLimiterHint : 0
; COMPUTE_PGM_RSRC2:SCRATCH_EN: 0
; COMPUTE_PGM_RSRC2:USER_SGPR: 6
; COMPUTE_PGM_RSRC2:TRAP_HANDLER: 0
; COMPUTE_PGM_RSRC2:TGID_X_EN: 1
; COMPUTE_PGM_RSRC2:TGID_Y_EN: 0
; COMPUTE_PGM_RSRC2:TGID_Z_EN: 0
; COMPUTE_PGM_RSRC2:TIDIG_COMP_CNT: 0
	.section	.text._ZN7rocprim17ROCPRIM_400000_NS6detail17trampoline_kernelINS0_14default_configENS1_25partition_config_selectorILNS1_17partition_subalgoE8EsNS0_10empty_typeEbEEZZNS1_14partition_implILS5_8ELb0ES3_jN6thrust23THRUST_200600_302600_NS6detail15normal_iteratorINSA_10device_ptrIsEEEEPS6_PKS6_NS0_5tupleIJSF_S6_EEENSJ_IJSG_SG_EEENS0_18inequality_wrapperINSA_8equal_toIsEEEEPmJS6_EEE10hipError_tPvRmT3_T4_T5_T6_T7_T9_mT8_P12ihipStream_tbDpT10_ENKUlT_T0_E_clISt17integral_constantIbLb1EES19_IbLb0EEEEDaS15_S16_EUlS15_E_NS1_11comp_targetILNS1_3genE0ELNS1_11target_archE4294967295ELNS1_3gpuE0ELNS1_3repE0EEENS1_30default_config_static_selectorELNS0_4arch9wavefront6targetE1EEEvT1_,"axG",@progbits,_ZN7rocprim17ROCPRIM_400000_NS6detail17trampoline_kernelINS0_14default_configENS1_25partition_config_selectorILNS1_17partition_subalgoE8EsNS0_10empty_typeEbEEZZNS1_14partition_implILS5_8ELb0ES3_jN6thrust23THRUST_200600_302600_NS6detail15normal_iteratorINSA_10device_ptrIsEEEEPS6_PKS6_NS0_5tupleIJSF_S6_EEENSJ_IJSG_SG_EEENS0_18inequality_wrapperINSA_8equal_toIsEEEEPmJS6_EEE10hipError_tPvRmT3_T4_T5_T6_T7_T9_mT8_P12ihipStream_tbDpT10_ENKUlT_T0_E_clISt17integral_constantIbLb1EES19_IbLb0EEEEDaS15_S16_EUlS15_E_NS1_11comp_targetILNS1_3genE0ELNS1_11target_archE4294967295ELNS1_3gpuE0ELNS1_3repE0EEENS1_30default_config_static_selectorELNS0_4arch9wavefront6targetE1EEEvT1_,comdat
	.protected	_ZN7rocprim17ROCPRIM_400000_NS6detail17trampoline_kernelINS0_14default_configENS1_25partition_config_selectorILNS1_17partition_subalgoE8EsNS0_10empty_typeEbEEZZNS1_14partition_implILS5_8ELb0ES3_jN6thrust23THRUST_200600_302600_NS6detail15normal_iteratorINSA_10device_ptrIsEEEEPS6_PKS6_NS0_5tupleIJSF_S6_EEENSJ_IJSG_SG_EEENS0_18inequality_wrapperINSA_8equal_toIsEEEEPmJS6_EEE10hipError_tPvRmT3_T4_T5_T6_T7_T9_mT8_P12ihipStream_tbDpT10_ENKUlT_T0_E_clISt17integral_constantIbLb1EES19_IbLb0EEEEDaS15_S16_EUlS15_E_NS1_11comp_targetILNS1_3genE0ELNS1_11target_archE4294967295ELNS1_3gpuE0ELNS1_3repE0EEENS1_30default_config_static_selectorELNS0_4arch9wavefront6targetE1EEEvT1_ ; -- Begin function _ZN7rocprim17ROCPRIM_400000_NS6detail17trampoline_kernelINS0_14default_configENS1_25partition_config_selectorILNS1_17partition_subalgoE8EsNS0_10empty_typeEbEEZZNS1_14partition_implILS5_8ELb0ES3_jN6thrust23THRUST_200600_302600_NS6detail15normal_iteratorINSA_10device_ptrIsEEEEPS6_PKS6_NS0_5tupleIJSF_S6_EEENSJ_IJSG_SG_EEENS0_18inequality_wrapperINSA_8equal_toIsEEEEPmJS6_EEE10hipError_tPvRmT3_T4_T5_T6_T7_T9_mT8_P12ihipStream_tbDpT10_ENKUlT_T0_E_clISt17integral_constantIbLb1EES19_IbLb0EEEEDaS15_S16_EUlS15_E_NS1_11comp_targetILNS1_3genE0ELNS1_11target_archE4294967295ELNS1_3gpuE0ELNS1_3repE0EEENS1_30default_config_static_selectorELNS0_4arch9wavefront6targetE1EEEvT1_
	.globl	_ZN7rocprim17ROCPRIM_400000_NS6detail17trampoline_kernelINS0_14default_configENS1_25partition_config_selectorILNS1_17partition_subalgoE8EsNS0_10empty_typeEbEEZZNS1_14partition_implILS5_8ELb0ES3_jN6thrust23THRUST_200600_302600_NS6detail15normal_iteratorINSA_10device_ptrIsEEEEPS6_PKS6_NS0_5tupleIJSF_S6_EEENSJ_IJSG_SG_EEENS0_18inequality_wrapperINSA_8equal_toIsEEEEPmJS6_EEE10hipError_tPvRmT3_T4_T5_T6_T7_T9_mT8_P12ihipStream_tbDpT10_ENKUlT_T0_E_clISt17integral_constantIbLb1EES19_IbLb0EEEEDaS15_S16_EUlS15_E_NS1_11comp_targetILNS1_3genE0ELNS1_11target_archE4294967295ELNS1_3gpuE0ELNS1_3repE0EEENS1_30default_config_static_selectorELNS0_4arch9wavefront6targetE1EEEvT1_
	.p2align	8
	.type	_ZN7rocprim17ROCPRIM_400000_NS6detail17trampoline_kernelINS0_14default_configENS1_25partition_config_selectorILNS1_17partition_subalgoE8EsNS0_10empty_typeEbEEZZNS1_14partition_implILS5_8ELb0ES3_jN6thrust23THRUST_200600_302600_NS6detail15normal_iteratorINSA_10device_ptrIsEEEEPS6_PKS6_NS0_5tupleIJSF_S6_EEENSJ_IJSG_SG_EEENS0_18inequality_wrapperINSA_8equal_toIsEEEEPmJS6_EEE10hipError_tPvRmT3_T4_T5_T6_T7_T9_mT8_P12ihipStream_tbDpT10_ENKUlT_T0_E_clISt17integral_constantIbLb1EES19_IbLb0EEEEDaS15_S16_EUlS15_E_NS1_11comp_targetILNS1_3genE0ELNS1_11target_archE4294967295ELNS1_3gpuE0ELNS1_3repE0EEENS1_30default_config_static_selectorELNS0_4arch9wavefront6targetE1EEEvT1_,@function
_ZN7rocprim17ROCPRIM_400000_NS6detail17trampoline_kernelINS0_14default_configENS1_25partition_config_selectorILNS1_17partition_subalgoE8EsNS0_10empty_typeEbEEZZNS1_14partition_implILS5_8ELb0ES3_jN6thrust23THRUST_200600_302600_NS6detail15normal_iteratorINSA_10device_ptrIsEEEEPS6_PKS6_NS0_5tupleIJSF_S6_EEENSJ_IJSG_SG_EEENS0_18inequality_wrapperINSA_8equal_toIsEEEEPmJS6_EEE10hipError_tPvRmT3_T4_T5_T6_T7_T9_mT8_P12ihipStream_tbDpT10_ENKUlT_T0_E_clISt17integral_constantIbLb1EES19_IbLb0EEEEDaS15_S16_EUlS15_E_NS1_11comp_targetILNS1_3genE0ELNS1_11target_archE4294967295ELNS1_3gpuE0ELNS1_3repE0EEENS1_30default_config_static_selectorELNS0_4arch9wavefront6targetE1EEEvT1_: ; @_ZN7rocprim17ROCPRIM_400000_NS6detail17trampoline_kernelINS0_14default_configENS1_25partition_config_selectorILNS1_17partition_subalgoE8EsNS0_10empty_typeEbEEZZNS1_14partition_implILS5_8ELb0ES3_jN6thrust23THRUST_200600_302600_NS6detail15normal_iteratorINSA_10device_ptrIsEEEEPS6_PKS6_NS0_5tupleIJSF_S6_EEENSJ_IJSG_SG_EEENS0_18inequality_wrapperINSA_8equal_toIsEEEEPmJS6_EEE10hipError_tPvRmT3_T4_T5_T6_T7_T9_mT8_P12ihipStream_tbDpT10_ENKUlT_T0_E_clISt17integral_constantIbLb1EES19_IbLb0EEEEDaS15_S16_EUlS15_E_NS1_11comp_targetILNS1_3genE0ELNS1_11target_archE4294967295ELNS1_3gpuE0ELNS1_3repE0EEENS1_30default_config_static_selectorELNS0_4arch9wavefront6targetE1EEEvT1_
; %bb.0:
	.section	.rodata,"a",@progbits
	.p2align	6, 0x0
	.amdhsa_kernel _ZN7rocprim17ROCPRIM_400000_NS6detail17trampoline_kernelINS0_14default_configENS1_25partition_config_selectorILNS1_17partition_subalgoE8EsNS0_10empty_typeEbEEZZNS1_14partition_implILS5_8ELb0ES3_jN6thrust23THRUST_200600_302600_NS6detail15normal_iteratorINSA_10device_ptrIsEEEEPS6_PKS6_NS0_5tupleIJSF_S6_EEENSJ_IJSG_SG_EEENS0_18inequality_wrapperINSA_8equal_toIsEEEEPmJS6_EEE10hipError_tPvRmT3_T4_T5_T6_T7_T9_mT8_P12ihipStream_tbDpT10_ENKUlT_T0_E_clISt17integral_constantIbLb1EES19_IbLb0EEEEDaS15_S16_EUlS15_E_NS1_11comp_targetILNS1_3genE0ELNS1_11target_archE4294967295ELNS1_3gpuE0ELNS1_3repE0EEENS1_30default_config_static_selectorELNS0_4arch9wavefront6targetE1EEEvT1_
		.amdhsa_group_segment_fixed_size 0
		.amdhsa_private_segment_fixed_size 0
		.amdhsa_kernarg_size 112
		.amdhsa_user_sgpr_count 6
		.amdhsa_user_sgpr_private_segment_buffer 1
		.amdhsa_user_sgpr_dispatch_ptr 0
		.amdhsa_user_sgpr_queue_ptr 0
		.amdhsa_user_sgpr_kernarg_segment_ptr 1
		.amdhsa_user_sgpr_dispatch_id 0
		.amdhsa_user_sgpr_flat_scratch_init 0
		.amdhsa_user_sgpr_private_segment_size 0
		.amdhsa_uses_dynamic_stack 0
		.amdhsa_system_sgpr_private_segment_wavefront_offset 0
		.amdhsa_system_sgpr_workgroup_id_x 1
		.amdhsa_system_sgpr_workgroup_id_y 0
		.amdhsa_system_sgpr_workgroup_id_z 0
		.amdhsa_system_sgpr_workgroup_info 0
		.amdhsa_system_vgpr_workitem_id 0
		.amdhsa_next_free_vgpr 1
		.amdhsa_next_free_sgpr 0
		.amdhsa_reserve_vcc 0
		.amdhsa_reserve_flat_scratch 0
		.amdhsa_float_round_mode_32 0
		.amdhsa_float_round_mode_16_64 0
		.amdhsa_float_denorm_mode_32 3
		.amdhsa_float_denorm_mode_16_64 3
		.amdhsa_dx10_clamp 1
		.amdhsa_ieee_mode 1
		.amdhsa_fp16_overflow 0
		.amdhsa_exception_fp_ieee_invalid_op 0
		.amdhsa_exception_fp_denorm_src 0
		.amdhsa_exception_fp_ieee_div_zero 0
		.amdhsa_exception_fp_ieee_overflow 0
		.amdhsa_exception_fp_ieee_underflow 0
		.amdhsa_exception_fp_ieee_inexact 0
		.amdhsa_exception_int_div_zero 0
	.end_amdhsa_kernel
	.section	.text._ZN7rocprim17ROCPRIM_400000_NS6detail17trampoline_kernelINS0_14default_configENS1_25partition_config_selectorILNS1_17partition_subalgoE8EsNS0_10empty_typeEbEEZZNS1_14partition_implILS5_8ELb0ES3_jN6thrust23THRUST_200600_302600_NS6detail15normal_iteratorINSA_10device_ptrIsEEEEPS6_PKS6_NS0_5tupleIJSF_S6_EEENSJ_IJSG_SG_EEENS0_18inequality_wrapperINSA_8equal_toIsEEEEPmJS6_EEE10hipError_tPvRmT3_T4_T5_T6_T7_T9_mT8_P12ihipStream_tbDpT10_ENKUlT_T0_E_clISt17integral_constantIbLb1EES19_IbLb0EEEEDaS15_S16_EUlS15_E_NS1_11comp_targetILNS1_3genE0ELNS1_11target_archE4294967295ELNS1_3gpuE0ELNS1_3repE0EEENS1_30default_config_static_selectorELNS0_4arch9wavefront6targetE1EEEvT1_,"axG",@progbits,_ZN7rocprim17ROCPRIM_400000_NS6detail17trampoline_kernelINS0_14default_configENS1_25partition_config_selectorILNS1_17partition_subalgoE8EsNS0_10empty_typeEbEEZZNS1_14partition_implILS5_8ELb0ES3_jN6thrust23THRUST_200600_302600_NS6detail15normal_iteratorINSA_10device_ptrIsEEEEPS6_PKS6_NS0_5tupleIJSF_S6_EEENSJ_IJSG_SG_EEENS0_18inequality_wrapperINSA_8equal_toIsEEEEPmJS6_EEE10hipError_tPvRmT3_T4_T5_T6_T7_T9_mT8_P12ihipStream_tbDpT10_ENKUlT_T0_E_clISt17integral_constantIbLb1EES19_IbLb0EEEEDaS15_S16_EUlS15_E_NS1_11comp_targetILNS1_3genE0ELNS1_11target_archE4294967295ELNS1_3gpuE0ELNS1_3repE0EEENS1_30default_config_static_selectorELNS0_4arch9wavefront6targetE1EEEvT1_,comdat
.Lfunc_end485:
	.size	_ZN7rocprim17ROCPRIM_400000_NS6detail17trampoline_kernelINS0_14default_configENS1_25partition_config_selectorILNS1_17partition_subalgoE8EsNS0_10empty_typeEbEEZZNS1_14partition_implILS5_8ELb0ES3_jN6thrust23THRUST_200600_302600_NS6detail15normal_iteratorINSA_10device_ptrIsEEEEPS6_PKS6_NS0_5tupleIJSF_S6_EEENSJ_IJSG_SG_EEENS0_18inequality_wrapperINSA_8equal_toIsEEEEPmJS6_EEE10hipError_tPvRmT3_T4_T5_T6_T7_T9_mT8_P12ihipStream_tbDpT10_ENKUlT_T0_E_clISt17integral_constantIbLb1EES19_IbLb0EEEEDaS15_S16_EUlS15_E_NS1_11comp_targetILNS1_3genE0ELNS1_11target_archE4294967295ELNS1_3gpuE0ELNS1_3repE0EEENS1_30default_config_static_selectorELNS0_4arch9wavefront6targetE1EEEvT1_, .Lfunc_end485-_ZN7rocprim17ROCPRIM_400000_NS6detail17trampoline_kernelINS0_14default_configENS1_25partition_config_selectorILNS1_17partition_subalgoE8EsNS0_10empty_typeEbEEZZNS1_14partition_implILS5_8ELb0ES3_jN6thrust23THRUST_200600_302600_NS6detail15normal_iteratorINSA_10device_ptrIsEEEEPS6_PKS6_NS0_5tupleIJSF_S6_EEENSJ_IJSG_SG_EEENS0_18inequality_wrapperINSA_8equal_toIsEEEEPmJS6_EEE10hipError_tPvRmT3_T4_T5_T6_T7_T9_mT8_P12ihipStream_tbDpT10_ENKUlT_T0_E_clISt17integral_constantIbLb1EES19_IbLb0EEEEDaS15_S16_EUlS15_E_NS1_11comp_targetILNS1_3genE0ELNS1_11target_archE4294967295ELNS1_3gpuE0ELNS1_3repE0EEENS1_30default_config_static_selectorELNS0_4arch9wavefront6targetE1EEEvT1_
                                        ; -- End function
	.set _ZN7rocprim17ROCPRIM_400000_NS6detail17trampoline_kernelINS0_14default_configENS1_25partition_config_selectorILNS1_17partition_subalgoE8EsNS0_10empty_typeEbEEZZNS1_14partition_implILS5_8ELb0ES3_jN6thrust23THRUST_200600_302600_NS6detail15normal_iteratorINSA_10device_ptrIsEEEEPS6_PKS6_NS0_5tupleIJSF_S6_EEENSJ_IJSG_SG_EEENS0_18inequality_wrapperINSA_8equal_toIsEEEEPmJS6_EEE10hipError_tPvRmT3_T4_T5_T6_T7_T9_mT8_P12ihipStream_tbDpT10_ENKUlT_T0_E_clISt17integral_constantIbLb1EES19_IbLb0EEEEDaS15_S16_EUlS15_E_NS1_11comp_targetILNS1_3genE0ELNS1_11target_archE4294967295ELNS1_3gpuE0ELNS1_3repE0EEENS1_30default_config_static_selectorELNS0_4arch9wavefront6targetE1EEEvT1_.num_vgpr, 0
	.set _ZN7rocprim17ROCPRIM_400000_NS6detail17trampoline_kernelINS0_14default_configENS1_25partition_config_selectorILNS1_17partition_subalgoE8EsNS0_10empty_typeEbEEZZNS1_14partition_implILS5_8ELb0ES3_jN6thrust23THRUST_200600_302600_NS6detail15normal_iteratorINSA_10device_ptrIsEEEEPS6_PKS6_NS0_5tupleIJSF_S6_EEENSJ_IJSG_SG_EEENS0_18inequality_wrapperINSA_8equal_toIsEEEEPmJS6_EEE10hipError_tPvRmT3_T4_T5_T6_T7_T9_mT8_P12ihipStream_tbDpT10_ENKUlT_T0_E_clISt17integral_constantIbLb1EES19_IbLb0EEEEDaS15_S16_EUlS15_E_NS1_11comp_targetILNS1_3genE0ELNS1_11target_archE4294967295ELNS1_3gpuE0ELNS1_3repE0EEENS1_30default_config_static_selectorELNS0_4arch9wavefront6targetE1EEEvT1_.num_agpr, 0
	.set _ZN7rocprim17ROCPRIM_400000_NS6detail17trampoline_kernelINS0_14default_configENS1_25partition_config_selectorILNS1_17partition_subalgoE8EsNS0_10empty_typeEbEEZZNS1_14partition_implILS5_8ELb0ES3_jN6thrust23THRUST_200600_302600_NS6detail15normal_iteratorINSA_10device_ptrIsEEEEPS6_PKS6_NS0_5tupleIJSF_S6_EEENSJ_IJSG_SG_EEENS0_18inequality_wrapperINSA_8equal_toIsEEEEPmJS6_EEE10hipError_tPvRmT3_T4_T5_T6_T7_T9_mT8_P12ihipStream_tbDpT10_ENKUlT_T0_E_clISt17integral_constantIbLb1EES19_IbLb0EEEEDaS15_S16_EUlS15_E_NS1_11comp_targetILNS1_3genE0ELNS1_11target_archE4294967295ELNS1_3gpuE0ELNS1_3repE0EEENS1_30default_config_static_selectorELNS0_4arch9wavefront6targetE1EEEvT1_.numbered_sgpr, 0
	.set _ZN7rocprim17ROCPRIM_400000_NS6detail17trampoline_kernelINS0_14default_configENS1_25partition_config_selectorILNS1_17partition_subalgoE8EsNS0_10empty_typeEbEEZZNS1_14partition_implILS5_8ELb0ES3_jN6thrust23THRUST_200600_302600_NS6detail15normal_iteratorINSA_10device_ptrIsEEEEPS6_PKS6_NS0_5tupleIJSF_S6_EEENSJ_IJSG_SG_EEENS0_18inequality_wrapperINSA_8equal_toIsEEEEPmJS6_EEE10hipError_tPvRmT3_T4_T5_T6_T7_T9_mT8_P12ihipStream_tbDpT10_ENKUlT_T0_E_clISt17integral_constantIbLb1EES19_IbLb0EEEEDaS15_S16_EUlS15_E_NS1_11comp_targetILNS1_3genE0ELNS1_11target_archE4294967295ELNS1_3gpuE0ELNS1_3repE0EEENS1_30default_config_static_selectorELNS0_4arch9wavefront6targetE1EEEvT1_.num_named_barrier, 0
	.set _ZN7rocprim17ROCPRIM_400000_NS6detail17trampoline_kernelINS0_14default_configENS1_25partition_config_selectorILNS1_17partition_subalgoE8EsNS0_10empty_typeEbEEZZNS1_14partition_implILS5_8ELb0ES3_jN6thrust23THRUST_200600_302600_NS6detail15normal_iteratorINSA_10device_ptrIsEEEEPS6_PKS6_NS0_5tupleIJSF_S6_EEENSJ_IJSG_SG_EEENS0_18inequality_wrapperINSA_8equal_toIsEEEEPmJS6_EEE10hipError_tPvRmT3_T4_T5_T6_T7_T9_mT8_P12ihipStream_tbDpT10_ENKUlT_T0_E_clISt17integral_constantIbLb1EES19_IbLb0EEEEDaS15_S16_EUlS15_E_NS1_11comp_targetILNS1_3genE0ELNS1_11target_archE4294967295ELNS1_3gpuE0ELNS1_3repE0EEENS1_30default_config_static_selectorELNS0_4arch9wavefront6targetE1EEEvT1_.private_seg_size, 0
	.set _ZN7rocprim17ROCPRIM_400000_NS6detail17trampoline_kernelINS0_14default_configENS1_25partition_config_selectorILNS1_17partition_subalgoE8EsNS0_10empty_typeEbEEZZNS1_14partition_implILS5_8ELb0ES3_jN6thrust23THRUST_200600_302600_NS6detail15normal_iteratorINSA_10device_ptrIsEEEEPS6_PKS6_NS0_5tupleIJSF_S6_EEENSJ_IJSG_SG_EEENS0_18inequality_wrapperINSA_8equal_toIsEEEEPmJS6_EEE10hipError_tPvRmT3_T4_T5_T6_T7_T9_mT8_P12ihipStream_tbDpT10_ENKUlT_T0_E_clISt17integral_constantIbLb1EES19_IbLb0EEEEDaS15_S16_EUlS15_E_NS1_11comp_targetILNS1_3genE0ELNS1_11target_archE4294967295ELNS1_3gpuE0ELNS1_3repE0EEENS1_30default_config_static_selectorELNS0_4arch9wavefront6targetE1EEEvT1_.uses_vcc, 0
	.set _ZN7rocprim17ROCPRIM_400000_NS6detail17trampoline_kernelINS0_14default_configENS1_25partition_config_selectorILNS1_17partition_subalgoE8EsNS0_10empty_typeEbEEZZNS1_14partition_implILS5_8ELb0ES3_jN6thrust23THRUST_200600_302600_NS6detail15normal_iteratorINSA_10device_ptrIsEEEEPS6_PKS6_NS0_5tupleIJSF_S6_EEENSJ_IJSG_SG_EEENS0_18inequality_wrapperINSA_8equal_toIsEEEEPmJS6_EEE10hipError_tPvRmT3_T4_T5_T6_T7_T9_mT8_P12ihipStream_tbDpT10_ENKUlT_T0_E_clISt17integral_constantIbLb1EES19_IbLb0EEEEDaS15_S16_EUlS15_E_NS1_11comp_targetILNS1_3genE0ELNS1_11target_archE4294967295ELNS1_3gpuE0ELNS1_3repE0EEENS1_30default_config_static_selectorELNS0_4arch9wavefront6targetE1EEEvT1_.uses_flat_scratch, 0
	.set _ZN7rocprim17ROCPRIM_400000_NS6detail17trampoline_kernelINS0_14default_configENS1_25partition_config_selectorILNS1_17partition_subalgoE8EsNS0_10empty_typeEbEEZZNS1_14partition_implILS5_8ELb0ES3_jN6thrust23THRUST_200600_302600_NS6detail15normal_iteratorINSA_10device_ptrIsEEEEPS6_PKS6_NS0_5tupleIJSF_S6_EEENSJ_IJSG_SG_EEENS0_18inequality_wrapperINSA_8equal_toIsEEEEPmJS6_EEE10hipError_tPvRmT3_T4_T5_T6_T7_T9_mT8_P12ihipStream_tbDpT10_ENKUlT_T0_E_clISt17integral_constantIbLb1EES19_IbLb0EEEEDaS15_S16_EUlS15_E_NS1_11comp_targetILNS1_3genE0ELNS1_11target_archE4294967295ELNS1_3gpuE0ELNS1_3repE0EEENS1_30default_config_static_selectorELNS0_4arch9wavefront6targetE1EEEvT1_.has_dyn_sized_stack, 0
	.set _ZN7rocprim17ROCPRIM_400000_NS6detail17trampoline_kernelINS0_14default_configENS1_25partition_config_selectorILNS1_17partition_subalgoE8EsNS0_10empty_typeEbEEZZNS1_14partition_implILS5_8ELb0ES3_jN6thrust23THRUST_200600_302600_NS6detail15normal_iteratorINSA_10device_ptrIsEEEEPS6_PKS6_NS0_5tupleIJSF_S6_EEENSJ_IJSG_SG_EEENS0_18inequality_wrapperINSA_8equal_toIsEEEEPmJS6_EEE10hipError_tPvRmT3_T4_T5_T6_T7_T9_mT8_P12ihipStream_tbDpT10_ENKUlT_T0_E_clISt17integral_constantIbLb1EES19_IbLb0EEEEDaS15_S16_EUlS15_E_NS1_11comp_targetILNS1_3genE0ELNS1_11target_archE4294967295ELNS1_3gpuE0ELNS1_3repE0EEENS1_30default_config_static_selectorELNS0_4arch9wavefront6targetE1EEEvT1_.has_recursion, 0
	.set _ZN7rocprim17ROCPRIM_400000_NS6detail17trampoline_kernelINS0_14default_configENS1_25partition_config_selectorILNS1_17partition_subalgoE8EsNS0_10empty_typeEbEEZZNS1_14partition_implILS5_8ELb0ES3_jN6thrust23THRUST_200600_302600_NS6detail15normal_iteratorINSA_10device_ptrIsEEEEPS6_PKS6_NS0_5tupleIJSF_S6_EEENSJ_IJSG_SG_EEENS0_18inequality_wrapperINSA_8equal_toIsEEEEPmJS6_EEE10hipError_tPvRmT3_T4_T5_T6_T7_T9_mT8_P12ihipStream_tbDpT10_ENKUlT_T0_E_clISt17integral_constantIbLb1EES19_IbLb0EEEEDaS15_S16_EUlS15_E_NS1_11comp_targetILNS1_3genE0ELNS1_11target_archE4294967295ELNS1_3gpuE0ELNS1_3repE0EEENS1_30default_config_static_selectorELNS0_4arch9wavefront6targetE1EEEvT1_.has_indirect_call, 0
	.section	.AMDGPU.csdata,"",@progbits
; Kernel info:
; codeLenInByte = 0
; TotalNumSgprs: 4
; NumVgprs: 0
; ScratchSize: 0
; MemoryBound: 0
; FloatMode: 240
; IeeeMode: 1
; LDSByteSize: 0 bytes/workgroup (compile time only)
; SGPRBlocks: 0
; VGPRBlocks: 0
; NumSGPRsForWavesPerEU: 4
; NumVGPRsForWavesPerEU: 1
; Occupancy: 10
; WaveLimiterHint : 0
; COMPUTE_PGM_RSRC2:SCRATCH_EN: 0
; COMPUTE_PGM_RSRC2:USER_SGPR: 6
; COMPUTE_PGM_RSRC2:TRAP_HANDLER: 0
; COMPUTE_PGM_RSRC2:TGID_X_EN: 1
; COMPUTE_PGM_RSRC2:TGID_Y_EN: 0
; COMPUTE_PGM_RSRC2:TGID_Z_EN: 0
; COMPUTE_PGM_RSRC2:TIDIG_COMP_CNT: 0
	.section	.text._ZN7rocprim17ROCPRIM_400000_NS6detail17trampoline_kernelINS0_14default_configENS1_25partition_config_selectorILNS1_17partition_subalgoE8EsNS0_10empty_typeEbEEZZNS1_14partition_implILS5_8ELb0ES3_jN6thrust23THRUST_200600_302600_NS6detail15normal_iteratorINSA_10device_ptrIsEEEEPS6_PKS6_NS0_5tupleIJSF_S6_EEENSJ_IJSG_SG_EEENS0_18inequality_wrapperINSA_8equal_toIsEEEEPmJS6_EEE10hipError_tPvRmT3_T4_T5_T6_T7_T9_mT8_P12ihipStream_tbDpT10_ENKUlT_T0_E_clISt17integral_constantIbLb1EES19_IbLb0EEEEDaS15_S16_EUlS15_E_NS1_11comp_targetILNS1_3genE5ELNS1_11target_archE942ELNS1_3gpuE9ELNS1_3repE0EEENS1_30default_config_static_selectorELNS0_4arch9wavefront6targetE1EEEvT1_,"axG",@progbits,_ZN7rocprim17ROCPRIM_400000_NS6detail17trampoline_kernelINS0_14default_configENS1_25partition_config_selectorILNS1_17partition_subalgoE8EsNS0_10empty_typeEbEEZZNS1_14partition_implILS5_8ELb0ES3_jN6thrust23THRUST_200600_302600_NS6detail15normal_iteratorINSA_10device_ptrIsEEEEPS6_PKS6_NS0_5tupleIJSF_S6_EEENSJ_IJSG_SG_EEENS0_18inequality_wrapperINSA_8equal_toIsEEEEPmJS6_EEE10hipError_tPvRmT3_T4_T5_T6_T7_T9_mT8_P12ihipStream_tbDpT10_ENKUlT_T0_E_clISt17integral_constantIbLb1EES19_IbLb0EEEEDaS15_S16_EUlS15_E_NS1_11comp_targetILNS1_3genE5ELNS1_11target_archE942ELNS1_3gpuE9ELNS1_3repE0EEENS1_30default_config_static_selectorELNS0_4arch9wavefront6targetE1EEEvT1_,comdat
	.protected	_ZN7rocprim17ROCPRIM_400000_NS6detail17trampoline_kernelINS0_14default_configENS1_25partition_config_selectorILNS1_17partition_subalgoE8EsNS0_10empty_typeEbEEZZNS1_14partition_implILS5_8ELb0ES3_jN6thrust23THRUST_200600_302600_NS6detail15normal_iteratorINSA_10device_ptrIsEEEEPS6_PKS6_NS0_5tupleIJSF_S6_EEENSJ_IJSG_SG_EEENS0_18inequality_wrapperINSA_8equal_toIsEEEEPmJS6_EEE10hipError_tPvRmT3_T4_T5_T6_T7_T9_mT8_P12ihipStream_tbDpT10_ENKUlT_T0_E_clISt17integral_constantIbLb1EES19_IbLb0EEEEDaS15_S16_EUlS15_E_NS1_11comp_targetILNS1_3genE5ELNS1_11target_archE942ELNS1_3gpuE9ELNS1_3repE0EEENS1_30default_config_static_selectorELNS0_4arch9wavefront6targetE1EEEvT1_ ; -- Begin function _ZN7rocprim17ROCPRIM_400000_NS6detail17trampoline_kernelINS0_14default_configENS1_25partition_config_selectorILNS1_17partition_subalgoE8EsNS0_10empty_typeEbEEZZNS1_14partition_implILS5_8ELb0ES3_jN6thrust23THRUST_200600_302600_NS6detail15normal_iteratorINSA_10device_ptrIsEEEEPS6_PKS6_NS0_5tupleIJSF_S6_EEENSJ_IJSG_SG_EEENS0_18inequality_wrapperINSA_8equal_toIsEEEEPmJS6_EEE10hipError_tPvRmT3_T4_T5_T6_T7_T9_mT8_P12ihipStream_tbDpT10_ENKUlT_T0_E_clISt17integral_constantIbLb1EES19_IbLb0EEEEDaS15_S16_EUlS15_E_NS1_11comp_targetILNS1_3genE5ELNS1_11target_archE942ELNS1_3gpuE9ELNS1_3repE0EEENS1_30default_config_static_selectorELNS0_4arch9wavefront6targetE1EEEvT1_
	.globl	_ZN7rocprim17ROCPRIM_400000_NS6detail17trampoline_kernelINS0_14default_configENS1_25partition_config_selectorILNS1_17partition_subalgoE8EsNS0_10empty_typeEbEEZZNS1_14partition_implILS5_8ELb0ES3_jN6thrust23THRUST_200600_302600_NS6detail15normal_iteratorINSA_10device_ptrIsEEEEPS6_PKS6_NS0_5tupleIJSF_S6_EEENSJ_IJSG_SG_EEENS0_18inequality_wrapperINSA_8equal_toIsEEEEPmJS6_EEE10hipError_tPvRmT3_T4_T5_T6_T7_T9_mT8_P12ihipStream_tbDpT10_ENKUlT_T0_E_clISt17integral_constantIbLb1EES19_IbLb0EEEEDaS15_S16_EUlS15_E_NS1_11comp_targetILNS1_3genE5ELNS1_11target_archE942ELNS1_3gpuE9ELNS1_3repE0EEENS1_30default_config_static_selectorELNS0_4arch9wavefront6targetE1EEEvT1_
	.p2align	8
	.type	_ZN7rocprim17ROCPRIM_400000_NS6detail17trampoline_kernelINS0_14default_configENS1_25partition_config_selectorILNS1_17partition_subalgoE8EsNS0_10empty_typeEbEEZZNS1_14partition_implILS5_8ELb0ES3_jN6thrust23THRUST_200600_302600_NS6detail15normal_iteratorINSA_10device_ptrIsEEEEPS6_PKS6_NS0_5tupleIJSF_S6_EEENSJ_IJSG_SG_EEENS0_18inequality_wrapperINSA_8equal_toIsEEEEPmJS6_EEE10hipError_tPvRmT3_T4_T5_T6_T7_T9_mT8_P12ihipStream_tbDpT10_ENKUlT_T0_E_clISt17integral_constantIbLb1EES19_IbLb0EEEEDaS15_S16_EUlS15_E_NS1_11comp_targetILNS1_3genE5ELNS1_11target_archE942ELNS1_3gpuE9ELNS1_3repE0EEENS1_30default_config_static_selectorELNS0_4arch9wavefront6targetE1EEEvT1_,@function
_ZN7rocprim17ROCPRIM_400000_NS6detail17trampoline_kernelINS0_14default_configENS1_25partition_config_selectorILNS1_17partition_subalgoE8EsNS0_10empty_typeEbEEZZNS1_14partition_implILS5_8ELb0ES3_jN6thrust23THRUST_200600_302600_NS6detail15normal_iteratorINSA_10device_ptrIsEEEEPS6_PKS6_NS0_5tupleIJSF_S6_EEENSJ_IJSG_SG_EEENS0_18inequality_wrapperINSA_8equal_toIsEEEEPmJS6_EEE10hipError_tPvRmT3_T4_T5_T6_T7_T9_mT8_P12ihipStream_tbDpT10_ENKUlT_T0_E_clISt17integral_constantIbLb1EES19_IbLb0EEEEDaS15_S16_EUlS15_E_NS1_11comp_targetILNS1_3genE5ELNS1_11target_archE942ELNS1_3gpuE9ELNS1_3repE0EEENS1_30default_config_static_selectorELNS0_4arch9wavefront6targetE1EEEvT1_: ; @_ZN7rocprim17ROCPRIM_400000_NS6detail17trampoline_kernelINS0_14default_configENS1_25partition_config_selectorILNS1_17partition_subalgoE8EsNS0_10empty_typeEbEEZZNS1_14partition_implILS5_8ELb0ES3_jN6thrust23THRUST_200600_302600_NS6detail15normal_iteratorINSA_10device_ptrIsEEEEPS6_PKS6_NS0_5tupleIJSF_S6_EEENSJ_IJSG_SG_EEENS0_18inequality_wrapperINSA_8equal_toIsEEEEPmJS6_EEE10hipError_tPvRmT3_T4_T5_T6_T7_T9_mT8_P12ihipStream_tbDpT10_ENKUlT_T0_E_clISt17integral_constantIbLb1EES19_IbLb0EEEEDaS15_S16_EUlS15_E_NS1_11comp_targetILNS1_3genE5ELNS1_11target_archE942ELNS1_3gpuE9ELNS1_3repE0EEENS1_30default_config_static_selectorELNS0_4arch9wavefront6targetE1EEEvT1_
; %bb.0:
	.section	.rodata,"a",@progbits
	.p2align	6, 0x0
	.amdhsa_kernel _ZN7rocprim17ROCPRIM_400000_NS6detail17trampoline_kernelINS0_14default_configENS1_25partition_config_selectorILNS1_17partition_subalgoE8EsNS0_10empty_typeEbEEZZNS1_14partition_implILS5_8ELb0ES3_jN6thrust23THRUST_200600_302600_NS6detail15normal_iteratorINSA_10device_ptrIsEEEEPS6_PKS6_NS0_5tupleIJSF_S6_EEENSJ_IJSG_SG_EEENS0_18inequality_wrapperINSA_8equal_toIsEEEEPmJS6_EEE10hipError_tPvRmT3_T4_T5_T6_T7_T9_mT8_P12ihipStream_tbDpT10_ENKUlT_T0_E_clISt17integral_constantIbLb1EES19_IbLb0EEEEDaS15_S16_EUlS15_E_NS1_11comp_targetILNS1_3genE5ELNS1_11target_archE942ELNS1_3gpuE9ELNS1_3repE0EEENS1_30default_config_static_selectorELNS0_4arch9wavefront6targetE1EEEvT1_
		.amdhsa_group_segment_fixed_size 0
		.amdhsa_private_segment_fixed_size 0
		.amdhsa_kernarg_size 112
		.amdhsa_user_sgpr_count 6
		.amdhsa_user_sgpr_private_segment_buffer 1
		.amdhsa_user_sgpr_dispatch_ptr 0
		.amdhsa_user_sgpr_queue_ptr 0
		.amdhsa_user_sgpr_kernarg_segment_ptr 1
		.amdhsa_user_sgpr_dispatch_id 0
		.amdhsa_user_sgpr_flat_scratch_init 0
		.amdhsa_user_sgpr_private_segment_size 0
		.amdhsa_uses_dynamic_stack 0
		.amdhsa_system_sgpr_private_segment_wavefront_offset 0
		.amdhsa_system_sgpr_workgroup_id_x 1
		.amdhsa_system_sgpr_workgroup_id_y 0
		.amdhsa_system_sgpr_workgroup_id_z 0
		.amdhsa_system_sgpr_workgroup_info 0
		.amdhsa_system_vgpr_workitem_id 0
		.amdhsa_next_free_vgpr 1
		.amdhsa_next_free_sgpr 0
		.amdhsa_reserve_vcc 0
		.amdhsa_reserve_flat_scratch 0
		.amdhsa_float_round_mode_32 0
		.amdhsa_float_round_mode_16_64 0
		.amdhsa_float_denorm_mode_32 3
		.amdhsa_float_denorm_mode_16_64 3
		.amdhsa_dx10_clamp 1
		.amdhsa_ieee_mode 1
		.amdhsa_fp16_overflow 0
		.amdhsa_exception_fp_ieee_invalid_op 0
		.amdhsa_exception_fp_denorm_src 0
		.amdhsa_exception_fp_ieee_div_zero 0
		.amdhsa_exception_fp_ieee_overflow 0
		.amdhsa_exception_fp_ieee_underflow 0
		.amdhsa_exception_fp_ieee_inexact 0
		.amdhsa_exception_int_div_zero 0
	.end_amdhsa_kernel
	.section	.text._ZN7rocprim17ROCPRIM_400000_NS6detail17trampoline_kernelINS0_14default_configENS1_25partition_config_selectorILNS1_17partition_subalgoE8EsNS0_10empty_typeEbEEZZNS1_14partition_implILS5_8ELb0ES3_jN6thrust23THRUST_200600_302600_NS6detail15normal_iteratorINSA_10device_ptrIsEEEEPS6_PKS6_NS0_5tupleIJSF_S6_EEENSJ_IJSG_SG_EEENS0_18inequality_wrapperINSA_8equal_toIsEEEEPmJS6_EEE10hipError_tPvRmT3_T4_T5_T6_T7_T9_mT8_P12ihipStream_tbDpT10_ENKUlT_T0_E_clISt17integral_constantIbLb1EES19_IbLb0EEEEDaS15_S16_EUlS15_E_NS1_11comp_targetILNS1_3genE5ELNS1_11target_archE942ELNS1_3gpuE9ELNS1_3repE0EEENS1_30default_config_static_selectorELNS0_4arch9wavefront6targetE1EEEvT1_,"axG",@progbits,_ZN7rocprim17ROCPRIM_400000_NS6detail17trampoline_kernelINS0_14default_configENS1_25partition_config_selectorILNS1_17partition_subalgoE8EsNS0_10empty_typeEbEEZZNS1_14partition_implILS5_8ELb0ES3_jN6thrust23THRUST_200600_302600_NS6detail15normal_iteratorINSA_10device_ptrIsEEEEPS6_PKS6_NS0_5tupleIJSF_S6_EEENSJ_IJSG_SG_EEENS0_18inequality_wrapperINSA_8equal_toIsEEEEPmJS6_EEE10hipError_tPvRmT3_T4_T5_T6_T7_T9_mT8_P12ihipStream_tbDpT10_ENKUlT_T0_E_clISt17integral_constantIbLb1EES19_IbLb0EEEEDaS15_S16_EUlS15_E_NS1_11comp_targetILNS1_3genE5ELNS1_11target_archE942ELNS1_3gpuE9ELNS1_3repE0EEENS1_30default_config_static_selectorELNS0_4arch9wavefront6targetE1EEEvT1_,comdat
.Lfunc_end486:
	.size	_ZN7rocprim17ROCPRIM_400000_NS6detail17trampoline_kernelINS0_14default_configENS1_25partition_config_selectorILNS1_17partition_subalgoE8EsNS0_10empty_typeEbEEZZNS1_14partition_implILS5_8ELb0ES3_jN6thrust23THRUST_200600_302600_NS6detail15normal_iteratorINSA_10device_ptrIsEEEEPS6_PKS6_NS0_5tupleIJSF_S6_EEENSJ_IJSG_SG_EEENS0_18inequality_wrapperINSA_8equal_toIsEEEEPmJS6_EEE10hipError_tPvRmT3_T4_T5_T6_T7_T9_mT8_P12ihipStream_tbDpT10_ENKUlT_T0_E_clISt17integral_constantIbLb1EES19_IbLb0EEEEDaS15_S16_EUlS15_E_NS1_11comp_targetILNS1_3genE5ELNS1_11target_archE942ELNS1_3gpuE9ELNS1_3repE0EEENS1_30default_config_static_selectorELNS0_4arch9wavefront6targetE1EEEvT1_, .Lfunc_end486-_ZN7rocprim17ROCPRIM_400000_NS6detail17trampoline_kernelINS0_14default_configENS1_25partition_config_selectorILNS1_17partition_subalgoE8EsNS0_10empty_typeEbEEZZNS1_14partition_implILS5_8ELb0ES3_jN6thrust23THRUST_200600_302600_NS6detail15normal_iteratorINSA_10device_ptrIsEEEEPS6_PKS6_NS0_5tupleIJSF_S6_EEENSJ_IJSG_SG_EEENS0_18inequality_wrapperINSA_8equal_toIsEEEEPmJS6_EEE10hipError_tPvRmT3_T4_T5_T6_T7_T9_mT8_P12ihipStream_tbDpT10_ENKUlT_T0_E_clISt17integral_constantIbLb1EES19_IbLb0EEEEDaS15_S16_EUlS15_E_NS1_11comp_targetILNS1_3genE5ELNS1_11target_archE942ELNS1_3gpuE9ELNS1_3repE0EEENS1_30default_config_static_selectorELNS0_4arch9wavefront6targetE1EEEvT1_
                                        ; -- End function
	.set _ZN7rocprim17ROCPRIM_400000_NS6detail17trampoline_kernelINS0_14default_configENS1_25partition_config_selectorILNS1_17partition_subalgoE8EsNS0_10empty_typeEbEEZZNS1_14partition_implILS5_8ELb0ES3_jN6thrust23THRUST_200600_302600_NS6detail15normal_iteratorINSA_10device_ptrIsEEEEPS6_PKS6_NS0_5tupleIJSF_S6_EEENSJ_IJSG_SG_EEENS0_18inequality_wrapperINSA_8equal_toIsEEEEPmJS6_EEE10hipError_tPvRmT3_T4_T5_T6_T7_T9_mT8_P12ihipStream_tbDpT10_ENKUlT_T0_E_clISt17integral_constantIbLb1EES19_IbLb0EEEEDaS15_S16_EUlS15_E_NS1_11comp_targetILNS1_3genE5ELNS1_11target_archE942ELNS1_3gpuE9ELNS1_3repE0EEENS1_30default_config_static_selectorELNS0_4arch9wavefront6targetE1EEEvT1_.num_vgpr, 0
	.set _ZN7rocprim17ROCPRIM_400000_NS6detail17trampoline_kernelINS0_14default_configENS1_25partition_config_selectorILNS1_17partition_subalgoE8EsNS0_10empty_typeEbEEZZNS1_14partition_implILS5_8ELb0ES3_jN6thrust23THRUST_200600_302600_NS6detail15normal_iteratorINSA_10device_ptrIsEEEEPS6_PKS6_NS0_5tupleIJSF_S6_EEENSJ_IJSG_SG_EEENS0_18inequality_wrapperINSA_8equal_toIsEEEEPmJS6_EEE10hipError_tPvRmT3_T4_T5_T6_T7_T9_mT8_P12ihipStream_tbDpT10_ENKUlT_T0_E_clISt17integral_constantIbLb1EES19_IbLb0EEEEDaS15_S16_EUlS15_E_NS1_11comp_targetILNS1_3genE5ELNS1_11target_archE942ELNS1_3gpuE9ELNS1_3repE0EEENS1_30default_config_static_selectorELNS0_4arch9wavefront6targetE1EEEvT1_.num_agpr, 0
	.set _ZN7rocprim17ROCPRIM_400000_NS6detail17trampoline_kernelINS0_14default_configENS1_25partition_config_selectorILNS1_17partition_subalgoE8EsNS0_10empty_typeEbEEZZNS1_14partition_implILS5_8ELb0ES3_jN6thrust23THRUST_200600_302600_NS6detail15normal_iteratorINSA_10device_ptrIsEEEEPS6_PKS6_NS0_5tupleIJSF_S6_EEENSJ_IJSG_SG_EEENS0_18inequality_wrapperINSA_8equal_toIsEEEEPmJS6_EEE10hipError_tPvRmT3_T4_T5_T6_T7_T9_mT8_P12ihipStream_tbDpT10_ENKUlT_T0_E_clISt17integral_constantIbLb1EES19_IbLb0EEEEDaS15_S16_EUlS15_E_NS1_11comp_targetILNS1_3genE5ELNS1_11target_archE942ELNS1_3gpuE9ELNS1_3repE0EEENS1_30default_config_static_selectorELNS0_4arch9wavefront6targetE1EEEvT1_.numbered_sgpr, 0
	.set _ZN7rocprim17ROCPRIM_400000_NS6detail17trampoline_kernelINS0_14default_configENS1_25partition_config_selectorILNS1_17partition_subalgoE8EsNS0_10empty_typeEbEEZZNS1_14partition_implILS5_8ELb0ES3_jN6thrust23THRUST_200600_302600_NS6detail15normal_iteratorINSA_10device_ptrIsEEEEPS6_PKS6_NS0_5tupleIJSF_S6_EEENSJ_IJSG_SG_EEENS0_18inequality_wrapperINSA_8equal_toIsEEEEPmJS6_EEE10hipError_tPvRmT3_T4_T5_T6_T7_T9_mT8_P12ihipStream_tbDpT10_ENKUlT_T0_E_clISt17integral_constantIbLb1EES19_IbLb0EEEEDaS15_S16_EUlS15_E_NS1_11comp_targetILNS1_3genE5ELNS1_11target_archE942ELNS1_3gpuE9ELNS1_3repE0EEENS1_30default_config_static_selectorELNS0_4arch9wavefront6targetE1EEEvT1_.num_named_barrier, 0
	.set _ZN7rocprim17ROCPRIM_400000_NS6detail17trampoline_kernelINS0_14default_configENS1_25partition_config_selectorILNS1_17partition_subalgoE8EsNS0_10empty_typeEbEEZZNS1_14partition_implILS5_8ELb0ES3_jN6thrust23THRUST_200600_302600_NS6detail15normal_iteratorINSA_10device_ptrIsEEEEPS6_PKS6_NS0_5tupleIJSF_S6_EEENSJ_IJSG_SG_EEENS0_18inequality_wrapperINSA_8equal_toIsEEEEPmJS6_EEE10hipError_tPvRmT3_T4_T5_T6_T7_T9_mT8_P12ihipStream_tbDpT10_ENKUlT_T0_E_clISt17integral_constantIbLb1EES19_IbLb0EEEEDaS15_S16_EUlS15_E_NS1_11comp_targetILNS1_3genE5ELNS1_11target_archE942ELNS1_3gpuE9ELNS1_3repE0EEENS1_30default_config_static_selectorELNS0_4arch9wavefront6targetE1EEEvT1_.private_seg_size, 0
	.set _ZN7rocprim17ROCPRIM_400000_NS6detail17trampoline_kernelINS0_14default_configENS1_25partition_config_selectorILNS1_17partition_subalgoE8EsNS0_10empty_typeEbEEZZNS1_14partition_implILS5_8ELb0ES3_jN6thrust23THRUST_200600_302600_NS6detail15normal_iteratorINSA_10device_ptrIsEEEEPS6_PKS6_NS0_5tupleIJSF_S6_EEENSJ_IJSG_SG_EEENS0_18inequality_wrapperINSA_8equal_toIsEEEEPmJS6_EEE10hipError_tPvRmT3_T4_T5_T6_T7_T9_mT8_P12ihipStream_tbDpT10_ENKUlT_T0_E_clISt17integral_constantIbLb1EES19_IbLb0EEEEDaS15_S16_EUlS15_E_NS1_11comp_targetILNS1_3genE5ELNS1_11target_archE942ELNS1_3gpuE9ELNS1_3repE0EEENS1_30default_config_static_selectorELNS0_4arch9wavefront6targetE1EEEvT1_.uses_vcc, 0
	.set _ZN7rocprim17ROCPRIM_400000_NS6detail17trampoline_kernelINS0_14default_configENS1_25partition_config_selectorILNS1_17partition_subalgoE8EsNS0_10empty_typeEbEEZZNS1_14partition_implILS5_8ELb0ES3_jN6thrust23THRUST_200600_302600_NS6detail15normal_iteratorINSA_10device_ptrIsEEEEPS6_PKS6_NS0_5tupleIJSF_S6_EEENSJ_IJSG_SG_EEENS0_18inequality_wrapperINSA_8equal_toIsEEEEPmJS6_EEE10hipError_tPvRmT3_T4_T5_T6_T7_T9_mT8_P12ihipStream_tbDpT10_ENKUlT_T0_E_clISt17integral_constantIbLb1EES19_IbLb0EEEEDaS15_S16_EUlS15_E_NS1_11comp_targetILNS1_3genE5ELNS1_11target_archE942ELNS1_3gpuE9ELNS1_3repE0EEENS1_30default_config_static_selectorELNS0_4arch9wavefront6targetE1EEEvT1_.uses_flat_scratch, 0
	.set _ZN7rocprim17ROCPRIM_400000_NS6detail17trampoline_kernelINS0_14default_configENS1_25partition_config_selectorILNS1_17partition_subalgoE8EsNS0_10empty_typeEbEEZZNS1_14partition_implILS5_8ELb0ES3_jN6thrust23THRUST_200600_302600_NS6detail15normal_iteratorINSA_10device_ptrIsEEEEPS6_PKS6_NS0_5tupleIJSF_S6_EEENSJ_IJSG_SG_EEENS0_18inequality_wrapperINSA_8equal_toIsEEEEPmJS6_EEE10hipError_tPvRmT3_T4_T5_T6_T7_T9_mT8_P12ihipStream_tbDpT10_ENKUlT_T0_E_clISt17integral_constantIbLb1EES19_IbLb0EEEEDaS15_S16_EUlS15_E_NS1_11comp_targetILNS1_3genE5ELNS1_11target_archE942ELNS1_3gpuE9ELNS1_3repE0EEENS1_30default_config_static_selectorELNS0_4arch9wavefront6targetE1EEEvT1_.has_dyn_sized_stack, 0
	.set _ZN7rocprim17ROCPRIM_400000_NS6detail17trampoline_kernelINS0_14default_configENS1_25partition_config_selectorILNS1_17partition_subalgoE8EsNS0_10empty_typeEbEEZZNS1_14partition_implILS5_8ELb0ES3_jN6thrust23THRUST_200600_302600_NS6detail15normal_iteratorINSA_10device_ptrIsEEEEPS6_PKS6_NS0_5tupleIJSF_S6_EEENSJ_IJSG_SG_EEENS0_18inequality_wrapperINSA_8equal_toIsEEEEPmJS6_EEE10hipError_tPvRmT3_T4_T5_T6_T7_T9_mT8_P12ihipStream_tbDpT10_ENKUlT_T0_E_clISt17integral_constantIbLb1EES19_IbLb0EEEEDaS15_S16_EUlS15_E_NS1_11comp_targetILNS1_3genE5ELNS1_11target_archE942ELNS1_3gpuE9ELNS1_3repE0EEENS1_30default_config_static_selectorELNS0_4arch9wavefront6targetE1EEEvT1_.has_recursion, 0
	.set _ZN7rocprim17ROCPRIM_400000_NS6detail17trampoline_kernelINS0_14default_configENS1_25partition_config_selectorILNS1_17partition_subalgoE8EsNS0_10empty_typeEbEEZZNS1_14partition_implILS5_8ELb0ES3_jN6thrust23THRUST_200600_302600_NS6detail15normal_iteratorINSA_10device_ptrIsEEEEPS6_PKS6_NS0_5tupleIJSF_S6_EEENSJ_IJSG_SG_EEENS0_18inequality_wrapperINSA_8equal_toIsEEEEPmJS6_EEE10hipError_tPvRmT3_T4_T5_T6_T7_T9_mT8_P12ihipStream_tbDpT10_ENKUlT_T0_E_clISt17integral_constantIbLb1EES19_IbLb0EEEEDaS15_S16_EUlS15_E_NS1_11comp_targetILNS1_3genE5ELNS1_11target_archE942ELNS1_3gpuE9ELNS1_3repE0EEENS1_30default_config_static_selectorELNS0_4arch9wavefront6targetE1EEEvT1_.has_indirect_call, 0
	.section	.AMDGPU.csdata,"",@progbits
; Kernel info:
; codeLenInByte = 0
; TotalNumSgprs: 4
; NumVgprs: 0
; ScratchSize: 0
; MemoryBound: 0
; FloatMode: 240
; IeeeMode: 1
; LDSByteSize: 0 bytes/workgroup (compile time only)
; SGPRBlocks: 0
; VGPRBlocks: 0
; NumSGPRsForWavesPerEU: 4
; NumVGPRsForWavesPerEU: 1
; Occupancy: 10
; WaveLimiterHint : 0
; COMPUTE_PGM_RSRC2:SCRATCH_EN: 0
; COMPUTE_PGM_RSRC2:USER_SGPR: 6
; COMPUTE_PGM_RSRC2:TRAP_HANDLER: 0
; COMPUTE_PGM_RSRC2:TGID_X_EN: 1
; COMPUTE_PGM_RSRC2:TGID_Y_EN: 0
; COMPUTE_PGM_RSRC2:TGID_Z_EN: 0
; COMPUTE_PGM_RSRC2:TIDIG_COMP_CNT: 0
	.section	.text._ZN7rocprim17ROCPRIM_400000_NS6detail17trampoline_kernelINS0_14default_configENS1_25partition_config_selectorILNS1_17partition_subalgoE8EsNS0_10empty_typeEbEEZZNS1_14partition_implILS5_8ELb0ES3_jN6thrust23THRUST_200600_302600_NS6detail15normal_iteratorINSA_10device_ptrIsEEEEPS6_PKS6_NS0_5tupleIJSF_S6_EEENSJ_IJSG_SG_EEENS0_18inequality_wrapperINSA_8equal_toIsEEEEPmJS6_EEE10hipError_tPvRmT3_T4_T5_T6_T7_T9_mT8_P12ihipStream_tbDpT10_ENKUlT_T0_E_clISt17integral_constantIbLb1EES19_IbLb0EEEEDaS15_S16_EUlS15_E_NS1_11comp_targetILNS1_3genE4ELNS1_11target_archE910ELNS1_3gpuE8ELNS1_3repE0EEENS1_30default_config_static_selectorELNS0_4arch9wavefront6targetE1EEEvT1_,"axG",@progbits,_ZN7rocprim17ROCPRIM_400000_NS6detail17trampoline_kernelINS0_14default_configENS1_25partition_config_selectorILNS1_17partition_subalgoE8EsNS0_10empty_typeEbEEZZNS1_14partition_implILS5_8ELb0ES3_jN6thrust23THRUST_200600_302600_NS6detail15normal_iteratorINSA_10device_ptrIsEEEEPS6_PKS6_NS0_5tupleIJSF_S6_EEENSJ_IJSG_SG_EEENS0_18inequality_wrapperINSA_8equal_toIsEEEEPmJS6_EEE10hipError_tPvRmT3_T4_T5_T6_T7_T9_mT8_P12ihipStream_tbDpT10_ENKUlT_T0_E_clISt17integral_constantIbLb1EES19_IbLb0EEEEDaS15_S16_EUlS15_E_NS1_11comp_targetILNS1_3genE4ELNS1_11target_archE910ELNS1_3gpuE8ELNS1_3repE0EEENS1_30default_config_static_selectorELNS0_4arch9wavefront6targetE1EEEvT1_,comdat
	.protected	_ZN7rocprim17ROCPRIM_400000_NS6detail17trampoline_kernelINS0_14default_configENS1_25partition_config_selectorILNS1_17partition_subalgoE8EsNS0_10empty_typeEbEEZZNS1_14partition_implILS5_8ELb0ES3_jN6thrust23THRUST_200600_302600_NS6detail15normal_iteratorINSA_10device_ptrIsEEEEPS6_PKS6_NS0_5tupleIJSF_S6_EEENSJ_IJSG_SG_EEENS0_18inequality_wrapperINSA_8equal_toIsEEEEPmJS6_EEE10hipError_tPvRmT3_T4_T5_T6_T7_T9_mT8_P12ihipStream_tbDpT10_ENKUlT_T0_E_clISt17integral_constantIbLb1EES19_IbLb0EEEEDaS15_S16_EUlS15_E_NS1_11comp_targetILNS1_3genE4ELNS1_11target_archE910ELNS1_3gpuE8ELNS1_3repE0EEENS1_30default_config_static_selectorELNS0_4arch9wavefront6targetE1EEEvT1_ ; -- Begin function _ZN7rocprim17ROCPRIM_400000_NS6detail17trampoline_kernelINS0_14default_configENS1_25partition_config_selectorILNS1_17partition_subalgoE8EsNS0_10empty_typeEbEEZZNS1_14partition_implILS5_8ELb0ES3_jN6thrust23THRUST_200600_302600_NS6detail15normal_iteratorINSA_10device_ptrIsEEEEPS6_PKS6_NS0_5tupleIJSF_S6_EEENSJ_IJSG_SG_EEENS0_18inequality_wrapperINSA_8equal_toIsEEEEPmJS6_EEE10hipError_tPvRmT3_T4_T5_T6_T7_T9_mT8_P12ihipStream_tbDpT10_ENKUlT_T0_E_clISt17integral_constantIbLb1EES19_IbLb0EEEEDaS15_S16_EUlS15_E_NS1_11comp_targetILNS1_3genE4ELNS1_11target_archE910ELNS1_3gpuE8ELNS1_3repE0EEENS1_30default_config_static_selectorELNS0_4arch9wavefront6targetE1EEEvT1_
	.globl	_ZN7rocprim17ROCPRIM_400000_NS6detail17trampoline_kernelINS0_14default_configENS1_25partition_config_selectorILNS1_17partition_subalgoE8EsNS0_10empty_typeEbEEZZNS1_14partition_implILS5_8ELb0ES3_jN6thrust23THRUST_200600_302600_NS6detail15normal_iteratorINSA_10device_ptrIsEEEEPS6_PKS6_NS0_5tupleIJSF_S6_EEENSJ_IJSG_SG_EEENS0_18inequality_wrapperINSA_8equal_toIsEEEEPmJS6_EEE10hipError_tPvRmT3_T4_T5_T6_T7_T9_mT8_P12ihipStream_tbDpT10_ENKUlT_T0_E_clISt17integral_constantIbLb1EES19_IbLb0EEEEDaS15_S16_EUlS15_E_NS1_11comp_targetILNS1_3genE4ELNS1_11target_archE910ELNS1_3gpuE8ELNS1_3repE0EEENS1_30default_config_static_selectorELNS0_4arch9wavefront6targetE1EEEvT1_
	.p2align	8
	.type	_ZN7rocprim17ROCPRIM_400000_NS6detail17trampoline_kernelINS0_14default_configENS1_25partition_config_selectorILNS1_17partition_subalgoE8EsNS0_10empty_typeEbEEZZNS1_14partition_implILS5_8ELb0ES3_jN6thrust23THRUST_200600_302600_NS6detail15normal_iteratorINSA_10device_ptrIsEEEEPS6_PKS6_NS0_5tupleIJSF_S6_EEENSJ_IJSG_SG_EEENS0_18inequality_wrapperINSA_8equal_toIsEEEEPmJS6_EEE10hipError_tPvRmT3_T4_T5_T6_T7_T9_mT8_P12ihipStream_tbDpT10_ENKUlT_T0_E_clISt17integral_constantIbLb1EES19_IbLb0EEEEDaS15_S16_EUlS15_E_NS1_11comp_targetILNS1_3genE4ELNS1_11target_archE910ELNS1_3gpuE8ELNS1_3repE0EEENS1_30default_config_static_selectorELNS0_4arch9wavefront6targetE1EEEvT1_,@function
_ZN7rocprim17ROCPRIM_400000_NS6detail17trampoline_kernelINS0_14default_configENS1_25partition_config_selectorILNS1_17partition_subalgoE8EsNS0_10empty_typeEbEEZZNS1_14partition_implILS5_8ELb0ES3_jN6thrust23THRUST_200600_302600_NS6detail15normal_iteratorINSA_10device_ptrIsEEEEPS6_PKS6_NS0_5tupleIJSF_S6_EEENSJ_IJSG_SG_EEENS0_18inequality_wrapperINSA_8equal_toIsEEEEPmJS6_EEE10hipError_tPvRmT3_T4_T5_T6_T7_T9_mT8_P12ihipStream_tbDpT10_ENKUlT_T0_E_clISt17integral_constantIbLb1EES19_IbLb0EEEEDaS15_S16_EUlS15_E_NS1_11comp_targetILNS1_3genE4ELNS1_11target_archE910ELNS1_3gpuE8ELNS1_3repE0EEENS1_30default_config_static_selectorELNS0_4arch9wavefront6targetE1EEEvT1_: ; @_ZN7rocprim17ROCPRIM_400000_NS6detail17trampoline_kernelINS0_14default_configENS1_25partition_config_selectorILNS1_17partition_subalgoE8EsNS0_10empty_typeEbEEZZNS1_14partition_implILS5_8ELb0ES3_jN6thrust23THRUST_200600_302600_NS6detail15normal_iteratorINSA_10device_ptrIsEEEEPS6_PKS6_NS0_5tupleIJSF_S6_EEENSJ_IJSG_SG_EEENS0_18inequality_wrapperINSA_8equal_toIsEEEEPmJS6_EEE10hipError_tPvRmT3_T4_T5_T6_T7_T9_mT8_P12ihipStream_tbDpT10_ENKUlT_T0_E_clISt17integral_constantIbLb1EES19_IbLb0EEEEDaS15_S16_EUlS15_E_NS1_11comp_targetILNS1_3genE4ELNS1_11target_archE910ELNS1_3gpuE8ELNS1_3repE0EEENS1_30default_config_static_selectorELNS0_4arch9wavefront6targetE1EEEvT1_
; %bb.0:
	.section	.rodata,"a",@progbits
	.p2align	6, 0x0
	.amdhsa_kernel _ZN7rocprim17ROCPRIM_400000_NS6detail17trampoline_kernelINS0_14default_configENS1_25partition_config_selectorILNS1_17partition_subalgoE8EsNS0_10empty_typeEbEEZZNS1_14partition_implILS5_8ELb0ES3_jN6thrust23THRUST_200600_302600_NS6detail15normal_iteratorINSA_10device_ptrIsEEEEPS6_PKS6_NS0_5tupleIJSF_S6_EEENSJ_IJSG_SG_EEENS0_18inequality_wrapperINSA_8equal_toIsEEEEPmJS6_EEE10hipError_tPvRmT3_T4_T5_T6_T7_T9_mT8_P12ihipStream_tbDpT10_ENKUlT_T0_E_clISt17integral_constantIbLb1EES19_IbLb0EEEEDaS15_S16_EUlS15_E_NS1_11comp_targetILNS1_3genE4ELNS1_11target_archE910ELNS1_3gpuE8ELNS1_3repE0EEENS1_30default_config_static_selectorELNS0_4arch9wavefront6targetE1EEEvT1_
		.amdhsa_group_segment_fixed_size 0
		.amdhsa_private_segment_fixed_size 0
		.amdhsa_kernarg_size 112
		.amdhsa_user_sgpr_count 6
		.amdhsa_user_sgpr_private_segment_buffer 1
		.amdhsa_user_sgpr_dispatch_ptr 0
		.amdhsa_user_sgpr_queue_ptr 0
		.amdhsa_user_sgpr_kernarg_segment_ptr 1
		.amdhsa_user_sgpr_dispatch_id 0
		.amdhsa_user_sgpr_flat_scratch_init 0
		.amdhsa_user_sgpr_private_segment_size 0
		.amdhsa_uses_dynamic_stack 0
		.amdhsa_system_sgpr_private_segment_wavefront_offset 0
		.amdhsa_system_sgpr_workgroup_id_x 1
		.amdhsa_system_sgpr_workgroup_id_y 0
		.amdhsa_system_sgpr_workgroup_id_z 0
		.amdhsa_system_sgpr_workgroup_info 0
		.amdhsa_system_vgpr_workitem_id 0
		.amdhsa_next_free_vgpr 1
		.amdhsa_next_free_sgpr 0
		.amdhsa_reserve_vcc 0
		.amdhsa_reserve_flat_scratch 0
		.amdhsa_float_round_mode_32 0
		.amdhsa_float_round_mode_16_64 0
		.amdhsa_float_denorm_mode_32 3
		.amdhsa_float_denorm_mode_16_64 3
		.amdhsa_dx10_clamp 1
		.amdhsa_ieee_mode 1
		.amdhsa_fp16_overflow 0
		.amdhsa_exception_fp_ieee_invalid_op 0
		.amdhsa_exception_fp_denorm_src 0
		.amdhsa_exception_fp_ieee_div_zero 0
		.amdhsa_exception_fp_ieee_overflow 0
		.amdhsa_exception_fp_ieee_underflow 0
		.amdhsa_exception_fp_ieee_inexact 0
		.amdhsa_exception_int_div_zero 0
	.end_amdhsa_kernel
	.section	.text._ZN7rocprim17ROCPRIM_400000_NS6detail17trampoline_kernelINS0_14default_configENS1_25partition_config_selectorILNS1_17partition_subalgoE8EsNS0_10empty_typeEbEEZZNS1_14partition_implILS5_8ELb0ES3_jN6thrust23THRUST_200600_302600_NS6detail15normal_iteratorINSA_10device_ptrIsEEEEPS6_PKS6_NS0_5tupleIJSF_S6_EEENSJ_IJSG_SG_EEENS0_18inequality_wrapperINSA_8equal_toIsEEEEPmJS6_EEE10hipError_tPvRmT3_T4_T5_T6_T7_T9_mT8_P12ihipStream_tbDpT10_ENKUlT_T0_E_clISt17integral_constantIbLb1EES19_IbLb0EEEEDaS15_S16_EUlS15_E_NS1_11comp_targetILNS1_3genE4ELNS1_11target_archE910ELNS1_3gpuE8ELNS1_3repE0EEENS1_30default_config_static_selectorELNS0_4arch9wavefront6targetE1EEEvT1_,"axG",@progbits,_ZN7rocprim17ROCPRIM_400000_NS6detail17trampoline_kernelINS0_14default_configENS1_25partition_config_selectorILNS1_17partition_subalgoE8EsNS0_10empty_typeEbEEZZNS1_14partition_implILS5_8ELb0ES3_jN6thrust23THRUST_200600_302600_NS6detail15normal_iteratorINSA_10device_ptrIsEEEEPS6_PKS6_NS0_5tupleIJSF_S6_EEENSJ_IJSG_SG_EEENS0_18inequality_wrapperINSA_8equal_toIsEEEEPmJS6_EEE10hipError_tPvRmT3_T4_T5_T6_T7_T9_mT8_P12ihipStream_tbDpT10_ENKUlT_T0_E_clISt17integral_constantIbLb1EES19_IbLb0EEEEDaS15_S16_EUlS15_E_NS1_11comp_targetILNS1_3genE4ELNS1_11target_archE910ELNS1_3gpuE8ELNS1_3repE0EEENS1_30default_config_static_selectorELNS0_4arch9wavefront6targetE1EEEvT1_,comdat
.Lfunc_end487:
	.size	_ZN7rocprim17ROCPRIM_400000_NS6detail17trampoline_kernelINS0_14default_configENS1_25partition_config_selectorILNS1_17partition_subalgoE8EsNS0_10empty_typeEbEEZZNS1_14partition_implILS5_8ELb0ES3_jN6thrust23THRUST_200600_302600_NS6detail15normal_iteratorINSA_10device_ptrIsEEEEPS6_PKS6_NS0_5tupleIJSF_S6_EEENSJ_IJSG_SG_EEENS0_18inequality_wrapperINSA_8equal_toIsEEEEPmJS6_EEE10hipError_tPvRmT3_T4_T5_T6_T7_T9_mT8_P12ihipStream_tbDpT10_ENKUlT_T0_E_clISt17integral_constantIbLb1EES19_IbLb0EEEEDaS15_S16_EUlS15_E_NS1_11comp_targetILNS1_3genE4ELNS1_11target_archE910ELNS1_3gpuE8ELNS1_3repE0EEENS1_30default_config_static_selectorELNS0_4arch9wavefront6targetE1EEEvT1_, .Lfunc_end487-_ZN7rocprim17ROCPRIM_400000_NS6detail17trampoline_kernelINS0_14default_configENS1_25partition_config_selectorILNS1_17partition_subalgoE8EsNS0_10empty_typeEbEEZZNS1_14partition_implILS5_8ELb0ES3_jN6thrust23THRUST_200600_302600_NS6detail15normal_iteratorINSA_10device_ptrIsEEEEPS6_PKS6_NS0_5tupleIJSF_S6_EEENSJ_IJSG_SG_EEENS0_18inequality_wrapperINSA_8equal_toIsEEEEPmJS6_EEE10hipError_tPvRmT3_T4_T5_T6_T7_T9_mT8_P12ihipStream_tbDpT10_ENKUlT_T0_E_clISt17integral_constantIbLb1EES19_IbLb0EEEEDaS15_S16_EUlS15_E_NS1_11comp_targetILNS1_3genE4ELNS1_11target_archE910ELNS1_3gpuE8ELNS1_3repE0EEENS1_30default_config_static_selectorELNS0_4arch9wavefront6targetE1EEEvT1_
                                        ; -- End function
	.set _ZN7rocprim17ROCPRIM_400000_NS6detail17trampoline_kernelINS0_14default_configENS1_25partition_config_selectorILNS1_17partition_subalgoE8EsNS0_10empty_typeEbEEZZNS1_14partition_implILS5_8ELb0ES3_jN6thrust23THRUST_200600_302600_NS6detail15normal_iteratorINSA_10device_ptrIsEEEEPS6_PKS6_NS0_5tupleIJSF_S6_EEENSJ_IJSG_SG_EEENS0_18inequality_wrapperINSA_8equal_toIsEEEEPmJS6_EEE10hipError_tPvRmT3_T4_T5_T6_T7_T9_mT8_P12ihipStream_tbDpT10_ENKUlT_T0_E_clISt17integral_constantIbLb1EES19_IbLb0EEEEDaS15_S16_EUlS15_E_NS1_11comp_targetILNS1_3genE4ELNS1_11target_archE910ELNS1_3gpuE8ELNS1_3repE0EEENS1_30default_config_static_selectorELNS0_4arch9wavefront6targetE1EEEvT1_.num_vgpr, 0
	.set _ZN7rocprim17ROCPRIM_400000_NS6detail17trampoline_kernelINS0_14default_configENS1_25partition_config_selectorILNS1_17partition_subalgoE8EsNS0_10empty_typeEbEEZZNS1_14partition_implILS5_8ELb0ES3_jN6thrust23THRUST_200600_302600_NS6detail15normal_iteratorINSA_10device_ptrIsEEEEPS6_PKS6_NS0_5tupleIJSF_S6_EEENSJ_IJSG_SG_EEENS0_18inequality_wrapperINSA_8equal_toIsEEEEPmJS6_EEE10hipError_tPvRmT3_T4_T5_T6_T7_T9_mT8_P12ihipStream_tbDpT10_ENKUlT_T0_E_clISt17integral_constantIbLb1EES19_IbLb0EEEEDaS15_S16_EUlS15_E_NS1_11comp_targetILNS1_3genE4ELNS1_11target_archE910ELNS1_3gpuE8ELNS1_3repE0EEENS1_30default_config_static_selectorELNS0_4arch9wavefront6targetE1EEEvT1_.num_agpr, 0
	.set _ZN7rocprim17ROCPRIM_400000_NS6detail17trampoline_kernelINS0_14default_configENS1_25partition_config_selectorILNS1_17partition_subalgoE8EsNS0_10empty_typeEbEEZZNS1_14partition_implILS5_8ELb0ES3_jN6thrust23THRUST_200600_302600_NS6detail15normal_iteratorINSA_10device_ptrIsEEEEPS6_PKS6_NS0_5tupleIJSF_S6_EEENSJ_IJSG_SG_EEENS0_18inequality_wrapperINSA_8equal_toIsEEEEPmJS6_EEE10hipError_tPvRmT3_T4_T5_T6_T7_T9_mT8_P12ihipStream_tbDpT10_ENKUlT_T0_E_clISt17integral_constantIbLb1EES19_IbLb0EEEEDaS15_S16_EUlS15_E_NS1_11comp_targetILNS1_3genE4ELNS1_11target_archE910ELNS1_3gpuE8ELNS1_3repE0EEENS1_30default_config_static_selectorELNS0_4arch9wavefront6targetE1EEEvT1_.numbered_sgpr, 0
	.set _ZN7rocprim17ROCPRIM_400000_NS6detail17trampoline_kernelINS0_14default_configENS1_25partition_config_selectorILNS1_17partition_subalgoE8EsNS0_10empty_typeEbEEZZNS1_14partition_implILS5_8ELb0ES3_jN6thrust23THRUST_200600_302600_NS6detail15normal_iteratorINSA_10device_ptrIsEEEEPS6_PKS6_NS0_5tupleIJSF_S6_EEENSJ_IJSG_SG_EEENS0_18inequality_wrapperINSA_8equal_toIsEEEEPmJS6_EEE10hipError_tPvRmT3_T4_T5_T6_T7_T9_mT8_P12ihipStream_tbDpT10_ENKUlT_T0_E_clISt17integral_constantIbLb1EES19_IbLb0EEEEDaS15_S16_EUlS15_E_NS1_11comp_targetILNS1_3genE4ELNS1_11target_archE910ELNS1_3gpuE8ELNS1_3repE0EEENS1_30default_config_static_selectorELNS0_4arch9wavefront6targetE1EEEvT1_.num_named_barrier, 0
	.set _ZN7rocprim17ROCPRIM_400000_NS6detail17trampoline_kernelINS0_14default_configENS1_25partition_config_selectorILNS1_17partition_subalgoE8EsNS0_10empty_typeEbEEZZNS1_14partition_implILS5_8ELb0ES3_jN6thrust23THRUST_200600_302600_NS6detail15normal_iteratorINSA_10device_ptrIsEEEEPS6_PKS6_NS0_5tupleIJSF_S6_EEENSJ_IJSG_SG_EEENS0_18inequality_wrapperINSA_8equal_toIsEEEEPmJS6_EEE10hipError_tPvRmT3_T4_T5_T6_T7_T9_mT8_P12ihipStream_tbDpT10_ENKUlT_T0_E_clISt17integral_constantIbLb1EES19_IbLb0EEEEDaS15_S16_EUlS15_E_NS1_11comp_targetILNS1_3genE4ELNS1_11target_archE910ELNS1_3gpuE8ELNS1_3repE0EEENS1_30default_config_static_selectorELNS0_4arch9wavefront6targetE1EEEvT1_.private_seg_size, 0
	.set _ZN7rocprim17ROCPRIM_400000_NS6detail17trampoline_kernelINS0_14default_configENS1_25partition_config_selectorILNS1_17partition_subalgoE8EsNS0_10empty_typeEbEEZZNS1_14partition_implILS5_8ELb0ES3_jN6thrust23THRUST_200600_302600_NS6detail15normal_iteratorINSA_10device_ptrIsEEEEPS6_PKS6_NS0_5tupleIJSF_S6_EEENSJ_IJSG_SG_EEENS0_18inequality_wrapperINSA_8equal_toIsEEEEPmJS6_EEE10hipError_tPvRmT3_T4_T5_T6_T7_T9_mT8_P12ihipStream_tbDpT10_ENKUlT_T0_E_clISt17integral_constantIbLb1EES19_IbLb0EEEEDaS15_S16_EUlS15_E_NS1_11comp_targetILNS1_3genE4ELNS1_11target_archE910ELNS1_3gpuE8ELNS1_3repE0EEENS1_30default_config_static_selectorELNS0_4arch9wavefront6targetE1EEEvT1_.uses_vcc, 0
	.set _ZN7rocprim17ROCPRIM_400000_NS6detail17trampoline_kernelINS0_14default_configENS1_25partition_config_selectorILNS1_17partition_subalgoE8EsNS0_10empty_typeEbEEZZNS1_14partition_implILS5_8ELb0ES3_jN6thrust23THRUST_200600_302600_NS6detail15normal_iteratorINSA_10device_ptrIsEEEEPS6_PKS6_NS0_5tupleIJSF_S6_EEENSJ_IJSG_SG_EEENS0_18inequality_wrapperINSA_8equal_toIsEEEEPmJS6_EEE10hipError_tPvRmT3_T4_T5_T6_T7_T9_mT8_P12ihipStream_tbDpT10_ENKUlT_T0_E_clISt17integral_constantIbLb1EES19_IbLb0EEEEDaS15_S16_EUlS15_E_NS1_11comp_targetILNS1_3genE4ELNS1_11target_archE910ELNS1_3gpuE8ELNS1_3repE0EEENS1_30default_config_static_selectorELNS0_4arch9wavefront6targetE1EEEvT1_.uses_flat_scratch, 0
	.set _ZN7rocprim17ROCPRIM_400000_NS6detail17trampoline_kernelINS0_14default_configENS1_25partition_config_selectorILNS1_17partition_subalgoE8EsNS0_10empty_typeEbEEZZNS1_14partition_implILS5_8ELb0ES3_jN6thrust23THRUST_200600_302600_NS6detail15normal_iteratorINSA_10device_ptrIsEEEEPS6_PKS6_NS0_5tupleIJSF_S6_EEENSJ_IJSG_SG_EEENS0_18inequality_wrapperINSA_8equal_toIsEEEEPmJS6_EEE10hipError_tPvRmT3_T4_T5_T6_T7_T9_mT8_P12ihipStream_tbDpT10_ENKUlT_T0_E_clISt17integral_constantIbLb1EES19_IbLb0EEEEDaS15_S16_EUlS15_E_NS1_11comp_targetILNS1_3genE4ELNS1_11target_archE910ELNS1_3gpuE8ELNS1_3repE0EEENS1_30default_config_static_selectorELNS0_4arch9wavefront6targetE1EEEvT1_.has_dyn_sized_stack, 0
	.set _ZN7rocprim17ROCPRIM_400000_NS6detail17trampoline_kernelINS0_14default_configENS1_25partition_config_selectorILNS1_17partition_subalgoE8EsNS0_10empty_typeEbEEZZNS1_14partition_implILS5_8ELb0ES3_jN6thrust23THRUST_200600_302600_NS6detail15normal_iteratorINSA_10device_ptrIsEEEEPS6_PKS6_NS0_5tupleIJSF_S6_EEENSJ_IJSG_SG_EEENS0_18inequality_wrapperINSA_8equal_toIsEEEEPmJS6_EEE10hipError_tPvRmT3_T4_T5_T6_T7_T9_mT8_P12ihipStream_tbDpT10_ENKUlT_T0_E_clISt17integral_constantIbLb1EES19_IbLb0EEEEDaS15_S16_EUlS15_E_NS1_11comp_targetILNS1_3genE4ELNS1_11target_archE910ELNS1_3gpuE8ELNS1_3repE0EEENS1_30default_config_static_selectorELNS0_4arch9wavefront6targetE1EEEvT1_.has_recursion, 0
	.set _ZN7rocprim17ROCPRIM_400000_NS6detail17trampoline_kernelINS0_14default_configENS1_25partition_config_selectorILNS1_17partition_subalgoE8EsNS0_10empty_typeEbEEZZNS1_14partition_implILS5_8ELb0ES3_jN6thrust23THRUST_200600_302600_NS6detail15normal_iteratorINSA_10device_ptrIsEEEEPS6_PKS6_NS0_5tupleIJSF_S6_EEENSJ_IJSG_SG_EEENS0_18inequality_wrapperINSA_8equal_toIsEEEEPmJS6_EEE10hipError_tPvRmT3_T4_T5_T6_T7_T9_mT8_P12ihipStream_tbDpT10_ENKUlT_T0_E_clISt17integral_constantIbLb1EES19_IbLb0EEEEDaS15_S16_EUlS15_E_NS1_11comp_targetILNS1_3genE4ELNS1_11target_archE910ELNS1_3gpuE8ELNS1_3repE0EEENS1_30default_config_static_selectorELNS0_4arch9wavefront6targetE1EEEvT1_.has_indirect_call, 0
	.section	.AMDGPU.csdata,"",@progbits
; Kernel info:
; codeLenInByte = 0
; TotalNumSgprs: 4
; NumVgprs: 0
; ScratchSize: 0
; MemoryBound: 0
; FloatMode: 240
; IeeeMode: 1
; LDSByteSize: 0 bytes/workgroup (compile time only)
; SGPRBlocks: 0
; VGPRBlocks: 0
; NumSGPRsForWavesPerEU: 4
; NumVGPRsForWavesPerEU: 1
; Occupancy: 10
; WaveLimiterHint : 0
; COMPUTE_PGM_RSRC2:SCRATCH_EN: 0
; COMPUTE_PGM_RSRC2:USER_SGPR: 6
; COMPUTE_PGM_RSRC2:TRAP_HANDLER: 0
; COMPUTE_PGM_RSRC2:TGID_X_EN: 1
; COMPUTE_PGM_RSRC2:TGID_Y_EN: 0
; COMPUTE_PGM_RSRC2:TGID_Z_EN: 0
; COMPUTE_PGM_RSRC2:TIDIG_COMP_CNT: 0
	.section	.text._ZN7rocprim17ROCPRIM_400000_NS6detail17trampoline_kernelINS0_14default_configENS1_25partition_config_selectorILNS1_17partition_subalgoE8EsNS0_10empty_typeEbEEZZNS1_14partition_implILS5_8ELb0ES3_jN6thrust23THRUST_200600_302600_NS6detail15normal_iteratorINSA_10device_ptrIsEEEEPS6_PKS6_NS0_5tupleIJSF_S6_EEENSJ_IJSG_SG_EEENS0_18inequality_wrapperINSA_8equal_toIsEEEEPmJS6_EEE10hipError_tPvRmT3_T4_T5_T6_T7_T9_mT8_P12ihipStream_tbDpT10_ENKUlT_T0_E_clISt17integral_constantIbLb1EES19_IbLb0EEEEDaS15_S16_EUlS15_E_NS1_11comp_targetILNS1_3genE3ELNS1_11target_archE908ELNS1_3gpuE7ELNS1_3repE0EEENS1_30default_config_static_selectorELNS0_4arch9wavefront6targetE1EEEvT1_,"axG",@progbits,_ZN7rocprim17ROCPRIM_400000_NS6detail17trampoline_kernelINS0_14default_configENS1_25partition_config_selectorILNS1_17partition_subalgoE8EsNS0_10empty_typeEbEEZZNS1_14partition_implILS5_8ELb0ES3_jN6thrust23THRUST_200600_302600_NS6detail15normal_iteratorINSA_10device_ptrIsEEEEPS6_PKS6_NS0_5tupleIJSF_S6_EEENSJ_IJSG_SG_EEENS0_18inequality_wrapperINSA_8equal_toIsEEEEPmJS6_EEE10hipError_tPvRmT3_T4_T5_T6_T7_T9_mT8_P12ihipStream_tbDpT10_ENKUlT_T0_E_clISt17integral_constantIbLb1EES19_IbLb0EEEEDaS15_S16_EUlS15_E_NS1_11comp_targetILNS1_3genE3ELNS1_11target_archE908ELNS1_3gpuE7ELNS1_3repE0EEENS1_30default_config_static_selectorELNS0_4arch9wavefront6targetE1EEEvT1_,comdat
	.protected	_ZN7rocprim17ROCPRIM_400000_NS6detail17trampoline_kernelINS0_14default_configENS1_25partition_config_selectorILNS1_17partition_subalgoE8EsNS0_10empty_typeEbEEZZNS1_14partition_implILS5_8ELb0ES3_jN6thrust23THRUST_200600_302600_NS6detail15normal_iteratorINSA_10device_ptrIsEEEEPS6_PKS6_NS0_5tupleIJSF_S6_EEENSJ_IJSG_SG_EEENS0_18inequality_wrapperINSA_8equal_toIsEEEEPmJS6_EEE10hipError_tPvRmT3_T4_T5_T6_T7_T9_mT8_P12ihipStream_tbDpT10_ENKUlT_T0_E_clISt17integral_constantIbLb1EES19_IbLb0EEEEDaS15_S16_EUlS15_E_NS1_11comp_targetILNS1_3genE3ELNS1_11target_archE908ELNS1_3gpuE7ELNS1_3repE0EEENS1_30default_config_static_selectorELNS0_4arch9wavefront6targetE1EEEvT1_ ; -- Begin function _ZN7rocprim17ROCPRIM_400000_NS6detail17trampoline_kernelINS0_14default_configENS1_25partition_config_selectorILNS1_17partition_subalgoE8EsNS0_10empty_typeEbEEZZNS1_14partition_implILS5_8ELb0ES3_jN6thrust23THRUST_200600_302600_NS6detail15normal_iteratorINSA_10device_ptrIsEEEEPS6_PKS6_NS0_5tupleIJSF_S6_EEENSJ_IJSG_SG_EEENS0_18inequality_wrapperINSA_8equal_toIsEEEEPmJS6_EEE10hipError_tPvRmT3_T4_T5_T6_T7_T9_mT8_P12ihipStream_tbDpT10_ENKUlT_T0_E_clISt17integral_constantIbLb1EES19_IbLb0EEEEDaS15_S16_EUlS15_E_NS1_11comp_targetILNS1_3genE3ELNS1_11target_archE908ELNS1_3gpuE7ELNS1_3repE0EEENS1_30default_config_static_selectorELNS0_4arch9wavefront6targetE1EEEvT1_
	.globl	_ZN7rocprim17ROCPRIM_400000_NS6detail17trampoline_kernelINS0_14default_configENS1_25partition_config_selectorILNS1_17partition_subalgoE8EsNS0_10empty_typeEbEEZZNS1_14partition_implILS5_8ELb0ES3_jN6thrust23THRUST_200600_302600_NS6detail15normal_iteratorINSA_10device_ptrIsEEEEPS6_PKS6_NS0_5tupleIJSF_S6_EEENSJ_IJSG_SG_EEENS0_18inequality_wrapperINSA_8equal_toIsEEEEPmJS6_EEE10hipError_tPvRmT3_T4_T5_T6_T7_T9_mT8_P12ihipStream_tbDpT10_ENKUlT_T0_E_clISt17integral_constantIbLb1EES19_IbLb0EEEEDaS15_S16_EUlS15_E_NS1_11comp_targetILNS1_3genE3ELNS1_11target_archE908ELNS1_3gpuE7ELNS1_3repE0EEENS1_30default_config_static_selectorELNS0_4arch9wavefront6targetE1EEEvT1_
	.p2align	8
	.type	_ZN7rocprim17ROCPRIM_400000_NS6detail17trampoline_kernelINS0_14default_configENS1_25partition_config_selectorILNS1_17partition_subalgoE8EsNS0_10empty_typeEbEEZZNS1_14partition_implILS5_8ELb0ES3_jN6thrust23THRUST_200600_302600_NS6detail15normal_iteratorINSA_10device_ptrIsEEEEPS6_PKS6_NS0_5tupleIJSF_S6_EEENSJ_IJSG_SG_EEENS0_18inequality_wrapperINSA_8equal_toIsEEEEPmJS6_EEE10hipError_tPvRmT3_T4_T5_T6_T7_T9_mT8_P12ihipStream_tbDpT10_ENKUlT_T0_E_clISt17integral_constantIbLb1EES19_IbLb0EEEEDaS15_S16_EUlS15_E_NS1_11comp_targetILNS1_3genE3ELNS1_11target_archE908ELNS1_3gpuE7ELNS1_3repE0EEENS1_30default_config_static_selectorELNS0_4arch9wavefront6targetE1EEEvT1_,@function
_ZN7rocprim17ROCPRIM_400000_NS6detail17trampoline_kernelINS0_14default_configENS1_25partition_config_selectorILNS1_17partition_subalgoE8EsNS0_10empty_typeEbEEZZNS1_14partition_implILS5_8ELb0ES3_jN6thrust23THRUST_200600_302600_NS6detail15normal_iteratorINSA_10device_ptrIsEEEEPS6_PKS6_NS0_5tupleIJSF_S6_EEENSJ_IJSG_SG_EEENS0_18inequality_wrapperINSA_8equal_toIsEEEEPmJS6_EEE10hipError_tPvRmT3_T4_T5_T6_T7_T9_mT8_P12ihipStream_tbDpT10_ENKUlT_T0_E_clISt17integral_constantIbLb1EES19_IbLb0EEEEDaS15_S16_EUlS15_E_NS1_11comp_targetILNS1_3genE3ELNS1_11target_archE908ELNS1_3gpuE7ELNS1_3repE0EEENS1_30default_config_static_selectorELNS0_4arch9wavefront6targetE1EEEvT1_: ; @_ZN7rocprim17ROCPRIM_400000_NS6detail17trampoline_kernelINS0_14default_configENS1_25partition_config_selectorILNS1_17partition_subalgoE8EsNS0_10empty_typeEbEEZZNS1_14partition_implILS5_8ELb0ES3_jN6thrust23THRUST_200600_302600_NS6detail15normal_iteratorINSA_10device_ptrIsEEEEPS6_PKS6_NS0_5tupleIJSF_S6_EEENSJ_IJSG_SG_EEENS0_18inequality_wrapperINSA_8equal_toIsEEEEPmJS6_EEE10hipError_tPvRmT3_T4_T5_T6_T7_T9_mT8_P12ihipStream_tbDpT10_ENKUlT_T0_E_clISt17integral_constantIbLb1EES19_IbLb0EEEEDaS15_S16_EUlS15_E_NS1_11comp_targetILNS1_3genE3ELNS1_11target_archE908ELNS1_3gpuE7ELNS1_3repE0EEENS1_30default_config_static_selectorELNS0_4arch9wavefront6targetE1EEEvT1_
; %bb.0:
	.section	.rodata,"a",@progbits
	.p2align	6, 0x0
	.amdhsa_kernel _ZN7rocprim17ROCPRIM_400000_NS6detail17trampoline_kernelINS0_14default_configENS1_25partition_config_selectorILNS1_17partition_subalgoE8EsNS0_10empty_typeEbEEZZNS1_14partition_implILS5_8ELb0ES3_jN6thrust23THRUST_200600_302600_NS6detail15normal_iteratorINSA_10device_ptrIsEEEEPS6_PKS6_NS0_5tupleIJSF_S6_EEENSJ_IJSG_SG_EEENS0_18inequality_wrapperINSA_8equal_toIsEEEEPmJS6_EEE10hipError_tPvRmT3_T4_T5_T6_T7_T9_mT8_P12ihipStream_tbDpT10_ENKUlT_T0_E_clISt17integral_constantIbLb1EES19_IbLb0EEEEDaS15_S16_EUlS15_E_NS1_11comp_targetILNS1_3genE3ELNS1_11target_archE908ELNS1_3gpuE7ELNS1_3repE0EEENS1_30default_config_static_selectorELNS0_4arch9wavefront6targetE1EEEvT1_
		.amdhsa_group_segment_fixed_size 0
		.amdhsa_private_segment_fixed_size 0
		.amdhsa_kernarg_size 112
		.amdhsa_user_sgpr_count 6
		.amdhsa_user_sgpr_private_segment_buffer 1
		.amdhsa_user_sgpr_dispatch_ptr 0
		.amdhsa_user_sgpr_queue_ptr 0
		.amdhsa_user_sgpr_kernarg_segment_ptr 1
		.amdhsa_user_sgpr_dispatch_id 0
		.amdhsa_user_sgpr_flat_scratch_init 0
		.amdhsa_user_sgpr_private_segment_size 0
		.amdhsa_uses_dynamic_stack 0
		.amdhsa_system_sgpr_private_segment_wavefront_offset 0
		.amdhsa_system_sgpr_workgroup_id_x 1
		.amdhsa_system_sgpr_workgroup_id_y 0
		.amdhsa_system_sgpr_workgroup_id_z 0
		.amdhsa_system_sgpr_workgroup_info 0
		.amdhsa_system_vgpr_workitem_id 0
		.amdhsa_next_free_vgpr 1
		.amdhsa_next_free_sgpr 0
		.amdhsa_reserve_vcc 0
		.amdhsa_reserve_flat_scratch 0
		.amdhsa_float_round_mode_32 0
		.amdhsa_float_round_mode_16_64 0
		.amdhsa_float_denorm_mode_32 3
		.amdhsa_float_denorm_mode_16_64 3
		.amdhsa_dx10_clamp 1
		.amdhsa_ieee_mode 1
		.amdhsa_fp16_overflow 0
		.amdhsa_exception_fp_ieee_invalid_op 0
		.amdhsa_exception_fp_denorm_src 0
		.amdhsa_exception_fp_ieee_div_zero 0
		.amdhsa_exception_fp_ieee_overflow 0
		.amdhsa_exception_fp_ieee_underflow 0
		.amdhsa_exception_fp_ieee_inexact 0
		.amdhsa_exception_int_div_zero 0
	.end_amdhsa_kernel
	.section	.text._ZN7rocprim17ROCPRIM_400000_NS6detail17trampoline_kernelINS0_14default_configENS1_25partition_config_selectorILNS1_17partition_subalgoE8EsNS0_10empty_typeEbEEZZNS1_14partition_implILS5_8ELb0ES3_jN6thrust23THRUST_200600_302600_NS6detail15normal_iteratorINSA_10device_ptrIsEEEEPS6_PKS6_NS0_5tupleIJSF_S6_EEENSJ_IJSG_SG_EEENS0_18inequality_wrapperINSA_8equal_toIsEEEEPmJS6_EEE10hipError_tPvRmT3_T4_T5_T6_T7_T9_mT8_P12ihipStream_tbDpT10_ENKUlT_T0_E_clISt17integral_constantIbLb1EES19_IbLb0EEEEDaS15_S16_EUlS15_E_NS1_11comp_targetILNS1_3genE3ELNS1_11target_archE908ELNS1_3gpuE7ELNS1_3repE0EEENS1_30default_config_static_selectorELNS0_4arch9wavefront6targetE1EEEvT1_,"axG",@progbits,_ZN7rocprim17ROCPRIM_400000_NS6detail17trampoline_kernelINS0_14default_configENS1_25partition_config_selectorILNS1_17partition_subalgoE8EsNS0_10empty_typeEbEEZZNS1_14partition_implILS5_8ELb0ES3_jN6thrust23THRUST_200600_302600_NS6detail15normal_iteratorINSA_10device_ptrIsEEEEPS6_PKS6_NS0_5tupleIJSF_S6_EEENSJ_IJSG_SG_EEENS0_18inequality_wrapperINSA_8equal_toIsEEEEPmJS6_EEE10hipError_tPvRmT3_T4_T5_T6_T7_T9_mT8_P12ihipStream_tbDpT10_ENKUlT_T0_E_clISt17integral_constantIbLb1EES19_IbLb0EEEEDaS15_S16_EUlS15_E_NS1_11comp_targetILNS1_3genE3ELNS1_11target_archE908ELNS1_3gpuE7ELNS1_3repE0EEENS1_30default_config_static_selectorELNS0_4arch9wavefront6targetE1EEEvT1_,comdat
.Lfunc_end488:
	.size	_ZN7rocprim17ROCPRIM_400000_NS6detail17trampoline_kernelINS0_14default_configENS1_25partition_config_selectorILNS1_17partition_subalgoE8EsNS0_10empty_typeEbEEZZNS1_14partition_implILS5_8ELb0ES3_jN6thrust23THRUST_200600_302600_NS6detail15normal_iteratorINSA_10device_ptrIsEEEEPS6_PKS6_NS0_5tupleIJSF_S6_EEENSJ_IJSG_SG_EEENS0_18inequality_wrapperINSA_8equal_toIsEEEEPmJS6_EEE10hipError_tPvRmT3_T4_T5_T6_T7_T9_mT8_P12ihipStream_tbDpT10_ENKUlT_T0_E_clISt17integral_constantIbLb1EES19_IbLb0EEEEDaS15_S16_EUlS15_E_NS1_11comp_targetILNS1_3genE3ELNS1_11target_archE908ELNS1_3gpuE7ELNS1_3repE0EEENS1_30default_config_static_selectorELNS0_4arch9wavefront6targetE1EEEvT1_, .Lfunc_end488-_ZN7rocprim17ROCPRIM_400000_NS6detail17trampoline_kernelINS0_14default_configENS1_25partition_config_selectorILNS1_17partition_subalgoE8EsNS0_10empty_typeEbEEZZNS1_14partition_implILS5_8ELb0ES3_jN6thrust23THRUST_200600_302600_NS6detail15normal_iteratorINSA_10device_ptrIsEEEEPS6_PKS6_NS0_5tupleIJSF_S6_EEENSJ_IJSG_SG_EEENS0_18inequality_wrapperINSA_8equal_toIsEEEEPmJS6_EEE10hipError_tPvRmT3_T4_T5_T6_T7_T9_mT8_P12ihipStream_tbDpT10_ENKUlT_T0_E_clISt17integral_constantIbLb1EES19_IbLb0EEEEDaS15_S16_EUlS15_E_NS1_11comp_targetILNS1_3genE3ELNS1_11target_archE908ELNS1_3gpuE7ELNS1_3repE0EEENS1_30default_config_static_selectorELNS0_4arch9wavefront6targetE1EEEvT1_
                                        ; -- End function
	.set _ZN7rocprim17ROCPRIM_400000_NS6detail17trampoline_kernelINS0_14default_configENS1_25partition_config_selectorILNS1_17partition_subalgoE8EsNS0_10empty_typeEbEEZZNS1_14partition_implILS5_8ELb0ES3_jN6thrust23THRUST_200600_302600_NS6detail15normal_iteratorINSA_10device_ptrIsEEEEPS6_PKS6_NS0_5tupleIJSF_S6_EEENSJ_IJSG_SG_EEENS0_18inequality_wrapperINSA_8equal_toIsEEEEPmJS6_EEE10hipError_tPvRmT3_T4_T5_T6_T7_T9_mT8_P12ihipStream_tbDpT10_ENKUlT_T0_E_clISt17integral_constantIbLb1EES19_IbLb0EEEEDaS15_S16_EUlS15_E_NS1_11comp_targetILNS1_3genE3ELNS1_11target_archE908ELNS1_3gpuE7ELNS1_3repE0EEENS1_30default_config_static_selectorELNS0_4arch9wavefront6targetE1EEEvT1_.num_vgpr, 0
	.set _ZN7rocprim17ROCPRIM_400000_NS6detail17trampoline_kernelINS0_14default_configENS1_25partition_config_selectorILNS1_17partition_subalgoE8EsNS0_10empty_typeEbEEZZNS1_14partition_implILS5_8ELb0ES3_jN6thrust23THRUST_200600_302600_NS6detail15normal_iteratorINSA_10device_ptrIsEEEEPS6_PKS6_NS0_5tupleIJSF_S6_EEENSJ_IJSG_SG_EEENS0_18inequality_wrapperINSA_8equal_toIsEEEEPmJS6_EEE10hipError_tPvRmT3_T4_T5_T6_T7_T9_mT8_P12ihipStream_tbDpT10_ENKUlT_T0_E_clISt17integral_constantIbLb1EES19_IbLb0EEEEDaS15_S16_EUlS15_E_NS1_11comp_targetILNS1_3genE3ELNS1_11target_archE908ELNS1_3gpuE7ELNS1_3repE0EEENS1_30default_config_static_selectorELNS0_4arch9wavefront6targetE1EEEvT1_.num_agpr, 0
	.set _ZN7rocprim17ROCPRIM_400000_NS6detail17trampoline_kernelINS0_14default_configENS1_25partition_config_selectorILNS1_17partition_subalgoE8EsNS0_10empty_typeEbEEZZNS1_14partition_implILS5_8ELb0ES3_jN6thrust23THRUST_200600_302600_NS6detail15normal_iteratorINSA_10device_ptrIsEEEEPS6_PKS6_NS0_5tupleIJSF_S6_EEENSJ_IJSG_SG_EEENS0_18inequality_wrapperINSA_8equal_toIsEEEEPmJS6_EEE10hipError_tPvRmT3_T4_T5_T6_T7_T9_mT8_P12ihipStream_tbDpT10_ENKUlT_T0_E_clISt17integral_constantIbLb1EES19_IbLb0EEEEDaS15_S16_EUlS15_E_NS1_11comp_targetILNS1_3genE3ELNS1_11target_archE908ELNS1_3gpuE7ELNS1_3repE0EEENS1_30default_config_static_selectorELNS0_4arch9wavefront6targetE1EEEvT1_.numbered_sgpr, 0
	.set _ZN7rocprim17ROCPRIM_400000_NS6detail17trampoline_kernelINS0_14default_configENS1_25partition_config_selectorILNS1_17partition_subalgoE8EsNS0_10empty_typeEbEEZZNS1_14partition_implILS5_8ELb0ES3_jN6thrust23THRUST_200600_302600_NS6detail15normal_iteratorINSA_10device_ptrIsEEEEPS6_PKS6_NS0_5tupleIJSF_S6_EEENSJ_IJSG_SG_EEENS0_18inequality_wrapperINSA_8equal_toIsEEEEPmJS6_EEE10hipError_tPvRmT3_T4_T5_T6_T7_T9_mT8_P12ihipStream_tbDpT10_ENKUlT_T0_E_clISt17integral_constantIbLb1EES19_IbLb0EEEEDaS15_S16_EUlS15_E_NS1_11comp_targetILNS1_3genE3ELNS1_11target_archE908ELNS1_3gpuE7ELNS1_3repE0EEENS1_30default_config_static_selectorELNS0_4arch9wavefront6targetE1EEEvT1_.num_named_barrier, 0
	.set _ZN7rocprim17ROCPRIM_400000_NS6detail17trampoline_kernelINS0_14default_configENS1_25partition_config_selectorILNS1_17partition_subalgoE8EsNS0_10empty_typeEbEEZZNS1_14partition_implILS5_8ELb0ES3_jN6thrust23THRUST_200600_302600_NS6detail15normal_iteratorINSA_10device_ptrIsEEEEPS6_PKS6_NS0_5tupleIJSF_S6_EEENSJ_IJSG_SG_EEENS0_18inequality_wrapperINSA_8equal_toIsEEEEPmJS6_EEE10hipError_tPvRmT3_T4_T5_T6_T7_T9_mT8_P12ihipStream_tbDpT10_ENKUlT_T0_E_clISt17integral_constantIbLb1EES19_IbLb0EEEEDaS15_S16_EUlS15_E_NS1_11comp_targetILNS1_3genE3ELNS1_11target_archE908ELNS1_3gpuE7ELNS1_3repE0EEENS1_30default_config_static_selectorELNS0_4arch9wavefront6targetE1EEEvT1_.private_seg_size, 0
	.set _ZN7rocprim17ROCPRIM_400000_NS6detail17trampoline_kernelINS0_14default_configENS1_25partition_config_selectorILNS1_17partition_subalgoE8EsNS0_10empty_typeEbEEZZNS1_14partition_implILS5_8ELb0ES3_jN6thrust23THRUST_200600_302600_NS6detail15normal_iteratorINSA_10device_ptrIsEEEEPS6_PKS6_NS0_5tupleIJSF_S6_EEENSJ_IJSG_SG_EEENS0_18inequality_wrapperINSA_8equal_toIsEEEEPmJS6_EEE10hipError_tPvRmT3_T4_T5_T6_T7_T9_mT8_P12ihipStream_tbDpT10_ENKUlT_T0_E_clISt17integral_constantIbLb1EES19_IbLb0EEEEDaS15_S16_EUlS15_E_NS1_11comp_targetILNS1_3genE3ELNS1_11target_archE908ELNS1_3gpuE7ELNS1_3repE0EEENS1_30default_config_static_selectorELNS0_4arch9wavefront6targetE1EEEvT1_.uses_vcc, 0
	.set _ZN7rocprim17ROCPRIM_400000_NS6detail17trampoline_kernelINS0_14default_configENS1_25partition_config_selectorILNS1_17partition_subalgoE8EsNS0_10empty_typeEbEEZZNS1_14partition_implILS5_8ELb0ES3_jN6thrust23THRUST_200600_302600_NS6detail15normal_iteratorINSA_10device_ptrIsEEEEPS6_PKS6_NS0_5tupleIJSF_S6_EEENSJ_IJSG_SG_EEENS0_18inequality_wrapperINSA_8equal_toIsEEEEPmJS6_EEE10hipError_tPvRmT3_T4_T5_T6_T7_T9_mT8_P12ihipStream_tbDpT10_ENKUlT_T0_E_clISt17integral_constantIbLb1EES19_IbLb0EEEEDaS15_S16_EUlS15_E_NS1_11comp_targetILNS1_3genE3ELNS1_11target_archE908ELNS1_3gpuE7ELNS1_3repE0EEENS1_30default_config_static_selectorELNS0_4arch9wavefront6targetE1EEEvT1_.uses_flat_scratch, 0
	.set _ZN7rocprim17ROCPRIM_400000_NS6detail17trampoline_kernelINS0_14default_configENS1_25partition_config_selectorILNS1_17partition_subalgoE8EsNS0_10empty_typeEbEEZZNS1_14partition_implILS5_8ELb0ES3_jN6thrust23THRUST_200600_302600_NS6detail15normal_iteratorINSA_10device_ptrIsEEEEPS6_PKS6_NS0_5tupleIJSF_S6_EEENSJ_IJSG_SG_EEENS0_18inequality_wrapperINSA_8equal_toIsEEEEPmJS6_EEE10hipError_tPvRmT3_T4_T5_T6_T7_T9_mT8_P12ihipStream_tbDpT10_ENKUlT_T0_E_clISt17integral_constantIbLb1EES19_IbLb0EEEEDaS15_S16_EUlS15_E_NS1_11comp_targetILNS1_3genE3ELNS1_11target_archE908ELNS1_3gpuE7ELNS1_3repE0EEENS1_30default_config_static_selectorELNS0_4arch9wavefront6targetE1EEEvT1_.has_dyn_sized_stack, 0
	.set _ZN7rocprim17ROCPRIM_400000_NS6detail17trampoline_kernelINS0_14default_configENS1_25partition_config_selectorILNS1_17partition_subalgoE8EsNS0_10empty_typeEbEEZZNS1_14partition_implILS5_8ELb0ES3_jN6thrust23THRUST_200600_302600_NS6detail15normal_iteratorINSA_10device_ptrIsEEEEPS6_PKS6_NS0_5tupleIJSF_S6_EEENSJ_IJSG_SG_EEENS0_18inequality_wrapperINSA_8equal_toIsEEEEPmJS6_EEE10hipError_tPvRmT3_T4_T5_T6_T7_T9_mT8_P12ihipStream_tbDpT10_ENKUlT_T0_E_clISt17integral_constantIbLb1EES19_IbLb0EEEEDaS15_S16_EUlS15_E_NS1_11comp_targetILNS1_3genE3ELNS1_11target_archE908ELNS1_3gpuE7ELNS1_3repE0EEENS1_30default_config_static_selectorELNS0_4arch9wavefront6targetE1EEEvT1_.has_recursion, 0
	.set _ZN7rocprim17ROCPRIM_400000_NS6detail17trampoline_kernelINS0_14default_configENS1_25partition_config_selectorILNS1_17partition_subalgoE8EsNS0_10empty_typeEbEEZZNS1_14partition_implILS5_8ELb0ES3_jN6thrust23THRUST_200600_302600_NS6detail15normal_iteratorINSA_10device_ptrIsEEEEPS6_PKS6_NS0_5tupleIJSF_S6_EEENSJ_IJSG_SG_EEENS0_18inequality_wrapperINSA_8equal_toIsEEEEPmJS6_EEE10hipError_tPvRmT3_T4_T5_T6_T7_T9_mT8_P12ihipStream_tbDpT10_ENKUlT_T0_E_clISt17integral_constantIbLb1EES19_IbLb0EEEEDaS15_S16_EUlS15_E_NS1_11comp_targetILNS1_3genE3ELNS1_11target_archE908ELNS1_3gpuE7ELNS1_3repE0EEENS1_30default_config_static_selectorELNS0_4arch9wavefront6targetE1EEEvT1_.has_indirect_call, 0
	.section	.AMDGPU.csdata,"",@progbits
; Kernel info:
; codeLenInByte = 0
; TotalNumSgprs: 4
; NumVgprs: 0
; ScratchSize: 0
; MemoryBound: 0
; FloatMode: 240
; IeeeMode: 1
; LDSByteSize: 0 bytes/workgroup (compile time only)
; SGPRBlocks: 0
; VGPRBlocks: 0
; NumSGPRsForWavesPerEU: 4
; NumVGPRsForWavesPerEU: 1
; Occupancy: 10
; WaveLimiterHint : 0
; COMPUTE_PGM_RSRC2:SCRATCH_EN: 0
; COMPUTE_PGM_RSRC2:USER_SGPR: 6
; COMPUTE_PGM_RSRC2:TRAP_HANDLER: 0
; COMPUTE_PGM_RSRC2:TGID_X_EN: 1
; COMPUTE_PGM_RSRC2:TGID_Y_EN: 0
; COMPUTE_PGM_RSRC2:TGID_Z_EN: 0
; COMPUTE_PGM_RSRC2:TIDIG_COMP_CNT: 0
	.section	.text._ZN7rocprim17ROCPRIM_400000_NS6detail17trampoline_kernelINS0_14default_configENS1_25partition_config_selectorILNS1_17partition_subalgoE8EsNS0_10empty_typeEbEEZZNS1_14partition_implILS5_8ELb0ES3_jN6thrust23THRUST_200600_302600_NS6detail15normal_iteratorINSA_10device_ptrIsEEEEPS6_PKS6_NS0_5tupleIJSF_S6_EEENSJ_IJSG_SG_EEENS0_18inequality_wrapperINSA_8equal_toIsEEEEPmJS6_EEE10hipError_tPvRmT3_T4_T5_T6_T7_T9_mT8_P12ihipStream_tbDpT10_ENKUlT_T0_E_clISt17integral_constantIbLb1EES19_IbLb0EEEEDaS15_S16_EUlS15_E_NS1_11comp_targetILNS1_3genE2ELNS1_11target_archE906ELNS1_3gpuE6ELNS1_3repE0EEENS1_30default_config_static_selectorELNS0_4arch9wavefront6targetE1EEEvT1_,"axG",@progbits,_ZN7rocprim17ROCPRIM_400000_NS6detail17trampoline_kernelINS0_14default_configENS1_25partition_config_selectorILNS1_17partition_subalgoE8EsNS0_10empty_typeEbEEZZNS1_14partition_implILS5_8ELb0ES3_jN6thrust23THRUST_200600_302600_NS6detail15normal_iteratorINSA_10device_ptrIsEEEEPS6_PKS6_NS0_5tupleIJSF_S6_EEENSJ_IJSG_SG_EEENS0_18inequality_wrapperINSA_8equal_toIsEEEEPmJS6_EEE10hipError_tPvRmT3_T4_T5_T6_T7_T9_mT8_P12ihipStream_tbDpT10_ENKUlT_T0_E_clISt17integral_constantIbLb1EES19_IbLb0EEEEDaS15_S16_EUlS15_E_NS1_11comp_targetILNS1_3genE2ELNS1_11target_archE906ELNS1_3gpuE6ELNS1_3repE0EEENS1_30default_config_static_selectorELNS0_4arch9wavefront6targetE1EEEvT1_,comdat
	.protected	_ZN7rocprim17ROCPRIM_400000_NS6detail17trampoline_kernelINS0_14default_configENS1_25partition_config_selectorILNS1_17partition_subalgoE8EsNS0_10empty_typeEbEEZZNS1_14partition_implILS5_8ELb0ES3_jN6thrust23THRUST_200600_302600_NS6detail15normal_iteratorINSA_10device_ptrIsEEEEPS6_PKS6_NS0_5tupleIJSF_S6_EEENSJ_IJSG_SG_EEENS0_18inequality_wrapperINSA_8equal_toIsEEEEPmJS6_EEE10hipError_tPvRmT3_T4_T5_T6_T7_T9_mT8_P12ihipStream_tbDpT10_ENKUlT_T0_E_clISt17integral_constantIbLb1EES19_IbLb0EEEEDaS15_S16_EUlS15_E_NS1_11comp_targetILNS1_3genE2ELNS1_11target_archE906ELNS1_3gpuE6ELNS1_3repE0EEENS1_30default_config_static_selectorELNS0_4arch9wavefront6targetE1EEEvT1_ ; -- Begin function _ZN7rocprim17ROCPRIM_400000_NS6detail17trampoline_kernelINS0_14default_configENS1_25partition_config_selectorILNS1_17partition_subalgoE8EsNS0_10empty_typeEbEEZZNS1_14partition_implILS5_8ELb0ES3_jN6thrust23THRUST_200600_302600_NS6detail15normal_iteratorINSA_10device_ptrIsEEEEPS6_PKS6_NS0_5tupleIJSF_S6_EEENSJ_IJSG_SG_EEENS0_18inequality_wrapperINSA_8equal_toIsEEEEPmJS6_EEE10hipError_tPvRmT3_T4_T5_T6_T7_T9_mT8_P12ihipStream_tbDpT10_ENKUlT_T0_E_clISt17integral_constantIbLb1EES19_IbLb0EEEEDaS15_S16_EUlS15_E_NS1_11comp_targetILNS1_3genE2ELNS1_11target_archE906ELNS1_3gpuE6ELNS1_3repE0EEENS1_30default_config_static_selectorELNS0_4arch9wavefront6targetE1EEEvT1_
	.globl	_ZN7rocprim17ROCPRIM_400000_NS6detail17trampoline_kernelINS0_14default_configENS1_25partition_config_selectorILNS1_17partition_subalgoE8EsNS0_10empty_typeEbEEZZNS1_14partition_implILS5_8ELb0ES3_jN6thrust23THRUST_200600_302600_NS6detail15normal_iteratorINSA_10device_ptrIsEEEEPS6_PKS6_NS0_5tupleIJSF_S6_EEENSJ_IJSG_SG_EEENS0_18inequality_wrapperINSA_8equal_toIsEEEEPmJS6_EEE10hipError_tPvRmT3_T4_T5_T6_T7_T9_mT8_P12ihipStream_tbDpT10_ENKUlT_T0_E_clISt17integral_constantIbLb1EES19_IbLb0EEEEDaS15_S16_EUlS15_E_NS1_11comp_targetILNS1_3genE2ELNS1_11target_archE906ELNS1_3gpuE6ELNS1_3repE0EEENS1_30default_config_static_selectorELNS0_4arch9wavefront6targetE1EEEvT1_
	.p2align	8
	.type	_ZN7rocprim17ROCPRIM_400000_NS6detail17trampoline_kernelINS0_14default_configENS1_25partition_config_selectorILNS1_17partition_subalgoE8EsNS0_10empty_typeEbEEZZNS1_14partition_implILS5_8ELb0ES3_jN6thrust23THRUST_200600_302600_NS6detail15normal_iteratorINSA_10device_ptrIsEEEEPS6_PKS6_NS0_5tupleIJSF_S6_EEENSJ_IJSG_SG_EEENS0_18inequality_wrapperINSA_8equal_toIsEEEEPmJS6_EEE10hipError_tPvRmT3_T4_T5_T6_T7_T9_mT8_P12ihipStream_tbDpT10_ENKUlT_T0_E_clISt17integral_constantIbLb1EES19_IbLb0EEEEDaS15_S16_EUlS15_E_NS1_11comp_targetILNS1_3genE2ELNS1_11target_archE906ELNS1_3gpuE6ELNS1_3repE0EEENS1_30default_config_static_selectorELNS0_4arch9wavefront6targetE1EEEvT1_,@function
_ZN7rocprim17ROCPRIM_400000_NS6detail17trampoline_kernelINS0_14default_configENS1_25partition_config_selectorILNS1_17partition_subalgoE8EsNS0_10empty_typeEbEEZZNS1_14partition_implILS5_8ELb0ES3_jN6thrust23THRUST_200600_302600_NS6detail15normal_iteratorINSA_10device_ptrIsEEEEPS6_PKS6_NS0_5tupleIJSF_S6_EEENSJ_IJSG_SG_EEENS0_18inequality_wrapperINSA_8equal_toIsEEEEPmJS6_EEE10hipError_tPvRmT3_T4_T5_T6_T7_T9_mT8_P12ihipStream_tbDpT10_ENKUlT_T0_E_clISt17integral_constantIbLb1EES19_IbLb0EEEEDaS15_S16_EUlS15_E_NS1_11comp_targetILNS1_3genE2ELNS1_11target_archE906ELNS1_3gpuE6ELNS1_3repE0EEENS1_30default_config_static_selectorELNS0_4arch9wavefront6targetE1EEEvT1_: ; @_ZN7rocprim17ROCPRIM_400000_NS6detail17trampoline_kernelINS0_14default_configENS1_25partition_config_selectorILNS1_17partition_subalgoE8EsNS0_10empty_typeEbEEZZNS1_14partition_implILS5_8ELb0ES3_jN6thrust23THRUST_200600_302600_NS6detail15normal_iteratorINSA_10device_ptrIsEEEEPS6_PKS6_NS0_5tupleIJSF_S6_EEENSJ_IJSG_SG_EEENS0_18inequality_wrapperINSA_8equal_toIsEEEEPmJS6_EEE10hipError_tPvRmT3_T4_T5_T6_T7_T9_mT8_P12ihipStream_tbDpT10_ENKUlT_T0_E_clISt17integral_constantIbLb1EES19_IbLb0EEEEDaS15_S16_EUlS15_E_NS1_11comp_targetILNS1_3genE2ELNS1_11target_archE906ELNS1_3gpuE6ELNS1_3repE0EEENS1_30default_config_static_selectorELNS0_4arch9wavefront6targetE1EEEvT1_
; %bb.0:
	s_endpgm
	.section	.rodata,"a",@progbits
	.p2align	6, 0x0
	.amdhsa_kernel _ZN7rocprim17ROCPRIM_400000_NS6detail17trampoline_kernelINS0_14default_configENS1_25partition_config_selectorILNS1_17partition_subalgoE8EsNS0_10empty_typeEbEEZZNS1_14partition_implILS5_8ELb0ES3_jN6thrust23THRUST_200600_302600_NS6detail15normal_iteratorINSA_10device_ptrIsEEEEPS6_PKS6_NS0_5tupleIJSF_S6_EEENSJ_IJSG_SG_EEENS0_18inequality_wrapperINSA_8equal_toIsEEEEPmJS6_EEE10hipError_tPvRmT3_T4_T5_T6_T7_T9_mT8_P12ihipStream_tbDpT10_ENKUlT_T0_E_clISt17integral_constantIbLb1EES19_IbLb0EEEEDaS15_S16_EUlS15_E_NS1_11comp_targetILNS1_3genE2ELNS1_11target_archE906ELNS1_3gpuE6ELNS1_3repE0EEENS1_30default_config_static_selectorELNS0_4arch9wavefront6targetE1EEEvT1_
		.amdhsa_group_segment_fixed_size 0
		.amdhsa_private_segment_fixed_size 0
		.amdhsa_kernarg_size 112
		.amdhsa_user_sgpr_count 6
		.amdhsa_user_sgpr_private_segment_buffer 1
		.amdhsa_user_sgpr_dispatch_ptr 0
		.amdhsa_user_sgpr_queue_ptr 0
		.amdhsa_user_sgpr_kernarg_segment_ptr 1
		.amdhsa_user_sgpr_dispatch_id 0
		.amdhsa_user_sgpr_flat_scratch_init 0
		.amdhsa_user_sgpr_private_segment_size 0
		.amdhsa_uses_dynamic_stack 0
		.amdhsa_system_sgpr_private_segment_wavefront_offset 0
		.amdhsa_system_sgpr_workgroup_id_x 1
		.amdhsa_system_sgpr_workgroup_id_y 0
		.amdhsa_system_sgpr_workgroup_id_z 0
		.amdhsa_system_sgpr_workgroup_info 0
		.amdhsa_system_vgpr_workitem_id 0
		.amdhsa_next_free_vgpr 1
		.amdhsa_next_free_sgpr 0
		.amdhsa_reserve_vcc 0
		.amdhsa_reserve_flat_scratch 0
		.amdhsa_float_round_mode_32 0
		.amdhsa_float_round_mode_16_64 0
		.amdhsa_float_denorm_mode_32 3
		.amdhsa_float_denorm_mode_16_64 3
		.amdhsa_dx10_clamp 1
		.amdhsa_ieee_mode 1
		.amdhsa_fp16_overflow 0
		.amdhsa_exception_fp_ieee_invalid_op 0
		.amdhsa_exception_fp_denorm_src 0
		.amdhsa_exception_fp_ieee_div_zero 0
		.amdhsa_exception_fp_ieee_overflow 0
		.amdhsa_exception_fp_ieee_underflow 0
		.amdhsa_exception_fp_ieee_inexact 0
		.amdhsa_exception_int_div_zero 0
	.end_amdhsa_kernel
	.section	.text._ZN7rocprim17ROCPRIM_400000_NS6detail17trampoline_kernelINS0_14default_configENS1_25partition_config_selectorILNS1_17partition_subalgoE8EsNS0_10empty_typeEbEEZZNS1_14partition_implILS5_8ELb0ES3_jN6thrust23THRUST_200600_302600_NS6detail15normal_iteratorINSA_10device_ptrIsEEEEPS6_PKS6_NS0_5tupleIJSF_S6_EEENSJ_IJSG_SG_EEENS0_18inequality_wrapperINSA_8equal_toIsEEEEPmJS6_EEE10hipError_tPvRmT3_T4_T5_T6_T7_T9_mT8_P12ihipStream_tbDpT10_ENKUlT_T0_E_clISt17integral_constantIbLb1EES19_IbLb0EEEEDaS15_S16_EUlS15_E_NS1_11comp_targetILNS1_3genE2ELNS1_11target_archE906ELNS1_3gpuE6ELNS1_3repE0EEENS1_30default_config_static_selectorELNS0_4arch9wavefront6targetE1EEEvT1_,"axG",@progbits,_ZN7rocprim17ROCPRIM_400000_NS6detail17trampoline_kernelINS0_14default_configENS1_25partition_config_selectorILNS1_17partition_subalgoE8EsNS0_10empty_typeEbEEZZNS1_14partition_implILS5_8ELb0ES3_jN6thrust23THRUST_200600_302600_NS6detail15normal_iteratorINSA_10device_ptrIsEEEEPS6_PKS6_NS0_5tupleIJSF_S6_EEENSJ_IJSG_SG_EEENS0_18inequality_wrapperINSA_8equal_toIsEEEEPmJS6_EEE10hipError_tPvRmT3_T4_T5_T6_T7_T9_mT8_P12ihipStream_tbDpT10_ENKUlT_T0_E_clISt17integral_constantIbLb1EES19_IbLb0EEEEDaS15_S16_EUlS15_E_NS1_11comp_targetILNS1_3genE2ELNS1_11target_archE906ELNS1_3gpuE6ELNS1_3repE0EEENS1_30default_config_static_selectorELNS0_4arch9wavefront6targetE1EEEvT1_,comdat
.Lfunc_end489:
	.size	_ZN7rocprim17ROCPRIM_400000_NS6detail17trampoline_kernelINS0_14default_configENS1_25partition_config_selectorILNS1_17partition_subalgoE8EsNS0_10empty_typeEbEEZZNS1_14partition_implILS5_8ELb0ES3_jN6thrust23THRUST_200600_302600_NS6detail15normal_iteratorINSA_10device_ptrIsEEEEPS6_PKS6_NS0_5tupleIJSF_S6_EEENSJ_IJSG_SG_EEENS0_18inequality_wrapperINSA_8equal_toIsEEEEPmJS6_EEE10hipError_tPvRmT3_T4_T5_T6_T7_T9_mT8_P12ihipStream_tbDpT10_ENKUlT_T0_E_clISt17integral_constantIbLb1EES19_IbLb0EEEEDaS15_S16_EUlS15_E_NS1_11comp_targetILNS1_3genE2ELNS1_11target_archE906ELNS1_3gpuE6ELNS1_3repE0EEENS1_30default_config_static_selectorELNS0_4arch9wavefront6targetE1EEEvT1_, .Lfunc_end489-_ZN7rocprim17ROCPRIM_400000_NS6detail17trampoline_kernelINS0_14default_configENS1_25partition_config_selectorILNS1_17partition_subalgoE8EsNS0_10empty_typeEbEEZZNS1_14partition_implILS5_8ELb0ES3_jN6thrust23THRUST_200600_302600_NS6detail15normal_iteratorINSA_10device_ptrIsEEEEPS6_PKS6_NS0_5tupleIJSF_S6_EEENSJ_IJSG_SG_EEENS0_18inequality_wrapperINSA_8equal_toIsEEEEPmJS6_EEE10hipError_tPvRmT3_T4_T5_T6_T7_T9_mT8_P12ihipStream_tbDpT10_ENKUlT_T0_E_clISt17integral_constantIbLb1EES19_IbLb0EEEEDaS15_S16_EUlS15_E_NS1_11comp_targetILNS1_3genE2ELNS1_11target_archE906ELNS1_3gpuE6ELNS1_3repE0EEENS1_30default_config_static_selectorELNS0_4arch9wavefront6targetE1EEEvT1_
                                        ; -- End function
	.set _ZN7rocprim17ROCPRIM_400000_NS6detail17trampoline_kernelINS0_14default_configENS1_25partition_config_selectorILNS1_17partition_subalgoE8EsNS0_10empty_typeEbEEZZNS1_14partition_implILS5_8ELb0ES3_jN6thrust23THRUST_200600_302600_NS6detail15normal_iteratorINSA_10device_ptrIsEEEEPS6_PKS6_NS0_5tupleIJSF_S6_EEENSJ_IJSG_SG_EEENS0_18inequality_wrapperINSA_8equal_toIsEEEEPmJS6_EEE10hipError_tPvRmT3_T4_T5_T6_T7_T9_mT8_P12ihipStream_tbDpT10_ENKUlT_T0_E_clISt17integral_constantIbLb1EES19_IbLb0EEEEDaS15_S16_EUlS15_E_NS1_11comp_targetILNS1_3genE2ELNS1_11target_archE906ELNS1_3gpuE6ELNS1_3repE0EEENS1_30default_config_static_selectorELNS0_4arch9wavefront6targetE1EEEvT1_.num_vgpr, 0
	.set _ZN7rocprim17ROCPRIM_400000_NS6detail17trampoline_kernelINS0_14default_configENS1_25partition_config_selectorILNS1_17partition_subalgoE8EsNS0_10empty_typeEbEEZZNS1_14partition_implILS5_8ELb0ES3_jN6thrust23THRUST_200600_302600_NS6detail15normal_iteratorINSA_10device_ptrIsEEEEPS6_PKS6_NS0_5tupleIJSF_S6_EEENSJ_IJSG_SG_EEENS0_18inequality_wrapperINSA_8equal_toIsEEEEPmJS6_EEE10hipError_tPvRmT3_T4_T5_T6_T7_T9_mT8_P12ihipStream_tbDpT10_ENKUlT_T0_E_clISt17integral_constantIbLb1EES19_IbLb0EEEEDaS15_S16_EUlS15_E_NS1_11comp_targetILNS1_3genE2ELNS1_11target_archE906ELNS1_3gpuE6ELNS1_3repE0EEENS1_30default_config_static_selectorELNS0_4arch9wavefront6targetE1EEEvT1_.num_agpr, 0
	.set _ZN7rocprim17ROCPRIM_400000_NS6detail17trampoline_kernelINS0_14default_configENS1_25partition_config_selectorILNS1_17partition_subalgoE8EsNS0_10empty_typeEbEEZZNS1_14partition_implILS5_8ELb0ES3_jN6thrust23THRUST_200600_302600_NS6detail15normal_iteratorINSA_10device_ptrIsEEEEPS6_PKS6_NS0_5tupleIJSF_S6_EEENSJ_IJSG_SG_EEENS0_18inequality_wrapperINSA_8equal_toIsEEEEPmJS6_EEE10hipError_tPvRmT3_T4_T5_T6_T7_T9_mT8_P12ihipStream_tbDpT10_ENKUlT_T0_E_clISt17integral_constantIbLb1EES19_IbLb0EEEEDaS15_S16_EUlS15_E_NS1_11comp_targetILNS1_3genE2ELNS1_11target_archE906ELNS1_3gpuE6ELNS1_3repE0EEENS1_30default_config_static_selectorELNS0_4arch9wavefront6targetE1EEEvT1_.numbered_sgpr, 0
	.set _ZN7rocprim17ROCPRIM_400000_NS6detail17trampoline_kernelINS0_14default_configENS1_25partition_config_selectorILNS1_17partition_subalgoE8EsNS0_10empty_typeEbEEZZNS1_14partition_implILS5_8ELb0ES3_jN6thrust23THRUST_200600_302600_NS6detail15normal_iteratorINSA_10device_ptrIsEEEEPS6_PKS6_NS0_5tupleIJSF_S6_EEENSJ_IJSG_SG_EEENS0_18inequality_wrapperINSA_8equal_toIsEEEEPmJS6_EEE10hipError_tPvRmT3_T4_T5_T6_T7_T9_mT8_P12ihipStream_tbDpT10_ENKUlT_T0_E_clISt17integral_constantIbLb1EES19_IbLb0EEEEDaS15_S16_EUlS15_E_NS1_11comp_targetILNS1_3genE2ELNS1_11target_archE906ELNS1_3gpuE6ELNS1_3repE0EEENS1_30default_config_static_selectorELNS0_4arch9wavefront6targetE1EEEvT1_.num_named_barrier, 0
	.set _ZN7rocprim17ROCPRIM_400000_NS6detail17trampoline_kernelINS0_14default_configENS1_25partition_config_selectorILNS1_17partition_subalgoE8EsNS0_10empty_typeEbEEZZNS1_14partition_implILS5_8ELb0ES3_jN6thrust23THRUST_200600_302600_NS6detail15normal_iteratorINSA_10device_ptrIsEEEEPS6_PKS6_NS0_5tupleIJSF_S6_EEENSJ_IJSG_SG_EEENS0_18inequality_wrapperINSA_8equal_toIsEEEEPmJS6_EEE10hipError_tPvRmT3_T4_T5_T6_T7_T9_mT8_P12ihipStream_tbDpT10_ENKUlT_T0_E_clISt17integral_constantIbLb1EES19_IbLb0EEEEDaS15_S16_EUlS15_E_NS1_11comp_targetILNS1_3genE2ELNS1_11target_archE906ELNS1_3gpuE6ELNS1_3repE0EEENS1_30default_config_static_selectorELNS0_4arch9wavefront6targetE1EEEvT1_.private_seg_size, 0
	.set _ZN7rocprim17ROCPRIM_400000_NS6detail17trampoline_kernelINS0_14default_configENS1_25partition_config_selectorILNS1_17partition_subalgoE8EsNS0_10empty_typeEbEEZZNS1_14partition_implILS5_8ELb0ES3_jN6thrust23THRUST_200600_302600_NS6detail15normal_iteratorINSA_10device_ptrIsEEEEPS6_PKS6_NS0_5tupleIJSF_S6_EEENSJ_IJSG_SG_EEENS0_18inequality_wrapperINSA_8equal_toIsEEEEPmJS6_EEE10hipError_tPvRmT3_T4_T5_T6_T7_T9_mT8_P12ihipStream_tbDpT10_ENKUlT_T0_E_clISt17integral_constantIbLb1EES19_IbLb0EEEEDaS15_S16_EUlS15_E_NS1_11comp_targetILNS1_3genE2ELNS1_11target_archE906ELNS1_3gpuE6ELNS1_3repE0EEENS1_30default_config_static_selectorELNS0_4arch9wavefront6targetE1EEEvT1_.uses_vcc, 0
	.set _ZN7rocprim17ROCPRIM_400000_NS6detail17trampoline_kernelINS0_14default_configENS1_25partition_config_selectorILNS1_17partition_subalgoE8EsNS0_10empty_typeEbEEZZNS1_14partition_implILS5_8ELb0ES3_jN6thrust23THRUST_200600_302600_NS6detail15normal_iteratorINSA_10device_ptrIsEEEEPS6_PKS6_NS0_5tupleIJSF_S6_EEENSJ_IJSG_SG_EEENS0_18inequality_wrapperINSA_8equal_toIsEEEEPmJS6_EEE10hipError_tPvRmT3_T4_T5_T6_T7_T9_mT8_P12ihipStream_tbDpT10_ENKUlT_T0_E_clISt17integral_constantIbLb1EES19_IbLb0EEEEDaS15_S16_EUlS15_E_NS1_11comp_targetILNS1_3genE2ELNS1_11target_archE906ELNS1_3gpuE6ELNS1_3repE0EEENS1_30default_config_static_selectorELNS0_4arch9wavefront6targetE1EEEvT1_.uses_flat_scratch, 0
	.set _ZN7rocprim17ROCPRIM_400000_NS6detail17trampoline_kernelINS0_14default_configENS1_25partition_config_selectorILNS1_17partition_subalgoE8EsNS0_10empty_typeEbEEZZNS1_14partition_implILS5_8ELb0ES3_jN6thrust23THRUST_200600_302600_NS6detail15normal_iteratorINSA_10device_ptrIsEEEEPS6_PKS6_NS0_5tupleIJSF_S6_EEENSJ_IJSG_SG_EEENS0_18inequality_wrapperINSA_8equal_toIsEEEEPmJS6_EEE10hipError_tPvRmT3_T4_T5_T6_T7_T9_mT8_P12ihipStream_tbDpT10_ENKUlT_T0_E_clISt17integral_constantIbLb1EES19_IbLb0EEEEDaS15_S16_EUlS15_E_NS1_11comp_targetILNS1_3genE2ELNS1_11target_archE906ELNS1_3gpuE6ELNS1_3repE0EEENS1_30default_config_static_selectorELNS0_4arch9wavefront6targetE1EEEvT1_.has_dyn_sized_stack, 0
	.set _ZN7rocprim17ROCPRIM_400000_NS6detail17trampoline_kernelINS0_14default_configENS1_25partition_config_selectorILNS1_17partition_subalgoE8EsNS0_10empty_typeEbEEZZNS1_14partition_implILS5_8ELb0ES3_jN6thrust23THRUST_200600_302600_NS6detail15normal_iteratorINSA_10device_ptrIsEEEEPS6_PKS6_NS0_5tupleIJSF_S6_EEENSJ_IJSG_SG_EEENS0_18inequality_wrapperINSA_8equal_toIsEEEEPmJS6_EEE10hipError_tPvRmT3_T4_T5_T6_T7_T9_mT8_P12ihipStream_tbDpT10_ENKUlT_T0_E_clISt17integral_constantIbLb1EES19_IbLb0EEEEDaS15_S16_EUlS15_E_NS1_11comp_targetILNS1_3genE2ELNS1_11target_archE906ELNS1_3gpuE6ELNS1_3repE0EEENS1_30default_config_static_selectorELNS0_4arch9wavefront6targetE1EEEvT1_.has_recursion, 0
	.set _ZN7rocprim17ROCPRIM_400000_NS6detail17trampoline_kernelINS0_14default_configENS1_25partition_config_selectorILNS1_17partition_subalgoE8EsNS0_10empty_typeEbEEZZNS1_14partition_implILS5_8ELb0ES3_jN6thrust23THRUST_200600_302600_NS6detail15normal_iteratorINSA_10device_ptrIsEEEEPS6_PKS6_NS0_5tupleIJSF_S6_EEENSJ_IJSG_SG_EEENS0_18inequality_wrapperINSA_8equal_toIsEEEEPmJS6_EEE10hipError_tPvRmT3_T4_T5_T6_T7_T9_mT8_P12ihipStream_tbDpT10_ENKUlT_T0_E_clISt17integral_constantIbLb1EES19_IbLb0EEEEDaS15_S16_EUlS15_E_NS1_11comp_targetILNS1_3genE2ELNS1_11target_archE906ELNS1_3gpuE6ELNS1_3repE0EEENS1_30default_config_static_selectorELNS0_4arch9wavefront6targetE1EEEvT1_.has_indirect_call, 0
	.section	.AMDGPU.csdata,"",@progbits
; Kernel info:
; codeLenInByte = 4
; TotalNumSgprs: 4
; NumVgprs: 0
; ScratchSize: 0
; MemoryBound: 0
; FloatMode: 240
; IeeeMode: 1
; LDSByteSize: 0 bytes/workgroup (compile time only)
; SGPRBlocks: 0
; VGPRBlocks: 0
; NumSGPRsForWavesPerEU: 4
; NumVGPRsForWavesPerEU: 1
; Occupancy: 10
; WaveLimiterHint : 0
; COMPUTE_PGM_RSRC2:SCRATCH_EN: 0
; COMPUTE_PGM_RSRC2:USER_SGPR: 6
; COMPUTE_PGM_RSRC2:TRAP_HANDLER: 0
; COMPUTE_PGM_RSRC2:TGID_X_EN: 1
; COMPUTE_PGM_RSRC2:TGID_Y_EN: 0
; COMPUTE_PGM_RSRC2:TGID_Z_EN: 0
; COMPUTE_PGM_RSRC2:TIDIG_COMP_CNT: 0
	.section	.text._ZN7rocprim17ROCPRIM_400000_NS6detail17trampoline_kernelINS0_14default_configENS1_25partition_config_selectorILNS1_17partition_subalgoE8EsNS0_10empty_typeEbEEZZNS1_14partition_implILS5_8ELb0ES3_jN6thrust23THRUST_200600_302600_NS6detail15normal_iteratorINSA_10device_ptrIsEEEEPS6_PKS6_NS0_5tupleIJSF_S6_EEENSJ_IJSG_SG_EEENS0_18inequality_wrapperINSA_8equal_toIsEEEEPmJS6_EEE10hipError_tPvRmT3_T4_T5_T6_T7_T9_mT8_P12ihipStream_tbDpT10_ENKUlT_T0_E_clISt17integral_constantIbLb1EES19_IbLb0EEEEDaS15_S16_EUlS15_E_NS1_11comp_targetILNS1_3genE10ELNS1_11target_archE1200ELNS1_3gpuE4ELNS1_3repE0EEENS1_30default_config_static_selectorELNS0_4arch9wavefront6targetE1EEEvT1_,"axG",@progbits,_ZN7rocprim17ROCPRIM_400000_NS6detail17trampoline_kernelINS0_14default_configENS1_25partition_config_selectorILNS1_17partition_subalgoE8EsNS0_10empty_typeEbEEZZNS1_14partition_implILS5_8ELb0ES3_jN6thrust23THRUST_200600_302600_NS6detail15normal_iteratorINSA_10device_ptrIsEEEEPS6_PKS6_NS0_5tupleIJSF_S6_EEENSJ_IJSG_SG_EEENS0_18inequality_wrapperINSA_8equal_toIsEEEEPmJS6_EEE10hipError_tPvRmT3_T4_T5_T6_T7_T9_mT8_P12ihipStream_tbDpT10_ENKUlT_T0_E_clISt17integral_constantIbLb1EES19_IbLb0EEEEDaS15_S16_EUlS15_E_NS1_11comp_targetILNS1_3genE10ELNS1_11target_archE1200ELNS1_3gpuE4ELNS1_3repE0EEENS1_30default_config_static_selectorELNS0_4arch9wavefront6targetE1EEEvT1_,comdat
	.protected	_ZN7rocprim17ROCPRIM_400000_NS6detail17trampoline_kernelINS0_14default_configENS1_25partition_config_selectorILNS1_17partition_subalgoE8EsNS0_10empty_typeEbEEZZNS1_14partition_implILS5_8ELb0ES3_jN6thrust23THRUST_200600_302600_NS6detail15normal_iteratorINSA_10device_ptrIsEEEEPS6_PKS6_NS0_5tupleIJSF_S6_EEENSJ_IJSG_SG_EEENS0_18inequality_wrapperINSA_8equal_toIsEEEEPmJS6_EEE10hipError_tPvRmT3_T4_T5_T6_T7_T9_mT8_P12ihipStream_tbDpT10_ENKUlT_T0_E_clISt17integral_constantIbLb1EES19_IbLb0EEEEDaS15_S16_EUlS15_E_NS1_11comp_targetILNS1_3genE10ELNS1_11target_archE1200ELNS1_3gpuE4ELNS1_3repE0EEENS1_30default_config_static_selectorELNS0_4arch9wavefront6targetE1EEEvT1_ ; -- Begin function _ZN7rocprim17ROCPRIM_400000_NS6detail17trampoline_kernelINS0_14default_configENS1_25partition_config_selectorILNS1_17partition_subalgoE8EsNS0_10empty_typeEbEEZZNS1_14partition_implILS5_8ELb0ES3_jN6thrust23THRUST_200600_302600_NS6detail15normal_iteratorINSA_10device_ptrIsEEEEPS6_PKS6_NS0_5tupleIJSF_S6_EEENSJ_IJSG_SG_EEENS0_18inequality_wrapperINSA_8equal_toIsEEEEPmJS6_EEE10hipError_tPvRmT3_T4_T5_T6_T7_T9_mT8_P12ihipStream_tbDpT10_ENKUlT_T0_E_clISt17integral_constantIbLb1EES19_IbLb0EEEEDaS15_S16_EUlS15_E_NS1_11comp_targetILNS1_3genE10ELNS1_11target_archE1200ELNS1_3gpuE4ELNS1_3repE0EEENS1_30default_config_static_selectorELNS0_4arch9wavefront6targetE1EEEvT1_
	.globl	_ZN7rocprim17ROCPRIM_400000_NS6detail17trampoline_kernelINS0_14default_configENS1_25partition_config_selectorILNS1_17partition_subalgoE8EsNS0_10empty_typeEbEEZZNS1_14partition_implILS5_8ELb0ES3_jN6thrust23THRUST_200600_302600_NS6detail15normal_iteratorINSA_10device_ptrIsEEEEPS6_PKS6_NS0_5tupleIJSF_S6_EEENSJ_IJSG_SG_EEENS0_18inequality_wrapperINSA_8equal_toIsEEEEPmJS6_EEE10hipError_tPvRmT3_T4_T5_T6_T7_T9_mT8_P12ihipStream_tbDpT10_ENKUlT_T0_E_clISt17integral_constantIbLb1EES19_IbLb0EEEEDaS15_S16_EUlS15_E_NS1_11comp_targetILNS1_3genE10ELNS1_11target_archE1200ELNS1_3gpuE4ELNS1_3repE0EEENS1_30default_config_static_selectorELNS0_4arch9wavefront6targetE1EEEvT1_
	.p2align	8
	.type	_ZN7rocprim17ROCPRIM_400000_NS6detail17trampoline_kernelINS0_14default_configENS1_25partition_config_selectorILNS1_17partition_subalgoE8EsNS0_10empty_typeEbEEZZNS1_14partition_implILS5_8ELb0ES3_jN6thrust23THRUST_200600_302600_NS6detail15normal_iteratorINSA_10device_ptrIsEEEEPS6_PKS6_NS0_5tupleIJSF_S6_EEENSJ_IJSG_SG_EEENS0_18inequality_wrapperINSA_8equal_toIsEEEEPmJS6_EEE10hipError_tPvRmT3_T4_T5_T6_T7_T9_mT8_P12ihipStream_tbDpT10_ENKUlT_T0_E_clISt17integral_constantIbLb1EES19_IbLb0EEEEDaS15_S16_EUlS15_E_NS1_11comp_targetILNS1_3genE10ELNS1_11target_archE1200ELNS1_3gpuE4ELNS1_3repE0EEENS1_30default_config_static_selectorELNS0_4arch9wavefront6targetE1EEEvT1_,@function
_ZN7rocprim17ROCPRIM_400000_NS6detail17trampoline_kernelINS0_14default_configENS1_25partition_config_selectorILNS1_17partition_subalgoE8EsNS0_10empty_typeEbEEZZNS1_14partition_implILS5_8ELb0ES3_jN6thrust23THRUST_200600_302600_NS6detail15normal_iteratorINSA_10device_ptrIsEEEEPS6_PKS6_NS0_5tupleIJSF_S6_EEENSJ_IJSG_SG_EEENS0_18inequality_wrapperINSA_8equal_toIsEEEEPmJS6_EEE10hipError_tPvRmT3_T4_T5_T6_T7_T9_mT8_P12ihipStream_tbDpT10_ENKUlT_T0_E_clISt17integral_constantIbLb1EES19_IbLb0EEEEDaS15_S16_EUlS15_E_NS1_11comp_targetILNS1_3genE10ELNS1_11target_archE1200ELNS1_3gpuE4ELNS1_3repE0EEENS1_30default_config_static_selectorELNS0_4arch9wavefront6targetE1EEEvT1_: ; @_ZN7rocprim17ROCPRIM_400000_NS6detail17trampoline_kernelINS0_14default_configENS1_25partition_config_selectorILNS1_17partition_subalgoE8EsNS0_10empty_typeEbEEZZNS1_14partition_implILS5_8ELb0ES3_jN6thrust23THRUST_200600_302600_NS6detail15normal_iteratorINSA_10device_ptrIsEEEEPS6_PKS6_NS0_5tupleIJSF_S6_EEENSJ_IJSG_SG_EEENS0_18inequality_wrapperINSA_8equal_toIsEEEEPmJS6_EEE10hipError_tPvRmT3_T4_T5_T6_T7_T9_mT8_P12ihipStream_tbDpT10_ENKUlT_T0_E_clISt17integral_constantIbLb1EES19_IbLb0EEEEDaS15_S16_EUlS15_E_NS1_11comp_targetILNS1_3genE10ELNS1_11target_archE1200ELNS1_3gpuE4ELNS1_3repE0EEENS1_30default_config_static_selectorELNS0_4arch9wavefront6targetE1EEEvT1_
; %bb.0:
	.section	.rodata,"a",@progbits
	.p2align	6, 0x0
	.amdhsa_kernel _ZN7rocprim17ROCPRIM_400000_NS6detail17trampoline_kernelINS0_14default_configENS1_25partition_config_selectorILNS1_17partition_subalgoE8EsNS0_10empty_typeEbEEZZNS1_14partition_implILS5_8ELb0ES3_jN6thrust23THRUST_200600_302600_NS6detail15normal_iteratorINSA_10device_ptrIsEEEEPS6_PKS6_NS0_5tupleIJSF_S6_EEENSJ_IJSG_SG_EEENS0_18inequality_wrapperINSA_8equal_toIsEEEEPmJS6_EEE10hipError_tPvRmT3_T4_T5_T6_T7_T9_mT8_P12ihipStream_tbDpT10_ENKUlT_T0_E_clISt17integral_constantIbLb1EES19_IbLb0EEEEDaS15_S16_EUlS15_E_NS1_11comp_targetILNS1_3genE10ELNS1_11target_archE1200ELNS1_3gpuE4ELNS1_3repE0EEENS1_30default_config_static_selectorELNS0_4arch9wavefront6targetE1EEEvT1_
		.amdhsa_group_segment_fixed_size 0
		.amdhsa_private_segment_fixed_size 0
		.amdhsa_kernarg_size 112
		.amdhsa_user_sgpr_count 6
		.amdhsa_user_sgpr_private_segment_buffer 1
		.amdhsa_user_sgpr_dispatch_ptr 0
		.amdhsa_user_sgpr_queue_ptr 0
		.amdhsa_user_sgpr_kernarg_segment_ptr 1
		.amdhsa_user_sgpr_dispatch_id 0
		.amdhsa_user_sgpr_flat_scratch_init 0
		.amdhsa_user_sgpr_private_segment_size 0
		.amdhsa_uses_dynamic_stack 0
		.amdhsa_system_sgpr_private_segment_wavefront_offset 0
		.amdhsa_system_sgpr_workgroup_id_x 1
		.amdhsa_system_sgpr_workgroup_id_y 0
		.amdhsa_system_sgpr_workgroup_id_z 0
		.amdhsa_system_sgpr_workgroup_info 0
		.amdhsa_system_vgpr_workitem_id 0
		.amdhsa_next_free_vgpr 1
		.amdhsa_next_free_sgpr 0
		.amdhsa_reserve_vcc 0
		.amdhsa_reserve_flat_scratch 0
		.amdhsa_float_round_mode_32 0
		.amdhsa_float_round_mode_16_64 0
		.amdhsa_float_denorm_mode_32 3
		.amdhsa_float_denorm_mode_16_64 3
		.amdhsa_dx10_clamp 1
		.amdhsa_ieee_mode 1
		.amdhsa_fp16_overflow 0
		.amdhsa_exception_fp_ieee_invalid_op 0
		.amdhsa_exception_fp_denorm_src 0
		.amdhsa_exception_fp_ieee_div_zero 0
		.amdhsa_exception_fp_ieee_overflow 0
		.amdhsa_exception_fp_ieee_underflow 0
		.amdhsa_exception_fp_ieee_inexact 0
		.amdhsa_exception_int_div_zero 0
	.end_amdhsa_kernel
	.section	.text._ZN7rocprim17ROCPRIM_400000_NS6detail17trampoline_kernelINS0_14default_configENS1_25partition_config_selectorILNS1_17partition_subalgoE8EsNS0_10empty_typeEbEEZZNS1_14partition_implILS5_8ELb0ES3_jN6thrust23THRUST_200600_302600_NS6detail15normal_iteratorINSA_10device_ptrIsEEEEPS6_PKS6_NS0_5tupleIJSF_S6_EEENSJ_IJSG_SG_EEENS0_18inequality_wrapperINSA_8equal_toIsEEEEPmJS6_EEE10hipError_tPvRmT3_T4_T5_T6_T7_T9_mT8_P12ihipStream_tbDpT10_ENKUlT_T0_E_clISt17integral_constantIbLb1EES19_IbLb0EEEEDaS15_S16_EUlS15_E_NS1_11comp_targetILNS1_3genE10ELNS1_11target_archE1200ELNS1_3gpuE4ELNS1_3repE0EEENS1_30default_config_static_selectorELNS0_4arch9wavefront6targetE1EEEvT1_,"axG",@progbits,_ZN7rocprim17ROCPRIM_400000_NS6detail17trampoline_kernelINS0_14default_configENS1_25partition_config_selectorILNS1_17partition_subalgoE8EsNS0_10empty_typeEbEEZZNS1_14partition_implILS5_8ELb0ES3_jN6thrust23THRUST_200600_302600_NS6detail15normal_iteratorINSA_10device_ptrIsEEEEPS6_PKS6_NS0_5tupleIJSF_S6_EEENSJ_IJSG_SG_EEENS0_18inequality_wrapperINSA_8equal_toIsEEEEPmJS6_EEE10hipError_tPvRmT3_T4_T5_T6_T7_T9_mT8_P12ihipStream_tbDpT10_ENKUlT_T0_E_clISt17integral_constantIbLb1EES19_IbLb0EEEEDaS15_S16_EUlS15_E_NS1_11comp_targetILNS1_3genE10ELNS1_11target_archE1200ELNS1_3gpuE4ELNS1_3repE0EEENS1_30default_config_static_selectorELNS0_4arch9wavefront6targetE1EEEvT1_,comdat
.Lfunc_end490:
	.size	_ZN7rocprim17ROCPRIM_400000_NS6detail17trampoline_kernelINS0_14default_configENS1_25partition_config_selectorILNS1_17partition_subalgoE8EsNS0_10empty_typeEbEEZZNS1_14partition_implILS5_8ELb0ES3_jN6thrust23THRUST_200600_302600_NS6detail15normal_iteratorINSA_10device_ptrIsEEEEPS6_PKS6_NS0_5tupleIJSF_S6_EEENSJ_IJSG_SG_EEENS0_18inequality_wrapperINSA_8equal_toIsEEEEPmJS6_EEE10hipError_tPvRmT3_T4_T5_T6_T7_T9_mT8_P12ihipStream_tbDpT10_ENKUlT_T0_E_clISt17integral_constantIbLb1EES19_IbLb0EEEEDaS15_S16_EUlS15_E_NS1_11comp_targetILNS1_3genE10ELNS1_11target_archE1200ELNS1_3gpuE4ELNS1_3repE0EEENS1_30default_config_static_selectorELNS0_4arch9wavefront6targetE1EEEvT1_, .Lfunc_end490-_ZN7rocprim17ROCPRIM_400000_NS6detail17trampoline_kernelINS0_14default_configENS1_25partition_config_selectorILNS1_17partition_subalgoE8EsNS0_10empty_typeEbEEZZNS1_14partition_implILS5_8ELb0ES3_jN6thrust23THRUST_200600_302600_NS6detail15normal_iteratorINSA_10device_ptrIsEEEEPS6_PKS6_NS0_5tupleIJSF_S6_EEENSJ_IJSG_SG_EEENS0_18inequality_wrapperINSA_8equal_toIsEEEEPmJS6_EEE10hipError_tPvRmT3_T4_T5_T6_T7_T9_mT8_P12ihipStream_tbDpT10_ENKUlT_T0_E_clISt17integral_constantIbLb1EES19_IbLb0EEEEDaS15_S16_EUlS15_E_NS1_11comp_targetILNS1_3genE10ELNS1_11target_archE1200ELNS1_3gpuE4ELNS1_3repE0EEENS1_30default_config_static_selectorELNS0_4arch9wavefront6targetE1EEEvT1_
                                        ; -- End function
	.set _ZN7rocprim17ROCPRIM_400000_NS6detail17trampoline_kernelINS0_14default_configENS1_25partition_config_selectorILNS1_17partition_subalgoE8EsNS0_10empty_typeEbEEZZNS1_14partition_implILS5_8ELb0ES3_jN6thrust23THRUST_200600_302600_NS6detail15normal_iteratorINSA_10device_ptrIsEEEEPS6_PKS6_NS0_5tupleIJSF_S6_EEENSJ_IJSG_SG_EEENS0_18inequality_wrapperINSA_8equal_toIsEEEEPmJS6_EEE10hipError_tPvRmT3_T4_T5_T6_T7_T9_mT8_P12ihipStream_tbDpT10_ENKUlT_T0_E_clISt17integral_constantIbLb1EES19_IbLb0EEEEDaS15_S16_EUlS15_E_NS1_11comp_targetILNS1_3genE10ELNS1_11target_archE1200ELNS1_3gpuE4ELNS1_3repE0EEENS1_30default_config_static_selectorELNS0_4arch9wavefront6targetE1EEEvT1_.num_vgpr, 0
	.set _ZN7rocprim17ROCPRIM_400000_NS6detail17trampoline_kernelINS0_14default_configENS1_25partition_config_selectorILNS1_17partition_subalgoE8EsNS0_10empty_typeEbEEZZNS1_14partition_implILS5_8ELb0ES3_jN6thrust23THRUST_200600_302600_NS6detail15normal_iteratorINSA_10device_ptrIsEEEEPS6_PKS6_NS0_5tupleIJSF_S6_EEENSJ_IJSG_SG_EEENS0_18inequality_wrapperINSA_8equal_toIsEEEEPmJS6_EEE10hipError_tPvRmT3_T4_T5_T6_T7_T9_mT8_P12ihipStream_tbDpT10_ENKUlT_T0_E_clISt17integral_constantIbLb1EES19_IbLb0EEEEDaS15_S16_EUlS15_E_NS1_11comp_targetILNS1_3genE10ELNS1_11target_archE1200ELNS1_3gpuE4ELNS1_3repE0EEENS1_30default_config_static_selectorELNS0_4arch9wavefront6targetE1EEEvT1_.num_agpr, 0
	.set _ZN7rocprim17ROCPRIM_400000_NS6detail17trampoline_kernelINS0_14default_configENS1_25partition_config_selectorILNS1_17partition_subalgoE8EsNS0_10empty_typeEbEEZZNS1_14partition_implILS5_8ELb0ES3_jN6thrust23THRUST_200600_302600_NS6detail15normal_iteratorINSA_10device_ptrIsEEEEPS6_PKS6_NS0_5tupleIJSF_S6_EEENSJ_IJSG_SG_EEENS0_18inequality_wrapperINSA_8equal_toIsEEEEPmJS6_EEE10hipError_tPvRmT3_T4_T5_T6_T7_T9_mT8_P12ihipStream_tbDpT10_ENKUlT_T0_E_clISt17integral_constantIbLb1EES19_IbLb0EEEEDaS15_S16_EUlS15_E_NS1_11comp_targetILNS1_3genE10ELNS1_11target_archE1200ELNS1_3gpuE4ELNS1_3repE0EEENS1_30default_config_static_selectorELNS0_4arch9wavefront6targetE1EEEvT1_.numbered_sgpr, 0
	.set _ZN7rocprim17ROCPRIM_400000_NS6detail17trampoline_kernelINS0_14default_configENS1_25partition_config_selectorILNS1_17partition_subalgoE8EsNS0_10empty_typeEbEEZZNS1_14partition_implILS5_8ELb0ES3_jN6thrust23THRUST_200600_302600_NS6detail15normal_iteratorINSA_10device_ptrIsEEEEPS6_PKS6_NS0_5tupleIJSF_S6_EEENSJ_IJSG_SG_EEENS0_18inequality_wrapperINSA_8equal_toIsEEEEPmJS6_EEE10hipError_tPvRmT3_T4_T5_T6_T7_T9_mT8_P12ihipStream_tbDpT10_ENKUlT_T0_E_clISt17integral_constantIbLb1EES19_IbLb0EEEEDaS15_S16_EUlS15_E_NS1_11comp_targetILNS1_3genE10ELNS1_11target_archE1200ELNS1_3gpuE4ELNS1_3repE0EEENS1_30default_config_static_selectorELNS0_4arch9wavefront6targetE1EEEvT1_.num_named_barrier, 0
	.set _ZN7rocprim17ROCPRIM_400000_NS6detail17trampoline_kernelINS0_14default_configENS1_25partition_config_selectorILNS1_17partition_subalgoE8EsNS0_10empty_typeEbEEZZNS1_14partition_implILS5_8ELb0ES3_jN6thrust23THRUST_200600_302600_NS6detail15normal_iteratorINSA_10device_ptrIsEEEEPS6_PKS6_NS0_5tupleIJSF_S6_EEENSJ_IJSG_SG_EEENS0_18inequality_wrapperINSA_8equal_toIsEEEEPmJS6_EEE10hipError_tPvRmT3_T4_T5_T6_T7_T9_mT8_P12ihipStream_tbDpT10_ENKUlT_T0_E_clISt17integral_constantIbLb1EES19_IbLb0EEEEDaS15_S16_EUlS15_E_NS1_11comp_targetILNS1_3genE10ELNS1_11target_archE1200ELNS1_3gpuE4ELNS1_3repE0EEENS1_30default_config_static_selectorELNS0_4arch9wavefront6targetE1EEEvT1_.private_seg_size, 0
	.set _ZN7rocprim17ROCPRIM_400000_NS6detail17trampoline_kernelINS0_14default_configENS1_25partition_config_selectorILNS1_17partition_subalgoE8EsNS0_10empty_typeEbEEZZNS1_14partition_implILS5_8ELb0ES3_jN6thrust23THRUST_200600_302600_NS6detail15normal_iteratorINSA_10device_ptrIsEEEEPS6_PKS6_NS0_5tupleIJSF_S6_EEENSJ_IJSG_SG_EEENS0_18inequality_wrapperINSA_8equal_toIsEEEEPmJS6_EEE10hipError_tPvRmT3_T4_T5_T6_T7_T9_mT8_P12ihipStream_tbDpT10_ENKUlT_T0_E_clISt17integral_constantIbLb1EES19_IbLb0EEEEDaS15_S16_EUlS15_E_NS1_11comp_targetILNS1_3genE10ELNS1_11target_archE1200ELNS1_3gpuE4ELNS1_3repE0EEENS1_30default_config_static_selectorELNS0_4arch9wavefront6targetE1EEEvT1_.uses_vcc, 0
	.set _ZN7rocprim17ROCPRIM_400000_NS6detail17trampoline_kernelINS0_14default_configENS1_25partition_config_selectorILNS1_17partition_subalgoE8EsNS0_10empty_typeEbEEZZNS1_14partition_implILS5_8ELb0ES3_jN6thrust23THRUST_200600_302600_NS6detail15normal_iteratorINSA_10device_ptrIsEEEEPS6_PKS6_NS0_5tupleIJSF_S6_EEENSJ_IJSG_SG_EEENS0_18inequality_wrapperINSA_8equal_toIsEEEEPmJS6_EEE10hipError_tPvRmT3_T4_T5_T6_T7_T9_mT8_P12ihipStream_tbDpT10_ENKUlT_T0_E_clISt17integral_constantIbLb1EES19_IbLb0EEEEDaS15_S16_EUlS15_E_NS1_11comp_targetILNS1_3genE10ELNS1_11target_archE1200ELNS1_3gpuE4ELNS1_3repE0EEENS1_30default_config_static_selectorELNS0_4arch9wavefront6targetE1EEEvT1_.uses_flat_scratch, 0
	.set _ZN7rocprim17ROCPRIM_400000_NS6detail17trampoline_kernelINS0_14default_configENS1_25partition_config_selectorILNS1_17partition_subalgoE8EsNS0_10empty_typeEbEEZZNS1_14partition_implILS5_8ELb0ES3_jN6thrust23THRUST_200600_302600_NS6detail15normal_iteratorINSA_10device_ptrIsEEEEPS6_PKS6_NS0_5tupleIJSF_S6_EEENSJ_IJSG_SG_EEENS0_18inequality_wrapperINSA_8equal_toIsEEEEPmJS6_EEE10hipError_tPvRmT3_T4_T5_T6_T7_T9_mT8_P12ihipStream_tbDpT10_ENKUlT_T0_E_clISt17integral_constantIbLb1EES19_IbLb0EEEEDaS15_S16_EUlS15_E_NS1_11comp_targetILNS1_3genE10ELNS1_11target_archE1200ELNS1_3gpuE4ELNS1_3repE0EEENS1_30default_config_static_selectorELNS0_4arch9wavefront6targetE1EEEvT1_.has_dyn_sized_stack, 0
	.set _ZN7rocprim17ROCPRIM_400000_NS6detail17trampoline_kernelINS0_14default_configENS1_25partition_config_selectorILNS1_17partition_subalgoE8EsNS0_10empty_typeEbEEZZNS1_14partition_implILS5_8ELb0ES3_jN6thrust23THRUST_200600_302600_NS6detail15normal_iteratorINSA_10device_ptrIsEEEEPS6_PKS6_NS0_5tupleIJSF_S6_EEENSJ_IJSG_SG_EEENS0_18inequality_wrapperINSA_8equal_toIsEEEEPmJS6_EEE10hipError_tPvRmT3_T4_T5_T6_T7_T9_mT8_P12ihipStream_tbDpT10_ENKUlT_T0_E_clISt17integral_constantIbLb1EES19_IbLb0EEEEDaS15_S16_EUlS15_E_NS1_11comp_targetILNS1_3genE10ELNS1_11target_archE1200ELNS1_3gpuE4ELNS1_3repE0EEENS1_30default_config_static_selectorELNS0_4arch9wavefront6targetE1EEEvT1_.has_recursion, 0
	.set _ZN7rocprim17ROCPRIM_400000_NS6detail17trampoline_kernelINS0_14default_configENS1_25partition_config_selectorILNS1_17partition_subalgoE8EsNS0_10empty_typeEbEEZZNS1_14partition_implILS5_8ELb0ES3_jN6thrust23THRUST_200600_302600_NS6detail15normal_iteratorINSA_10device_ptrIsEEEEPS6_PKS6_NS0_5tupleIJSF_S6_EEENSJ_IJSG_SG_EEENS0_18inequality_wrapperINSA_8equal_toIsEEEEPmJS6_EEE10hipError_tPvRmT3_T4_T5_T6_T7_T9_mT8_P12ihipStream_tbDpT10_ENKUlT_T0_E_clISt17integral_constantIbLb1EES19_IbLb0EEEEDaS15_S16_EUlS15_E_NS1_11comp_targetILNS1_3genE10ELNS1_11target_archE1200ELNS1_3gpuE4ELNS1_3repE0EEENS1_30default_config_static_selectorELNS0_4arch9wavefront6targetE1EEEvT1_.has_indirect_call, 0
	.section	.AMDGPU.csdata,"",@progbits
; Kernel info:
; codeLenInByte = 0
; TotalNumSgprs: 4
; NumVgprs: 0
; ScratchSize: 0
; MemoryBound: 0
; FloatMode: 240
; IeeeMode: 1
; LDSByteSize: 0 bytes/workgroup (compile time only)
; SGPRBlocks: 0
; VGPRBlocks: 0
; NumSGPRsForWavesPerEU: 4
; NumVGPRsForWavesPerEU: 1
; Occupancy: 10
; WaveLimiterHint : 0
; COMPUTE_PGM_RSRC2:SCRATCH_EN: 0
; COMPUTE_PGM_RSRC2:USER_SGPR: 6
; COMPUTE_PGM_RSRC2:TRAP_HANDLER: 0
; COMPUTE_PGM_RSRC2:TGID_X_EN: 1
; COMPUTE_PGM_RSRC2:TGID_Y_EN: 0
; COMPUTE_PGM_RSRC2:TGID_Z_EN: 0
; COMPUTE_PGM_RSRC2:TIDIG_COMP_CNT: 0
	.section	.text._ZN7rocprim17ROCPRIM_400000_NS6detail17trampoline_kernelINS0_14default_configENS1_25partition_config_selectorILNS1_17partition_subalgoE8EsNS0_10empty_typeEbEEZZNS1_14partition_implILS5_8ELb0ES3_jN6thrust23THRUST_200600_302600_NS6detail15normal_iteratorINSA_10device_ptrIsEEEEPS6_PKS6_NS0_5tupleIJSF_S6_EEENSJ_IJSG_SG_EEENS0_18inequality_wrapperINSA_8equal_toIsEEEEPmJS6_EEE10hipError_tPvRmT3_T4_T5_T6_T7_T9_mT8_P12ihipStream_tbDpT10_ENKUlT_T0_E_clISt17integral_constantIbLb1EES19_IbLb0EEEEDaS15_S16_EUlS15_E_NS1_11comp_targetILNS1_3genE9ELNS1_11target_archE1100ELNS1_3gpuE3ELNS1_3repE0EEENS1_30default_config_static_selectorELNS0_4arch9wavefront6targetE1EEEvT1_,"axG",@progbits,_ZN7rocprim17ROCPRIM_400000_NS6detail17trampoline_kernelINS0_14default_configENS1_25partition_config_selectorILNS1_17partition_subalgoE8EsNS0_10empty_typeEbEEZZNS1_14partition_implILS5_8ELb0ES3_jN6thrust23THRUST_200600_302600_NS6detail15normal_iteratorINSA_10device_ptrIsEEEEPS6_PKS6_NS0_5tupleIJSF_S6_EEENSJ_IJSG_SG_EEENS0_18inequality_wrapperINSA_8equal_toIsEEEEPmJS6_EEE10hipError_tPvRmT3_T4_T5_T6_T7_T9_mT8_P12ihipStream_tbDpT10_ENKUlT_T0_E_clISt17integral_constantIbLb1EES19_IbLb0EEEEDaS15_S16_EUlS15_E_NS1_11comp_targetILNS1_3genE9ELNS1_11target_archE1100ELNS1_3gpuE3ELNS1_3repE0EEENS1_30default_config_static_selectorELNS0_4arch9wavefront6targetE1EEEvT1_,comdat
	.protected	_ZN7rocprim17ROCPRIM_400000_NS6detail17trampoline_kernelINS0_14default_configENS1_25partition_config_selectorILNS1_17partition_subalgoE8EsNS0_10empty_typeEbEEZZNS1_14partition_implILS5_8ELb0ES3_jN6thrust23THRUST_200600_302600_NS6detail15normal_iteratorINSA_10device_ptrIsEEEEPS6_PKS6_NS0_5tupleIJSF_S6_EEENSJ_IJSG_SG_EEENS0_18inequality_wrapperINSA_8equal_toIsEEEEPmJS6_EEE10hipError_tPvRmT3_T4_T5_T6_T7_T9_mT8_P12ihipStream_tbDpT10_ENKUlT_T0_E_clISt17integral_constantIbLb1EES19_IbLb0EEEEDaS15_S16_EUlS15_E_NS1_11comp_targetILNS1_3genE9ELNS1_11target_archE1100ELNS1_3gpuE3ELNS1_3repE0EEENS1_30default_config_static_selectorELNS0_4arch9wavefront6targetE1EEEvT1_ ; -- Begin function _ZN7rocprim17ROCPRIM_400000_NS6detail17trampoline_kernelINS0_14default_configENS1_25partition_config_selectorILNS1_17partition_subalgoE8EsNS0_10empty_typeEbEEZZNS1_14partition_implILS5_8ELb0ES3_jN6thrust23THRUST_200600_302600_NS6detail15normal_iteratorINSA_10device_ptrIsEEEEPS6_PKS6_NS0_5tupleIJSF_S6_EEENSJ_IJSG_SG_EEENS0_18inequality_wrapperINSA_8equal_toIsEEEEPmJS6_EEE10hipError_tPvRmT3_T4_T5_T6_T7_T9_mT8_P12ihipStream_tbDpT10_ENKUlT_T0_E_clISt17integral_constantIbLb1EES19_IbLb0EEEEDaS15_S16_EUlS15_E_NS1_11comp_targetILNS1_3genE9ELNS1_11target_archE1100ELNS1_3gpuE3ELNS1_3repE0EEENS1_30default_config_static_selectorELNS0_4arch9wavefront6targetE1EEEvT1_
	.globl	_ZN7rocprim17ROCPRIM_400000_NS6detail17trampoline_kernelINS0_14default_configENS1_25partition_config_selectorILNS1_17partition_subalgoE8EsNS0_10empty_typeEbEEZZNS1_14partition_implILS5_8ELb0ES3_jN6thrust23THRUST_200600_302600_NS6detail15normal_iteratorINSA_10device_ptrIsEEEEPS6_PKS6_NS0_5tupleIJSF_S6_EEENSJ_IJSG_SG_EEENS0_18inequality_wrapperINSA_8equal_toIsEEEEPmJS6_EEE10hipError_tPvRmT3_T4_T5_T6_T7_T9_mT8_P12ihipStream_tbDpT10_ENKUlT_T0_E_clISt17integral_constantIbLb1EES19_IbLb0EEEEDaS15_S16_EUlS15_E_NS1_11comp_targetILNS1_3genE9ELNS1_11target_archE1100ELNS1_3gpuE3ELNS1_3repE0EEENS1_30default_config_static_selectorELNS0_4arch9wavefront6targetE1EEEvT1_
	.p2align	8
	.type	_ZN7rocprim17ROCPRIM_400000_NS6detail17trampoline_kernelINS0_14default_configENS1_25partition_config_selectorILNS1_17partition_subalgoE8EsNS0_10empty_typeEbEEZZNS1_14partition_implILS5_8ELb0ES3_jN6thrust23THRUST_200600_302600_NS6detail15normal_iteratorINSA_10device_ptrIsEEEEPS6_PKS6_NS0_5tupleIJSF_S6_EEENSJ_IJSG_SG_EEENS0_18inequality_wrapperINSA_8equal_toIsEEEEPmJS6_EEE10hipError_tPvRmT3_T4_T5_T6_T7_T9_mT8_P12ihipStream_tbDpT10_ENKUlT_T0_E_clISt17integral_constantIbLb1EES19_IbLb0EEEEDaS15_S16_EUlS15_E_NS1_11comp_targetILNS1_3genE9ELNS1_11target_archE1100ELNS1_3gpuE3ELNS1_3repE0EEENS1_30default_config_static_selectorELNS0_4arch9wavefront6targetE1EEEvT1_,@function
_ZN7rocprim17ROCPRIM_400000_NS6detail17trampoline_kernelINS0_14default_configENS1_25partition_config_selectorILNS1_17partition_subalgoE8EsNS0_10empty_typeEbEEZZNS1_14partition_implILS5_8ELb0ES3_jN6thrust23THRUST_200600_302600_NS6detail15normal_iteratorINSA_10device_ptrIsEEEEPS6_PKS6_NS0_5tupleIJSF_S6_EEENSJ_IJSG_SG_EEENS0_18inequality_wrapperINSA_8equal_toIsEEEEPmJS6_EEE10hipError_tPvRmT3_T4_T5_T6_T7_T9_mT8_P12ihipStream_tbDpT10_ENKUlT_T0_E_clISt17integral_constantIbLb1EES19_IbLb0EEEEDaS15_S16_EUlS15_E_NS1_11comp_targetILNS1_3genE9ELNS1_11target_archE1100ELNS1_3gpuE3ELNS1_3repE0EEENS1_30default_config_static_selectorELNS0_4arch9wavefront6targetE1EEEvT1_: ; @_ZN7rocprim17ROCPRIM_400000_NS6detail17trampoline_kernelINS0_14default_configENS1_25partition_config_selectorILNS1_17partition_subalgoE8EsNS0_10empty_typeEbEEZZNS1_14partition_implILS5_8ELb0ES3_jN6thrust23THRUST_200600_302600_NS6detail15normal_iteratorINSA_10device_ptrIsEEEEPS6_PKS6_NS0_5tupleIJSF_S6_EEENSJ_IJSG_SG_EEENS0_18inequality_wrapperINSA_8equal_toIsEEEEPmJS6_EEE10hipError_tPvRmT3_T4_T5_T6_T7_T9_mT8_P12ihipStream_tbDpT10_ENKUlT_T0_E_clISt17integral_constantIbLb1EES19_IbLb0EEEEDaS15_S16_EUlS15_E_NS1_11comp_targetILNS1_3genE9ELNS1_11target_archE1100ELNS1_3gpuE3ELNS1_3repE0EEENS1_30default_config_static_selectorELNS0_4arch9wavefront6targetE1EEEvT1_
; %bb.0:
	.section	.rodata,"a",@progbits
	.p2align	6, 0x0
	.amdhsa_kernel _ZN7rocprim17ROCPRIM_400000_NS6detail17trampoline_kernelINS0_14default_configENS1_25partition_config_selectorILNS1_17partition_subalgoE8EsNS0_10empty_typeEbEEZZNS1_14partition_implILS5_8ELb0ES3_jN6thrust23THRUST_200600_302600_NS6detail15normal_iteratorINSA_10device_ptrIsEEEEPS6_PKS6_NS0_5tupleIJSF_S6_EEENSJ_IJSG_SG_EEENS0_18inequality_wrapperINSA_8equal_toIsEEEEPmJS6_EEE10hipError_tPvRmT3_T4_T5_T6_T7_T9_mT8_P12ihipStream_tbDpT10_ENKUlT_T0_E_clISt17integral_constantIbLb1EES19_IbLb0EEEEDaS15_S16_EUlS15_E_NS1_11comp_targetILNS1_3genE9ELNS1_11target_archE1100ELNS1_3gpuE3ELNS1_3repE0EEENS1_30default_config_static_selectorELNS0_4arch9wavefront6targetE1EEEvT1_
		.amdhsa_group_segment_fixed_size 0
		.amdhsa_private_segment_fixed_size 0
		.amdhsa_kernarg_size 112
		.amdhsa_user_sgpr_count 6
		.amdhsa_user_sgpr_private_segment_buffer 1
		.amdhsa_user_sgpr_dispatch_ptr 0
		.amdhsa_user_sgpr_queue_ptr 0
		.amdhsa_user_sgpr_kernarg_segment_ptr 1
		.amdhsa_user_sgpr_dispatch_id 0
		.amdhsa_user_sgpr_flat_scratch_init 0
		.amdhsa_user_sgpr_private_segment_size 0
		.amdhsa_uses_dynamic_stack 0
		.amdhsa_system_sgpr_private_segment_wavefront_offset 0
		.amdhsa_system_sgpr_workgroup_id_x 1
		.amdhsa_system_sgpr_workgroup_id_y 0
		.amdhsa_system_sgpr_workgroup_id_z 0
		.amdhsa_system_sgpr_workgroup_info 0
		.amdhsa_system_vgpr_workitem_id 0
		.amdhsa_next_free_vgpr 1
		.amdhsa_next_free_sgpr 0
		.amdhsa_reserve_vcc 0
		.amdhsa_reserve_flat_scratch 0
		.amdhsa_float_round_mode_32 0
		.amdhsa_float_round_mode_16_64 0
		.amdhsa_float_denorm_mode_32 3
		.amdhsa_float_denorm_mode_16_64 3
		.amdhsa_dx10_clamp 1
		.amdhsa_ieee_mode 1
		.amdhsa_fp16_overflow 0
		.amdhsa_exception_fp_ieee_invalid_op 0
		.amdhsa_exception_fp_denorm_src 0
		.amdhsa_exception_fp_ieee_div_zero 0
		.amdhsa_exception_fp_ieee_overflow 0
		.amdhsa_exception_fp_ieee_underflow 0
		.amdhsa_exception_fp_ieee_inexact 0
		.amdhsa_exception_int_div_zero 0
	.end_amdhsa_kernel
	.section	.text._ZN7rocprim17ROCPRIM_400000_NS6detail17trampoline_kernelINS0_14default_configENS1_25partition_config_selectorILNS1_17partition_subalgoE8EsNS0_10empty_typeEbEEZZNS1_14partition_implILS5_8ELb0ES3_jN6thrust23THRUST_200600_302600_NS6detail15normal_iteratorINSA_10device_ptrIsEEEEPS6_PKS6_NS0_5tupleIJSF_S6_EEENSJ_IJSG_SG_EEENS0_18inequality_wrapperINSA_8equal_toIsEEEEPmJS6_EEE10hipError_tPvRmT3_T4_T5_T6_T7_T9_mT8_P12ihipStream_tbDpT10_ENKUlT_T0_E_clISt17integral_constantIbLb1EES19_IbLb0EEEEDaS15_S16_EUlS15_E_NS1_11comp_targetILNS1_3genE9ELNS1_11target_archE1100ELNS1_3gpuE3ELNS1_3repE0EEENS1_30default_config_static_selectorELNS0_4arch9wavefront6targetE1EEEvT1_,"axG",@progbits,_ZN7rocprim17ROCPRIM_400000_NS6detail17trampoline_kernelINS0_14default_configENS1_25partition_config_selectorILNS1_17partition_subalgoE8EsNS0_10empty_typeEbEEZZNS1_14partition_implILS5_8ELb0ES3_jN6thrust23THRUST_200600_302600_NS6detail15normal_iteratorINSA_10device_ptrIsEEEEPS6_PKS6_NS0_5tupleIJSF_S6_EEENSJ_IJSG_SG_EEENS0_18inequality_wrapperINSA_8equal_toIsEEEEPmJS6_EEE10hipError_tPvRmT3_T4_T5_T6_T7_T9_mT8_P12ihipStream_tbDpT10_ENKUlT_T0_E_clISt17integral_constantIbLb1EES19_IbLb0EEEEDaS15_S16_EUlS15_E_NS1_11comp_targetILNS1_3genE9ELNS1_11target_archE1100ELNS1_3gpuE3ELNS1_3repE0EEENS1_30default_config_static_selectorELNS0_4arch9wavefront6targetE1EEEvT1_,comdat
.Lfunc_end491:
	.size	_ZN7rocprim17ROCPRIM_400000_NS6detail17trampoline_kernelINS0_14default_configENS1_25partition_config_selectorILNS1_17partition_subalgoE8EsNS0_10empty_typeEbEEZZNS1_14partition_implILS5_8ELb0ES3_jN6thrust23THRUST_200600_302600_NS6detail15normal_iteratorINSA_10device_ptrIsEEEEPS6_PKS6_NS0_5tupleIJSF_S6_EEENSJ_IJSG_SG_EEENS0_18inequality_wrapperINSA_8equal_toIsEEEEPmJS6_EEE10hipError_tPvRmT3_T4_T5_T6_T7_T9_mT8_P12ihipStream_tbDpT10_ENKUlT_T0_E_clISt17integral_constantIbLb1EES19_IbLb0EEEEDaS15_S16_EUlS15_E_NS1_11comp_targetILNS1_3genE9ELNS1_11target_archE1100ELNS1_3gpuE3ELNS1_3repE0EEENS1_30default_config_static_selectorELNS0_4arch9wavefront6targetE1EEEvT1_, .Lfunc_end491-_ZN7rocprim17ROCPRIM_400000_NS6detail17trampoline_kernelINS0_14default_configENS1_25partition_config_selectorILNS1_17partition_subalgoE8EsNS0_10empty_typeEbEEZZNS1_14partition_implILS5_8ELb0ES3_jN6thrust23THRUST_200600_302600_NS6detail15normal_iteratorINSA_10device_ptrIsEEEEPS6_PKS6_NS0_5tupleIJSF_S6_EEENSJ_IJSG_SG_EEENS0_18inequality_wrapperINSA_8equal_toIsEEEEPmJS6_EEE10hipError_tPvRmT3_T4_T5_T6_T7_T9_mT8_P12ihipStream_tbDpT10_ENKUlT_T0_E_clISt17integral_constantIbLb1EES19_IbLb0EEEEDaS15_S16_EUlS15_E_NS1_11comp_targetILNS1_3genE9ELNS1_11target_archE1100ELNS1_3gpuE3ELNS1_3repE0EEENS1_30default_config_static_selectorELNS0_4arch9wavefront6targetE1EEEvT1_
                                        ; -- End function
	.set _ZN7rocprim17ROCPRIM_400000_NS6detail17trampoline_kernelINS0_14default_configENS1_25partition_config_selectorILNS1_17partition_subalgoE8EsNS0_10empty_typeEbEEZZNS1_14partition_implILS5_8ELb0ES3_jN6thrust23THRUST_200600_302600_NS6detail15normal_iteratorINSA_10device_ptrIsEEEEPS6_PKS6_NS0_5tupleIJSF_S6_EEENSJ_IJSG_SG_EEENS0_18inequality_wrapperINSA_8equal_toIsEEEEPmJS6_EEE10hipError_tPvRmT3_T4_T5_T6_T7_T9_mT8_P12ihipStream_tbDpT10_ENKUlT_T0_E_clISt17integral_constantIbLb1EES19_IbLb0EEEEDaS15_S16_EUlS15_E_NS1_11comp_targetILNS1_3genE9ELNS1_11target_archE1100ELNS1_3gpuE3ELNS1_3repE0EEENS1_30default_config_static_selectorELNS0_4arch9wavefront6targetE1EEEvT1_.num_vgpr, 0
	.set _ZN7rocprim17ROCPRIM_400000_NS6detail17trampoline_kernelINS0_14default_configENS1_25partition_config_selectorILNS1_17partition_subalgoE8EsNS0_10empty_typeEbEEZZNS1_14partition_implILS5_8ELb0ES3_jN6thrust23THRUST_200600_302600_NS6detail15normal_iteratorINSA_10device_ptrIsEEEEPS6_PKS6_NS0_5tupleIJSF_S6_EEENSJ_IJSG_SG_EEENS0_18inequality_wrapperINSA_8equal_toIsEEEEPmJS6_EEE10hipError_tPvRmT3_T4_T5_T6_T7_T9_mT8_P12ihipStream_tbDpT10_ENKUlT_T0_E_clISt17integral_constantIbLb1EES19_IbLb0EEEEDaS15_S16_EUlS15_E_NS1_11comp_targetILNS1_3genE9ELNS1_11target_archE1100ELNS1_3gpuE3ELNS1_3repE0EEENS1_30default_config_static_selectorELNS0_4arch9wavefront6targetE1EEEvT1_.num_agpr, 0
	.set _ZN7rocprim17ROCPRIM_400000_NS6detail17trampoline_kernelINS0_14default_configENS1_25partition_config_selectorILNS1_17partition_subalgoE8EsNS0_10empty_typeEbEEZZNS1_14partition_implILS5_8ELb0ES3_jN6thrust23THRUST_200600_302600_NS6detail15normal_iteratorINSA_10device_ptrIsEEEEPS6_PKS6_NS0_5tupleIJSF_S6_EEENSJ_IJSG_SG_EEENS0_18inequality_wrapperINSA_8equal_toIsEEEEPmJS6_EEE10hipError_tPvRmT3_T4_T5_T6_T7_T9_mT8_P12ihipStream_tbDpT10_ENKUlT_T0_E_clISt17integral_constantIbLb1EES19_IbLb0EEEEDaS15_S16_EUlS15_E_NS1_11comp_targetILNS1_3genE9ELNS1_11target_archE1100ELNS1_3gpuE3ELNS1_3repE0EEENS1_30default_config_static_selectorELNS0_4arch9wavefront6targetE1EEEvT1_.numbered_sgpr, 0
	.set _ZN7rocprim17ROCPRIM_400000_NS6detail17trampoline_kernelINS0_14default_configENS1_25partition_config_selectorILNS1_17partition_subalgoE8EsNS0_10empty_typeEbEEZZNS1_14partition_implILS5_8ELb0ES3_jN6thrust23THRUST_200600_302600_NS6detail15normal_iteratorINSA_10device_ptrIsEEEEPS6_PKS6_NS0_5tupleIJSF_S6_EEENSJ_IJSG_SG_EEENS0_18inequality_wrapperINSA_8equal_toIsEEEEPmJS6_EEE10hipError_tPvRmT3_T4_T5_T6_T7_T9_mT8_P12ihipStream_tbDpT10_ENKUlT_T0_E_clISt17integral_constantIbLb1EES19_IbLb0EEEEDaS15_S16_EUlS15_E_NS1_11comp_targetILNS1_3genE9ELNS1_11target_archE1100ELNS1_3gpuE3ELNS1_3repE0EEENS1_30default_config_static_selectorELNS0_4arch9wavefront6targetE1EEEvT1_.num_named_barrier, 0
	.set _ZN7rocprim17ROCPRIM_400000_NS6detail17trampoline_kernelINS0_14default_configENS1_25partition_config_selectorILNS1_17partition_subalgoE8EsNS0_10empty_typeEbEEZZNS1_14partition_implILS5_8ELb0ES3_jN6thrust23THRUST_200600_302600_NS6detail15normal_iteratorINSA_10device_ptrIsEEEEPS6_PKS6_NS0_5tupleIJSF_S6_EEENSJ_IJSG_SG_EEENS0_18inequality_wrapperINSA_8equal_toIsEEEEPmJS6_EEE10hipError_tPvRmT3_T4_T5_T6_T7_T9_mT8_P12ihipStream_tbDpT10_ENKUlT_T0_E_clISt17integral_constantIbLb1EES19_IbLb0EEEEDaS15_S16_EUlS15_E_NS1_11comp_targetILNS1_3genE9ELNS1_11target_archE1100ELNS1_3gpuE3ELNS1_3repE0EEENS1_30default_config_static_selectorELNS0_4arch9wavefront6targetE1EEEvT1_.private_seg_size, 0
	.set _ZN7rocprim17ROCPRIM_400000_NS6detail17trampoline_kernelINS0_14default_configENS1_25partition_config_selectorILNS1_17partition_subalgoE8EsNS0_10empty_typeEbEEZZNS1_14partition_implILS5_8ELb0ES3_jN6thrust23THRUST_200600_302600_NS6detail15normal_iteratorINSA_10device_ptrIsEEEEPS6_PKS6_NS0_5tupleIJSF_S6_EEENSJ_IJSG_SG_EEENS0_18inequality_wrapperINSA_8equal_toIsEEEEPmJS6_EEE10hipError_tPvRmT3_T4_T5_T6_T7_T9_mT8_P12ihipStream_tbDpT10_ENKUlT_T0_E_clISt17integral_constantIbLb1EES19_IbLb0EEEEDaS15_S16_EUlS15_E_NS1_11comp_targetILNS1_3genE9ELNS1_11target_archE1100ELNS1_3gpuE3ELNS1_3repE0EEENS1_30default_config_static_selectorELNS0_4arch9wavefront6targetE1EEEvT1_.uses_vcc, 0
	.set _ZN7rocprim17ROCPRIM_400000_NS6detail17trampoline_kernelINS0_14default_configENS1_25partition_config_selectorILNS1_17partition_subalgoE8EsNS0_10empty_typeEbEEZZNS1_14partition_implILS5_8ELb0ES3_jN6thrust23THRUST_200600_302600_NS6detail15normal_iteratorINSA_10device_ptrIsEEEEPS6_PKS6_NS0_5tupleIJSF_S6_EEENSJ_IJSG_SG_EEENS0_18inequality_wrapperINSA_8equal_toIsEEEEPmJS6_EEE10hipError_tPvRmT3_T4_T5_T6_T7_T9_mT8_P12ihipStream_tbDpT10_ENKUlT_T0_E_clISt17integral_constantIbLb1EES19_IbLb0EEEEDaS15_S16_EUlS15_E_NS1_11comp_targetILNS1_3genE9ELNS1_11target_archE1100ELNS1_3gpuE3ELNS1_3repE0EEENS1_30default_config_static_selectorELNS0_4arch9wavefront6targetE1EEEvT1_.uses_flat_scratch, 0
	.set _ZN7rocprim17ROCPRIM_400000_NS6detail17trampoline_kernelINS0_14default_configENS1_25partition_config_selectorILNS1_17partition_subalgoE8EsNS0_10empty_typeEbEEZZNS1_14partition_implILS5_8ELb0ES3_jN6thrust23THRUST_200600_302600_NS6detail15normal_iteratorINSA_10device_ptrIsEEEEPS6_PKS6_NS0_5tupleIJSF_S6_EEENSJ_IJSG_SG_EEENS0_18inequality_wrapperINSA_8equal_toIsEEEEPmJS6_EEE10hipError_tPvRmT3_T4_T5_T6_T7_T9_mT8_P12ihipStream_tbDpT10_ENKUlT_T0_E_clISt17integral_constantIbLb1EES19_IbLb0EEEEDaS15_S16_EUlS15_E_NS1_11comp_targetILNS1_3genE9ELNS1_11target_archE1100ELNS1_3gpuE3ELNS1_3repE0EEENS1_30default_config_static_selectorELNS0_4arch9wavefront6targetE1EEEvT1_.has_dyn_sized_stack, 0
	.set _ZN7rocprim17ROCPRIM_400000_NS6detail17trampoline_kernelINS0_14default_configENS1_25partition_config_selectorILNS1_17partition_subalgoE8EsNS0_10empty_typeEbEEZZNS1_14partition_implILS5_8ELb0ES3_jN6thrust23THRUST_200600_302600_NS6detail15normal_iteratorINSA_10device_ptrIsEEEEPS6_PKS6_NS0_5tupleIJSF_S6_EEENSJ_IJSG_SG_EEENS0_18inequality_wrapperINSA_8equal_toIsEEEEPmJS6_EEE10hipError_tPvRmT3_T4_T5_T6_T7_T9_mT8_P12ihipStream_tbDpT10_ENKUlT_T0_E_clISt17integral_constantIbLb1EES19_IbLb0EEEEDaS15_S16_EUlS15_E_NS1_11comp_targetILNS1_3genE9ELNS1_11target_archE1100ELNS1_3gpuE3ELNS1_3repE0EEENS1_30default_config_static_selectorELNS0_4arch9wavefront6targetE1EEEvT1_.has_recursion, 0
	.set _ZN7rocprim17ROCPRIM_400000_NS6detail17trampoline_kernelINS0_14default_configENS1_25partition_config_selectorILNS1_17partition_subalgoE8EsNS0_10empty_typeEbEEZZNS1_14partition_implILS5_8ELb0ES3_jN6thrust23THRUST_200600_302600_NS6detail15normal_iteratorINSA_10device_ptrIsEEEEPS6_PKS6_NS0_5tupleIJSF_S6_EEENSJ_IJSG_SG_EEENS0_18inequality_wrapperINSA_8equal_toIsEEEEPmJS6_EEE10hipError_tPvRmT3_T4_T5_T6_T7_T9_mT8_P12ihipStream_tbDpT10_ENKUlT_T0_E_clISt17integral_constantIbLb1EES19_IbLb0EEEEDaS15_S16_EUlS15_E_NS1_11comp_targetILNS1_3genE9ELNS1_11target_archE1100ELNS1_3gpuE3ELNS1_3repE0EEENS1_30default_config_static_selectorELNS0_4arch9wavefront6targetE1EEEvT1_.has_indirect_call, 0
	.section	.AMDGPU.csdata,"",@progbits
; Kernel info:
; codeLenInByte = 0
; TotalNumSgprs: 4
; NumVgprs: 0
; ScratchSize: 0
; MemoryBound: 0
; FloatMode: 240
; IeeeMode: 1
; LDSByteSize: 0 bytes/workgroup (compile time only)
; SGPRBlocks: 0
; VGPRBlocks: 0
; NumSGPRsForWavesPerEU: 4
; NumVGPRsForWavesPerEU: 1
; Occupancy: 10
; WaveLimiterHint : 0
; COMPUTE_PGM_RSRC2:SCRATCH_EN: 0
; COMPUTE_PGM_RSRC2:USER_SGPR: 6
; COMPUTE_PGM_RSRC2:TRAP_HANDLER: 0
; COMPUTE_PGM_RSRC2:TGID_X_EN: 1
; COMPUTE_PGM_RSRC2:TGID_Y_EN: 0
; COMPUTE_PGM_RSRC2:TGID_Z_EN: 0
; COMPUTE_PGM_RSRC2:TIDIG_COMP_CNT: 0
	.section	.text._ZN7rocprim17ROCPRIM_400000_NS6detail17trampoline_kernelINS0_14default_configENS1_25partition_config_selectorILNS1_17partition_subalgoE8EsNS0_10empty_typeEbEEZZNS1_14partition_implILS5_8ELb0ES3_jN6thrust23THRUST_200600_302600_NS6detail15normal_iteratorINSA_10device_ptrIsEEEEPS6_PKS6_NS0_5tupleIJSF_S6_EEENSJ_IJSG_SG_EEENS0_18inequality_wrapperINSA_8equal_toIsEEEEPmJS6_EEE10hipError_tPvRmT3_T4_T5_T6_T7_T9_mT8_P12ihipStream_tbDpT10_ENKUlT_T0_E_clISt17integral_constantIbLb1EES19_IbLb0EEEEDaS15_S16_EUlS15_E_NS1_11comp_targetILNS1_3genE8ELNS1_11target_archE1030ELNS1_3gpuE2ELNS1_3repE0EEENS1_30default_config_static_selectorELNS0_4arch9wavefront6targetE1EEEvT1_,"axG",@progbits,_ZN7rocprim17ROCPRIM_400000_NS6detail17trampoline_kernelINS0_14default_configENS1_25partition_config_selectorILNS1_17partition_subalgoE8EsNS0_10empty_typeEbEEZZNS1_14partition_implILS5_8ELb0ES3_jN6thrust23THRUST_200600_302600_NS6detail15normal_iteratorINSA_10device_ptrIsEEEEPS6_PKS6_NS0_5tupleIJSF_S6_EEENSJ_IJSG_SG_EEENS0_18inequality_wrapperINSA_8equal_toIsEEEEPmJS6_EEE10hipError_tPvRmT3_T4_T5_T6_T7_T9_mT8_P12ihipStream_tbDpT10_ENKUlT_T0_E_clISt17integral_constantIbLb1EES19_IbLb0EEEEDaS15_S16_EUlS15_E_NS1_11comp_targetILNS1_3genE8ELNS1_11target_archE1030ELNS1_3gpuE2ELNS1_3repE0EEENS1_30default_config_static_selectorELNS0_4arch9wavefront6targetE1EEEvT1_,comdat
	.protected	_ZN7rocprim17ROCPRIM_400000_NS6detail17trampoline_kernelINS0_14default_configENS1_25partition_config_selectorILNS1_17partition_subalgoE8EsNS0_10empty_typeEbEEZZNS1_14partition_implILS5_8ELb0ES3_jN6thrust23THRUST_200600_302600_NS6detail15normal_iteratorINSA_10device_ptrIsEEEEPS6_PKS6_NS0_5tupleIJSF_S6_EEENSJ_IJSG_SG_EEENS0_18inequality_wrapperINSA_8equal_toIsEEEEPmJS6_EEE10hipError_tPvRmT3_T4_T5_T6_T7_T9_mT8_P12ihipStream_tbDpT10_ENKUlT_T0_E_clISt17integral_constantIbLb1EES19_IbLb0EEEEDaS15_S16_EUlS15_E_NS1_11comp_targetILNS1_3genE8ELNS1_11target_archE1030ELNS1_3gpuE2ELNS1_3repE0EEENS1_30default_config_static_selectorELNS0_4arch9wavefront6targetE1EEEvT1_ ; -- Begin function _ZN7rocprim17ROCPRIM_400000_NS6detail17trampoline_kernelINS0_14default_configENS1_25partition_config_selectorILNS1_17partition_subalgoE8EsNS0_10empty_typeEbEEZZNS1_14partition_implILS5_8ELb0ES3_jN6thrust23THRUST_200600_302600_NS6detail15normal_iteratorINSA_10device_ptrIsEEEEPS6_PKS6_NS0_5tupleIJSF_S6_EEENSJ_IJSG_SG_EEENS0_18inequality_wrapperINSA_8equal_toIsEEEEPmJS6_EEE10hipError_tPvRmT3_T4_T5_T6_T7_T9_mT8_P12ihipStream_tbDpT10_ENKUlT_T0_E_clISt17integral_constantIbLb1EES19_IbLb0EEEEDaS15_S16_EUlS15_E_NS1_11comp_targetILNS1_3genE8ELNS1_11target_archE1030ELNS1_3gpuE2ELNS1_3repE0EEENS1_30default_config_static_selectorELNS0_4arch9wavefront6targetE1EEEvT1_
	.globl	_ZN7rocprim17ROCPRIM_400000_NS6detail17trampoline_kernelINS0_14default_configENS1_25partition_config_selectorILNS1_17partition_subalgoE8EsNS0_10empty_typeEbEEZZNS1_14partition_implILS5_8ELb0ES3_jN6thrust23THRUST_200600_302600_NS6detail15normal_iteratorINSA_10device_ptrIsEEEEPS6_PKS6_NS0_5tupleIJSF_S6_EEENSJ_IJSG_SG_EEENS0_18inequality_wrapperINSA_8equal_toIsEEEEPmJS6_EEE10hipError_tPvRmT3_T4_T5_T6_T7_T9_mT8_P12ihipStream_tbDpT10_ENKUlT_T0_E_clISt17integral_constantIbLb1EES19_IbLb0EEEEDaS15_S16_EUlS15_E_NS1_11comp_targetILNS1_3genE8ELNS1_11target_archE1030ELNS1_3gpuE2ELNS1_3repE0EEENS1_30default_config_static_selectorELNS0_4arch9wavefront6targetE1EEEvT1_
	.p2align	8
	.type	_ZN7rocprim17ROCPRIM_400000_NS6detail17trampoline_kernelINS0_14default_configENS1_25partition_config_selectorILNS1_17partition_subalgoE8EsNS0_10empty_typeEbEEZZNS1_14partition_implILS5_8ELb0ES3_jN6thrust23THRUST_200600_302600_NS6detail15normal_iteratorINSA_10device_ptrIsEEEEPS6_PKS6_NS0_5tupleIJSF_S6_EEENSJ_IJSG_SG_EEENS0_18inequality_wrapperINSA_8equal_toIsEEEEPmJS6_EEE10hipError_tPvRmT3_T4_T5_T6_T7_T9_mT8_P12ihipStream_tbDpT10_ENKUlT_T0_E_clISt17integral_constantIbLb1EES19_IbLb0EEEEDaS15_S16_EUlS15_E_NS1_11comp_targetILNS1_3genE8ELNS1_11target_archE1030ELNS1_3gpuE2ELNS1_3repE0EEENS1_30default_config_static_selectorELNS0_4arch9wavefront6targetE1EEEvT1_,@function
_ZN7rocprim17ROCPRIM_400000_NS6detail17trampoline_kernelINS0_14default_configENS1_25partition_config_selectorILNS1_17partition_subalgoE8EsNS0_10empty_typeEbEEZZNS1_14partition_implILS5_8ELb0ES3_jN6thrust23THRUST_200600_302600_NS6detail15normal_iteratorINSA_10device_ptrIsEEEEPS6_PKS6_NS0_5tupleIJSF_S6_EEENSJ_IJSG_SG_EEENS0_18inequality_wrapperINSA_8equal_toIsEEEEPmJS6_EEE10hipError_tPvRmT3_T4_T5_T6_T7_T9_mT8_P12ihipStream_tbDpT10_ENKUlT_T0_E_clISt17integral_constantIbLb1EES19_IbLb0EEEEDaS15_S16_EUlS15_E_NS1_11comp_targetILNS1_3genE8ELNS1_11target_archE1030ELNS1_3gpuE2ELNS1_3repE0EEENS1_30default_config_static_selectorELNS0_4arch9wavefront6targetE1EEEvT1_: ; @_ZN7rocprim17ROCPRIM_400000_NS6detail17trampoline_kernelINS0_14default_configENS1_25partition_config_selectorILNS1_17partition_subalgoE8EsNS0_10empty_typeEbEEZZNS1_14partition_implILS5_8ELb0ES3_jN6thrust23THRUST_200600_302600_NS6detail15normal_iteratorINSA_10device_ptrIsEEEEPS6_PKS6_NS0_5tupleIJSF_S6_EEENSJ_IJSG_SG_EEENS0_18inequality_wrapperINSA_8equal_toIsEEEEPmJS6_EEE10hipError_tPvRmT3_T4_T5_T6_T7_T9_mT8_P12ihipStream_tbDpT10_ENKUlT_T0_E_clISt17integral_constantIbLb1EES19_IbLb0EEEEDaS15_S16_EUlS15_E_NS1_11comp_targetILNS1_3genE8ELNS1_11target_archE1030ELNS1_3gpuE2ELNS1_3repE0EEENS1_30default_config_static_selectorELNS0_4arch9wavefront6targetE1EEEvT1_
; %bb.0:
	.section	.rodata,"a",@progbits
	.p2align	6, 0x0
	.amdhsa_kernel _ZN7rocprim17ROCPRIM_400000_NS6detail17trampoline_kernelINS0_14default_configENS1_25partition_config_selectorILNS1_17partition_subalgoE8EsNS0_10empty_typeEbEEZZNS1_14partition_implILS5_8ELb0ES3_jN6thrust23THRUST_200600_302600_NS6detail15normal_iteratorINSA_10device_ptrIsEEEEPS6_PKS6_NS0_5tupleIJSF_S6_EEENSJ_IJSG_SG_EEENS0_18inequality_wrapperINSA_8equal_toIsEEEEPmJS6_EEE10hipError_tPvRmT3_T4_T5_T6_T7_T9_mT8_P12ihipStream_tbDpT10_ENKUlT_T0_E_clISt17integral_constantIbLb1EES19_IbLb0EEEEDaS15_S16_EUlS15_E_NS1_11comp_targetILNS1_3genE8ELNS1_11target_archE1030ELNS1_3gpuE2ELNS1_3repE0EEENS1_30default_config_static_selectorELNS0_4arch9wavefront6targetE1EEEvT1_
		.amdhsa_group_segment_fixed_size 0
		.amdhsa_private_segment_fixed_size 0
		.amdhsa_kernarg_size 112
		.amdhsa_user_sgpr_count 6
		.amdhsa_user_sgpr_private_segment_buffer 1
		.amdhsa_user_sgpr_dispatch_ptr 0
		.amdhsa_user_sgpr_queue_ptr 0
		.amdhsa_user_sgpr_kernarg_segment_ptr 1
		.amdhsa_user_sgpr_dispatch_id 0
		.amdhsa_user_sgpr_flat_scratch_init 0
		.amdhsa_user_sgpr_private_segment_size 0
		.amdhsa_uses_dynamic_stack 0
		.amdhsa_system_sgpr_private_segment_wavefront_offset 0
		.amdhsa_system_sgpr_workgroup_id_x 1
		.amdhsa_system_sgpr_workgroup_id_y 0
		.amdhsa_system_sgpr_workgroup_id_z 0
		.amdhsa_system_sgpr_workgroup_info 0
		.amdhsa_system_vgpr_workitem_id 0
		.amdhsa_next_free_vgpr 1
		.amdhsa_next_free_sgpr 0
		.amdhsa_reserve_vcc 0
		.amdhsa_reserve_flat_scratch 0
		.amdhsa_float_round_mode_32 0
		.amdhsa_float_round_mode_16_64 0
		.amdhsa_float_denorm_mode_32 3
		.amdhsa_float_denorm_mode_16_64 3
		.amdhsa_dx10_clamp 1
		.amdhsa_ieee_mode 1
		.amdhsa_fp16_overflow 0
		.amdhsa_exception_fp_ieee_invalid_op 0
		.amdhsa_exception_fp_denorm_src 0
		.amdhsa_exception_fp_ieee_div_zero 0
		.amdhsa_exception_fp_ieee_overflow 0
		.amdhsa_exception_fp_ieee_underflow 0
		.amdhsa_exception_fp_ieee_inexact 0
		.amdhsa_exception_int_div_zero 0
	.end_amdhsa_kernel
	.section	.text._ZN7rocprim17ROCPRIM_400000_NS6detail17trampoline_kernelINS0_14default_configENS1_25partition_config_selectorILNS1_17partition_subalgoE8EsNS0_10empty_typeEbEEZZNS1_14partition_implILS5_8ELb0ES3_jN6thrust23THRUST_200600_302600_NS6detail15normal_iteratorINSA_10device_ptrIsEEEEPS6_PKS6_NS0_5tupleIJSF_S6_EEENSJ_IJSG_SG_EEENS0_18inequality_wrapperINSA_8equal_toIsEEEEPmJS6_EEE10hipError_tPvRmT3_T4_T5_T6_T7_T9_mT8_P12ihipStream_tbDpT10_ENKUlT_T0_E_clISt17integral_constantIbLb1EES19_IbLb0EEEEDaS15_S16_EUlS15_E_NS1_11comp_targetILNS1_3genE8ELNS1_11target_archE1030ELNS1_3gpuE2ELNS1_3repE0EEENS1_30default_config_static_selectorELNS0_4arch9wavefront6targetE1EEEvT1_,"axG",@progbits,_ZN7rocprim17ROCPRIM_400000_NS6detail17trampoline_kernelINS0_14default_configENS1_25partition_config_selectorILNS1_17partition_subalgoE8EsNS0_10empty_typeEbEEZZNS1_14partition_implILS5_8ELb0ES3_jN6thrust23THRUST_200600_302600_NS6detail15normal_iteratorINSA_10device_ptrIsEEEEPS6_PKS6_NS0_5tupleIJSF_S6_EEENSJ_IJSG_SG_EEENS0_18inequality_wrapperINSA_8equal_toIsEEEEPmJS6_EEE10hipError_tPvRmT3_T4_T5_T6_T7_T9_mT8_P12ihipStream_tbDpT10_ENKUlT_T0_E_clISt17integral_constantIbLb1EES19_IbLb0EEEEDaS15_S16_EUlS15_E_NS1_11comp_targetILNS1_3genE8ELNS1_11target_archE1030ELNS1_3gpuE2ELNS1_3repE0EEENS1_30default_config_static_selectorELNS0_4arch9wavefront6targetE1EEEvT1_,comdat
.Lfunc_end492:
	.size	_ZN7rocprim17ROCPRIM_400000_NS6detail17trampoline_kernelINS0_14default_configENS1_25partition_config_selectorILNS1_17partition_subalgoE8EsNS0_10empty_typeEbEEZZNS1_14partition_implILS5_8ELb0ES3_jN6thrust23THRUST_200600_302600_NS6detail15normal_iteratorINSA_10device_ptrIsEEEEPS6_PKS6_NS0_5tupleIJSF_S6_EEENSJ_IJSG_SG_EEENS0_18inequality_wrapperINSA_8equal_toIsEEEEPmJS6_EEE10hipError_tPvRmT3_T4_T5_T6_T7_T9_mT8_P12ihipStream_tbDpT10_ENKUlT_T0_E_clISt17integral_constantIbLb1EES19_IbLb0EEEEDaS15_S16_EUlS15_E_NS1_11comp_targetILNS1_3genE8ELNS1_11target_archE1030ELNS1_3gpuE2ELNS1_3repE0EEENS1_30default_config_static_selectorELNS0_4arch9wavefront6targetE1EEEvT1_, .Lfunc_end492-_ZN7rocprim17ROCPRIM_400000_NS6detail17trampoline_kernelINS0_14default_configENS1_25partition_config_selectorILNS1_17partition_subalgoE8EsNS0_10empty_typeEbEEZZNS1_14partition_implILS5_8ELb0ES3_jN6thrust23THRUST_200600_302600_NS6detail15normal_iteratorINSA_10device_ptrIsEEEEPS6_PKS6_NS0_5tupleIJSF_S6_EEENSJ_IJSG_SG_EEENS0_18inequality_wrapperINSA_8equal_toIsEEEEPmJS6_EEE10hipError_tPvRmT3_T4_T5_T6_T7_T9_mT8_P12ihipStream_tbDpT10_ENKUlT_T0_E_clISt17integral_constantIbLb1EES19_IbLb0EEEEDaS15_S16_EUlS15_E_NS1_11comp_targetILNS1_3genE8ELNS1_11target_archE1030ELNS1_3gpuE2ELNS1_3repE0EEENS1_30default_config_static_selectorELNS0_4arch9wavefront6targetE1EEEvT1_
                                        ; -- End function
	.set _ZN7rocprim17ROCPRIM_400000_NS6detail17trampoline_kernelINS0_14default_configENS1_25partition_config_selectorILNS1_17partition_subalgoE8EsNS0_10empty_typeEbEEZZNS1_14partition_implILS5_8ELb0ES3_jN6thrust23THRUST_200600_302600_NS6detail15normal_iteratorINSA_10device_ptrIsEEEEPS6_PKS6_NS0_5tupleIJSF_S6_EEENSJ_IJSG_SG_EEENS0_18inequality_wrapperINSA_8equal_toIsEEEEPmJS6_EEE10hipError_tPvRmT3_T4_T5_T6_T7_T9_mT8_P12ihipStream_tbDpT10_ENKUlT_T0_E_clISt17integral_constantIbLb1EES19_IbLb0EEEEDaS15_S16_EUlS15_E_NS1_11comp_targetILNS1_3genE8ELNS1_11target_archE1030ELNS1_3gpuE2ELNS1_3repE0EEENS1_30default_config_static_selectorELNS0_4arch9wavefront6targetE1EEEvT1_.num_vgpr, 0
	.set _ZN7rocprim17ROCPRIM_400000_NS6detail17trampoline_kernelINS0_14default_configENS1_25partition_config_selectorILNS1_17partition_subalgoE8EsNS0_10empty_typeEbEEZZNS1_14partition_implILS5_8ELb0ES3_jN6thrust23THRUST_200600_302600_NS6detail15normal_iteratorINSA_10device_ptrIsEEEEPS6_PKS6_NS0_5tupleIJSF_S6_EEENSJ_IJSG_SG_EEENS0_18inequality_wrapperINSA_8equal_toIsEEEEPmJS6_EEE10hipError_tPvRmT3_T4_T5_T6_T7_T9_mT8_P12ihipStream_tbDpT10_ENKUlT_T0_E_clISt17integral_constantIbLb1EES19_IbLb0EEEEDaS15_S16_EUlS15_E_NS1_11comp_targetILNS1_3genE8ELNS1_11target_archE1030ELNS1_3gpuE2ELNS1_3repE0EEENS1_30default_config_static_selectorELNS0_4arch9wavefront6targetE1EEEvT1_.num_agpr, 0
	.set _ZN7rocprim17ROCPRIM_400000_NS6detail17trampoline_kernelINS0_14default_configENS1_25partition_config_selectorILNS1_17partition_subalgoE8EsNS0_10empty_typeEbEEZZNS1_14partition_implILS5_8ELb0ES3_jN6thrust23THRUST_200600_302600_NS6detail15normal_iteratorINSA_10device_ptrIsEEEEPS6_PKS6_NS0_5tupleIJSF_S6_EEENSJ_IJSG_SG_EEENS0_18inequality_wrapperINSA_8equal_toIsEEEEPmJS6_EEE10hipError_tPvRmT3_T4_T5_T6_T7_T9_mT8_P12ihipStream_tbDpT10_ENKUlT_T0_E_clISt17integral_constantIbLb1EES19_IbLb0EEEEDaS15_S16_EUlS15_E_NS1_11comp_targetILNS1_3genE8ELNS1_11target_archE1030ELNS1_3gpuE2ELNS1_3repE0EEENS1_30default_config_static_selectorELNS0_4arch9wavefront6targetE1EEEvT1_.numbered_sgpr, 0
	.set _ZN7rocprim17ROCPRIM_400000_NS6detail17trampoline_kernelINS0_14default_configENS1_25partition_config_selectorILNS1_17partition_subalgoE8EsNS0_10empty_typeEbEEZZNS1_14partition_implILS5_8ELb0ES3_jN6thrust23THRUST_200600_302600_NS6detail15normal_iteratorINSA_10device_ptrIsEEEEPS6_PKS6_NS0_5tupleIJSF_S6_EEENSJ_IJSG_SG_EEENS0_18inequality_wrapperINSA_8equal_toIsEEEEPmJS6_EEE10hipError_tPvRmT3_T4_T5_T6_T7_T9_mT8_P12ihipStream_tbDpT10_ENKUlT_T0_E_clISt17integral_constantIbLb1EES19_IbLb0EEEEDaS15_S16_EUlS15_E_NS1_11comp_targetILNS1_3genE8ELNS1_11target_archE1030ELNS1_3gpuE2ELNS1_3repE0EEENS1_30default_config_static_selectorELNS0_4arch9wavefront6targetE1EEEvT1_.num_named_barrier, 0
	.set _ZN7rocprim17ROCPRIM_400000_NS6detail17trampoline_kernelINS0_14default_configENS1_25partition_config_selectorILNS1_17partition_subalgoE8EsNS0_10empty_typeEbEEZZNS1_14partition_implILS5_8ELb0ES3_jN6thrust23THRUST_200600_302600_NS6detail15normal_iteratorINSA_10device_ptrIsEEEEPS6_PKS6_NS0_5tupleIJSF_S6_EEENSJ_IJSG_SG_EEENS0_18inequality_wrapperINSA_8equal_toIsEEEEPmJS6_EEE10hipError_tPvRmT3_T4_T5_T6_T7_T9_mT8_P12ihipStream_tbDpT10_ENKUlT_T0_E_clISt17integral_constantIbLb1EES19_IbLb0EEEEDaS15_S16_EUlS15_E_NS1_11comp_targetILNS1_3genE8ELNS1_11target_archE1030ELNS1_3gpuE2ELNS1_3repE0EEENS1_30default_config_static_selectorELNS0_4arch9wavefront6targetE1EEEvT1_.private_seg_size, 0
	.set _ZN7rocprim17ROCPRIM_400000_NS6detail17trampoline_kernelINS0_14default_configENS1_25partition_config_selectorILNS1_17partition_subalgoE8EsNS0_10empty_typeEbEEZZNS1_14partition_implILS5_8ELb0ES3_jN6thrust23THRUST_200600_302600_NS6detail15normal_iteratorINSA_10device_ptrIsEEEEPS6_PKS6_NS0_5tupleIJSF_S6_EEENSJ_IJSG_SG_EEENS0_18inequality_wrapperINSA_8equal_toIsEEEEPmJS6_EEE10hipError_tPvRmT3_T4_T5_T6_T7_T9_mT8_P12ihipStream_tbDpT10_ENKUlT_T0_E_clISt17integral_constantIbLb1EES19_IbLb0EEEEDaS15_S16_EUlS15_E_NS1_11comp_targetILNS1_3genE8ELNS1_11target_archE1030ELNS1_3gpuE2ELNS1_3repE0EEENS1_30default_config_static_selectorELNS0_4arch9wavefront6targetE1EEEvT1_.uses_vcc, 0
	.set _ZN7rocprim17ROCPRIM_400000_NS6detail17trampoline_kernelINS0_14default_configENS1_25partition_config_selectorILNS1_17partition_subalgoE8EsNS0_10empty_typeEbEEZZNS1_14partition_implILS5_8ELb0ES3_jN6thrust23THRUST_200600_302600_NS6detail15normal_iteratorINSA_10device_ptrIsEEEEPS6_PKS6_NS0_5tupleIJSF_S6_EEENSJ_IJSG_SG_EEENS0_18inequality_wrapperINSA_8equal_toIsEEEEPmJS6_EEE10hipError_tPvRmT3_T4_T5_T6_T7_T9_mT8_P12ihipStream_tbDpT10_ENKUlT_T0_E_clISt17integral_constantIbLb1EES19_IbLb0EEEEDaS15_S16_EUlS15_E_NS1_11comp_targetILNS1_3genE8ELNS1_11target_archE1030ELNS1_3gpuE2ELNS1_3repE0EEENS1_30default_config_static_selectorELNS0_4arch9wavefront6targetE1EEEvT1_.uses_flat_scratch, 0
	.set _ZN7rocprim17ROCPRIM_400000_NS6detail17trampoline_kernelINS0_14default_configENS1_25partition_config_selectorILNS1_17partition_subalgoE8EsNS0_10empty_typeEbEEZZNS1_14partition_implILS5_8ELb0ES3_jN6thrust23THRUST_200600_302600_NS6detail15normal_iteratorINSA_10device_ptrIsEEEEPS6_PKS6_NS0_5tupleIJSF_S6_EEENSJ_IJSG_SG_EEENS0_18inequality_wrapperINSA_8equal_toIsEEEEPmJS6_EEE10hipError_tPvRmT3_T4_T5_T6_T7_T9_mT8_P12ihipStream_tbDpT10_ENKUlT_T0_E_clISt17integral_constantIbLb1EES19_IbLb0EEEEDaS15_S16_EUlS15_E_NS1_11comp_targetILNS1_3genE8ELNS1_11target_archE1030ELNS1_3gpuE2ELNS1_3repE0EEENS1_30default_config_static_selectorELNS0_4arch9wavefront6targetE1EEEvT1_.has_dyn_sized_stack, 0
	.set _ZN7rocprim17ROCPRIM_400000_NS6detail17trampoline_kernelINS0_14default_configENS1_25partition_config_selectorILNS1_17partition_subalgoE8EsNS0_10empty_typeEbEEZZNS1_14partition_implILS5_8ELb0ES3_jN6thrust23THRUST_200600_302600_NS6detail15normal_iteratorINSA_10device_ptrIsEEEEPS6_PKS6_NS0_5tupleIJSF_S6_EEENSJ_IJSG_SG_EEENS0_18inequality_wrapperINSA_8equal_toIsEEEEPmJS6_EEE10hipError_tPvRmT3_T4_T5_T6_T7_T9_mT8_P12ihipStream_tbDpT10_ENKUlT_T0_E_clISt17integral_constantIbLb1EES19_IbLb0EEEEDaS15_S16_EUlS15_E_NS1_11comp_targetILNS1_3genE8ELNS1_11target_archE1030ELNS1_3gpuE2ELNS1_3repE0EEENS1_30default_config_static_selectorELNS0_4arch9wavefront6targetE1EEEvT1_.has_recursion, 0
	.set _ZN7rocprim17ROCPRIM_400000_NS6detail17trampoline_kernelINS0_14default_configENS1_25partition_config_selectorILNS1_17partition_subalgoE8EsNS0_10empty_typeEbEEZZNS1_14partition_implILS5_8ELb0ES3_jN6thrust23THRUST_200600_302600_NS6detail15normal_iteratorINSA_10device_ptrIsEEEEPS6_PKS6_NS0_5tupleIJSF_S6_EEENSJ_IJSG_SG_EEENS0_18inequality_wrapperINSA_8equal_toIsEEEEPmJS6_EEE10hipError_tPvRmT3_T4_T5_T6_T7_T9_mT8_P12ihipStream_tbDpT10_ENKUlT_T0_E_clISt17integral_constantIbLb1EES19_IbLb0EEEEDaS15_S16_EUlS15_E_NS1_11comp_targetILNS1_3genE8ELNS1_11target_archE1030ELNS1_3gpuE2ELNS1_3repE0EEENS1_30default_config_static_selectorELNS0_4arch9wavefront6targetE1EEEvT1_.has_indirect_call, 0
	.section	.AMDGPU.csdata,"",@progbits
; Kernel info:
; codeLenInByte = 0
; TotalNumSgprs: 4
; NumVgprs: 0
; ScratchSize: 0
; MemoryBound: 0
; FloatMode: 240
; IeeeMode: 1
; LDSByteSize: 0 bytes/workgroup (compile time only)
; SGPRBlocks: 0
; VGPRBlocks: 0
; NumSGPRsForWavesPerEU: 4
; NumVGPRsForWavesPerEU: 1
; Occupancy: 10
; WaveLimiterHint : 0
; COMPUTE_PGM_RSRC2:SCRATCH_EN: 0
; COMPUTE_PGM_RSRC2:USER_SGPR: 6
; COMPUTE_PGM_RSRC2:TRAP_HANDLER: 0
; COMPUTE_PGM_RSRC2:TGID_X_EN: 1
; COMPUTE_PGM_RSRC2:TGID_Y_EN: 0
; COMPUTE_PGM_RSRC2:TGID_Z_EN: 0
; COMPUTE_PGM_RSRC2:TIDIG_COMP_CNT: 0
	.section	.text._ZN7rocprim17ROCPRIM_400000_NS6detail17trampoline_kernelINS0_14default_configENS1_25partition_config_selectorILNS1_17partition_subalgoE8EsNS0_10empty_typeEbEEZZNS1_14partition_implILS5_8ELb0ES3_jN6thrust23THRUST_200600_302600_NS6detail15normal_iteratorINSA_10device_ptrIsEEEEPS6_PKS6_NS0_5tupleIJSF_S6_EEENSJ_IJSG_SG_EEENS0_18inequality_wrapperINSA_8equal_toIsEEEEPmJS6_EEE10hipError_tPvRmT3_T4_T5_T6_T7_T9_mT8_P12ihipStream_tbDpT10_ENKUlT_T0_E_clISt17integral_constantIbLb0EES19_IbLb1EEEEDaS15_S16_EUlS15_E_NS1_11comp_targetILNS1_3genE0ELNS1_11target_archE4294967295ELNS1_3gpuE0ELNS1_3repE0EEENS1_30default_config_static_selectorELNS0_4arch9wavefront6targetE1EEEvT1_,"axG",@progbits,_ZN7rocprim17ROCPRIM_400000_NS6detail17trampoline_kernelINS0_14default_configENS1_25partition_config_selectorILNS1_17partition_subalgoE8EsNS0_10empty_typeEbEEZZNS1_14partition_implILS5_8ELb0ES3_jN6thrust23THRUST_200600_302600_NS6detail15normal_iteratorINSA_10device_ptrIsEEEEPS6_PKS6_NS0_5tupleIJSF_S6_EEENSJ_IJSG_SG_EEENS0_18inequality_wrapperINSA_8equal_toIsEEEEPmJS6_EEE10hipError_tPvRmT3_T4_T5_T6_T7_T9_mT8_P12ihipStream_tbDpT10_ENKUlT_T0_E_clISt17integral_constantIbLb0EES19_IbLb1EEEEDaS15_S16_EUlS15_E_NS1_11comp_targetILNS1_3genE0ELNS1_11target_archE4294967295ELNS1_3gpuE0ELNS1_3repE0EEENS1_30default_config_static_selectorELNS0_4arch9wavefront6targetE1EEEvT1_,comdat
	.protected	_ZN7rocprim17ROCPRIM_400000_NS6detail17trampoline_kernelINS0_14default_configENS1_25partition_config_selectorILNS1_17partition_subalgoE8EsNS0_10empty_typeEbEEZZNS1_14partition_implILS5_8ELb0ES3_jN6thrust23THRUST_200600_302600_NS6detail15normal_iteratorINSA_10device_ptrIsEEEEPS6_PKS6_NS0_5tupleIJSF_S6_EEENSJ_IJSG_SG_EEENS0_18inequality_wrapperINSA_8equal_toIsEEEEPmJS6_EEE10hipError_tPvRmT3_T4_T5_T6_T7_T9_mT8_P12ihipStream_tbDpT10_ENKUlT_T0_E_clISt17integral_constantIbLb0EES19_IbLb1EEEEDaS15_S16_EUlS15_E_NS1_11comp_targetILNS1_3genE0ELNS1_11target_archE4294967295ELNS1_3gpuE0ELNS1_3repE0EEENS1_30default_config_static_selectorELNS0_4arch9wavefront6targetE1EEEvT1_ ; -- Begin function _ZN7rocprim17ROCPRIM_400000_NS6detail17trampoline_kernelINS0_14default_configENS1_25partition_config_selectorILNS1_17partition_subalgoE8EsNS0_10empty_typeEbEEZZNS1_14partition_implILS5_8ELb0ES3_jN6thrust23THRUST_200600_302600_NS6detail15normal_iteratorINSA_10device_ptrIsEEEEPS6_PKS6_NS0_5tupleIJSF_S6_EEENSJ_IJSG_SG_EEENS0_18inequality_wrapperINSA_8equal_toIsEEEEPmJS6_EEE10hipError_tPvRmT3_T4_T5_T6_T7_T9_mT8_P12ihipStream_tbDpT10_ENKUlT_T0_E_clISt17integral_constantIbLb0EES19_IbLb1EEEEDaS15_S16_EUlS15_E_NS1_11comp_targetILNS1_3genE0ELNS1_11target_archE4294967295ELNS1_3gpuE0ELNS1_3repE0EEENS1_30default_config_static_selectorELNS0_4arch9wavefront6targetE1EEEvT1_
	.globl	_ZN7rocprim17ROCPRIM_400000_NS6detail17trampoline_kernelINS0_14default_configENS1_25partition_config_selectorILNS1_17partition_subalgoE8EsNS0_10empty_typeEbEEZZNS1_14partition_implILS5_8ELb0ES3_jN6thrust23THRUST_200600_302600_NS6detail15normal_iteratorINSA_10device_ptrIsEEEEPS6_PKS6_NS0_5tupleIJSF_S6_EEENSJ_IJSG_SG_EEENS0_18inequality_wrapperINSA_8equal_toIsEEEEPmJS6_EEE10hipError_tPvRmT3_T4_T5_T6_T7_T9_mT8_P12ihipStream_tbDpT10_ENKUlT_T0_E_clISt17integral_constantIbLb0EES19_IbLb1EEEEDaS15_S16_EUlS15_E_NS1_11comp_targetILNS1_3genE0ELNS1_11target_archE4294967295ELNS1_3gpuE0ELNS1_3repE0EEENS1_30default_config_static_selectorELNS0_4arch9wavefront6targetE1EEEvT1_
	.p2align	8
	.type	_ZN7rocprim17ROCPRIM_400000_NS6detail17trampoline_kernelINS0_14default_configENS1_25partition_config_selectorILNS1_17partition_subalgoE8EsNS0_10empty_typeEbEEZZNS1_14partition_implILS5_8ELb0ES3_jN6thrust23THRUST_200600_302600_NS6detail15normal_iteratorINSA_10device_ptrIsEEEEPS6_PKS6_NS0_5tupleIJSF_S6_EEENSJ_IJSG_SG_EEENS0_18inequality_wrapperINSA_8equal_toIsEEEEPmJS6_EEE10hipError_tPvRmT3_T4_T5_T6_T7_T9_mT8_P12ihipStream_tbDpT10_ENKUlT_T0_E_clISt17integral_constantIbLb0EES19_IbLb1EEEEDaS15_S16_EUlS15_E_NS1_11comp_targetILNS1_3genE0ELNS1_11target_archE4294967295ELNS1_3gpuE0ELNS1_3repE0EEENS1_30default_config_static_selectorELNS0_4arch9wavefront6targetE1EEEvT1_,@function
_ZN7rocprim17ROCPRIM_400000_NS6detail17trampoline_kernelINS0_14default_configENS1_25partition_config_selectorILNS1_17partition_subalgoE8EsNS0_10empty_typeEbEEZZNS1_14partition_implILS5_8ELb0ES3_jN6thrust23THRUST_200600_302600_NS6detail15normal_iteratorINSA_10device_ptrIsEEEEPS6_PKS6_NS0_5tupleIJSF_S6_EEENSJ_IJSG_SG_EEENS0_18inequality_wrapperINSA_8equal_toIsEEEEPmJS6_EEE10hipError_tPvRmT3_T4_T5_T6_T7_T9_mT8_P12ihipStream_tbDpT10_ENKUlT_T0_E_clISt17integral_constantIbLb0EES19_IbLb1EEEEDaS15_S16_EUlS15_E_NS1_11comp_targetILNS1_3genE0ELNS1_11target_archE4294967295ELNS1_3gpuE0ELNS1_3repE0EEENS1_30default_config_static_selectorELNS0_4arch9wavefront6targetE1EEEvT1_: ; @_ZN7rocprim17ROCPRIM_400000_NS6detail17trampoline_kernelINS0_14default_configENS1_25partition_config_selectorILNS1_17partition_subalgoE8EsNS0_10empty_typeEbEEZZNS1_14partition_implILS5_8ELb0ES3_jN6thrust23THRUST_200600_302600_NS6detail15normal_iteratorINSA_10device_ptrIsEEEEPS6_PKS6_NS0_5tupleIJSF_S6_EEENSJ_IJSG_SG_EEENS0_18inequality_wrapperINSA_8equal_toIsEEEEPmJS6_EEE10hipError_tPvRmT3_T4_T5_T6_T7_T9_mT8_P12ihipStream_tbDpT10_ENKUlT_T0_E_clISt17integral_constantIbLb0EES19_IbLb1EEEEDaS15_S16_EUlS15_E_NS1_11comp_targetILNS1_3genE0ELNS1_11target_archE4294967295ELNS1_3gpuE0ELNS1_3repE0EEENS1_30default_config_static_selectorELNS0_4arch9wavefront6targetE1EEEvT1_
; %bb.0:
	.section	.rodata,"a",@progbits
	.p2align	6, 0x0
	.amdhsa_kernel _ZN7rocprim17ROCPRIM_400000_NS6detail17trampoline_kernelINS0_14default_configENS1_25partition_config_selectorILNS1_17partition_subalgoE8EsNS0_10empty_typeEbEEZZNS1_14partition_implILS5_8ELb0ES3_jN6thrust23THRUST_200600_302600_NS6detail15normal_iteratorINSA_10device_ptrIsEEEEPS6_PKS6_NS0_5tupleIJSF_S6_EEENSJ_IJSG_SG_EEENS0_18inequality_wrapperINSA_8equal_toIsEEEEPmJS6_EEE10hipError_tPvRmT3_T4_T5_T6_T7_T9_mT8_P12ihipStream_tbDpT10_ENKUlT_T0_E_clISt17integral_constantIbLb0EES19_IbLb1EEEEDaS15_S16_EUlS15_E_NS1_11comp_targetILNS1_3genE0ELNS1_11target_archE4294967295ELNS1_3gpuE0ELNS1_3repE0EEENS1_30default_config_static_selectorELNS0_4arch9wavefront6targetE1EEEvT1_
		.amdhsa_group_segment_fixed_size 0
		.amdhsa_private_segment_fixed_size 0
		.amdhsa_kernarg_size 128
		.amdhsa_user_sgpr_count 6
		.amdhsa_user_sgpr_private_segment_buffer 1
		.amdhsa_user_sgpr_dispatch_ptr 0
		.amdhsa_user_sgpr_queue_ptr 0
		.amdhsa_user_sgpr_kernarg_segment_ptr 1
		.amdhsa_user_sgpr_dispatch_id 0
		.amdhsa_user_sgpr_flat_scratch_init 0
		.amdhsa_user_sgpr_private_segment_size 0
		.amdhsa_uses_dynamic_stack 0
		.amdhsa_system_sgpr_private_segment_wavefront_offset 0
		.amdhsa_system_sgpr_workgroup_id_x 1
		.amdhsa_system_sgpr_workgroup_id_y 0
		.amdhsa_system_sgpr_workgroup_id_z 0
		.amdhsa_system_sgpr_workgroup_info 0
		.amdhsa_system_vgpr_workitem_id 0
		.amdhsa_next_free_vgpr 1
		.amdhsa_next_free_sgpr 0
		.amdhsa_reserve_vcc 0
		.amdhsa_reserve_flat_scratch 0
		.amdhsa_float_round_mode_32 0
		.amdhsa_float_round_mode_16_64 0
		.amdhsa_float_denorm_mode_32 3
		.amdhsa_float_denorm_mode_16_64 3
		.amdhsa_dx10_clamp 1
		.amdhsa_ieee_mode 1
		.amdhsa_fp16_overflow 0
		.amdhsa_exception_fp_ieee_invalid_op 0
		.amdhsa_exception_fp_denorm_src 0
		.amdhsa_exception_fp_ieee_div_zero 0
		.amdhsa_exception_fp_ieee_overflow 0
		.amdhsa_exception_fp_ieee_underflow 0
		.amdhsa_exception_fp_ieee_inexact 0
		.amdhsa_exception_int_div_zero 0
	.end_amdhsa_kernel
	.section	.text._ZN7rocprim17ROCPRIM_400000_NS6detail17trampoline_kernelINS0_14default_configENS1_25partition_config_selectorILNS1_17partition_subalgoE8EsNS0_10empty_typeEbEEZZNS1_14partition_implILS5_8ELb0ES3_jN6thrust23THRUST_200600_302600_NS6detail15normal_iteratorINSA_10device_ptrIsEEEEPS6_PKS6_NS0_5tupleIJSF_S6_EEENSJ_IJSG_SG_EEENS0_18inequality_wrapperINSA_8equal_toIsEEEEPmJS6_EEE10hipError_tPvRmT3_T4_T5_T6_T7_T9_mT8_P12ihipStream_tbDpT10_ENKUlT_T0_E_clISt17integral_constantIbLb0EES19_IbLb1EEEEDaS15_S16_EUlS15_E_NS1_11comp_targetILNS1_3genE0ELNS1_11target_archE4294967295ELNS1_3gpuE0ELNS1_3repE0EEENS1_30default_config_static_selectorELNS0_4arch9wavefront6targetE1EEEvT1_,"axG",@progbits,_ZN7rocprim17ROCPRIM_400000_NS6detail17trampoline_kernelINS0_14default_configENS1_25partition_config_selectorILNS1_17partition_subalgoE8EsNS0_10empty_typeEbEEZZNS1_14partition_implILS5_8ELb0ES3_jN6thrust23THRUST_200600_302600_NS6detail15normal_iteratorINSA_10device_ptrIsEEEEPS6_PKS6_NS0_5tupleIJSF_S6_EEENSJ_IJSG_SG_EEENS0_18inequality_wrapperINSA_8equal_toIsEEEEPmJS6_EEE10hipError_tPvRmT3_T4_T5_T6_T7_T9_mT8_P12ihipStream_tbDpT10_ENKUlT_T0_E_clISt17integral_constantIbLb0EES19_IbLb1EEEEDaS15_S16_EUlS15_E_NS1_11comp_targetILNS1_3genE0ELNS1_11target_archE4294967295ELNS1_3gpuE0ELNS1_3repE0EEENS1_30default_config_static_selectorELNS0_4arch9wavefront6targetE1EEEvT1_,comdat
.Lfunc_end493:
	.size	_ZN7rocprim17ROCPRIM_400000_NS6detail17trampoline_kernelINS0_14default_configENS1_25partition_config_selectorILNS1_17partition_subalgoE8EsNS0_10empty_typeEbEEZZNS1_14partition_implILS5_8ELb0ES3_jN6thrust23THRUST_200600_302600_NS6detail15normal_iteratorINSA_10device_ptrIsEEEEPS6_PKS6_NS0_5tupleIJSF_S6_EEENSJ_IJSG_SG_EEENS0_18inequality_wrapperINSA_8equal_toIsEEEEPmJS6_EEE10hipError_tPvRmT3_T4_T5_T6_T7_T9_mT8_P12ihipStream_tbDpT10_ENKUlT_T0_E_clISt17integral_constantIbLb0EES19_IbLb1EEEEDaS15_S16_EUlS15_E_NS1_11comp_targetILNS1_3genE0ELNS1_11target_archE4294967295ELNS1_3gpuE0ELNS1_3repE0EEENS1_30default_config_static_selectorELNS0_4arch9wavefront6targetE1EEEvT1_, .Lfunc_end493-_ZN7rocprim17ROCPRIM_400000_NS6detail17trampoline_kernelINS0_14default_configENS1_25partition_config_selectorILNS1_17partition_subalgoE8EsNS0_10empty_typeEbEEZZNS1_14partition_implILS5_8ELb0ES3_jN6thrust23THRUST_200600_302600_NS6detail15normal_iteratorINSA_10device_ptrIsEEEEPS6_PKS6_NS0_5tupleIJSF_S6_EEENSJ_IJSG_SG_EEENS0_18inequality_wrapperINSA_8equal_toIsEEEEPmJS6_EEE10hipError_tPvRmT3_T4_T5_T6_T7_T9_mT8_P12ihipStream_tbDpT10_ENKUlT_T0_E_clISt17integral_constantIbLb0EES19_IbLb1EEEEDaS15_S16_EUlS15_E_NS1_11comp_targetILNS1_3genE0ELNS1_11target_archE4294967295ELNS1_3gpuE0ELNS1_3repE0EEENS1_30default_config_static_selectorELNS0_4arch9wavefront6targetE1EEEvT1_
                                        ; -- End function
	.set _ZN7rocprim17ROCPRIM_400000_NS6detail17trampoline_kernelINS0_14default_configENS1_25partition_config_selectorILNS1_17partition_subalgoE8EsNS0_10empty_typeEbEEZZNS1_14partition_implILS5_8ELb0ES3_jN6thrust23THRUST_200600_302600_NS6detail15normal_iteratorINSA_10device_ptrIsEEEEPS6_PKS6_NS0_5tupleIJSF_S6_EEENSJ_IJSG_SG_EEENS0_18inequality_wrapperINSA_8equal_toIsEEEEPmJS6_EEE10hipError_tPvRmT3_T4_T5_T6_T7_T9_mT8_P12ihipStream_tbDpT10_ENKUlT_T0_E_clISt17integral_constantIbLb0EES19_IbLb1EEEEDaS15_S16_EUlS15_E_NS1_11comp_targetILNS1_3genE0ELNS1_11target_archE4294967295ELNS1_3gpuE0ELNS1_3repE0EEENS1_30default_config_static_selectorELNS0_4arch9wavefront6targetE1EEEvT1_.num_vgpr, 0
	.set _ZN7rocprim17ROCPRIM_400000_NS6detail17trampoline_kernelINS0_14default_configENS1_25partition_config_selectorILNS1_17partition_subalgoE8EsNS0_10empty_typeEbEEZZNS1_14partition_implILS5_8ELb0ES3_jN6thrust23THRUST_200600_302600_NS6detail15normal_iteratorINSA_10device_ptrIsEEEEPS6_PKS6_NS0_5tupleIJSF_S6_EEENSJ_IJSG_SG_EEENS0_18inequality_wrapperINSA_8equal_toIsEEEEPmJS6_EEE10hipError_tPvRmT3_T4_T5_T6_T7_T9_mT8_P12ihipStream_tbDpT10_ENKUlT_T0_E_clISt17integral_constantIbLb0EES19_IbLb1EEEEDaS15_S16_EUlS15_E_NS1_11comp_targetILNS1_3genE0ELNS1_11target_archE4294967295ELNS1_3gpuE0ELNS1_3repE0EEENS1_30default_config_static_selectorELNS0_4arch9wavefront6targetE1EEEvT1_.num_agpr, 0
	.set _ZN7rocprim17ROCPRIM_400000_NS6detail17trampoline_kernelINS0_14default_configENS1_25partition_config_selectorILNS1_17partition_subalgoE8EsNS0_10empty_typeEbEEZZNS1_14partition_implILS5_8ELb0ES3_jN6thrust23THRUST_200600_302600_NS6detail15normal_iteratorINSA_10device_ptrIsEEEEPS6_PKS6_NS0_5tupleIJSF_S6_EEENSJ_IJSG_SG_EEENS0_18inequality_wrapperINSA_8equal_toIsEEEEPmJS6_EEE10hipError_tPvRmT3_T4_T5_T6_T7_T9_mT8_P12ihipStream_tbDpT10_ENKUlT_T0_E_clISt17integral_constantIbLb0EES19_IbLb1EEEEDaS15_S16_EUlS15_E_NS1_11comp_targetILNS1_3genE0ELNS1_11target_archE4294967295ELNS1_3gpuE0ELNS1_3repE0EEENS1_30default_config_static_selectorELNS0_4arch9wavefront6targetE1EEEvT1_.numbered_sgpr, 0
	.set _ZN7rocprim17ROCPRIM_400000_NS6detail17trampoline_kernelINS0_14default_configENS1_25partition_config_selectorILNS1_17partition_subalgoE8EsNS0_10empty_typeEbEEZZNS1_14partition_implILS5_8ELb0ES3_jN6thrust23THRUST_200600_302600_NS6detail15normal_iteratorINSA_10device_ptrIsEEEEPS6_PKS6_NS0_5tupleIJSF_S6_EEENSJ_IJSG_SG_EEENS0_18inequality_wrapperINSA_8equal_toIsEEEEPmJS6_EEE10hipError_tPvRmT3_T4_T5_T6_T7_T9_mT8_P12ihipStream_tbDpT10_ENKUlT_T0_E_clISt17integral_constantIbLb0EES19_IbLb1EEEEDaS15_S16_EUlS15_E_NS1_11comp_targetILNS1_3genE0ELNS1_11target_archE4294967295ELNS1_3gpuE0ELNS1_3repE0EEENS1_30default_config_static_selectorELNS0_4arch9wavefront6targetE1EEEvT1_.num_named_barrier, 0
	.set _ZN7rocprim17ROCPRIM_400000_NS6detail17trampoline_kernelINS0_14default_configENS1_25partition_config_selectorILNS1_17partition_subalgoE8EsNS0_10empty_typeEbEEZZNS1_14partition_implILS5_8ELb0ES3_jN6thrust23THRUST_200600_302600_NS6detail15normal_iteratorINSA_10device_ptrIsEEEEPS6_PKS6_NS0_5tupleIJSF_S6_EEENSJ_IJSG_SG_EEENS0_18inequality_wrapperINSA_8equal_toIsEEEEPmJS6_EEE10hipError_tPvRmT3_T4_T5_T6_T7_T9_mT8_P12ihipStream_tbDpT10_ENKUlT_T0_E_clISt17integral_constantIbLb0EES19_IbLb1EEEEDaS15_S16_EUlS15_E_NS1_11comp_targetILNS1_3genE0ELNS1_11target_archE4294967295ELNS1_3gpuE0ELNS1_3repE0EEENS1_30default_config_static_selectorELNS0_4arch9wavefront6targetE1EEEvT1_.private_seg_size, 0
	.set _ZN7rocprim17ROCPRIM_400000_NS6detail17trampoline_kernelINS0_14default_configENS1_25partition_config_selectorILNS1_17partition_subalgoE8EsNS0_10empty_typeEbEEZZNS1_14partition_implILS5_8ELb0ES3_jN6thrust23THRUST_200600_302600_NS6detail15normal_iteratorINSA_10device_ptrIsEEEEPS6_PKS6_NS0_5tupleIJSF_S6_EEENSJ_IJSG_SG_EEENS0_18inequality_wrapperINSA_8equal_toIsEEEEPmJS6_EEE10hipError_tPvRmT3_T4_T5_T6_T7_T9_mT8_P12ihipStream_tbDpT10_ENKUlT_T0_E_clISt17integral_constantIbLb0EES19_IbLb1EEEEDaS15_S16_EUlS15_E_NS1_11comp_targetILNS1_3genE0ELNS1_11target_archE4294967295ELNS1_3gpuE0ELNS1_3repE0EEENS1_30default_config_static_selectorELNS0_4arch9wavefront6targetE1EEEvT1_.uses_vcc, 0
	.set _ZN7rocprim17ROCPRIM_400000_NS6detail17trampoline_kernelINS0_14default_configENS1_25partition_config_selectorILNS1_17partition_subalgoE8EsNS0_10empty_typeEbEEZZNS1_14partition_implILS5_8ELb0ES3_jN6thrust23THRUST_200600_302600_NS6detail15normal_iteratorINSA_10device_ptrIsEEEEPS6_PKS6_NS0_5tupleIJSF_S6_EEENSJ_IJSG_SG_EEENS0_18inequality_wrapperINSA_8equal_toIsEEEEPmJS6_EEE10hipError_tPvRmT3_T4_T5_T6_T7_T9_mT8_P12ihipStream_tbDpT10_ENKUlT_T0_E_clISt17integral_constantIbLb0EES19_IbLb1EEEEDaS15_S16_EUlS15_E_NS1_11comp_targetILNS1_3genE0ELNS1_11target_archE4294967295ELNS1_3gpuE0ELNS1_3repE0EEENS1_30default_config_static_selectorELNS0_4arch9wavefront6targetE1EEEvT1_.uses_flat_scratch, 0
	.set _ZN7rocprim17ROCPRIM_400000_NS6detail17trampoline_kernelINS0_14default_configENS1_25partition_config_selectorILNS1_17partition_subalgoE8EsNS0_10empty_typeEbEEZZNS1_14partition_implILS5_8ELb0ES3_jN6thrust23THRUST_200600_302600_NS6detail15normal_iteratorINSA_10device_ptrIsEEEEPS6_PKS6_NS0_5tupleIJSF_S6_EEENSJ_IJSG_SG_EEENS0_18inequality_wrapperINSA_8equal_toIsEEEEPmJS6_EEE10hipError_tPvRmT3_T4_T5_T6_T7_T9_mT8_P12ihipStream_tbDpT10_ENKUlT_T0_E_clISt17integral_constantIbLb0EES19_IbLb1EEEEDaS15_S16_EUlS15_E_NS1_11comp_targetILNS1_3genE0ELNS1_11target_archE4294967295ELNS1_3gpuE0ELNS1_3repE0EEENS1_30default_config_static_selectorELNS0_4arch9wavefront6targetE1EEEvT1_.has_dyn_sized_stack, 0
	.set _ZN7rocprim17ROCPRIM_400000_NS6detail17trampoline_kernelINS0_14default_configENS1_25partition_config_selectorILNS1_17partition_subalgoE8EsNS0_10empty_typeEbEEZZNS1_14partition_implILS5_8ELb0ES3_jN6thrust23THRUST_200600_302600_NS6detail15normal_iteratorINSA_10device_ptrIsEEEEPS6_PKS6_NS0_5tupleIJSF_S6_EEENSJ_IJSG_SG_EEENS0_18inequality_wrapperINSA_8equal_toIsEEEEPmJS6_EEE10hipError_tPvRmT3_T4_T5_T6_T7_T9_mT8_P12ihipStream_tbDpT10_ENKUlT_T0_E_clISt17integral_constantIbLb0EES19_IbLb1EEEEDaS15_S16_EUlS15_E_NS1_11comp_targetILNS1_3genE0ELNS1_11target_archE4294967295ELNS1_3gpuE0ELNS1_3repE0EEENS1_30default_config_static_selectorELNS0_4arch9wavefront6targetE1EEEvT1_.has_recursion, 0
	.set _ZN7rocprim17ROCPRIM_400000_NS6detail17trampoline_kernelINS0_14default_configENS1_25partition_config_selectorILNS1_17partition_subalgoE8EsNS0_10empty_typeEbEEZZNS1_14partition_implILS5_8ELb0ES3_jN6thrust23THRUST_200600_302600_NS6detail15normal_iteratorINSA_10device_ptrIsEEEEPS6_PKS6_NS0_5tupleIJSF_S6_EEENSJ_IJSG_SG_EEENS0_18inequality_wrapperINSA_8equal_toIsEEEEPmJS6_EEE10hipError_tPvRmT3_T4_T5_T6_T7_T9_mT8_P12ihipStream_tbDpT10_ENKUlT_T0_E_clISt17integral_constantIbLb0EES19_IbLb1EEEEDaS15_S16_EUlS15_E_NS1_11comp_targetILNS1_3genE0ELNS1_11target_archE4294967295ELNS1_3gpuE0ELNS1_3repE0EEENS1_30default_config_static_selectorELNS0_4arch9wavefront6targetE1EEEvT1_.has_indirect_call, 0
	.section	.AMDGPU.csdata,"",@progbits
; Kernel info:
; codeLenInByte = 0
; TotalNumSgprs: 4
; NumVgprs: 0
; ScratchSize: 0
; MemoryBound: 0
; FloatMode: 240
; IeeeMode: 1
; LDSByteSize: 0 bytes/workgroup (compile time only)
; SGPRBlocks: 0
; VGPRBlocks: 0
; NumSGPRsForWavesPerEU: 4
; NumVGPRsForWavesPerEU: 1
; Occupancy: 10
; WaveLimiterHint : 0
; COMPUTE_PGM_RSRC2:SCRATCH_EN: 0
; COMPUTE_PGM_RSRC2:USER_SGPR: 6
; COMPUTE_PGM_RSRC2:TRAP_HANDLER: 0
; COMPUTE_PGM_RSRC2:TGID_X_EN: 1
; COMPUTE_PGM_RSRC2:TGID_Y_EN: 0
; COMPUTE_PGM_RSRC2:TGID_Z_EN: 0
; COMPUTE_PGM_RSRC2:TIDIG_COMP_CNT: 0
	.section	.text._ZN7rocprim17ROCPRIM_400000_NS6detail17trampoline_kernelINS0_14default_configENS1_25partition_config_selectorILNS1_17partition_subalgoE8EsNS0_10empty_typeEbEEZZNS1_14partition_implILS5_8ELb0ES3_jN6thrust23THRUST_200600_302600_NS6detail15normal_iteratorINSA_10device_ptrIsEEEEPS6_PKS6_NS0_5tupleIJSF_S6_EEENSJ_IJSG_SG_EEENS0_18inequality_wrapperINSA_8equal_toIsEEEEPmJS6_EEE10hipError_tPvRmT3_T4_T5_T6_T7_T9_mT8_P12ihipStream_tbDpT10_ENKUlT_T0_E_clISt17integral_constantIbLb0EES19_IbLb1EEEEDaS15_S16_EUlS15_E_NS1_11comp_targetILNS1_3genE5ELNS1_11target_archE942ELNS1_3gpuE9ELNS1_3repE0EEENS1_30default_config_static_selectorELNS0_4arch9wavefront6targetE1EEEvT1_,"axG",@progbits,_ZN7rocprim17ROCPRIM_400000_NS6detail17trampoline_kernelINS0_14default_configENS1_25partition_config_selectorILNS1_17partition_subalgoE8EsNS0_10empty_typeEbEEZZNS1_14partition_implILS5_8ELb0ES3_jN6thrust23THRUST_200600_302600_NS6detail15normal_iteratorINSA_10device_ptrIsEEEEPS6_PKS6_NS0_5tupleIJSF_S6_EEENSJ_IJSG_SG_EEENS0_18inequality_wrapperINSA_8equal_toIsEEEEPmJS6_EEE10hipError_tPvRmT3_T4_T5_T6_T7_T9_mT8_P12ihipStream_tbDpT10_ENKUlT_T0_E_clISt17integral_constantIbLb0EES19_IbLb1EEEEDaS15_S16_EUlS15_E_NS1_11comp_targetILNS1_3genE5ELNS1_11target_archE942ELNS1_3gpuE9ELNS1_3repE0EEENS1_30default_config_static_selectorELNS0_4arch9wavefront6targetE1EEEvT1_,comdat
	.protected	_ZN7rocprim17ROCPRIM_400000_NS6detail17trampoline_kernelINS0_14default_configENS1_25partition_config_selectorILNS1_17partition_subalgoE8EsNS0_10empty_typeEbEEZZNS1_14partition_implILS5_8ELb0ES3_jN6thrust23THRUST_200600_302600_NS6detail15normal_iteratorINSA_10device_ptrIsEEEEPS6_PKS6_NS0_5tupleIJSF_S6_EEENSJ_IJSG_SG_EEENS0_18inequality_wrapperINSA_8equal_toIsEEEEPmJS6_EEE10hipError_tPvRmT3_T4_T5_T6_T7_T9_mT8_P12ihipStream_tbDpT10_ENKUlT_T0_E_clISt17integral_constantIbLb0EES19_IbLb1EEEEDaS15_S16_EUlS15_E_NS1_11comp_targetILNS1_3genE5ELNS1_11target_archE942ELNS1_3gpuE9ELNS1_3repE0EEENS1_30default_config_static_selectorELNS0_4arch9wavefront6targetE1EEEvT1_ ; -- Begin function _ZN7rocprim17ROCPRIM_400000_NS6detail17trampoline_kernelINS0_14default_configENS1_25partition_config_selectorILNS1_17partition_subalgoE8EsNS0_10empty_typeEbEEZZNS1_14partition_implILS5_8ELb0ES3_jN6thrust23THRUST_200600_302600_NS6detail15normal_iteratorINSA_10device_ptrIsEEEEPS6_PKS6_NS0_5tupleIJSF_S6_EEENSJ_IJSG_SG_EEENS0_18inequality_wrapperINSA_8equal_toIsEEEEPmJS6_EEE10hipError_tPvRmT3_T4_T5_T6_T7_T9_mT8_P12ihipStream_tbDpT10_ENKUlT_T0_E_clISt17integral_constantIbLb0EES19_IbLb1EEEEDaS15_S16_EUlS15_E_NS1_11comp_targetILNS1_3genE5ELNS1_11target_archE942ELNS1_3gpuE9ELNS1_3repE0EEENS1_30default_config_static_selectorELNS0_4arch9wavefront6targetE1EEEvT1_
	.globl	_ZN7rocprim17ROCPRIM_400000_NS6detail17trampoline_kernelINS0_14default_configENS1_25partition_config_selectorILNS1_17partition_subalgoE8EsNS0_10empty_typeEbEEZZNS1_14partition_implILS5_8ELb0ES3_jN6thrust23THRUST_200600_302600_NS6detail15normal_iteratorINSA_10device_ptrIsEEEEPS6_PKS6_NS0_5tupleIJSF_S6_EEENSJ_IJSG_SG_EEENS0_18inequality_wrapperINSA_8equal_toIsEEEEPmJS6_EEE10hipError_tPvRmT3_T4_T5_T6_T7_T9_mT8_P12ihipStream_tbDpT10_ENKUlT_T0_E_clISt17integral_constantIbLb0EES19_IbLb1EEEEDaS15_S16_EUlS15_E_NS1_11comp_targetILNS1_3genE5ELNS1_11target_archE942ELNS1_3gpuE9ELNS1_3repE0EEENS1_30default_config_static_selectorELNS0_4arch9wavefront6targetE1EEEvT1_
	.p2align	8
	.type	_ZN7rocprim17ROCPRIM_400000_NS6detail17trampoline_kernelINS0_14default_configENS1_25partition_config_selectorILNS1_17partition_subalgoE8EsNS0_10empty_typeEbEEZZNS1_14partition_implILS5_8ELb0ES3_jN6thrust23THRUST_200600_302600_NS6detail15normal_iteratorINSA_10device_ptrIsEEEEPS6_PKS6_NS0_5tupleIJSF_S6_EEENSJ_IJSG_SG_EEENS0_18inequality_wrapperINSA_8equal_toIsEEEEPmJS6_EEE10hipError_tPvRmT3_T4_T5_T6_T7_T9_mT8_P12ihipStream_tbDpT10_ENKUlT_T0_E_clISt17integral_constantIbLb0EES19_IbLb1EEEEDaS15_S16_EUlS15_E_NS1_11comp_targetILNS1_3genE5ELNS1_11target_archE942ELNS1_3gpuE9ELNS1_3repE0EEENS1_30default_config_static_selectorELNS0_4arch9wavefront6targetE1EEEvT1_,@function
_ZN7rocprim17ROCPRIM_400000_NS6detail17trampoline_kernelINS0_14default_configENS1_25partition_config_selectorILNS1_17partition_subalgoE8EsNS0_10empty_typeEbEEZZNS1_14partition_implILS5_8ELb0ES3_jN6thrust23THRUST_200600_302600_NS6detail15normal_iteratorINSA_10device_ptrIsEEEEPS6_PKS6_NS0_5tupleIJSF_S6_EEENSJ_IJSG_SG_EEENS0_18inequality_wrapperINSA_8equal_toIsEEEEPmJS6_EEE10hipError_tPvRmT3_T4_T5_T6_T7_T9_mT8_P12ihipStream_tbDpT10_ENKUlT_T0_E_clISt17integral_constantIbLb0EES19_IbLb1EEEEDaS15_S16_EUlS15_E_NS1_11comp_targetILNS1_3genE5ELNS1_11target_archE942ELNS1_3gpuE9ELNS1_3repE0EEENS1_30default_config_static_selectorELNS0_4arch9wavefront6targetE1EEEvT1_: ; @_ZN7rocprim17ROCPRIM_400000_NS6detail17trampoline_kernelINS0_14default_configENS1_25partition_config_selectorILNS1_17partition_subalgoE8EsNS0_10empty_typeEbEEZZNS1_14partition_implILS5_8ELb0ES3_jN6thrust23THRUST_200600_302600_NS6detail15normal_iteratorINSA_10device_ptrIsEEEEPS6_PKS6_NS0_5tupleIJSF_S6_EEENSJ_IJSG_SG_EEENS0_18inequality_wrapperINSA_8equal_toIsEEEEPmJS6_EEE10hipError_tPvRmT3_T4_T5_T6_T7_T9_mT8_P12ihipStream_tbDpT10_ENKUlT_T0_E_clISt17integral_constantIbLb0EES19_IbLb1EEEEDaS15_S16_EUlS15_E_NS1_11comp_targetILNS1_3genE5ELNS1_11target_archE942ELNS1_3gpuE9ELNS1_3repE0EEENS1_30default_config_static_selectorELNS0_4arch9wavefront6targetE1EEEvT1_
; %bb.0:
	.section	.rodata,"a",@progbits
	.p2align	6, 0x0
	.amdhsa_kernel _ZN7rocprim17ROCPRIM_400000_NS6detail17trampoline_kernelINS0_14default_configENS1_25partition_config_selectorILNS1_17partition_subalgoE8EsNS0_10empty_typeEbEEZZNS1_14partition_implILS5_8ELb0ES3_jN6thrust23THRUST_200600_302600_NS6detail15normal_iteratorINSA_10device_ptrIsEEEEPS6_PKS6_NS0_5tupleIJSF_S6_EEENSJ_IJSG_SG_EEENS0_18inequality_wrapperINSA_8equal_toIsEEEEPmJS6_EEE10hipError_tPvRmT3_T4_T5_T6_T7_T9_mT8_P12ihipStream_tbDpT10_ENKUlT_T0_E_clISt17integral_constantIbLb0EES19_IbLb1EEEEDaS15_S16_EUlS15_E_NS1_11comp_targetILNS1_3genE5ELNS1_11target_archE942ELNS1_3gpuE9ELNS1_3repE0EEENS1_30default_config_static_selectorELNS0_4arch9wavefront6targetE1EEEvT1_
		.amdhsa_group_segment_fixed_size 0
		.amdhsa_private_segment_fixed_size 0
		.amdhsa_kernarg_size 128
		.amdhsa_user_sgpr_count 6
		.amdhsa_user_sgpr_private_segment_buffer 1
		.amdhsa_user_sgpr_dispatch_ptr 0
		.amdhsa_user_sgpr_queue_ptr 0
		.amdhsa_user_sgpr_kernarg_segment_ptr 1
		.amdhsa_user_sgpr_dispatch_id 0
		.amdhsa_user_sgpr_flat_scratch_init 0
		.amdhsa_user_sgpr_private_segment_size 0
		.amdhsa_uses_dynamic_stack 0
		.amdhsa_system_sgpr_private_segment_wavefront_offset 0
		.amdhsa_system_sgpr_workgroup_id_x 1
		.amdhsa_system_sgpr_workgroup_id_y 0
		.amdhsa_system_sgpr_workgroup_id_z 0
		.amdhsa_system_sgpr_workgroup_info 0
		.amdhsa_system_vgpr_workitem_id 0
		.amdhsa_next_free_vgpr 1
		.amdhsa_next_free_sgpr 0
		.amdhsa_reserve_vcc 0
		.amdhsa_reserve_flat_scratch 0
		.amdhsa_float_round_mode_32 0
		.amdhsa_float_round_mode_16_64 0
		.amdhsa_float_denorm_mode_32 3
		.amdhsa_float_denorm_mode_16_64 3
		.amdhsa_dx10_clamp 1
		.amdhsa_ieee_mode 1
		.amdhsa_fp16_overflow 0
		.amdhsa_exception_fp_ieee_invalid_op 0
		.amdhsa_exception_fp_denorm_src 0
		.amdhsa_exception_fp_ieee_div_zero 0
		.amdhsa_exception_fp_ieee_overflow 0
		.amdhsa_exception_fp_ieee_underflow 0
		.amdhsa_exception_fp_ieee_inexact 0
		.amdhsa_exception_int_div_zero 0
	.end_amdhsa_kernel
	.section	.text._ZN7rocprim17ROCPRIM_400000_NS6detail17trampoline_kernelINS0_14default_configENS1_25partition_config_selectorILNS1_17partition_subalgoE8EsNS0_10empty_typeEbEEZZNS1_14partition_implILS5_8ELb0ES3_jN6thrust23THRUST_200600_302600_NS6detail15normal_iteratorINSA_10device_ptrIsEEEEPS6_PKS6_NS0_5tupleIJSF_S6_EEENSJ_IJSG_SG_EEENS0_18inequality_wrapperINSA_8equal_toIsEEEEPmJS6_EEE10hipError_tPvRmT3_T4_T5_T6_T7_T9_mT8_P12ihipStream_tbDpT10_ENKUlT_T0_E_clISt17integral_constantIbLb0EES19_IbLb1EEEEDaS15_S16_EUlS15_E_NS1_11comp_targetILNS1_3genE5ELNS1_11target_archE942ELNS1_3gpuE9ELNS1_3repE0EEENS1_30default_config_static_selectorELNS0_4arch9wavefront6targetE1EEEvT1_,"axG",@progbits,_ZN7rocprim17ROCPRIM_400000_NS6detail17trampoline_kernelINS0_14default_configENS1_25partition_config_selectorILNS1_17partition_subalgoE8EsNS0_10empty_typeEbEEZZNS1_14partition_implILS5_8ELb0ES3_jN6thrust23THRUST_200600_302600_NS6detail15normal_iteratorINSA_10device_ptrIsEEEEPS6_PKS6_NS0_5tupleIJSF_S6_EEENSJ_IJSG_SG_EEENS0_18inequality_wrapperINSA_8equal_toIsEEEEPmJS6_EEE10hipError_tPvRmT3_T4_T5_T6_T7_T9_mT8_P12ihipStream_tbDpT10_ENKUlT_T0_E_clISt17integral_constantIbLb0EES19_IbLb1EEEEDaS15_S16_EUlS15_E_NS1_11comp_targetILNS1_3genE5ELNS1_11target_archE942ELNS1_3gpuE9ELNS1_3repE0EEENS1_30default_config_static_selectorELNS0_4arch9wavefront6targetE1EEEvT1_,comdat
.Lfunc_end494:
	.size	_ZN7rocprim17ROCPRIM_400000_NS6detail17trampoline_kernelINS0_14default_configENS1_25partition_config_selectorILNS1_17partition_subalgoE8EsNS0_10empty_typeEbEEZZNS1_14partition_implILS5_8ELb0ES3_jN6thrust23THRUST_200600_302600_NS6detail15normal_iteratorINSA_10device_ptrIsEEEEPS6_PKS6_NS0_5tupleIJSF_S6_EEENSJ_IJSG_SG_EEENS0_18inequality_wrapperINSA_8equal_toIsEEEEPmJS6_EEE10hipError_tPvRmT3_T4_T5_T6_T7_T9_mT8_P12ihipStream_tbDpT10_ENKUlT_T0_E_clISt17integral_constantIbLb0EES19_IbLb1EEEEDaS15_S16_EUlS15_E_NS1_11comp_targetILNS1_3genE5ELNS1_11target_archE942ELNS1_3gpuE9ELNS1_3repE0EEENS1_30default_config_static_selectorELNS0_4arch9wavefront6targetE1EEEvT1_, .Lfunc_end494-_ZN7rocprim17ROCPRIM_400000_NS6detail17trampoline_kernelINS0_14default_configENS1_25partition_config_selectorILNS1_17partition_subalgoE8EsNS0_10empty_typeEbEEZZNS1_14partition_implILS5_8ELb0ES3_jN6thrust23THRUST_200600_302600_NS6detail15normal_iteratorINSA_10device_ptrIsEEEEPS6_PKS6_NS0_5tupleIJSF_S6_EEENSJ_IJSG_SG_EEENS0_18inequality_wrapperINSA_8equal_toIsEEEEPmJS6_EEE10hipError_tPvRmT3_T4_T5_T6_T7_T9_mT8_P12ihipStream_tbDpT10_ENKUlT_T0_E_clISt17integral_constantIbLb0EES19_IbLb1EEEEDaS15_S16_EUlS15_E_NS1_11comp_targetILNS1_3genE5ELNS1_11target_archE942ELNS1_3gpuE9ELNS1_3repE0EEENS1_30default_config_static_selectorELNS0_4arch9wavefront6targetE1EEEvT1_
                                        ; -- End function
	.set _ZN7rocprim17ROCPRIM_400000_NS6detail17trampoline_kernelINS0_14default_configENS1_25partition_config_selectorILNS1_17partition_subalgoE8EsNS0_10empty_typeEbEEZZNS1_14partition_implILS5_8ELb0ES3_jN6thrust23THRUST_200600_302600_NS6detail15normal_iteratorINSA_10device_ptrIsEEEEPS6_PKS6_NS0_5tupleIJSF_S6_EEENSJ_IJSG_SG_EEENS0_18inequality_wrapperINSA_8equal_toIsEEEEPmJS6_EEE10hipError_tPvRmT3_T4_T5_T6_T7_T9_mT8_P12ihipStream_tbDpT10_ENKUlT_T0_E_clISt17integral_constantIbLb0EES19_IbLb1EEEEDaS15_S16_EUlS15_E_NS1_11comp_targetILNS1_3genE5ELNS1_11target_archE942ELNS1_3gpuE9ELNS1_3repE0EEENS1_30default_config_static_selectorELNS0_4arch9wavefront6targetE1EEEvT1_.num_vgpr, 0
	.set _ZN7rocprim17ROCPRIM_400000_NS6detail17trampoline_kernelINS0_14default_configENS1_25partition_config_selectorILNS1_17partition_subalgoE8EsNS0_10empty_typeEbEEZZNS1_14partition_implILS5_8ELb0ES3_jN6thrust23THRUST_200600_302600_NS6detail15normal_iteratorINSA_10device_ptrIsEEEEPS6_PKS6_NS0_5tupleIJSF_S6_EEENSJ_IJSG_SG_EEENS0_18inequality_wrapperINSA_8equal_toIsEEEEPmJS6_EEE10hipError_tPvRmT3_T4_T5_T6_T7_T9_mT8_P12ihipStream_tbDpT10_ENKUlT_T0_E_clISt17integral_constantIbLb0EES19_IbLb1EEEEDaS15_S16_EUlS15_E_NS1_11comp_targetILNS1_3genE5ELNS1_11target_archE942ELNS1_3gpuE9ELNS1_3repE0EEENS1_30default_config_static_selectorELNS0_4arch9wavefront6targetE1EEEvT1_.num_agpr, 0
	.set _ZN7rocprim17ROCPRIM_400000_NS6detail17trampoline_kernelINS0_14default_configENS1_25partition_config_selectorILNS1_17partition_subalgoE8EsNS0_10empty_typeEbEEZZNS1_14partition_implILS5_8ELb0ES3_jN6thrust23THRUST_200600_302600_NS6detail15normal_iteratorINSA_10device_ptrIsEEEEPS6_PKS6_NS0_5tupleIJSF_S6_EEENSJ_IJSG_SG_EEENS0_18inequality_wrapperINSA_8equal_toIsEEEEPmJS6_EEE10hipError_tPvRmT3_T4_T5_T6_T7_T9_mT8_P12ihipStream_tbDpT10_ENKUlT_T0_E_clISt17integral_constantIbLb0EES19_IbLb1EEEEDaS15_S16_EUlS15_E_NS1_11comp_targetILNS1_3genE5ELNS1_11target_archE942ELNS1_3gpuE9ELNS1_3repE0EEENS1_30default_config_static_selectorELNS0_4arch9wavefront6targetE1EEEvT1_.numbered_sgpr, 0
	.set _ZN7rocprim17ROCPRIM_400000_NS6detail17trampoline_kernelINS0_14default_configENS1_25partition_config_selectorILNS1_17partition_subalgoE8EsNS0_10empty_typeEbEEZZNS1_14partition_implILS5_8ELb0ES3_jN6thrust23THRUST_200600_302600_NS6detail15normal_iteratorINSA_10device_ptrIsEEEEPS6_PKS6_NS0_5tupleIJSF_S6_EEENSJ_IJSG_SG_EEENS0_18inequality_wrapperINSA_8equal_toIsEEEEPmJS6_EEE10hipError_tPvRmT3_T4_T5_T6_T7_T9_mT8_P12ihipStream_tbDpT10_ENKUlT_T0_E_clISt17integral_constantIbLb0EES19_IbLb1EEEEDaS15_S16_EUlS15_E_NS1_11comp_targetILNS1_3genE5ELNS1_11target_archE942ELNS1_3gpuE9ELNS1_3repE0EEENS1_30default_config_static_selectorELNS0_4arch9wavefront6targetE1EEEvT1_.num_named_barrier, 0
	.set _ZN7rocprim17ROCPRIM_400000_NS6detail17trampoline_kernelINS0_14default_configENS1_25partition_config_selectorILNS1_17partition_subalgoE8EsNS0_10empty_typeEbEEZZNS1_14partition_implILS5_8ELb0ES3_jN6thrust23THRUST_200600_302600_NS6detail15normal_iteratorINSA_10device_ptrIsEEEEPS6_PKS6_NS0_5tupleIJSF_S6_EEENSJ_IJSG_SG_EEENS0_18inequality_wrapperINSA_8equal_toIsEEEEPmJS6_EEE10hipError_tPvRmT3_T4_T5_T6_T7_T9_mT8_P12ihipStream_tbDpT10_ENKUlT_T0_E_clISt17integral_constantIbLb0EES19_IbLb1EEEEDaS15_S16_EUlS15_E_NS1_11comp_targetILNS1_3genE5ELNS1_11target_archE942ELNS1_3gpuE9ELNS1_3repE0EEENS1_30default_config_static_selectorELNS0_4arch9wavefront6targetE1EEEvT1_.private_seg_size, 0
	.set _ZN7rocprim17ROCPRIM_400000_NS6detail17trampoline_kernelINS0_14default_configENS1_25partition_config_selectorILNS1_17partition_subalgoE8EsNS0_10empty_typeEbEEZZNS1_14partition_implILS5_8ELb0ES3_jN6thrust23THRUST_200600_302600_NS6detail15normal_iteratorINSA_10device_ptrIsEEEEPS6_PKS6_NS0_5tupleIJSF_S6_EEENSJ_IJSG_SG_EEENS0_18inequality_wrapperINSA_8equal_toIsEEEEPmJS6_EEE10hipError_tPvRmT3_T4_T5_T6_T7_T9_mT8_P12ihipStream_tbDpT10_ENKUlT_T0_E_clISt17integral_constantIbLb0EES19_IbLb1EEEEDaS15_S16_EUlS15_E_NS1_11comp_targetILNS1_3genE5ELNS1_11target_archE942ELNS1_3gpuE9ELNS1_3repE0EEENS1_30default_config_static_selectorELNS0_4arch9wavefront6targetE1EEEvT1_.uses_vcc, 0
	.set _ZN7rocprim17ROCPRIM_400000_NS6detail17trampoline_kernelINS0_14default_configENS1_25partition_config_selectorILNS1_17partition_subalgoE8EsNS0_10empty_typeEbEEZZNS1_14partition_implILS5_8ELb0ES3_jN6thrust23THRUST_200600_302600_NS6detail15normal_iteratorINSA_10device_ptrIsEEEEPS6_PKS6_NS0_5tupleIJSF_S6_EEENSJ_IJSG_SG_EEENS0_18inequality_wrapperINSA_8equal_toIsEEEEPmJS6_EEE10hipError_tPvRmT3_T4_T5_T6_T7_T9_mT8_P12ihipStream_tbDpT10_ENKUlT_T0_E_clISt17integral_constantIbLb0EES19_IbLb1EEEEDaS15_S16_EUlS15_E_NS1_11comp_targetILNS1_3genE5ELNS1_11target_archE942ELNS1_3gpuE9ELNS1_3repE0EEENS1_30default_config_static_selectorELNS0_4arch9wavefront6targetE1EEEvT1_.uses_flat_scratch, 0
	.set _ZN7rocprim17ROCPRIM_400000_NS6detail17trampoline_kernelINS0_14default_configENS1_25partition_config_selectorILNS1_17partition_subalgoE8EsNS0_10empty_typeEbEEZZNS1_14partition_implILS5_8ELb0ES3_jN6thrust23THRUST_200600_302600_NS6detail15normal_iteratorINSA_10device_ptrIsEEEEPS6_PKS6_NS0_5tupleIJSF_S6_EEENSJ_IJSG_SG_EEENS0_18inequality_wrapperINSA_8equal_toIsEEEEPmJS6_EEE10hipError_tPvRmT3_T4_T5_T6_T7_T9_mT8_P12ihipStream_tbDpT10_ENKUlT_T0_E_clISt17integral_constantIbLb0EES19_IbLb1EEEEDaS15_S16_EUlS15_E_NS1_11comp_targetILNS1_3genE5ELNS1_11target_archE942ELNS1_3gpuE9ELNS1_3repE0EEENS1_30default_config_static_selectorELNS0_4arch9wavefront6targetE1EEEvT1_.has_dyn_sized_stack, 0
	.set _ZN7rocprim17ROCPRIM_400000_NS6detail17trampoline_kernelINS0_14default_configENS1_25partition_config_selectorILNS1_17partition_subalgoE8EsNS0_10empty_typeEbEEZZNS1_14partition_implILS5_8ELb0ES3_jN6thrust23THRUST_200600_302600_NS6detail15normal_iteratorINSA_10device_ptrIsEEEEPS6_PKS6_NS0_5tupleIJSF_S6_EEENSJ_IJSG_SG_EEENS0_18inequality_wrapperINSA_8equal_toIsEEEEPmJS6_EEE10hipError_tPvRmT3_T4_T5_T6_T7_T9_mT8_P12ihipStream_tbDpT10_ENKUlT_T0_E_clISt17integral_constantIbLb0EES19_IbLb1EEEEDaS15_S16_EUlS15_E_NS1_11comp_targetILNS1_3genE5ELNS1_11target_archE942ELNS1_3gpuE9ELNS1_3repE0EEENS1_30default_config_static_selectorELNS0_4arch9wavefront6targetE1EEEvT1_.has_recursion, 0
	.set _ZN7rocprim17ROCPRIM_400000_NS6detail17trampoline_kernelINS0_14default_configENS1_25partition_config_selectorILNS1_17partition_subalgoE8EsNS0_10empty_typeEbEEZZNS1_14partition_implILS5_8ELb0ES3_jN6thrust23THRUST_200600_302600_NS6detail15normal_iteratorINSA_10device_ptrIsEEEEPS6_PKS6_NS0_5tupleIJSF_S6_EEENSJ_IJSG_SG_EEENS0_18inequality_wrapperINSA_8equal_toIsEEEEPmJS6_EEE10hipError_tPvRmT3_T4_T5_T6_T7_T9_mT8_P12ihipStream_tbDpT10_ENKUlT_T0_E_clISt17integral_constantIbLb0EES19_IbLb1EEEEDaS15_S16_EUlS15_E_NS1_11comp_targetILNS1_3genE5ELNS1_11target_archE942ELNS1_3gpuE9ELNS1_3repE0EEENS1_30default_config_static_selectorELNS0_4arch9wavefront6targetE1EEEvT1_.has_indirect_call, 0
	.section	.AMDGPU.csdata,"",@progbits
; Kernel info:
; codeLenInByte = 0
; TotalNumSgprs: 4
; NumVgprs: 0
; ScratchSize: 0
; MemoryBound: 0
; FloatMode: 240
; IeeeMode: 1
; LDSByteSize: 0 bytes/workgroup (compile time only)
; SGPRBlocks: 0
; VGPRBlocks: 0
; NumSGPRsForWavesPerEU: 4
; NumVGPRsForWavesPerEU: 1
; Occupancy: 10
; WaveLimiterHint : 0
; COMPUTE_PGM_RSRC2:SCRATCH_EN: 0
; COMPUTE_PGM_RSRC2:USER_SGPR: 6
; COMPUTE_PGM_RSRC2:TRAP_HANDLER: 0
; COMPUTE_PGM_RSRC2:TGID_X_EN: 1
; COMPUTE_PGM_RSRC2:TGID_Y_EN: 0
; COMPUTE_PGM_RSRC2:TGID_Z_EN: 0
; COMPUTE_PGM_RSRC2:TIDIG_COMP_CNT: 0
	.section	.text._ZN7rocprim17ROCPRIM_400000_NS6detail17trampoline_kernelINS0_14default_configENS1_25partition_config_selectorILNS1_17partition_subalgoE8EsNS0_10empty_typeEbEEZZNS1_14partition_implILS5_8ELb0ES3_jN6thrust23THRUST_200600_302600_NS6detail15normal_iteratorINSA_10device_ptrIsEEEEPS6_PKS6_NS0_5tupleIJSF_S6_EEENSJ_IJSG_SG_EEENS0_18inequality_wrapperINSA_8equal_toIsEEEEPmJS6_EEE10hipError_tPvRmT3_T4_T5_T6_T7_T9_mT8_P12ihipStream_tbDpT10_ENKUlT_T0_E_clISt17integral_constantIbLb0EES19_IbLb1EEEEDaS15_S16_EUlS15_E_NS1_11comp_targetILNS1_3genE4ELNS1_11target_archE910ELNS1_3gpuE8ELNS1_3repE0EEENS1_30default_config_static_selectorELNS0_4arch9wavefront6targetE1EEEvT1_,"axG",@progbits,_ZN7rocprim17ROCPRIM_400000_NS6detail17trampoline_kernelINS0_14default_configENS1_25partition_config_selectorILNS1_17partition_subalgoE8EsNS0_10empty_typeEbEEZZNS1_14partition_implILS5_8ELb0ES3_jN6thrust23THRUST_200600_302600_NS6detail15normal_iteratorINSA_10device_ptrIsEEEEPS6_PKS6_NS0_5tupleIJSF_S6_EEENSJ_IJSG_SG_EEENS0_18inequality_wrapperINSA_8equal_toIsEEEEPmJS6_EEE10hipError_tPvRmT3_T4_T5_T6_T7_T9_mT8_P12ihipStream_tbDpT10_ENKUlT_T0_E_clISt17integral_constantIbLb0EES19_IbLb1EEEEDaS15_S16_EUlS15_E_NS1_11comp_targetILNS1_3genE4ELNS1_11target_archE910ELNS1_3gpuE8ELNS1_3repE0EEENS1_30default_config_static_selectorELNS0_4arch9wavefront6targetE1EEEvT1_,comdat
	.protected	_ZN7rocprim17ROCPRIM_400000_NS6detail17trampoline_kernelINS0_14default_configENS1_25partition_config_selectorILNS1_17partition_subalgoE8EsNS0_10empty_typeEbEEZZNS1_14partition_implILS5_8ELb0ES3_jN6thrust23THRUST_200600_302600_NS6detail15normal_iteratorINSA_10device_ptrIsEEEEPS6_PKS6_NS0_5tupleIJSF_S6_EEENSJ_IJSG_SG_EEENS0_18inequality_wrapperINSA_8equal_toIsEEEEPmJS6_EEE10hipError_tPvRmT3_T4_T5_T6_T7_T9_mT8_P12ihipStream_tbDpT10_ENKUlT_T0_E_clISt17integral_constantIbLb0EES19_IbLb1EEEEDaS15_S16_EUlS15_E_NS1_11comp_targetILNS1_3genE4ELNS1_11target_archE910ELNS1_3gpuE8ELNS1_3repE0EEENS1_30default_config_static_selectorELNS0_4arch9wavefront6targetE1EEEvT1_ ; -- Begin function _ZN7rocprim17ROCPRIM_400000_NS6detail17trampoline_kernelINS0_14default_configENS1_25partition_config_selectorILNS1_17partition_subalgoE8EsNS0_10empty_typeEbEEZZNS1_14partition_implILS5_8ELb0ES3_jN6thrust23THRUST_200600_302600_NS6detail15normal_iteratorINSA_10device_ptrIsEEEEPS6_PKS6_NS0_5tupleIJSF_S6_EEENSJ_IJSG_SG_EEENS0_18inequality_wrapperINSA_8equal_toIsEEEEPmJS6_EEE10hipError_tPvRmT3_T4_T5_T6_T7_T9_mT8_P12ihipStream_tbDpT10_ENKUlT_T0_E_clISt17integral_constantIbLb0EES19_IbLb1EEEEDaS15_S16_EUlS15_E_NS1_11comp_targetILNS1_3genE4ELNS1_11target_archE910ELNS1_3gpuE8ELNS1_3repE0EEENS1_30default_config_static_selectorELNS0_4arch9wavefront6targetE1EEEvT1_
	.globl	_ZN7rocprim17ROCPRIM_400000_NS6detail17trampoline_kernelINS0_14default_configENS1_25partition_config_selectorILNS1_17partition_subalgoE8EsNS0_10empty_typeEbEEZZNS1_14partition_implILS5_8ELb0ES3_jN6thrust23THRUST_200600_302600_NS6detail15normal_iteratorINSA_10device_ptrIsEEEEPS6_PKS6_NS0_5tupleIJSF_S6_EEENSJ_IJSG_SG_EEENS0_18inequality_wrapperINSA_8equal_toIsEEEEPmJS6_EEE10hipError_tPvRmT3_T4_T5_T6_T7_T9_mT8_P12ihipStream_tbDpT10_ENKUlT_T0_E_clISt17integral_constantIbLb0EES19_IbLb1EEEEDaS15_S16_EUlS15_E_NS1_11comp_targetILNS1_3genE4ELNS1_11target_archE910ELNS1_3gpuE8ELNS1_3repE0EEENS1_30default_config_static_selectorELNS0_4arch9wavefront6targetE1EEEvT1_
	.p2align	8
	.type	_ZN7rocprim17ROCPRIM_400000_NS6detail17trampoline_kernelINS0_14default_configENS1_25partition_config_selectorILNS1_17partition_subalgoE8EsNS0_10empty_typeEbEEZZNS1_14partition_implILS5_8ELb0ES3_jN6thrust23THRUST_200600_302600_NS6detail15normal_iteratorINSA_10device_ptrIsEEEEPS6_PKS6_NS0_5tupleIJSF_S6_EEENSJ_IJSG_SG_EEENS0_18inequality_wrapperINSA_8equal_toIsEEEEPmJS6_EEE10hipError_tPvRmT3_T4_T5_T6_T7_T9_mT8_P12ihipStream_tbDpT10_ENKUlT_T0_E_clISt17integral_constantIbLb0EES19_IbLb1EEEEDaS15_S16_EUlS15_E_NS1_11comp_targetILNS1_3genE4ELNS1_11target_archE910ELNS1_3gpuE8ELNS1_3repE0EEENS1_30default_config_static_selectorELNS0_4arch9wavefront6targetE1EEEvT1_,@function
_ZN7rocprim17ROCPRIM_400000_NS6detail17trampoline_kernelINS0_14default_configENS1_25partition_config_selectorILNS1_17partition_subalgoE8EsNS0_10empty_typeEbEEZZNS1_14partition_implILS5_8ELb0ES3_jN6thrust23THRUST_200600_302600_NS6detail15normal_iteratorINSA_10device_ptrIsEEEEPS6_PKS6_NS0_5tupleIJSF_S6_EEENSJ_IJSG_SG_EEENS0_18inequality_wrapperINSA_8equal_toIsEEEEPmJS6_EEE10hipError_tPvRmT3_T4_T5_T6_T7_T9_mT8_P12ihipStream_tbDpT10_ENKUlT_T0_E_clISt17integral_constantIbLb0EES19_IbLb1EEEEDaS15_S16_EUlS15_E_NS1_11comp_targetILNS1_3genE4ELNS1_11target_archE910ELNS1_3gpuE8ELNS1_3repE0EEENS1_30default_config_static_selectorELNS0_4arch9wavefront6targetE1EEEvT1_: ; @_ZN7rocprim17ROCPRIM_400000_NS6detail17trampoline_kernelINS0_14default_configENS1_25partition_config_selectorILNS1_17partition_subalgoE8EsNS0_10empty_typeEbEEZZNS1_14partition_implILS5_8ELb0ES3_jN6thrust23THRUST_200600_302600_NS6detail15normal_iteratorINSA_10device_ptrIsEEEEPS6_PKS6_NS0_5tupleIJSF_S6_EEENSJ_IJSG_SG_EEENS0_18inequality_wrapperINSA_8equal_toIsEEEEPmJS6_EEE10hipError_tPvRmT3_T4_T5_T6_T7_T9_mT8_P12ihipStream_tbDpT10_ENKUlT_T0_E_clISt17integral_constantIbLb0EES19_IbLb1EEEEDaS15_S16_EUlS15_E_NS1_11comp_targetILNS1_3genE4ELNS1_11target_archE910ELNS1_3gpuE8ELNS1_3repE0EEENS1_30default_config_static_selectorELNS0_4arch9wavefront6targetE1EEEvT1_
; %bb.0:
	.section	.rodata,"a",@progbits
	.p2align	6, 0x0
	.amdhsa_kernel _ZN7rocprim17ROCPRIM_400000_NS6detail17trampoline_kernelINS0_14default_configENS1_25partition_config_selectorILNS1_17partition_subalgoE8EsNS0_10empty_typeEbEEZZNS1_14partition_implILS5_8ELb0ES3_jN6thrust23THRUST_200600_302600_NS6detail15normal_iteratorINSA_10device_ptrIsEEEEPS6_PKS6_NS0_5tupleIJSF_S6_EEENSJ_IJSG_SG_EEENS0_18inequality_wrapperINSA_8equal_toIsEEEEPmJS6_EEE10hipError_tPvRmT3_T4_T5_T6_T7_T9_mT8_P12ihipStream_tbDpT10_ENKUlT_T0_E_clISt17integral_constantIbLb0EES19_IbLb1EEEEDaS15_S16_EUlS15_E_NS1_11comp_targetILNS1_3genE4ELNS1_11target_archE910ELNS1_3gpuE8ELNS1_3repE0EEENS1_30default_config_static_selectorELNS0_4arch9wavefront6targetE1EEEvT1_
		.amdhsa_group_segment_fixed_size 0
		.amdhsa_private_segment_fixed_size 0
		.amdhsa_kernarg_size 128
		.amdhsa_user_sgpr_count 6
		.amdhsa_user_sgpr_private_segment_buffer 1
		.amdhsa_user_sgpr_dispatch_ptr 0
		.amdhsa_user_sgpr_queue_ptr 0
		.amdhsa_user_sgpr_kernarg_segment_ptr 1
		.amdhsa_user_sgpr_dispatch_id 0
		.amdhsa_user_sgpr_flat_scratch_init 0
		.amdhsa_user_sgpr_private_segment_size 0
		.amdhsa_uses_dynamic_stack 0
		.amdhsa_system_sgpr_private_segment_wavefront_offset 0
		.amdhsa_system_sgpr_workgroup_id_x 1
		.amdhsa_system_sgpr_workgroup_id_y 0
		.amdhsa_system_sgpr_workgroup_id_z 0
		.amdhsa_system_sgpr_workgroup_info 0
		.amdhsa_system_vgpr_workitem_id 0
		.amdhsa_next_free_vgpr 1
		.amdhsa_next_free_sgpr 0
		.amdhsa_reserve_vcc 0
		.amdhsa_reserve_flat_scratch 0
		.amdhsa_float_round_mode_32 0
		.amdhsa_float_round_mode_16_64 0
		.amdhsa_float_denorm_mode_32 3
		.amdhsa_float_denorm_mode_16_64 3
		.amdhsa_dx10_clamp 1
		.amdhsa_ieee_mode 1
		.amdhsa_fp16_overflow 0
		.amdhsa_exception_fp_ieee_invalid_op 0
		.amdhsa_exception_fp_denorm_src 0
		.amdhsa_exception_fp_ieee_div_zero 0
		.amdhsa_exception_fp_ieee_overflow 0
		.amdhsa_exception_fp_ieee_underflow 0
		.amdhsa_exception_fp_ieee_inexact 0
		.amdhsa_exception_int_div_zero 0
	.end_amdhsa_kernel
	.section	.text._ZN7rocprim17ROCPRIM_400000_NS6detail17trampoline_kernelINS0_14default_configENS1_25partition_config_selectorILNS1_17partition_subalgoE8EsNS0_10empty_typeEbEEZZNS1_14partition_implILS5_8ELb0ES3_jN6thrust23THRUST_200600_302600_NS6detail15normal_iteratorINSA_10device_ptrIsEEEEPS6_PKS6_NS0_5tupleIJSF_S6_EEENSJ_IJSG_SG_EEENS0_18inequality_wrapperINSA_8equal_toIsEEEEPmJS6_EEE10hipError_tPvRmT3_T4_T5_T6_T7_T9_mT8_P12ihipStream_tbDpT10_ENKUlT_T0_E_clISt17integral_constantIbLb0EES19_IbLb1EEEEDaS15_S16_EUlS15_E_NS1_11comp_targetILNS1_3genE4ELNS1_11target_archE910ELNS1_3gpuE8ELNS1_3repE0EEENS1_30default_config_static_selectorELNS0_4arch9wavefront6targetE1EEEvT1_,"axG",@progbits,_ZN7rocprim17ROCPRIM_400000_NS6detail17trampoline_kernelINS0_14default_configENS1_25partition_config_selectorILNS1_17partition_subalgoE8EsNS0_10empty_typeEbEEZZNS1_14partition_implILS5_8ELb0ES3_jN6thrust23THRUST_200600_302600_NS6detail15normal_iteratorINSA_10device_ptrIsEEEEPS6_PKS6_NS0_5tupleIJSF_S6_EEENSJ_IJSG_SG_EEENS0_18inequality_wrapperINSA_8equal_toIsEEEEPmJS6_EEE10hipError_tPvRmT3_T4_T5_T6_T7_T9_mT8_P12ihipStream_tbDpT10_ENKUlT_T0_E_clISt17integral_constantIbLb0EES19_IbLb1EEEEDaS15_S16_EUlS15_E_NS1_11comp_targetILNS1_3genE4ELNS1_11target_archE910ELNS1_3gpuE8ELNS1_3repE0EEENS1_30default_config_static_selectorELNS0_4arch9wavefront6targetE1EEEvT1_,comdat
.Lfunc_end495:
	.size	_ZN7rocprim17ROCPRIM_400000_NS6detail17trampoline_kernelINS0_14default_configENS1_25partition_config_selectorILNS1_17partition_subalgoE8EsNS0_10empty_typeEbEEZZNS1_14partition_implILS5_8ELb0ES3_jN6thrust23THRUST_200600_302600_NS6detail15normal_iteratorINSA_10device_ptrIsEEEEPS6_PKS6_NS0_5tupleIJSF_S6_EEENSJ_IJSG_SG_EEENS0_18inequality_wrapperINSA_8equal_toIsEEEEPmJS6_EEE10hipError_tPvRmT3_T4_T5_T6_T7_T9_mT8_P12ihipStream_tbDpT10_ENKUlT_T0_E_clISt17integral_constantIbLb0EES19_IbLb1EEEEDaS15_S16_EUlS15_E_NS1_11comp_targetILNS1_3genE4ELNS1_11target_archE910ELNS1_3gpuE8ELNS1_3repE0EEENS1_30default_config_static_selectorELNS0_4arch9wavefront6targetE1EEEvT1_, .Lfunc_end495-_ZN7rocprim17ROCPRIM_400000_NS6detail17trampoline_kernelINS0_14default_configENS1_25partition_config_selectorILNS1_17partition_subalgoE8EsNS0_10empty_typeEbEEZZNS1_14partition_implILS5_8ELb0ES3_jN6thrust23THRUST_200600_302600_NS6detail15normal_iteratorINSA_10device_ptrIsEEEEPS6_PKS6_NS0_5tupleIJSF_S6_EEENSJ_IJSG_SG_EEENS0_18inequality_wrapperINSA_8equal_toIsEEEEPmJS6_EEE10hipError_tPvRmT3_T4_T5_T6_T7_T9_mT8_P12ihipStream_tbDpT10_ENKUlT_T0_E_clISt17integral_constantIbLb0EES19_IbLb1EEEEDaS15_S16_EUlS15_E_NS1_11comp_targetILNS1_3genE4ELNS1_11target_archE910ELNS1_3gpuE8ELNS1_3repE0EEENS1_30default_config_static_selectorELNS0_4arch9wavefront6targetE1EEEvT1_
                                        ; -- End function
	.set _ZN7rocprim17ROCPRIM_400000_NS6detail17trampoline_kernelINS0_14default_configENS1_25partition_config_selectorILNS1_17partition_subalgoE8EsNS0_10empty_typeEbEEZZNS1_14partition_implILS5_8ELb0ES3_jN6thrust23THRUST_200600_302600_NS6detail15normal_iteratorINSA_10device_ptrIsEEEEPS6_PKS6_NS0_5tupleIJSF_S6_EEENSJ_IJSG_SG_EEENS0_18inequality_wrapperINSA_8equal_toIsEEEEPmJS6_EEE10hipError_tPvRmT3_T4_T5_T6_T7_T9_mT8_P12ihipStream_tbDpT10_ENKUlT_T0_E_clISt17integral_constantIbLb0EES19_IbLb1EEEEDaS15_S16_EUlS15_E_NS1_11comp_targetILNS1_3genE4ELNS1_11target_archE910ELNS1_3gpuE8ELNS1_3repE0EEENS1_30default_config_static_selectorELNS0_4arch9wavefront6targetE1EEEvT1_.num_vgpr, 0
	.set _ZN7rocprim17ROCPRIM_400000_NS6detail17trampoline_kernelINS0_14default_configENS1_25partition_config_selectorILNS1_17partition_subalgoE8EsNS0_10empty_typeEbEEZZNS1_14partition_implILS5_8ELb0ES3_jN6thrust23THRUST_200600_302600_NS6detail15normal_iteratorINSA_10device_ptrIsEEEEPS6_PKS6_NS0_5tupleIJSF_S6_EEENSJ_IJSG_SG_EEENS0_18inequality_wrapperINSA_8equal_toIsEEEEPmJS6_EEE10hipError_tPvRmT3_T4_T5_T6_T7_T9_mT8_P12ihipStream_tbDpT10_ENKUlT_T0_E_clISt17integral_constantIbLb0EES19_IbLb1EEEEDaS15_S16_EUlS15_E_NS1_11comp_targetILNS1_3genE4ELNS1_11target_archE910ELNS1_3gpuE8ELNS1_3repE0EEENS1_30default_config_static_selectorELNS0_4arch9wavefront6targetE1EEEvT1_.num_agpr, 0
	.set _ZN7rocprim17ROCPRIM_400000_NS6detail17trampoline_kernelINS0_14default_configENS1_25partition_config_selectorILNS1_17partition_subalgoE8EsNS0_10empty_typeEbEEZZNS1_14partition_implILS5_8ELb0ES3_jN6thrust23THRUST_200600_302600_NS6detail15normal_iteratorINSA_10device_ptrIsEEEEPS6_PKS6_NS0_5tupleIJSF_S6_EEENSJ_IJSG_SG_EEENS0_18inequality_wrapperINSA_8equal_toIsEEEEPmJS6_EEE10hipError_tPvRmT3_T4_T5_T6_T7_T9_mT8_P12ihipStream_tbDpT10_ENKUlT_T0_E_clISt17integral_constantIbLb0EES19_IbLb1EEEEDaS15_S16_EUlS15_E_NS1_11comp_targetILNS1_3genE4ELNS1_11target_archE910ELNS1_3gpuE8ELNS1_3repE0EEENS1_30default_config_static_selectorELNS0_4arch9wavefront6targetE1EEEvT1_.numbered_sgpr, 0
	.set _ZN7rocprim17ROCPRIM_400000_NS6detail17trampoline_kernelINS0_14default_configENS1_25partition_config_selectorILNS1_17partition_subalgoE8EsNS0_10empty_typeEbEEZZNS1_14partition_implILS5_8ELb0ES3_jN6thrust23THRUST_200600_302600_NS6detail15normal_iteratorINSA_10device_ptrIsEEEEPS6_PKS6_NS0_5tupleIJSF_S6_EEENSJ_IJSG_SG_EEENS0_18inequality_wrapperINSA_8equal_toIsEEEEPmJS6_EEE10hipError_tPvRmT3_T4_T5_T6_T7_T9_mT8_P12ihipStream_tbDpT10_ENKUlT_T0_E_clISt17integral_constantIbLb0EES19_IbLb1EEEEDaS15_S16_EUlS15_E_NS1_11comp_targetILNS1_3genE4ELNS1_11target_archE910ELNS1_3gpuE8ELNS1_3repE0EEENS1_30default_config_static_selectorELNS0_4arch9wavefront6targetE1EEEvT1_.num_named_barrier, 0
	.set _ZN7rocprim17ROCPRIM_400000_NS6detail17trampoline_kernelINS0_14default_configENS1_25partition_config_selectorILNS1_17partition_subalgoE8EsNS0_10empty_typeEbEEZZNS1_14partition_implILS5_8ELb0ES3_jN6thrust23THRUST_200600_302600_NS6detail15normal_iteratorINSA_10device_ptrIsEEEEPS6_PKS6_NS0_5tupleIJSF_S6_EEENSJ_IJSG_SG_EEENS0_18inequality_wrapperINSA_8equal_toIsEEEEPmJS6_EEE10hipError_tPvRmT3_T4_T5_T6_T7_T9_mT8_P12ihipStream_tbDpT10_ENKUlT_T0_E_clISt17integral_constantIbLb0EES19_IbLb1EEEEDaS15_S16_EUlS15_E_NS1_11comp_targetILNS1_3genE4ELNS1_11target_archE910ELNS1_3gpuE8ELNS1_3repE0EEENS1_30default_config_static_selectorELNS0_4arch9wavefront6targetE1EEEvT1_.private_seg_size, 0
	.set _ZN7rocprim17ROCPRIM_400000_NS6detail17trampoline_kernelINS0_14default_configENS1_25partition_config_selectorILNS1_17partition_subalgoE8EsNS0_10empty_typeEbEEZZNS1_14partition_implILS5_8ELb0ES3_jN6thrust23THRUST_200600_302600_NS6detail15normal_iteratorINSA_10device_ptrIsEEEEPS6_PKS6_NS0_5tupleIJSF_S6_EEENSJ_IJSG_SG_EEENS0_18inequality_wrapperINSA_8equal_toIsEEEEPmJS6_EEE10hipError_tPvRmT3_T4_T5_T6_T7_T9_mT8_P12ihipStream_tbDpT10_ENKUlT_T0_E_clISt17integral_constantIbLb0EES19_IbLb1EEEEDaS15_S16_EUlS15_E_NS1_11comp_targetILNS1_3genE4ELNS1_11target_archE910ELNS1_3gpuE8ELNS1_3repE0EEENS1_30default_config_static_selectorELNS0_4arch9wavefront6targetE1EEEvT1_.uses_vcc, 0
	.set _ZN7rocprim17ROCPRIM_400000_NS6detail17trampoline_kernelINS0_14default_configENS1_25partition_config_selectorILNS1_17partition_subalgoE8EsNS0_10empty_typeEbEEZZNS1_14partition_implILS5_8ELb0ES3_jN6thrust23THRUST_200600_302600_NS6detail15normal_iteratorINSA_10device_ptrIsEEEEPS6_PKS6_NS0_5tupleIJSF_S6_EEENSJ_IJSG_SG_EEENS0_18inequality_wrapperINSA_8equal_toIsEEEEPmJS6_EEE10hipError_tPvRmT3_T4_T5_T6_T7_T9_mT8_P12ihipStream_tbDpT10_ENKUlT_T0_E_clISt17integral_constantIbLb0EES19_IbLb1EEEEDaS15_S16_EUlS15_E_NS1_11comp_targetILNS1_3genE4ELNS1_11target_archE910ELNS1_3gpuE8ELNS1_3repE0EEENS1_30default_config_static_selectorELNS0_4arch9wavefront6targetE1EEEvT1_.uses_flat_scratch, 0
	.set _ZN7rocprim17ROCPRIM_400000_NS6detail17trampoline_kernelINS0_14default_configENS1_25partition_config_selectorILNS1_17partition_subalgoE8EsNS0_10empty_typeEbEEZZNS1_14partition_implILS5_8ELb0ES3_jN6thrust23THRUST_200600_302600_NS6detail15normal_iteratorINSA_10device_ptrIsEEEEPS6_PKS6_NS0_5tupleIJSF_S6_EEENSJ_IJSG_SG_EEENS0_18inequality_wrapperINSA_8equal_toIsEEEEPmJS6_EEE10hipError_tPvRmT3_T4_T5_T6_T7_T9_mT8_P12ihipStream_tbDpT10_ENKUlT_T0_E_clISt17integral_constantIbLb0EES19_IbLb1EEEEDaS15_S16_EUlS15_E_NS1_11comp_targetILNS1_3genE4ELNS1_11target_archE910ELNS1_3gpuE8ELNS1_3repE0EEENS1_30default_config_static_selectorELNS0_4arch9wavefront6targetE1EEEvT1_.has_dyn_sized_stack, 0
	.set _ZN7rocprim17ROCPRIM_400000_NS6detail17trampoline_kernelINS0_14default_configENS1_25partition_config_selectorILNS1_17partition_subalgoE8EsNS0_10empty_typeEbEEZZNS1_14partition_implILS5_8ELb0ES3_jN6thrust23THRUST_200600_302600_NS6detail15normal_iteratorINSA_10device_ptrIsEEEEPS6_PKS6_NS0_5tupleIJSF_S6_EEENSJ_IJSG_SG_EEENS0_18inequality_wrapperINSA_8equal_toIsEEEEPmJS6_EEE10hipError_tPvRmT3_T4_T5_T6_T7_T9_mT8_P12ihipStream_tbDpT10_ENKUlT_T0_E_clISt17integral_constantIbLb0EES19_IbLb1EEEEDaS15_S16_EUlS15_E_NS1_11comp_targetILNS1_3genE4ELNS1_11target_archE910ELNS1_3gpuE8ELNS1_3repE0EEENS1_30default_config_static_selectorELNS0_4arch9wavefront6targetE1EEEvT1_.has_recursion, 0
	.set _ZN7rocprim17ROCPRIM_400000_NS6detail17trampoline_kernelINS0_14default_configENS1_25partition_config_selectorILNS1_17partition_subalgoE8EsNS0_10empty_typeEbEEZZNS1_14partition_implILS5_8ELb0ES3_jN6thrust23THRUST_200600_302600_NS6detail15normal_iteratorINSA_10device_ptrIsEEEEPS6_PKS6_NS0_5tupleIJSF_S6_EEENSJ_IJSG_SG_EEENS0_18inequality_wrapperINSA_8equal_toIsEEEEPmJS6_EEE10hipError_tPvRmT3_T4_T5_T6_T7_T9_mT8_P12ihipStream_tbDpT10_ENKUlT_T0_E_clISt17integral_constantIbLb0EES19_IbLb1EEEEDaS15_S16_EUlS15_E_NS1_11comp_targetILNS1_3genE4ELNS1_11target_archE910ELNS1_3gpuE8ELNS1_3repE0EEENS1_30default_config_static_selectorELNS0_4arch9wavefront6targetE1EEEvT1_.has_indirect_call, 0
	.section	.AMDGPU.csdata,"",@progbits
; Kernel info:
; codeLenInByte = 0
; TotalNumSgprs: 4
; NumVgprs: 0
; ScratchSize: 0
; MemoryBound: 0
; FloatMode: 240
; IeeeMode: 1
; LDSByteSize: 0 bytes/workgroup (compile time only)
; SGPRBlocks: 0
; VGPRBlocks: 0
; NumSGPRsForWavesPerEU: 4
; NumVGPRsForWavesPerEU: 1
; Occupancy: 10
; WaveLimiterHint : 0
; COMPUTE_PGM_RSRC2:SCRATCH_EN: 0
; COMPUTE_PGM_RSRC2:USER_SGPR: 6
; COMPUTE_PGM_RSRC2:TRAP_HANDLER: 0
; COMPUTE_PGM_RSRC2:TGID_X_EN: 1
; COMPUTE_PGM_RSRC2:TGID_Y_EN: 0
; COMPUTE_PGM_RSRC2:TGID_Z_EN: 0
; COMPUTE_PGM_RSRC2:TIDIG_COMP_CNT: 0
	.section	.text._ZN7rocprim17ROCPRIM_400000_NS6detail17trampoline_kernelINS0_14default_configENS1_25partition_config_selectorILNS1_17partition_subalgoE8EsNS0_10empty_typeEbEEZZNS1_14partition_implILS5_8ELb0ES3_jN6thrust23THRUST_200600_302600_NS6detail15normal_iteratorINSA_10device_ptrIsEEEEPS6_PKS6_NS0_5tupleIJSF_S6_EEENSJ_IJSG_SG_EEENS0_18inequality_wrapperINSA_8equal_toIsEEEEPmJS6_EEE10hipError_tPvRmT3_T4_T5_T6_T7_T9_mT8_P12ihipStream_tbDpT10_ENKUlT_T0_E_clISt17integral_constantIbLb0EES19_IbLb1EEEEDaS15_S16_EUlS15_E_NS1_11comp_targetILNS1_3genE3ELNS1_11target_archE908ELNS1_3gpuE7ELNS1_3repE0EEENS1_30default_config_static_selectorELNS0_4arch9wavefront6targetE1EEEvT1_,"axG",@progbits,_ZN7rocprim17ROCPRIM_400000_NS6detail17trampoline_kernelINS0_14default_configENS1_25partition_config_selectorILNS1_17partition_subalgoE8EsNS0_10empty_typeEbEEZZNS1_14partition_implILS5_8ELb0ES3_jN6thrust23THRUST_200600_302600_NS6detail15normal_iteratorINSA_10device_ptrIsEEEEPS6_PKS6_NS0_5tupleIJSF_S6_EEENSJ_IJSG_SG_EEENS0_18inequality_wrapperINSA_8equal_toIsEEEEPmJS6_EEE10hipError_tPvRmT3_T4_T5_T6_T7_T9_mT8_P12ihipStream_tbDpT10_ENKUlT_T0_E_clISt17integral_constantIbLb0EES19_IbLb1EEEEDaS15_S16_EUlS15_E_NS1_11comp_targetILNS1_3genE3ELNS1_11target_archE908ELNS1_3gpuE7ELNS1_3repE0EEENS1_30default_config_static_selectorELNS0_4arch9wavefront6targetE1EEEvT1_,comdat
	.protected	_ZN7rocprim17ROCPRIM_400000_NS6detail17trampoline_kernelINS0_14default_configENS1_25partition_config_selectorILNS1_17partition_subalgoE8EsNS0_10empty_typeEbEEZZNS1_14partition_implILS5_8ELb0ES3_jN6thrust23THRUST_200600_302600_NS6detail15normal_iteratorINSA_10device_ptrIsEEEEPS6_PKS6_NS0_5tupleIJSF_S6_EEENSJ_IJSG_SG_EEENS0_18inequality_wrapperINSA_8equal_toIsEEEEPmJS6_EEE10hipError_tPvRmT3_T4_T5_T6_T7_T9_mT8_P12ihipStream_tbDpT10_ENKUlT_T0_E_clISt17integral_constantIbLb0EES19_IbLb1EEEEDaS15_S16_EUlS15_E_NS1_11comp_targetILNS1_3genE3ELNS1_11target_archE908ELNS1_3gpuE7ELNS1_3repE0EEENS1_30default_config_static_selectorELNS0_4arch9wavefront6targetE1EEEvT1_ ; -- Begin function _ZN7rocprim17ROCPRIM_400000_NS6detail17trampoline_kernelINS0_14default_configENS1_25partition_config_selectorILNS1_17partition_subalgoE8EsNS0_10empty_typeEbEEZZNS1_14partition_implILS5_8ELb0ES3_jN6thrust23THRUST_200600_302600_NS6detail15normal_iteratorINSA_10device_ptrIsEEEEPS6_PKS6_NS0_5tupleIJSF_S6_EEENSJ_IJSG_SG_EEENS0_18inequality_wrapperINSA_8equal_toIsEEEEPmJS6_EEE10hipError_tPvRmT3_T4_T5_T6_T7_T9_mT8_P12ihipStream_tbDpT10_ENKUlT_T0_E_clISt17integral_constantIbLb0EES19_IbLb1EEEEDaS15_S16_EUlS15_E_NS1_11comp_targetILNS1_3genE3ELNS1_11target_archE908ELNS1_3gpuE7ELNS1_3repE0EEENS1_30default_config_static_selectorELNS0_4arch9wavefront6targetE1EEEvT1_
	.globl	_ZN7rocprim17ROCPRIM_400000_NS6detail17trampoline_kernelINS0_14default_configENS1_25partition_config_selectorILNS1_17partition_subalgoE8EsNS0_10empty_typeEbEEZZNS1_14partition_implILS5_8ELb0ES3_jN6thrust23THRUST_200600_302600_NS6detail15normal_iteratorINSA_10device_ptrIsEEEEPS6_PKS6_NS0_5tupleIJSF_S6_EEENSJ_IJSG_SG_EEENS0_18inequality_wrapperINSA_8equal_toIsEEEEPmJS6_EEE10hipError_tPvRmT3_T4_T5_T6_T7_T9_mT8_P12ihipStream_tbDpT10_ENKUlT_T0_E_clISt17integral_constantIbLb0EES19_IbLb1EEEEDaS15_S16_EUlS15_E_NS1_11comp_targetILNS1_3genE3ELNS1_11target_archE908ELNS1_3gpuE7ELNS1_3repE0EEENS1_30default_config_static_selectorELNS0_4arch9wavefront6targetE1EEEvT1_
	.p2align	8
	.type	_ZN7rocprim17ROCPRIM_400000_NS6detail17trampoline_kernelINS0_14default_configENS1_25partition_config_selectorILNS1_17partition_subalgoE8EsNS0_10empty_typeEbEEZZNS1_14partition_implILS5_8ELb0ES3_jN6thrust23THRUST_200600_302600_NS6detail15normal_iteratorINSA_10device_ptrIsEEEEPS6_PKS6_NS0_5tupleIJSF_S6_EEENSJ_IJSG_SG_EEENS0_18inequality_wrapperINSA_8equal_toIsEEEEPmJS6_EEE10hipError_tPvRmT3_T4_T5_T6_T7_T9_mT8_P12ihipStream_tbDpT10_ENKUlT_T0_E_clISt17integral_constantIbLb0EES19_IbLb1EEEEDaS15_S16_EUlS15_E_NS1_11comp_targetILNS1_3genE3ELNS1_11target_archE908ELNS1_3gpuE7ELNS1_3repE0EEENS1_30default_config_static_selectorELNS0_4arch9wavefront6targetE1EEEvT1_,@function
_ZN7rocprim17ROCPRIM_400000_NS6detail17trampoline_kernelINS0_14default_configENS1_25partition_config_selectorILNS1_17partition_subalgoE8EsNS0_10empty_typeEbEEZZNS1_14partition_implILS5_8ELb0ES3_jN6thrust23THRUST_200600_302600_NS6detail15normal_iteratorINSA_10device_ptrIsEEEEPS6_PKS6_NS0_5tupleIJSF_S6_EEENSJ_IJSG_SG_EEENS0_18inequality_wrapperINSA_8equal_toIsEEEEPmJS6_EEE10hipError_tPvRmT3_T4_T5_T6_T7_T9_mT8_P12ihipStream_tbDpT10_ENKUlT_T0_E_clISt17integral_constantIbLb0EES19_IbLb1EEEEDaS15_S16_EUlS15_E_NS1_11comp_targetILNS1_3genE3ELNS1_11target_archE908ELNS1_3gpuE7ELNS1_3repE0EEENS1_30default_config_static_selectorELNS0_4arch9wavefront6targetE1EEEvT1_: ; @_ZN7rocprim17ROCPRIM_400000_NS6detail17trampoline_kernelINS0_14default_configENS1_25partition_config_selectorILNS1_17partition_subalgoE8EsNS0_10empty_typeEbEEZZNS1_14partition_implILS5_8ELb0ES3_jN6thrust23THRUST_200600_302600_NS6detail15normal_iteratorINSA_10device_ptrIsEEEEPS6_PKS6_NS0_5tupleIJSF_S6_EEENSJ_IJSG_SG_EEENS0_18inequality_wrapperINSA_8equal_toIsEEEEPmJS6_EEE10hipError_tPvRmT3_T4_T5_T6_T7_T9_mT8_P12ihipStream_tbDpT10_ENKUlT_T0_E_clISt17integral_constantIbLb0EES19_IbLb1EEEEDaS15_S16_EUlS15_E_NS1_11comp_targetILNS1_3genE3ELNS1_11target_archE908ELNS1_3gpuE7ELNS1_3repE0EEENS1_30default_config_static_selectorELNS0_4arch9wavefront6targetE1EEEvT1_
; %bb.0:
	.section	.rodata,"a",@progbits
	.p2align	6, 0x0
	.amdhsa_kernel _ZN7rocprim17ROCPRIM_400000_NS6detail17trampoline_kernelINS0_14default_configENS1_25partition_config_selectorILNS1_17partition_subalgoE8EsNS0_10empty_typeEbEEZZNS1_14partition_implILS5_8ELb0ES3_jN6thrust23THRUST_200600_302600_NS6detail15normal_iteratorINSA_10device_ptrIsEEEEPS6_PKS6_NS0_5tupleIJSF_S6_EEENSJ_IJSG_SG_EEENS0_18inequality_wrapperINSA_8equal_toIsEEEEPmJS6_EEE10hipError_tPvRmT3_T4_T5_T6_T7_T9_mT8_P12ihipStream_tbDpT10_ENKUlT_T0_E_clISt17integral_constantIbLb0EES19_IbLb1EEEEDaS15_S16_EUlS15_E_NS1_11comp_targetILNS1_3genE3ELNS1_11target_archE908ELNS1_3gpuE7ELNS1_3repE0EEENS1_30default_config_static_selectorELNS0_4arch9wavefront6targetE1EEEvT1_
		.amdhsa_group_segment_fixed_size 0
		.amdhsa_private_segment_fixed_size 0
		.amdhsa_kernarg_size 128
		.amdhsa_user_sgpr_count 6
		.amdhsa_user_sgpr_private_segment_buffer 1
		.amdhsa_user_sgpr_dispatch_ptr 0
		.amdhsa_user_sgpr_queue_ptr 0
		.amdhsa_user_sgpr_kernarg_segment_ptr 1
		.amdhsa_user_sgpr_dispatch_id 0
		.amdhsa_user_sgpr_flat_scratch_init 0
		.amdhsa_user_sgpr_private_segment_size 0
		.amdhsa_uses_dynamic_stack 0
		.amdhsa_system_sgpr_private_segment_wavefront_offset 0
		.amdhsa_system_sgpr_workgroup_id_x 1
		.amdhsa_system_sgpr_workgroup_id_y 0
		.amdhsa_system_sgpr_workgroup_id_z 0
		.amdhsa_system_sgpr_workgroup_info 0
		.amdhsa_system_vgpr_workitem_id 0
		.amdhsa_next_free_vgpr 1
		.amdhsa_next_free_sgpr 0
		.amdhsa_reserve_vcc 0
		.amdhsa_reserve_flat_scratch 0
		.amdhsa_float_round_mode_32 0
		.amdhsa_float_round_mode_16_64 0
		.amdhsa_float_denorm_mode_32 3
		.amdhsa_float_denorm_mode_16_64 3
		.amdhsa_dx10_clamp 1
		.amdhsa_ieee_mode 1
		.amdhsa_fp16_overflow 0
		.amdhsa_exception_fp_ieee_invalid_op 0
		.amdhsa_exception_fp_denorm_src 0
		.amdhsa_exception_fp_ieee_div_zero 0
		.amdhsa_exception_fp_ieee_overflow 0
		.amdhsa_exception_fp_ieee_underflow 0
		.amdhsa_exception_fp_ieee_inexact 0
		.amdhsa_exception_int_div_zero 0
	.end_amdhsa_kernel
	.section	.text._ZN7rocprim17ROCPRIM_400000_NS6detail17trampoline_kernelINS0_14default_configENS1_25partition_config_selectorILNS1_17partition_subalgoE8EsNS0_10empty_typeEbEEZZNS1_14partition_implILS5_8ELb0ES3_jN6thrust23THRUST_200600_302600_NS6detail15normal_iteratorINSA_10device_ptrIsEEEEPS6_PKS6_NS0_5tupleIJSF_S6_EEENSJ_IJSG_SG_EEENS0_18inequality_wrapperINSA_8equal_toIsEEEEPmJS6_EEE10hipError_tPvRmT3_T4_T5_T6_T7_T9_mT8_P12ihipStream_tbDpT10_ENKUlT_T0_E_clISt17integral_constantIbLb0EES19_IbLb1EEEEDaS15_S16_EUlS15_E_NS1_11comp_targetILNS1_3genE3ELNS1_11target_archE908ELNS1_3gpuE7ELNS1_3repE0EEENS1_30default_config_static_selectorELNS0_4arch9wavefront6targetE1EEEvT1_,"axG",@progbits,_ZN7rocprim17ROCPRIM_400000_NS6detail17trampoline_kernelINS0_14default_configENS1_25partition_config_selectorILNS1_17partition_subalgoE8EsNS0_10empty_typeEbEEZZNS1_14partition_implILS5_8ELb0ES3_jN6thrust23THRUST_200600_302600_NS6detail15normal_iteratorINSA_10device_ptrIsEEEEPS6_PKS6_NS0_5tupleIJSF_S6_EEENSJ_IJSG_SG_EEENS0_18inequality_wrapperINSA_8equal_toIsEEEEPmJS6_EEE10hipError_tPvRmT3_T4_T5_T6_T7_T9_mT8_P12ihipStream_tbDpT10_ENKUlT_T0_E_clISt17integral_constantIbLb0EES19_IbLb1EEEEDaS15_S16_EUlS15_E_NS1_11comp_targetILNS1_3genE3ELNS1_11target_archE908ELNS1_3gpuE7ELNS1_3repE0EEENS1_30default_config_static_selectorELNS0_4arch9wavefront6targetE1EEEvT1_,comdat
.Lfunc_end496:
	.size	_ZN7rocprim17ROCPRIM_400000_NS6detail17trampoline_kernelINS0_14default_configENS1_25partition_config_selectorILNS1_17partition_subalgoE8EsNS0_10empty_typeEbEEZZNS1_14partition_implILS5_8ELb0ES3_jN6thrust23THRUST_200600_302600_NS6detail15normal_iteratorINSA_10device_ptrIsEEEEPS6_PKS6_NS0_5tupleIJSF_S6_EEENSJ_IJSG_SG_EEENS0_18inequality_wrapperINSA_8equal_toIsEEEEPmJS6_EEE10hipError_tPvRmT3_T4_T5_T6_T7_T9_mT8_P12ihipStream_tbDpT10_ENKUlT_T0_E_clISt17integral_constantIbLb0EES19_IbLb1EEEEDaS15_S16_EUlS15_E_NS1_11comp_targetILNS1_3genE3ELNS1_11target_archE908ELNS1_3gpuE7ELNS1_3repE0EEENS1_30default_config_static_selectorELNS0_4arch9wavefront6targetE1EEEvT1_, .Lfunc_end496-_ZN7rocprim17ROCPRIM_400000_NS6detail17trampoline_kernelINS0_14default_configENS1_25partition_config_selectorILNS1_17partition_subalgoE8EsNS0_10empty_typeEbEEZZNS1_14partition_implILS5_8ELb0ES3_jN6thrust23THRUST_200600_302600_NS6detail15normal_iteratorINSA_10device_ptrIsEEEEPS6_PKS6_NS0_5tupleIJSF_S6_EEENSJ_IJSG_SG_EEENS0_18inequality_wrapperINSA_8equal_toIsEEEEPmJS6_EEE10hipError_tPvRmT3_T4_T5_T6_T7_T9_mT8_P12ihipStream_tbDpT10_ENKUlT_T0_E_clISt17integral_constantIbLb0EES19_IbLb1EEEEDaS15_S16_EUlS15_E_NS1_11comp_targetILNS1_3genE3ELNS1_11target_archE908ELNS1_3gpuE7ELNS1_3repE0EEENS1_30default_config_static_selectorELNS0_4arch9wavefront6targetE1EEEvT1_
                                        ; -- End function
	.set _ZN7rocprim17ROCPRIM_400000_NS6detail17trampoline_kernelINS0_14default_configENS1_25partition_config_selectorILNS1_17partition_subalgoE8EsNS0_10empty_typeEbEEZZNS1_14partition_implILS5_8ELb0ES3_jN6thrust23THRUST_200600_302600_NS6detail15normal_iteratorINSA_10device_ptrIsEEEEPS6_PKS6_NS0_5tupleIJSF_S6_EEENSJ_IJSG_SG_EEENS0_18inequality_wrapperINSA_8equal_toIsEEEEPmJS6_EEE10hipError_tPvRmT3_T4_T5_T6_T7_T9_mT8_P12ihipStream_tbDpT10_ENKUlT_T0_E_clISt17integral_constantIbLb0EES19_IbLb1EEEEDaS15_S16_EUlS15_E_NS1_11comp_targetILNS1_3genE3ELNS1_11target_archE908ELNS1_3gpuE7ELNS1_3repE0EEENS1_30default_config_static_selectorELNS0_4arch9wavefront6targetE1EEEvT1_.num_vgpr, 0
	.set _ZN7rocprim17ROCPRIM_400000_NS6detail17trampoline_kernelINS0_14default_configENS1_25partition_config_selectorILNS1_17partition_subalgoE8EsNS0_10empty_typeEbEEZZNS1_14partition_implILS5_8ELb0ES3_jN6thrust23THRUST_200600_302600_NS6detail15normal_iteratorINSA_10device_ptrIsEEEEPS6_PKS6_NS0_5tupleIJSF_S6_EEENSJ_IJSG_SG_EEENS0_18inequality_wrapperINSA_8equal_toIsEEEEPmJS6_EEE10hipError_tPvRmT3_T4_T5_T6_T7_T9_mT8_P12ihipStream_tbDpT10_ENKUlT_T0_E_clISt17integral_constantIbLb0EES19_IbLb1EEEEDaS15_S16_EUlS15_E_NS1_11comp_targetILNS1_3genE3ELNS1_11target_archE908ELNS1_3gpuE7ELNS1_3repE0EEENS1_30default_config_static_selectorELNS0_4arch9wavefront6targetE1EEEvT1_.num_agpr, 0
	.set _ZN7rocprim17ROCPRIM_400000_NS6detail17trampoline_kernelINS0_14default_configENS1_25partition_config_selectorILNS1_17partition_subalgoE8EsNS0_10empty_typeEbEEZZNS1_14partition_implILS5_8ELb0ES3_jN6thrust23THRUST_200600_302600_NS6detail15normal_iteratorINSA_10device_ptrIsEEEEPS6_PKS6_NS0_5tupleIJSF_S6_EEENSJ_IJSG_SG_EEENS0_18inequality_wrapperINSA_8equal_toIsEEEEPmJS6_EEE10hipError_tPvRmT3_T4_T5_T6_T7_T9_mT8_P12ihipStream_tbDpT10_ENKUlT_T0_E_clISt17integral_constantIbLb0EES19_IbLb1EEEEDaS15_S16_EUlS15_E_NS1_11comp_targetILNS1_3genE3ELNS1_11target_archE908ELNS1_3gpuE7ELNS1_3repE0EEENS1_30default_config_static_selectorELNS0_4arch9wavefront6targetE1EEEvT1_.numbered_sgpr, 0
	.set _ZN7rocprim17ROCPRIM_400000_NS6detail17trampoline_kernelINS0_14default_configENS1_25partition_config_selectorILNS1_17partition_subalgoE8EsNS0_10empty_typeEbEEZZNS1_14partition_implILS5_8ELb0ES3_jN6thrust23THRUST_200600_302600_NS6detail15normal_iteratorINSA_10device_ptrIsEEEEPS6_PKS6_NS0_5tupleIJSF_S6_EEENSJ_IJSG_SG_EEENS0_18inequality_wrapperINSA_8equal_toIsEEEEPmJS6_EEE10hipError_tPvRmT3_T4_T5_T6_T7_T9_mT8_P12ihipStream_tbDpT10_ENKUlT_T0_E_clISt17integral_constantIbLb0EES19_IbLb1EEEEDaS15_S16_EUlS15_E_NS1_11comp_targetILNS1_3genE3ELNS1_11target_archE908ELNS1_3gpuE7ELNS1_3repE0EEENS1_30default_config_static_selectorELNS0_4arch9wavefront6targetE1EEEvT1_.num_named_barrier, 0
	.set _ZN7rocprim17ROCPRIM_400000_NS6detail17trampoline_kernelINS0_14default_configENS1_25partition_config_selectorILNS1_17partition_subalgoE8EsNS0_10empty_typeEbEEZZNS1_14partition_implILS5_8ELb0ES3_jN6thrust23THRUST_200600_302600_NS6detail15normal_iteratorINSA_10device_ptrIsEEEEPS6_PKS6_NS0_5tupleIJSF_S6_EEENSJ_IJSG_SG_EEENS0_18inequality_wrapperINSA_8equal_toIsEEEEPmJS6_EEE10hipError_tPvRmT3_T4_T5_T6_T7_T9_mT8_P12ihipStream_tbDpT10_ENKUlT_T0_E_clISt17integral_constantIbLb0EES19_IbLb1EEEEDaS15_S16_EUlS15_E_NS1_11comp_targetILNS1_3genE3ELNS1_11target_archE908ELNS1_3gpuE7ELNS1_3repE0EEENS1_30default_config_static_selectorELNS0_4arch9wavefront6targetE1EEEvT1_.private_seg_size, 0
	.set _ZN7rocprim17ROCPRIM_400000_NS6detail17trampoline_kernelINS0_14default_configENS1_25partition_config_selectorILNS1_17partition_subalgoE8EsNS0_10empty_typeEbEEZZNS1_14partition_implILS5_8ELb0ES3_jN6thrust23THRUST_200600_302600_NS6detail15normal_iteratorINSA_10device_ptrIsEEEEPS6_PKS6_NS0_5tupleIJSF_S6_EEENSJ_IJSG_SG_EEENS0_18inequality_wrapperINSA_8equal_toIsEEEEPmJS6_EEE10hipError_tPvRmT3_T4_T5_T6_T7_T9_mT8_P12ihipStream_tbDpT10_ENKUlT_T0_E_clISt17integral_constantIbLb0EES19_IbLb1EEEEDaS15_S16_EUlS15_E_NS1_11comp_targetILNS1_3genE3ELNS1_11target_archE908ELNS1_3gpuE7ELNS1_3repE0EEENS1_30default_config_static_selectorELNS0_4arch9wavefront6targetE1EEEvT1_.uses_vcc, 0
	.set _ZN7rocprim17ROCPRIM_400000_NS6detail17trampoline_kernelINS0_14default_configENS1_25partition_config_selectorILNS1_17partition_subalgoE8EsNS0_10empty_typeEbEEZZNS1_14partition_implILS5_8ELb0ES3_jN6thrust23THRUST_200600_302600_NS6detail15normal_iteratorINSA_10device_ptrIsEEEEPS6_PKS6_NS0_5tupleIJSF_S6_EEENSJ_IJSG_SG_EEENS0_18inequality_wrapperINSA_8equal_toIsEEEEPmJS6_EEE10hipError_tPvRmT3_T4_T5_T6_T7_T9_mT8_P12ihipStream_tbDpT10_ENKUlT_T0_E_clISt17integral_constantIbLb0EES19_IbLb1EEEEDaS15_S16_EUlS15_E_NS1_11comp_targetILNS1_3genE3ELNS1_11target_archE908ELNS1_3gpuE7ELNS1_3repE0EEENS1_30default_config_static_selectorELNS0_4arch9wavefront6targetE1EEEvT1_.uses_flat_scratch, 0
	.set _ZN7rocprim17ROCPRIM_400000_NS6detail17trampoline_kernelINS0_14default_configENS1_25partition_config_selectorILNS1_17partition_subalgoE8EsNS0_10empty_typeEbEEZZNS1_14partition_implILS5_8ELb0ES3_jN6thrust23THRUST_200600_302600_NS6detail15normal_iteratorINSA_10device_ptrIsEEEEPS6_PKS6_NS0_5tupleIJSF_S6_EEENSJ_IJSG_SG_EEENS0_18inequality_wrapperINSA_8equal_toIsEEEEPmJS6_EEE10hipError_tPvRmT3_T4_T5_T6_T7_T9_mT8_P12ihipStream_tbDpT10_ENKUlT_T0_E_clISt17integral_constantIbLb0EES19_IbLb1EEEEDaS15_S16_EUlS15_E_NS1_11comp_targetILNS1_3genE3ELNS1_11target_archE908ELNS1_3gpuE7ELNS1_3repE0EEENS1_30default_config_static_selectorELNS0_4arch9wavefront6targetE1EEEvT1_.has_dyn_sized_stack, 0
	.set _ZN7rocprim17ROCPRIM_400000_NS6detail17trampoline_kernelINS0_14default_configENS1_25partition_config_selectorILNS1_17partition_subalgoE8EsNS0_10empty_typeEbEEZZNS1_14partition_implILS5_8ELb0ES3_jN6thrust23THRUST_200600_302600_NS6detail15normal_iteratorINSA_10device_ptrIsEEEEPS6_PKS6_NS0_5tupleIJSF_S6_EEENSJ_IJSG_SG_EEENS0_18inequality_wrapperINSA_8equal_toIsEEEEPmJS6_EEE10hipError_tPvRmT3_T4_T5_T6_T7_T9_mT8_P12ihipStream_tbDpT10_ENKUlT_T0_E_clISt17integral_constantIbLb0EES19_IbLb1EEEEDaS15_S16_EUlS15_E_NS1_11comp_targetILNS1_3genE3ELNS1_11target_archE908ELNS1_3gpuE7ELNS1_3repE0EEENS1_30default_config_static_selectorELNS0_4arch9wavefront6targetE1EEEvT1_.has_recursion, 0
	.set _ZN7rocprim17ROCPRIM_400000_NS6detail17trampoline_kernelINS0_14default_configENS1_25partition_config_selectorILNS1_17partition_subalgoE8EsNS0_10empty_typeEbEEZZNS1_14partition_implILS5_8ELb0ES3_jN6thrust23THRUST_200600_302600_NS6detail15normal_iteratorINSA_10device_ptrIsEEEEPS6_PKS6_NS0_5tupleIJSF_S6_EEENSJ_IJSG_SG_EEENS0_18inequality_wrapperINSA_8equal_toIsEEEEPmJS6_EEE10hipError_tPvRmT3_T4_T5_T6_T7_T9_mT8_P12ihipStream_tbDpT10_ENKUlT_T0_E_clISt17integral_constantIbLb0EES19_IbLb1EEEEDaS15_S16_EUlS15_E_NS1_11comp_targetILNS1_3genE3ELNS1_11target_archE908ELNS1_3gpuE7ELNS1_3repE0EEENS1_30default_config_static_selectorELNS0_4arch9wavefront6targetE1EEEvT1_.has_indirect_call, 0
	.section	.AMDGPU.csdata,"",@progbits
; Kernel info:
; codeLenInByte = 0
; TotalNumSgprs: 4
; NumVgprs: 0
; ScratchSize: 0
; MemoryBound: 0
; FloatMode: 240
; IeeeMode: 1
; LDSByteSize: 0 bytes/workgroup (compile time only)
; SGPRBlocks: 0
; VGPRBlocks: 0
; NumSGPRsForWavesPerEU: 4
; NumVGPRsForWavesPerEU: 1
; Occupancy: 10
; WaveLimiterHint : 0
; COMPUTE_PGM_RSRC2:SCRATCH_EN: 0
; COMPUTE_PGM_RSRC2:USER_SGPR: 6
; COMPUTE_PGM_RSRC2:TRAP_HANDLER: 0
; COMPUTE_PGM_RSRC2:TGID_X_EN: 1
; COMPUTE_PGM_RSRC2:TGID_Y_EN: 0
; COMPUTE_PGM_RSRC2:TGID_Z_EN: 0
; COMPUTE_PGM_RSRC2:TIDIG_COMP_CNT: 0
	.section	.text._ZN7rocprim17ROCPRIM_400000_NS6detail17trampoline_kernelINS0_14default_configENS1_25partition_config_selectorILNS1_17partition_subalgoE8EsNS0_10empty_typeEbEEZZNS1_14partition_implILS5_8ELb0ES3_jN6thrust23THRUST_200600_302600_NS6detail15normal_iteratorINSA_10device_ptrIsEEEEPS6_PKS6_NS0_5tupleIJSF_S6_EEENSJ_IJSG_SG_EEENS0_18inequality_wrapperINSA_8equal_toIsEEEEPmJS6_EEE10hipError_tPvRmT3_T4_T5_T6_T7_T9_mT8_P12ihipStream_tbDpT10_ENKUlT_T0_E_clISt17integral_constantIbLb0EES19_IbLb1EEEEDaS15_S16_EUlS15_E_NS1_11comp_targetILNS1_3genE2ELNS1_11target_archE906ELNS1_3gpuE6ELNS1_3repE0EEENS1_30default_config_static_selectorELNS0_4arch9wavefront6targetE1EEEvT1_,"axG",@progbits,_ZN7rocprim17ROCPRIM_400000_NS6detail17trampoline_kernelINS0_14default_configENS1_25partition_config_selectorILNS1_17partition_subalgoE8EsNS0_10empty_typeEbEEZZNS1_14partition_implILS5_8ELb0ES3_jN6thrust23THRUST_200600_302600_NS6detail15normal_iteratorINSA_10device_ptrIsEEEEPS6_PKS6_NS0_5tupleIJSF_S6_EEENSJ_IJSG_SG_EEENS0_18inequality_wrapperINSA_8equal_toIsEEEEPmJS6_EEE10hipError_tPvRmT3_T4_T5_T6_T7_T9_mT8_P12ihipStream_tbDpT10_ENKUlT_T0_E_clISt17integral_constantIbLb0EES19_IbLb1EEEEDaS15_S16_EUlS15_E_NS1_11comp_targetILNS1_3genE2ELNS1_11target_archE906ELNS1_3gpuE6ELNS1_3repE0EEENS1_30default_config_static_selectorELNS0_4arch9wavefront6targetE1EEEvT1_,comdat
	.protected	_ZN7rocprim17ROCPRIM_400000_NS6detail17trampoline_kernelINS0_14default_configENS1_25partition_config_selectorILNS1_17partition_subalgoE8EsNS0_10empty_typeEbEEZZNS1_14partition_implILS5_8ELb0ES3_jN6thrust23THRUST_200600_302600_NS6detail15normal_iteratorINSA_10device_ptrIsEEEEPS6_PKS6_NS0_5tupleIJSF_S6_EEENSJ_IJSG_SG_EEENS0_18inequality_wrapperINSA_8equal_toIsEEEEPmJS6_EEE10hipError_tPvRmT3_T4_T5_T6_T7_T9_mT8_P12ihipStream_tbDpT10_ENKUlT_T0_E_clISt17integral_constantIbLb0EES19_IbLb1EEEEDaS15_S16_EUlS15_E_NS1_11comp_targetILNS1_3genE2ELNS1_11target_archE906ELNS1_3gpuE6ELNS1_3repE0EEENS1_30default_config_static_selectorELNS0_4arch9wavefront6targetE1EEEvT1_ ; -- Begin function _ZN7rocprim17ROCPRIM_400000_NS6detail17trampoline_kernelINS0_14default_configENS1_25partition_config_selectorILNS1_17partition_subalgoE8EsNS0_10empty_typeEbEEZZNS1_14partition_implILS5_8ELb0ES3_jN6thrust23THRUST_200600_302600_NS6detail15normal_iteratorINSA_10device_ptrIsEEEEPS6_PKS6_NS0_5tupleIJSF_S6_EEENSJ_IJSG_SG_EEENS0_18inequality_wrapperINSA_8equal_toIsEEEEPmJS6_EEE10hipError_tPvRmT3_T4_T5_T6_T7_T9_mT8_P12ihipStream_tbDpT10_ENKUlT_T0_E_clISt17integral_constantIbLb0EES19_IbLb1EEEEDaS15_S16_EUlS15_E_NS1_11comp_targetILNS1_3genE2ELNS1_11target_archE906ELNS1_3gpuE6ELNS1_3repE0EEENS1_30default_config_static_selectorELNS0_4arch9wavefront6targetE1EEEvT1_
	.globl	_ZN7rocprim17ROCPRIM_400000_NS6detail17trampoline_kernelINS0_14default_configENS1_25partition_config_selectorILNS1_17partition_subalgoE8EsNS0_10empty_typeEbEEZZNS1_14partition_implILS5_8ELb0ES3_jN6thrust23THRUST_200600_302600_NS6detail15normal_iteratorINSA_10device_ptrIsEEEEPS6_PKS6_NS0_5tupleIJSF_S6_EEENSJ_IJSG_SG_EEENS0_18inequality_wrapperINSA_8equal_toIsEEEEPmJS6_EEE10hipError_tPvRmT3_T4_T5_T6_T7_T9_mT8_P12ihipStream_tbDpT10_ENKUlT_T0_E_clISt17integral_constantIbLb0EES19_IbLb1EEEEDaS15_S16_EUlS15_E_NS1_11comp_targetILNS1_3genE2ELNS1_11target_archE906ELNS1_3gpuE6ELNS1_3repE0EEENS1_30default_config_static_selectorELNS0_4arch9wavefront6targetE1EEEvT1_
	.p2align	8
	.type	_ZN7rocprim17ROCPRIM_400000_NS6detail17trampoline_kernelINS0_14default_configENS1_25partition_config_selectorILNS1_17partition_subalgoE8EsNS0_10empty_typeEbEEZZNS1_14partition_implILS5_8ELb0ES3_jN6thrust23THRUST_200600_302600_NS6detail15normal_iteratorINSA_10device_ptrIsEEEEPS6_PKS6_NS0_5tupleIJSF_S6_EEENSJ_IJSG_SG_EEENS0_18inequality_wrapperINSA_8equal_toIsEEEEPmJS6_EEE10hipError_tPvRmT3_T4_T5_T6_T7_T9_mT8_P12ihipStream_tbDpT10_ENKUlT_T0_E_clISt17integral_constantIbLb0EES19_IbLb1EEEEDaS15_S16_EUlS15_E_NS1_11comp_targetILNS1_3genE2ELNS1_11target_archE906ELNS1_3gpuE6ELNS1_3repE0EEENS1_30default_config_static_selectorELNS0_4arch9wavefront6targetE1EEEvT1_,@function
_ZN7rocprim17ROCPRIM_400000_NS6detail17trampoline_kernelINS0_14default_configENS1_25partition_config_selectorILNS1_17partition_subalgoE8EsNS0_10empty_typeEbEEZZNS1_14partition_implILS5_8ELb0ES3_jN6thrust23THRUST_200600_302600_NS6detail15normal_iteratorINSA_10device_ptrIsEEEEPS6_PKS6_NS0_5tupleIJSF_S6_EEENSJ_IJSG_SG_EEENS0_18inequality_wrapperINSA_8equal_toIsEEEEPmJS6_EEE10hipError_tPvRmT3_T4_T5_T6_T7_T9_mT8_P12ihipStream_tbDpT10_ENKUlT_T0_E_clISt17integral_constantIbLb0EES19_IbLb1EEEEDaS15_S16_EUlS15_E_NS1_11comp_targetILNS1_3genE2ELNS1_11target_archE906ELNS1_3gpuE6ELNS1_3repE0EEENS1_30default_config_static_selectorELNS0_4arch9wavefront6targetE1EEEvT1_: ; @_ZN7rocprim17ROCPRIM_400000_NS6detail17trampoline_kernelINS0_14default_configENS1_25partition_config_selectorILNS1_17partition_subalgoE8EsNS0_10empty_typeEbEEZZNS1_14partition_implILS5_8ELb0ES3_jN6thrust23THRUST_200600_302600_NS6detail15normal_iteratorINSA_10device_ptrIsEEEEPS6_PKS6_NS0_5tupleIJSF_S6_EEENSJ_IJSG_SG_EEENS0_18inequality_wrapperINSA_8equal_toIsEEEEPmJS6_EEE10hipError_tPvRmT3_T4_T5_T6_T7_T9_mT8_P12ihipStream_tbDpT10_ENKUlT_T0_E_clISt17integral_constantIbLb0EES19_IbLb1EEEEDaS15_S16_EUlS15_E_NS1_11comp_targetILNS1_3genE2ELNS1_11target_archE906ELNS1_3gpuE6ELNS1_3repE0EEENS1_30default_config_static_selectorELNS0_4arch9wavefront6targetE1EEEvT1_
; %bb.0:
	s_load_dwordx2 s[44:45], s[4:5], 0x28
	s_load_dwordx4 s[40:43], s[4:5], 0x40
	s_load_dwordx2 s[6:7], s[4:5], 0x50
	s_load_dwordx2 s[48:49], s[4:5], 0x60
	v_cmp_ne_u32_e64 s[2:3], 0, v0
	v_cmp_eq_u32_e64 s[0:1], 0, v0
	s_and_saveexec_b64 s[8:9], s[0:1]
	s_cbranch_execz .LBB497_4
; %bb.1:
	s_mov_b64 s[12:13], exec
	v_mbcnt_lo_u32_b32 v1, s12, 0
	v_mbcnt_hi_u32_b32 v1, s13, v1
	v_cmp_eq_u32_e32 vcc, 0, v1
                                        ; implicit-def: $vgpr2
	s_and_saveexec_b64 s[10:11], vcc
	s_cbranch_execz .LBB497_3
; %bb.2:
	s_load_dwordx2 s[14:15], s[4:5], 0x70
	s_bcnt1_i32_b64 s12, s[12:13]
	v_mov_b32_e32 v2, 0
	v_mov_b32_e32 v3, s12
	s_waitcnt lgkmcnt(0)
	global_atomic_add v2, v2, v3, s[14:15] glc
.LBB497_3:
	s_or_b64 exec, exec, s[10:11]
	s_waitcnt vmcnt(0)
	v_readfirstlane_b32 s10, v2
	v_add_u32_e32 v1, s10, v1
	v_mov_b32_e32 v2, 0
	ds_write_b32 v2, v1
.LBB497_4:
	s_or_b64 exec, exec, s[8:9]
	v_mov_b32_e32 v2, 0
	s_load_dwordx4 s[8:11], s[4:5], 0x8
	s_load_dword s12, s[4:5], 0x68
	s_waitcnt lgkmcnt(0)
	s_barrier
	ds_read_b32 v1, v2
	s_waitcnt lgkmcnt(0)
	s_barrier
	global_load_dwordx2 v[17:18], v2, s[42:43]
	s_lshl_b64 s[4:5], s[10:11], 1
	s_add_u32 s8, s8, s4
	s_movk_i32 s4, 0xd80
	v_readfirstlane_b32 s33, v1
	v_mul_lo_u32 v1, v1, s4
	s_mul_i32 s4, s12, 0xd80
	s_addc_u32 s9, s9, s5
	s_add_i32 s5, s4, s10
	s_add_i32 s13, s12, -1
	s_sub_i32 s60, s6, s5
	s_add_u32 s4, s10, s4
	s_addc_u32 s5, s11, 0
	v_mov_b32_e32 v3, s4
	v_mov_b32_e32 v4, s5
	v_cmp_le_u64_e32 vcc, s[6:7], v[3:4]
	s_cmp_eq_u32 s33, s13
	v_lshlrev_b64 v[1:2], 1, v[1:2]
	s_cselect_b64 s[42:43], -1, 0
	s_and_b64 s[50:51], vcc, s[42:43]
	v_mov_b32_e32 v3, s9
	v_add_co_u32_e32 v19, vcc, s8, v1
	s_xor_b64 s[46:47], s[50:51], -1
	v_addc_co_u32_e32 v20, vcc, v3, v2, vcc
	s_mov_b64 s[4:5], -1
	s_and_b64 vcc, exec, s[46:47]
	v_lshlrev_b32_e32 v53, 1, v0
	s_cbranch_vccz .LBB497_6
; %bb.5:
	v_lshlrev_b32_e32 v5, 1, v0
	v_add_co_u32_e32 v1, vcc, v19, v5
	v_addc_co_u32_e32 v2, vcc, 0, v20, vcc
	v_add_co_u32_e32 v3, vcc, 0x1000, v1
	flat_load_ushort v6, v[1:2]
	flat_load_ushort v7, v[1:2] offset:384
	flat_load_ushort v8, v[1:2] offset:768
	;; [unrolled: 1-line block ×7, first 2 shown]
	v_addc_co_u32_e32 v4, vcc, 0, v2, vcc
	flat_load_ushort v14, v[1:2] offset:3072
	flat_load_ushort v15, v[1:2] offset:3456
	;; [unrolled: 1-line block ×10, first 2 shown]
	s_mov_b64 s[4:5], 0
	s_waitcnt vmcnt(0) lgkmcnt(0)
	ds_write_b16 v5, v6
	ds_write_b16 v5, v7 offset:384
	ds_write_b16 v5, v8 offset:768
	;; [unrolled: 1-line block ×17, first 2 shown]
	s_waitcnt lgkmcnt(0)
	s_barrier
.LBB497_6:
	s_andn2_b64 vcc, exec, s[4:5]
	s_addk_i32 s60, 0xd80
	s_cbranch_vccnz .LBB497_44
; %bb.7:
	v_mov_b32_e32 v1, 0
	v_cmp_gt_u32_e32 vcc, s60, v0
	v_mov_b32_e32 v2, v1
	v_mov_b32_e32 v3, v1
	;; [unrolled: 1-line block ×8, first 2 shown]
	s_and_saveexec_b64 s[4:5], vcc
	s_cbranch_execz .LBB497_9
; %bb.8:
	v_lshlrev_b32_e32 v2, 1, v0
	v_add_co_u32_e32 v2, vcc, v19, v2
	v_addc_co_u32_e32 v3, vcc, 0, v20, vcc
	flat_load_ushort v10, v[2:3]
	v_mov_b32_e32 v2, v1
	v_mov_b32_e32 v3, v1
	;; [unrolled: 1-line block ×8, first 2 shown]
	s_waitcnt vmcnt(0) lgkmcnt(0)
	v_and_b32_e32 v1, 0xffff, v10
.LBB497_9:
	s_or_b64 exec, exec, s[4:5]
	v_add_u32_e32 v10, 0xc0, v0
	v_cmp_gt_u32_e32 vcc, s60, v10
	s_and_saveexec_b64 s[4:5], vcc
	s_cbranch_execz .LBB497_11
; %bb.10:
	v_lshlrev_b32_e32 v10, 1, v0
	v_add_co_u32_e32 v10, vcc, v19, v10
	v_addc_co_u32_e32 v11, vcc, 0, v20, vcc
	flat_load_ushort v10, v[10:11] offset:384
	s_mov_b32 s6, 0x5040100
	s_waitcnt vmcnt(0) lgkmcnt(0)
	v_perm_b32 v1, v10, v1, s6
.LBB497_11:
	s_or_b64 exec, exec, s[4:5]
	v_add_u32_e32 v10, 0x180, v0
	v_cmp_gt_u32_e32 vcc, s60, v10
	s_and_saveexec_b64 s[4:5], vcc
	s_cbranch_execz .LBB497_13
; %bb.12:
	v_lshlrev_b32_e32 v10, 1, v0
	v_add_co_u32_e32 v10, vcc, v19, v10
	v_addc_co_u32_e32 v11, vcc, 0, v20, vcc
	flat_load_ushort v10, v[10:11] offset:768
	s_mov_b32 s6, 0xffff
	s_waitcnt vmcnt(0) lgkmcnt(0)
	v_bfi_b32 v2, s6, v10, v2
.LBB497_13:
	s_or_b64 exec, exec, s[4:5]
	v_add_u32_e32 v10, 0x240, v0
	v_cmp_gt_u32_e32 vcc, s60, v10
	s_and_saveexec_b64 s[4:5], vcc
	s_cbranch_execz .LBB497_15
; %bb.14:
	v_lshlrev_b32_e32 v10, 1, v0
	v_add_co_u32_e32 v10, vcc, v19, v10
	v_addc_co_u32_e32 v11, vcc, 0, v20, vcc
	flat_load_ushort v10, v[10:11] offset:1152
	s_mov_b32 s6, 0x5040100
	s_waitcnt vmcnt(0) lgkmcnt(0)
	v_perm_b32 v2, v10, v2, s6
.LBB497_15:
	s_or_b64 exec, exec, s[4:5]
	v_or_b32_e32 v10, 0x300, v0
	v_cmp_gt_u32_e32 vcc, s60, v10
	s_and_saveexec_b64 s[4:5], vcc
	s_cbranch_execz .LBB497_17
; %bb.16:
	v_lshlrev_b32_e32 v10, 1, v0
	v_add_co_u32_e32 v10, vcc, v19, v10
	v_addc_co_u32_e32 v11, vcc, 0, v20, vcc
	flat_load_ushort v10, v[10:11] offset:1536
	s_mov_b32 s6, 0xffff
	s_waitcnt vmcnt(0) lgkmcnt(0)
	v_bfi_b32 v3, s6, v10, v3
.LBB497_17:
	s_or_b64 exec, exec, s[4:5]
	v_add_u32_e32 v10, 0x3c0, v0
	v_cmp_gt_u32_e32 vcc, s60, v10
	s_and_saveexec_b64 s[4:5], vcc
	s_cbranch_execz .LBB497_19
; %bb.18:
	v_lshlrev_b32_e32 v10, 1, v0
	v_add_co_u32_e32 v10, vcc, v19, v10
	v_addc_co_u32_e32 v11, vcc, 0, v20, vcc
	flat_load_ushort v10, v[10:11] offset:1920
	s_mov_b32 s6, 0x5040100
	s_waitcnt vmcnt(0) lgkmcnt(0)
	v_perm_b32 v3, v10, v3, s6
.LBB497_19:
	s_or_b64 exec, exec, s[4:5]
	v_add_u32_e32 v10, 0x480, v0
	v_cmp_gt_u32_e32 vcc, s60, v10
	s_and_saveexec_b64 s[4:5], vcc
	s_cbranch_execz .LBB497_21
; %bb.20:
	v_lshlrev_b32_e32 v10, 1, v0
	v_add_co_u32_e32 v10, vcc, v19, v10
	v_addc_co_u32_e32 v11, vcc, 0, v20, vcc
	flat_load_ushort v10, v[10:11] offset:2304
	s_mov_b32 s6, 0xffff
	s_waitcnt vmcnt(0) lgkmcnt(0)
	v_bfi_b32 v4, s6, v10, v4
.LBB497_21:
	s_or_b64 exec, exec, s[4:5]
	v_add_u32_e32 v10, 0x540, v0
	v_cmp_gt_u32_e32 vcc, s60, v10
	s_and_saveexec_b64 s[4:5], vcc
	s_cbranch_execz .LBB497_23
; %bb.22:
	v_lshlrev_b32_e32 v10, 1, v0
	v_add_co_u32_e32 v10, vcc, v19, v10
	v_addc_co_u32_e32 v11, vcc, 0, v20, vcc
	flat_load_ushort v10, v[10:11] offset:2688
	s_mov_b32 s6, 0x5040100
	s_waitcnt vmcnt(0) lgkmcnt(0)
	v_perm_b32 v4, v10, v4, s6
.LBB497_23:
	s_or_b64 exec, exec, s[4:5]
	v_or_b32_e32 v10, 0x600, v0
	v_cmp_gt_u32_e32 vcc, s60, v10
	s_and_saveexec_b64 s[4:5], vcc
	s_cbranch_execz .LBB497_25
; %bb.24:
	v_lshlrev_b32_e32 v10, 1, v0
	v_add_co_u32_e32 v10, vcc, v19, v10
	v_addc_co_u32_e32 v11, vcc, 0, v20, vcc
	flat_load_ushort v10, v[10:11] offset:3072
	s_mov_b32 s6, 0xffff
	s_waitcnt vmcnt(0) lgkmcnt(0)
	v_bfi_b32 v5, s6, v10, v5
.LBB497_25:
	s_or_b64 exec, exec, s[4:5]
	v_add_u32_e32 v10, 0x6c0, v0
	v_cmp_gt_u32_e32 vcc, s60, v10
	s_and_saveexec_b64 s[4:5], vcc
	s_cbranch_execz .LBB497_27
; %bb.26:
	v_lshlrev_b32_e32 v10, 1, v0
	v_add_co_u32_e32 v10, vcc, v19, v10
	v_addc_co_u32_e32 v11, vcc, 0, v20, vcc
	flat_load_ushort v10, v[10:11] offset:3456
	s_mov_b32 s6, 0x5040100
	s_waitcnt vmcnt(0) lgkmcnt(0)
	v_perm_b32 v5, v10, v5, s6
.LBB497_27:
	s_or_b64 exec, exec, s[4:5]
	v_add_u32_e32 v10, 0x780, v0
	v_cmp_gt_u32_e32 vcc, s60, v10
	s_and_saveexec_b64 s[4:5], vcc
	s_cbranch_execz .LBB497_29
; %bb.28:
	v_lshlrev_b32_e32 v10, 1, v0
	v_add_co_u32_e32 v10, vcc, v19, v10
	v_addc_co_u32_e32 v11, vcc, 0, v20, vcc
	flat_load_ushort v10, v[10:11] offset:3840
	s_mov_b32 s6, 0xffff
	s_waitcnt vmcnt(0) lgkmcnt(0)
	v_bfi_b32 v6, s6, v10, v6
.LBB497_29:
	s_or_b64 exec, exec, s[4:5]
	v_add_u32_e32 v10, 0x840, v0
	v_cmp_gt_u32_e32 vcc, s60, v10
	s_and_saveexec_b64 s[4:5], vcc
	s_cbranch_execz .LBB497_31
; %bb.30:
	v_lshlrev_b32_e32 v10, 1, v10
	v_add_co_u32_e32 v10, vcc, v19, v10
	v_addc_co_u32_e32 v11, vcc, 0, v20, vcc
	flat_load_ushort v10, v[10:11]
	s_mov_b32 s6, 0x5040100
	s_waitcnt vmcnt(0) lgkmcnt(0)
	v_perm_b32 v6, v10, v6, s6
.LBB497_31:
	s_or_b64 exec, exec, s[4:5]
	v_or_b32_e32 v10, 0x900, v0
	v_cmp_gt_u32_e32 vcc, s60, v10
	s_and_saveexec_b64 s[4:5], vcc
	s_cbranch_execz .LBB497_33
; %bb.32:
	v_lshlrev_b32_e32 v10, 1, v10
	v_add_co_u32_e32 v10, vcc, v19, v10
	v_addc_co_u32_e32 v11, vcc, 0, v20, vcc
	flat_load_ushort v10, v[10:11]
	s_mov_b32 s6, 0xffff
	s_waitcnt vmcnt(0) lgkmcnt(0)
	v_bfi_b32 v7, s6, v10, v7
.LBB497_33:
	s_or_b64 exec, exec, s[4:5]
	v_add_u32_e32 v10, 0x9c0, v0
	v_cmp_gt_u32_e32 vcc, s60, v10
	s_and_saveexec_b64 s[4:5], vcc
	s_cbranch_execz .LBB497_35
; %bb.34:
	v_lshlrev_b32_e32 v10, 1, v10
	v_add_co_u32_e32 v10, vcc, v19, v10
	v_addc_co_u32_e32 v11, vcc, 0, v20, vcc
	flat_load_ushort v10, v[10:11]
	s_mov_b32 s6, 0x5040100
	s_waitcnt vmcnt(0) lgkmcnt(0)
	v_perm_b32 v7, v10, v7, s6
.LBB497_35:
	s_or_b64 exec, exec, s[4:5]
	v_add_u32_e32 v10, 0xa80, v0
	v_cmp_gt_u32_e32 vcc, s60, v10
	s_and_saveexec_b64 s[4:5], vcc
	s_cbranch_execz .LBB497_37
; %bb.36:
	v_lshlrev_b32_e32 v10, 1, v10
	v_add_co_u32_e32 v10, vcc, v19, v10
	v_addc_co_u32_e32 v11, vcc, 0, v20, vcc
	flat_load_ushort v10, v[10:11]
	s_mov_b32 s6, 0xffff
	s_waitcnt vmcnt(0) lgkmcnt(0)
	v_bfi_b32 v8, s6, v10, v8
.LBB497_37:
	s_or_b64 exec, exec, s[4:5]
	v_add_u32_e32 v10, 0xb40, v0
	v_cmp_gt_u32_e32 vcc, s60, v10
	s_and_saveexec_b64 s[4:5], vcc
	s_cbranch_execz .LBB497_39
; %bb.38:
	v_lshlrev_b32_e32 v10, 1, v10
	v_add_co_u32_e32 v10, vcc, v19, v10
	v_addc_co_u32_e32 v11, vcc, 0, v20, vcc
	flat_load_ushort v10, v[10:11]
	s_mov_b32 s6, 0x5040100
	s_waitcnt vmcnt(0) lgkmcnt(0)
	v_perm_b32 v8, v10, v8, s6
.LBB497_39:
	s_or_b64 exec, exec, s[4:5]
	v_or_b32_e32 v10, 0xc00, v0
	v_cmp_gt_u32_e32 vcc, s60, v10
	s_and_saveexec_b64 s[4:5], vcc
	s_cbranch_execz .LBB497_41
; %bb.40:
	v_lshlrev_b32_e32 v10, 1, v10
	v_add_co_u32_e32 v10, vcc, v19, v10
	v_addc_co_u32_e32 v11, vcc, 0, v20, vcc
	flat_load_ushort v10, v[10:11]
	s_mov_b32 s6, 0xffff
	s_waitcnt vmcnt(0) lgkmcnt(0)
	v_bfi_b32 v9, s6, v10, v9
.LBB497_41:
	s_or_b64 exec, exec, s[4:5]
	v_add_u32_e32 v10, 0xcc0, v0
	v_cmp_gt_u32_e32 vcc, s60, v10
	s_and_saveexec_b64 s[4:5], vcc
	s_cbranch_execz .LBB497_43
; %bb.42:
	v_lshlrev_b32_e32 v10, 1, v10
	v_add_co_u32_e32 v10, vcc, v19, v10
	v_addc_co_u32_e32 v11, vcc, 0, v20, vcc
	flat_load_ushort v10, v[10:11]
	s_mov_b32 s6, 0x5040100
	s_waitcnt vmcnt(0) lgkmcnt(0)
	v_perm_b32 v9, v10, v9, s6
.LBB497_43:
	s_or_b64 exec, exec, s[4:5]
	v_lshlrev_b32_e32 v10, 1, v0
	ds_write_b16 v10, v1
	ds_write_b16_d16_hi v10, v1 offset:384
	ds_write_b16 v10, v2 offset:768
	ds_write_b16_d16_hi v10, v2 offset:1152
	ds_write_b16 v10, v3 offset:1536
	;; [unrolled: 2-line block ×8, first 2 shown]
	ds_write_b16_d16_hi v10, v9 offset:6528
	s_waitcnt vmcnt(0) lgkmcnt(0)
	s_barrier
.LBB497_44:
	v_mul_u32_u24_e32 v9, 18, v0
	v_lshlrev_b32_e32 v10, 1, v9
	ds_read2_b32 v[7:8], v10 offset1:1
	ds_read2_b32 v[5:6], v10 offset0:2 offset1:3
	ds_read2_b32 v[3:4], v10 offset0:4 offset1:5
	;; [unrolled: 1-line block ×3, first 2 shown]
	ds_read_b32 v55, v10 offset:32
	s_cmp_lg_u32 s33, 0
	s_cselect_b64 s[52:53], -1, 0
	s_cmp_lg_u64 s[10:11], 0
	s_cselect_b64 s[4:5], -1, 0
	s_or_b64 s[4:5], s[4:5], s[52:53]
	s_waitcnt lgkmcnt(4)
	v_lshrrev_b32_e32 v63, 16, v7
	v_lshrrev_b32_e32 v62, 16, v8
	s_waitcnt lgkmcnt(3)
	v_lshrrev_b32_e32 v61, 16, v5
	v_lshrrev_b32_e32 v60, 16, v6
	;; [unrolled: 3-line block ×4, first 2 shown]
	s_waitcnt lgkmcnt(0)
	v_lshrrev_b32_e32 v54, 16, v55
	s_mov_b64 s[56:57], 0
	s_and_b64 vcc, exec, s[4:5]
	s_waitcnt vmcnt(0)
	s_barrier
	s_cbranch_vccz .LBB497_49
; %bb.45:
	v_add_co_u32_e32 v11, vcc, -2, v19
	v_addc_co_u32_e32 v12, vcc, -1, v20, vcc
	flat_load_ushort v11, v[11:12]
	v_lshlrev_b32_e32 v12, 1, v0
	s_and_b64 vcc, exec, s[46:47]
	ds_write_b16 v12, v54
	s_cbranch_vccz .LBB497_50
; %bb.46:
	s_waitcnt vmcnt(0) lgkmcnt(0)
	v_mov_b32_e32 v13, v11
	s_barrier
	s_and_saveexec_b64 s[4:5], s[2:3]
; %bb.47:
	v_add_u32_e32 v13, -2, v12
	ds_read_u16 v13, v13
; %bb.48:
	s_or_b64 exec, exec, s[4:5]
	v_cmp_ne_u16_e32 vcc, v55, v54
	v_cndmask_b32_e64 v64, 0, 1, vcc
	v_cmp_ne_u16_e32 vcc, v56, v55
	v_cndmask_b32_e64 v65, 0, 1, vcc
	v_cmp_ne_u16_e32 vcc, v2, v56
	v_cndmask_b32_e64 v66, 0, 1, vcc
	v_cmp_ne_u16_e32 vcc, v57, v2
	v_cndmask_b32_e64 v67, 0, 1, vcc
	v_cmp_ne_u16_e32 vcc, v1, v57
	v_cndmask_b32_e64 v68, 0, 1, vcc
	v_cmp_ne_u16_e32 vcc, v58, v1
	v_cndmask_b32_e64 v69, 0, 1, vcc
	v_cmp_ne_u16_e32 vcc, v4, v58
	v_cndmask_b32_e64 v70, 0, 1, vcc
	v_cmp_ne_u16_e32 vcc, v59, v4
	v_cndmask_b32_e64 v71, 0, 1, vcc
	v_cmp_ne_u16_e32 vcc, v3, v59
	v_cndmask_b32_e64 v72, 0, 1, vcc
	v_cmp_ne_u16_e32 vcc, v60, v3
	v_cndmask_b32_e64 v73, 0, 1, vcc
	v_cmp_ne_u16_e32 vcc, v6, v60
	v_cndmask_b32_e64 v74, 0, 1, vcc
	v_cmp_ne_u16_e32 vcc, v61, v6
	v_cndmask_b32_e64 v75, 0, 1, vcc
	v_cmp_ne_u16_e32 vcc, v5, v61
	v_cndmask_b32_e64 v76, 0, 1, vcc
	v_cmp_ne_u16_e32 vcc, v62, v5
	v_cndmask_b32_e64 v77, 0, 1, vcc
	v_cmp_ne_u16_e32 vcc, v8, v62
	v_cndmask_b32_e64 v78, 0, 1, vcc
	v_cmp_ne_u16_e32 vcc, v63, v8
	v_cndmask_b32_e64 v79, 0, 1, vcc
	v_cmp_ne_u16_e32 vcc, v7, v63
	v_cndmask_b32_e64 v80, 0, 1, vcc
	s_waitcnt lgkmcnt(0)
	v_cmp_ne_u16_e64 s[54:55], v13, v7
	s_branch .LBB497_54
.LBB497_49:
                                        ; implicit-def: $sgpr54_sgpr55
                                        ; implicit-def: $vgpr64
                                        ; implicit-def: $vgpr65
                                        ; implicit-def: $vgpr66
                                        ; implicit-def: $vgpr67
                                        ; implicit-def: $vgpr68
                                        ; implicit-def: $vgpr69
                                        ; implicit-def: $vgpr70
                                        ; implicit-def: $vgpr71
                                        ; implicit-def: $vgpr72
                                        ; implicit-def: $vgpr80
                                        ; implicit-def: $vgpr79
                                        ; implicit-def: $vgpr78
                                        ; implicit-def: $vgpr77
                                        ; implicit-def: $vgpr76
                                        ; implicit-def: $vgpr75
                                        ; implicit-def: $vgpr74
                                        ; implicit-def: $vgpr73
	s_branch .LBB497_55
.LBB497_50:
                                        ; implicit-def: $sgpr54_sgpr55
                                        ; implicit-def: $vgpr64
                                        ; implicit-def: $vgpr65
                                        ; implicit-def: $vgpr66
                                        ; implicit-def: $vgpr67
                                        ; implicit-def: $vgpr68
                                        ; implicit-def: $vgpr69
                                        ; implicit-def: $vgpr70
                                        ; implicit-def: $vgpr71
                                        ; implicit-def: $vgpr72
                                        ; implicit-def: $vgpr80
                                        ; implicit-def: $vgpr79
                                        ; implicit-def: $vgpr78
                                        ; implicit-def: $vgpr77
                                        ; implicit-def: $vgpr76
                                        ; implicit-def: $vgpr75
                                        ; implicit-def: $vgpr74
                                        ; implicit-def: $vgpr73
	s_cbranch_execz .LBB497_54
; %bb.51:
	s_waitcnt vmcnt(0) lgkmcnt(0)
	s_barrier
	s_and_saveexec_b64 s[4:5], s[2:3]
; %bb.52:
	v_add_u32_e32 v11, -2, v12
	ds_read_u16 v11, v11
; %bb.53:
	s_or_b64 exec, exec, s[4:5]
	v_add_u32_e32 v12, 17, v9
	v_cmp_gt_u32_e32 vcc, s60, v12
	v_cmp_ne_u16_e64 s[4:5], v55, v54
	s_and_b64 s[4:5], vcc, s[4:5]
	v_add_u32_e32 v12, 16, v9
	v_cndmask_b32_e64 v64, 0, 1, s[4:5]
	v_cmp_gt_u32_e32 vcc, s60, v12
	v_cmp_ne_u16_e64 s[4:5], v56, v55
	s_and_b64 s[4:5], vcc, s[4:5]
	v_add_u32_e32 v12, 15, v9
	v_cndmask_b32_e64 v65, 0, 1, s[4:5]
	;; [unrolled: 5-line block ×15, first 2 shown]
	v_cmp_gt_u32_e32 vcc, s60, v12
	v_cmp_ne_u16_e64 s[4:5], v63, v8
	s_and_b64 s[4:5], vcc, s[4:5]
	v_or_b32_e32 v12, 1, v9
	v_cndmask_b32_e64 v79, 0, 1, s[4:5]
	v_cmp_gt_u32_e32 vcc, s60, v12
	v_cmp_ne_u16_e64 s[4:5], v7, v63
	s_and_b64 s[4:5], vcc, s[4:5]
	v_cndmask_b32_e64 v80, 0, 1, s[4:5]
	v_cmp_gt_u32_e32 vcc, s60, v9
	s_waitcnt lgkmcnt(0)
	v_cmp_ne_u16_e64 s[4:5], v11, v7
	s_and_b64 s[54:55], vcc, s[4:5]
.LBB497_54:
	s_mov_b64 s[56:57], -1
	s_cbranch_execnz .LBB497_63
.LBB497_55:
	s_movk_i32 s4, 0xffde
	v_mad_i32_i24 v10, v0, s4, v10
	s_and_b64 vcc, exec, s[46:47]
	v_cmp_ne_u16_e64 s[4:5], v55, v54
	v_cmp_ne_u16_e64 s[6:7], v56, v55
	;; [unrolled: 1-line block ×17, first 2 shown]
	ds_write_b16 v10, v54
	s_cbranch_vccz .LBB497_59
; %bb.56:
	s_waitcnt vmcnt(0) lgkmcnt(0)
	s_barrier
                                        ; implicit-def: $sgpr54_sgpr55
	s_and_saveexec_b64 s[58:59], s[2:3]
	s_xor_b64 s[58:59], exec, s[58:59]
	s_cbranch_execz .LBB497_58
; %bb.57:
	v_add_u32_e32 v11, -2, v10
	ds_read_u16 v11, v11
	s_or_b64 s[56:57], s[56:57], exec
	s_waitcnt lgkmcnt(0)
	v_cmp_ne_u16_e64 s[54:55], v11, v7
.LBB497_58:
	s_or_b64 exec, exec, s[58:59]
	v_cndmask_b32_e64 v64, 0, 1, s[4:5]
	v_cndmask_b32_e64 v65, 0, 1, s[6:7]
	;; [unrolled: 1-line block ×17, first 2 shown]
	s_branch .LBB497_63
.LBB497_59:
                                        ; implicit-def: $sgpr54_sgpr55
                                        ; implicit-def: $vgpr64
                                        ; implicit-def: $vgpr65
                                        ; implicit-def: $vgpr66
                                        ; implicit-def: $vgpr67
                                        ; implicit-def: $vgpr68
                                        ; implicit-def: $vgpr69
                                        ; implicit-def: $vgpr70
                                        ; implicit-def: $vgpr71
                                        ; implicit-def: $vgpr72
                                        ; implicit-def: $vgpr80
                                        ; implicit-def: $vgpr79
                                        ; implicit-def: $vgpr78
                                        ; implicit-def: $vgpr77
                                        ; implicit-def: $vgpr76
                                        ; implicit-def: $vgpr75
                                        ; implicit-def: $vgpr74
                                        ; implicit-def: $vgpr73
	s_cbranch_execz .LBB497_63
; %bb.60:
	s_waitcnt vmcnt(0) lgkmcnt(0)
	v_add_u32_e32 v11, 17, v9
	v_cmp_gt_u32_e32 vcc, s60, v11
	v_cmp_ne_u16_e64 s[4:5], v55, v54
	v_add_u32_e32 v11, 16, v9
	s_and_b64 s[6:7], vcc, s[4:5]
	v_cmp_gt_u32_e32 vcc, s60, v11
	v_cmp_ne_u16_e64 s[4:5], v56, v55
	v_add_u32_e32 v11, 15, v9
	s_and_b64 s[8:9], vcc, s[4:5]
	;; [unrolled: 4-line block ×15, first 2 shown]
	v_cmp_gt_u32_e32 vcc, s60, v11
	v_cmp_ne_u16_e64 s[4:5], v63, v8
	v_or_b32_e32 v11, 1, v9
	s_and_b64 s[38:39], vcc, s[4:5]
	v_cmp_gt_u32_e32 vcc, s60, v11
	v_cmp_ne_u16_e64 s[4:5], v7, v63
	s_and_b64 s[4:5], vcc, s[4:5]
	s_barrier
                                        ; implicit-def: $sgpr54_sgpr55
	s_and_saveexec_b64 s[58:59], s[2:3]
	s_cbranch_execz .LBB497_62
; %bb.61:
	v_add_u32_e32 v10, -2, v10
	ds_read_u16 v10, v10
	v_cmp_gt_u32_e32 vcc, s60, v9
	s_or_b64 s[56:57], s[56:57], exec
	s_waitcnt lgkmcnt(0)
	v_cmp_ne_u16_e64 s[2:3], v10, v7
	s_and_b64 s[54:55], vcc, s[2:3]
.LBB497_62:
	s_or_b64 exec, exec, s[58:59]
	v_cndmask_b32_e64 v64, 0, 1, s[6:7]
	v_cndmask_b32_e64 v65, 0, 1, s[8:9]
	;; [unrolled: 1-line block ×17, first 2 shown]
.LBB497_63:
	v_mov_b32_e32 v22, 1
	s_and_saveexec_b64 s[2:3], s[56:57]
; %bb.64:
	v_cndmask_b32_e64 v22, 0, 1, s[54:55]
; %bb.65:
	s_or_b64 exec, exec, s[2:3]
	s_andn2_b64 vcc, exec, s[50:51]
	s_cbranch_vccnz .LBB497_67
; %bb.66:
	v_cmp_gt_u32_e32 vcc, s60, v9
	v_or_b32_e32 v10, 1, v9
	v_cndmask_b32_e32 v22, 0, v22, vcc
	v_cmp_gt_u32_e32 vcc, s60, v10
	v_add_u32_e32 v10, 2, v9
	v_cndmask_b32_e32 v80, 0, v80, vcc
	v_cmp_gt_u32_e32 vcc, s60, v10
	v_add_u32_e32 v10, 3, v9
	v_cndmask_b32_e32 v79, 0, v79, vcc
	v_cmp_gt_u32_e32 vcc, s60, v10
	v_add_u32_e32 v10, 4, v9
	v_cndmask_b32_e32 v78, 0, v78, vcc
	v_cmp_gt_u32_e32 vcc, s60, v10
	v_add_u32_e32 v10, 5, v9
	v_cndmask_b32_e32 v77, 0, v77, vcc
	v_cmp_gt_u32_e32 vcc, s60, v10
	v_add_u32_e32 v10, 6, v9
	v_cndmask_b32_e32 v76, 0, v76, vcc
	v_cmp_gt_u32_e32 vcc, s60, v10
	v_add_u32_e32 v10, 7, v9
	v_cndmask_b32_e32 v75, 0, v75, vcc
	v_cmp_gt_u32_e32 vcc, s60, v10
	v_add_u32_e32 v10, 8, v9
	v_cndmask_b32_e32 v74, 0, v74, vcc
	v_cmp_gt_u32_e32 vcc, s60, v10
	v_add_u32_e32 v10, 9, v9
	v_cndmask_b32_e32 v73, 0, v73, vcc
	v_cmp_gt_u32_e32 vcc, s60, v10
	v_add_u32_e32 v10, 10, v9
	v_cndmask_b32_e32 v72, 0, v72, vcc
	v_cmp_gt_u32_e32 vcc, s60, v10
	v_add_u32_e32 v10, 11, v9
	v_cndmask_b32_e32 v71, 0, v71, vcc
	v_cmp_gt_u32_e32 vcc, s60, v10
	v_add_u32_e32 v10, 12, v9
	v_cndmask_b32_e32 v70, 0, v70, vcc
	v_cmp_gt_u32_e32 vcc, s60, v10
	v_add_u32_e32 v10, 13, v9
	v_cndmask_b32_e32 v69, 0, v69, vcc
	v_cmp_gt_u32_e32 vcc, s60, v10
	v_add_u32_e32 v10, 14, v9
	v_cndmask_b32_e32 v68, 0, v68, vcc
	v_cmp_gt_u32_e32 vcc, s60, v10
	v_add_u32_e32 v10, 15, v9
	v_cndmask_b32_e32 v67, 0, v67, vcc
	v_cmp_gt_u32_e32 vcc, s60, v10
	v_add_u32_e32 v10, 16, v9
	v_cndmask_b32_e32 v66, 0, v66, vcc
	v_cmp_gt_u32_e32 vcc, s60, v10
	v_add_u32_e32 v9, 17, v9
	v_cndmask_b32_e32 v65, 0, v65, vcc
	v_cmp_gt_u32_e32 vcc, s60, v9
	v_cndmask_b32_e32 v64, 0, v64, vcc
.LBB497_67:
	v_and_b32_e32 v35, 0xff, v76
	v_and_b32_e32 v36, 0xff, v75
	v_add_u32_sdwa v10, v74, v73 dst_sel:DWORD dst_unused:UNUSED_PAD src0_sel:BYTE_0 src1_sel:BYTE_0
	v_and_b32_e32 v33, 0xff, v78
	v_and_b32_e32 v34, 0xff, v77
	v_add3_u32 v10, v10, v36, v35
	v_and_b32_e32 v29, 0xff, v80
	v_and_b32_e32 v31, 0xff, v79
	v_add3_u32 v10, v10, v34, v33
	;; [unrolled: 3-line block ×7, first 2 shown]
	v_add3_u32 v39, v10, v32, v9
	v_mbcnt_lo_u32_b32 v9, -1, 0
	v_mbcnt_hi_u32_b32 v37, -1, v9
	v_and_b32_e32 v9, 15, v37
	v_cmp_eq_u32_e64 s[14:15], 0, v9
	v_cmp_lt_u32_e64 s[12:13], 1, v9
	v_cmp_lt_u32_e64 s[10:11], 3, v9
	;; [unrolled: 1-line block ×3, first 2 shown]
	v_and_b32_e32 v9, 16, v37
	v_cmp_eq_u32_e64 s[4:5], 0, v9
	v_and_b32_e32 v9, 0xc0, v0
	v_min_u32_e32 v9, 0x80, v9
	v_or_b32_e32 v9, 63, v9
	v_cmp_lt_u32_e64 s[2:3], 31, v37
	v_lshrrev_b32_e32 v38, 6, v0
	v_cmp_eq_u32_e64 s[6:7], v0, v9
	s_and_b64 vcc, exec, s[52:53]
	s_waitcnt vmcnt(0) lgkmcnt(0)
	s_barrier
	s_cbranch_vccz .LBB497_89
; %bb.68:
	v_mov_b32_dpp v9, v39 row_shr:1 row_mask:0xf bank_mask:0xf
	v_cndmask_b32_e64 v9, v9, 0, s[14:15]
	v_add_u32_e32 v9, v9, v39
	s_nop 1
	v_mov_b32_dpp v10, v9 row_shr:2 row_mask:0xf bank_mask:0xf
	v_cndmask_b32_e64 v10, 0, v10, s[12:13]
	v_add_u32_e32 v9, v9, v10
	s_nop 1
	;; [unrolled: 4-line block ×4, first 2 shown]
	v_mov_b32_dpp v10, v9 row_bcast:15 row_mask:0xf bank_mask:0xf
	v_cndmask_b32_e64 v10, v10, 0, s[4:5]
	v_add_u32_e32 v9, v9, v10
	s_nop 1
	v_mov_b32_dpp v10, v9 row_bcast:31 row_mask:0xf bank_mask:0xf
	v_cndmask_b32_e64 v10, 0, v10, s[2:3]
	v_add_u32_e32 v9, v9, v10
	s_and_saveexec_b64 s[16:17], s[6:7]
; %bb.69:
	v_lshlrev_b32_e32 v10, 2, v38
	ds_write_b32 v10, v9
; %bb.70:
	s_or_b64 exec, exec, s[16:17]
	v_cmp_gt_u32_e32 vcc, 3, v0
	s_waitcnt lgkmcnt(0)
	s_barrier
	s_and_saveexec_b64 s[16:17], vcc
	s_cbranch_execz .LBB497_72
; %bb.71:
	v_lshlrev_b32_e32 v10, 2, v0
	ds_read_b32 v11, v10
	v_and_b32_e32 v12, 3, v37
	v_cmp_ne_u32_e32 vcc, 0, v12
	s_waitcnt lgkmcnt(0)
	v_mov_b32_dpp v13, v11 row_shr:1 row_mask:0xf bank_mask:0xf
	v_cndmask_b32_e32 v13, 0, v13, vcc
	v_add_u32_e32 v11, v13, v11
	v_cmp_lt_u32_e32 vcc, 1, v12
	s_nop 0
	v_mov_b32_dpp v13, v11 row_shr:2 row_mask:0xf bank_mask:0xf
	v_cndmask_b32_e32 v12, 0, v13, vcc
	v_add_u32_e32 v11, v11, v12
	ds_write_b32 v10, v11
.LBB497_72:
	s_or_b64 exec, exec, s[16:17]
	v_cmp_gt_u32_e32 vcc, 64, v0
	v_cmp_lt_u32_e64 s[16:17], 63, v0
	s_waitcnt lgkmcnt(0)
	s_barrier
                                        ; implicit-def: $vgpr40
	s_and_saveexec_b64 s[18:19], s[16:17]
	s_cbranch_execz .LBB497_74
; %bb.73:
	v_lshl_add_u32 v10, v38, 2, -4
	ds_read_b32 v40, v10
	s_waitcnt lgkmcnt(0)
	v_add_u32_e32 v9, v40, v9
.LBB497_74:
	s_or_b64 exec, exec, s[18:19]
	v_subrev_co_u32_e64 v10, s[16:17], 1, v37
	v_and_b32_e32 v11, 64, v37
	v_cmp_lt_i32_e64 s[18:19], v10, v11
	v_cndmask_b32_e64 v10, v10, v37, s[18:19]
	v_lshlrev_b32_e32 v10, 2, v10
	ds_bpermute_b32 v41, v10, v9
	s_and_saveexec_b64 s[18:19], vcc
	s_cbranch_execz .LBB497_94
; %bb.75:
	v_mov_b32_e32 v15, 0
	ds_read_b32 v9, v15 offset:8
	s_and_saveexec_b64 s[20:21], s[16:17]
	s_cbranch_execz .LBB497_77
; %bb.76:
	s_add_i32 s22, s33, 64
	s_mov_b32 s23, 0
	s_lshl_b64 s[22:23], s[22:23], 3
	s_add_u32 s22, s48, s22
	v_mov_b32_e32 v10, 1
	s_addc_u32 s23, s49, s23
	s_waitcnt lgkmcnt(0)
	global_store_dwordx2 v15, v[9:10], s[22:23]
.LBB497_77:
	s_or_b64 exec, exec, s[20:21]
	v_xad_u32 v11, v37, -1, s33
	v_add_u32_e32 v14, 64, v11
	v_lshlrev_b64 v[12:13], 3, v[14:15]
	v_mov_b32_e32 v10, s49
	v_add_co_u32_e32 v19, vcc, s48, v12
	v_addc_co_u32_e32 v20, vcc, v10, v13, vcc
	global_load_dwordx2 v[13:14], v[19:20], off glc
	s_waitcnt vmcnt(0)
	v_cmp_eq_u16_sdwa s[22:23], v14, v15 src0_sel:BYTE_0 src1_sel:DWORD
	s_and_saveexec_b64 s[20:21], s[22:23]
	s_cbranch_execz .LBB497_81
; %bb.78:
	s_mov_b64 s[22:23], 0
	v_mov_b32_e32 v10, 0
.LBB497_79:                             ; =>This Inner Loop Header: Depth=1
	global_load_dwordx2 v[13:14], v[19:20], off glc
	s_waitcnt vmcnt(0)
	v_cmp_ne_u16_sdwa s[24:25], v14, v10 src0_sel:BYTE_0 src1_sel:DWORD
	s_or_b64 s[22:23], s[24:25], s[22:23]
	s_andn2_b64 exec, exec, s[22:23]
	s_cbranch_execnz .LBB497_79
; %bb.80:
	s_or_b64 exec, exec, s[22:23]
.LBB497_81:
	s_or_b64 exec, exec, s[20:21]
	v_and_b32_e32 v43, 63, v37
	v_mov_b32_e32 v42, 2
	v_lshlrev_b64 v[15:16], v37, -1
	v_cmp_ne_u32_e32 vcc, 63, v43
	v_cmp_eq_u16_sdwa s[20:21], v14, v42 src0_sel:BYTE_0 src1_sel:DWORD
	v_addc_co_u32_e32 v19, vcc, 0, v37, vcc
	v_and_b32_e32 v10, s21, v16
	v_lshlrev_b32_e32 v44, 2, v19
	v_or_b32_e32 v10, 0x80000000, v10
	ds_bpermute_b32 v19, v44, v13
	v_and_b32_e32 v12, s20, v15
	v_ffbl_b32_e32 v10, v10
	v_add_u32_e32 v10, 32, v10
	v_ffbl_b32_e32 v12, v12
	v_min_u32_e32 v10, v12, v10
	v_cmp_lt_u32_e32 vcc, v43, v10
	s_waitcnt lgkmcnt(0)
	v_cndmask_b32_e32 v12, 0, v19, vcc
	v_cmp_gt_u32_e32 vcc, 62, v43
	v_add_u32_e32 v12, v12, v13
	v_cndmask_b32_e64 v13, 0, 2, vcc
	v_add_lshl_u32 v45, v13, v37, 2
	ds_bpermute_b32 v13, v45, v12
	v_add_u32_e32 v46, 2, v43
	v_cmp_le_u32_e32 vcc, v46, v10
	v_add_u32_e32 v48, 4, v43
	v_add_u32_e32 v50, 8, v43
	s_waitcnt lgkmcnt(0)
	v_cndmask_b32_e32 v13, 0, v13, vcc
	v_cmp_gt_u32_e32 vcc, 60, v43
	v_add_u32_e32 v12, v12, v13
	v_cndmask_b32_e64 v13, 0, 4, vcc
	v_add_lshl_u32 v47, v13, v37, 2
	ds_bpermute_b32 v13, v47, v12
	v_cmp_le_u32_e32 vcc, v48, v10
	v_add_u32_e32 v52, 16, v43
	v_add_u32_e32 v82, 32, v43
	s_waitcnt lgkmcnt(0)
	v_cndmask_b32_e32 v13, 0, v13, vcc
	v_cmp_gt_u32_e32 vcc, 56, v43
	v_add_u32_e32 v12, v12, v13
	v_cndmask_b32_e64 v13, 0, 8, vcc
	v_add_lshl_u32 v49, v13, v37, 2
	ds_bpermute_b32 v13, v49, v12
	v_cmp_le_u32_e32 vcc, v50, v10
	s_waitcnt lgkmcnt(0)
	v_cndmask_b32_e32 v13, 0, v13, vcc
	v_cmp_gt_u32_e32 vcc, 48, v43
	v_add_u32_e32 v12, v12, v13
	v_cndmask_b32_e64 v13, 0, 16, vcc
	v_add_lshl_u32 v51, v13, v37, 2
	ds_bpermute_b32 v13, v51, v12
	v_cmp_le_u32_e32 vcc, v52, v10
	s_waitcnt lgkmcnt(0)
	v_cndmask_b32_e32 v13, 0, v13, vcc
	v_add_u32_e32 v12, v12, v13
	v_mov_b32_e32 v13, 0x80
	v_lshl_or_b32 v81, v37, 2, v13
	ds_bpermute_b32 v13, v81, v12
	v_cmp_le_u32_e32 vcc, v82, v10
	s_waitcnt lgkmcnt(0)
	v_cndmask_b32_e32 v10, 0, v13, vcc
	v_add_u32_e32 v13, v12, v10
	v_mov_b32_e32 v12, 0
	s_branch .LBB497_84
.LBB497_82:                             ;   in Loop: Header=BB497_84 Depth=1
	s_or_b64 exec, exec, s[20:21]
	v_cmp_eq_u16_sdwa s[20:21], v14, v42 src0_sel:BYTE_0 src1_sel:DWORD
	v_and_b32_e32 v19, s21, v16
	v_or_b32_e32 v19, 0x80000000, v19
	v_and_b32_e32 v20, s20, v15
	v_ffbl_b32_e32 v19, v19
	v_add_u32_e32 v19, 32, v19
	v_ffbl_b32_e32 v20, v20
	v_min_u32_e32 v19, v20, v19
	ds_bpermute_b32 v20, v44, v13
	v_cmp_lt_u32_e32 vcc, v43, v19
	v_subrev_u32_e32 v11, 64, v11
	s_mov_b64 s[20:21], 0
	s_waitcnt lgkmcnt(0)
	v_cndmask_b32_e32 v20, 0, v20, vcc
	v_add_u32_e32 v13, v20, v13
	ds_bpermute_b32 v20, v45, v13
	v_cmp_le_u32_e32 vcc, v46, v19
	s_waitcnt lgkmcnt(0)
	v_cndmask_b32_e32 v20, 0, v20, vcc
	v_add_u32_e32 v13, v13, v20
	ds_bpermute_b32 v20, v47, v13
	v_cmp_le_u32_e32 vcc, v48, v19
	;; [unrolled: 5-line block ×5, first 2 shown]
	s_waitcnt lgkmcnt(0)
	v_cndmask_b32_e32 v19, 0, v20, vcc
	v_add3_u32 v13, v19, v10, v13
.LBB497_83:                             ;   in Loop: Header=BB497_84 Depth=1
	s_and_b64 vcc, exec, s[20:21]
	s_cbranch_vccnz .LBB497_90
.LBB497_84:                             ; =>This Loop Header: Depth=1
                                        ;     Child Loop BB497_87 Depth 2
	v_cmp_ne_u16_sdwa s[20:21], v14, v42 src0_sel:BYTE_0 src1_sel:DWORD
	v_mov_b32_e32 v10, v13
	s_cmp_lg_u64 s[20:21], exec
	s_mov_b64 s[20:21], -1
                                        ; implicit-def: $vgpr13
                                        ; implicit-def: $vgpr14
	s_cbranch_scc1 .LBB497_83
; %bb.85:                               ;   in Loop: Header=BB497_84 Depth=1
	v_lshlrev_b64 v[13:14], 3, v[11:12]
	v_mov_b32_e32 v20, s49
	v_add_co_u32_e32 v19, vcc, s48, v13
	v_addc_co_u32_e32 v20, vcc, v20, v14, vcc
	global_load_dwordx2 v[13:14], v[19:20], off glc
	s_waitcnt vmcnt(0)
	v_cmp_eq_u16_sdwa s[22:23], v14, v12 src0_sel:BYTE_0 src1_sel:DWORD
	s_and_saveexec_b64 s[20:21], s[22:23]
	s_cbranch_execz .LBB497_82
; %bb.86:                               ;   in Loop: Header=BB497_84 Depth=1
	s_mov_b64 s[22:23], 0
.LBB497_87:                             ;   Parent Loop BB497_84 Depth=1
                                        ; =>  This Inner Loop Header: Depth=2
	global_load_dwordx2 v[13:14], v[19:20], off glc
	s_waitcnt vmcnt(0)
	v_cmp_ne_u16_sdwa s[24:25], v14, v12 src0_sel:BYTE_0 src1_sel:DWORD
	s_or_b64 s[22:23], s[24:25], s[22:23]
	s_andn2_b64 exec, exec, s[22:23]
	s_cbranch_execnz .LBB497_87
; %bb.88:                               ;   in Loop: Header=BB497_84 Depth=1
	s_or_b64 exec, exec, s[22:23]
	s_branch .LBB497_82
.LBB497_89:
                                        ; implicit-def: $vgpr10
                                        ; implicit-def: $vgpr9
                                        ; implicit-def: $vgpr45
	s_cbranch_execnz .LBB497_95
	s_branch .LBB497_104
.LBB497_90:
	s_and_saveexec_b64 s[20:21], s[16:17]
	s_cbranch_execz .LBB497_92
; %bb.91:
	s_add_i32 s22, s33, 64
	s_mov_b32 s23, 0
	s_lshl_b64 s[22:23], s[22:23], 3
	s_add_u32 s22, s48, s22
	v_add_u32_e32 v11, v10, v9
	v_mov_b32_e32 v12, 2
	s_addc_u32 s23, s49, s23
	v_mov_b32_e32 v13, 0
	global_store_dwordx2 v13, v[11:12], s[22:23]
	ds_write_b64 v13, v[9:10] offset:6912
.LBB497_92:
	s_or_b64 exec, exec, s[20:21]
	s_and_b64 exec, exec, s[0:1]
; %bb.93:
	v_mov_b32_e32 v9, 0
	ds_write_b32 v9, v10 offset:8
.LBB497_94:
	s_or_b64 exec, exec, s[18:19]
	v_mov_b32_e32 v9, 0
	s_waitcnt vmcnt(0) lgkmcnt(0)
	s_barrier
	ds_read_b32 v11, v9 offset:8
	s_waitcnt lgkmcnt(0)
	s_barrier
	ds_read_b64 v[9:10], v9 offset:6912
	v_cndmask_b32_e64 v12, v41, v40, s[16:17]
	v_cndmask_b32_e64 v12, v12, 0, s[0:1]
	v_add_u32_e32 v45, v11, v12
	s_branch .LBB497_104
.LBB497_95:
	s_waitcnt lgkmcnt(0)
	v_mov_b32_dpp v9, v39 row_shr:1 row_mask:0xf bank_mask:0xf
	v_cndmask_b32_e64 v9, v9, 0, s[14:15]
	v_add_u32_e32 v9, v9, v39
	s_nop 1
	v_mov_b32_dpp v10, v9 row_shr:2 row_mask:0xf bank_mask:0xf
	v_cndmask_b32_e64 v10, 0, v10, s[12:13]
	v_add_u32_e32 v9, v9, v10
	s_nop 1
	;; [unrolled: 4-line block ×4, first 2 shown]
	v_mov_b32_dpp v10, v9 row_bcast:15 row_mask:0xf bank_mask:0xf
	v_cndmask_b32_e64 v10, v10, 0, s[4:5]
	v_add_u32_e32 v9, v9, v10
	s_nop 1
	v_mov_b32_dpp v10, v9 row_bcast:31 row_mask:0xf bank_mask:0xf
	v_cndmask_b32_e64 v10, 0, v10, s[2:3]
	v_add_u32_e32 v9, v9, v10
	s_and_saveexec_b64 s[2:3], s[6:7]
; %bb.96:
	v_lshlrev_b32_e32 v10, 2, v38
	ds_write_b32 v10, v9
; %bb.97:
	s_or_b64 exec, exec, s[2:3]
	v_cmp_gt_u32_e32 vcc, 3, v0
	s_waitcnt lgkmcnt(0)
	s_barrier
	s_and_saveexec_b64 s[2:3], vcc
	s_cbranch_execz .LBB497_99
; %bb.98:
	v_lshlrev_b32_e32 v10, 2, v0
	ds_read_b32 v11, v10
	v_and_b32_e32 v12, 3, v37
	v_cmp_ne_u32_e32 vcc, 0, v12
	s_waitcnt lgkmcnt(0)
	v_mov_b32_dpp v13, v11 row_shr:1 row_mask:0xf bank_mask:0xf
	v_cndmask_b32_e32 v13, 0, v13, vcc
	v_add_u32_e32 v11, v13, v11
	v_cmp_lt_u32_e32 vcc, 1, v12
	s_nop 0
	v_mov_b32_dpp v13, v11 row_shr:2 row_mask:0xf bank_mask:0xf
	v_cndmask_b32_e32 v12, 0, v13, vcc
	v_add_u32_e32 v11, v11, v12
	ds_write_b32 v10, v11
.LBB497_99:
	s_or_b64 exec, exec, s[2:3]
	v_cmp_lt_u32_e32 vcc, 63, v0
	v_mov_b32_e32 v10, 0
	v_mov_b32_e32 v11, 0
	s_waitcnt lgkmcnt(0)
	s_barrier
	s_and_saveexec_b64 s[2:3], vcc
; %bb.100:
	v_lshl_add_u32 v11, v38, 2, -4
	ds_read_b32 v11, v11
; %bb.101:
	s_or_b64 exec, exec, s[2:3]
	v_subrev_co_u32_e32 v12, vcc, 1, v37
	v_and_b32_e32 v13, 64, v37
	v_cmp_lt_i32_e64 s[2:3], v12, v13
	v_cndmask_b32_e64 v12, v12, v37, s[2:3]
	s_waitcnt lgkmcnt(0)
	v_add_u32_e32 v9, v11, v9
	v_lshlrev_b32_e32 v12, 2, v12
	ds_bpermute_b32 v12, v12, v9
	ds_read_b32 v9, v10 offset:8
	s_and_saveexec_b64 s[2:3], s[0:1]
	s_cbranch_execz .LBB497_103
; %bb.102:
	v_mov_b32_e32 v13, 0
	v_mov_b32_e32 v10, 2
	s_waitcnt lgkmcnt(0)
	global_store_dwordx2 v13, v[9:10], s[48:49] offset:512
.LBB497_103:
	s_or_b64 exec, exec, s[2:3]
	s_waitcnt lgkmcnt(1)
	v_cndmask_b32_e32 v10, v12, v11, vcc
	v_cndmask_b32_e64 v45, v10, 0, s[0:1]
	s_waitcnt vmcnt(0) lgkmcnt(0)
	s_barrier
	v_mov_b32_e32 v10, 0
.LBB497_104:
	v_add_u32_e32 v51, v45, v27
	v_add_u32_e32 v49, v51, v29
	;; [unrolled: 1-line block ×7, first 2 shown]
	v_add_u32_sdwa v35, v37, v74 dst_sel:DWORD dst_unused:UNUSED_PAD src0_sel:DWORD src1_sel:BYTE_0
	v_add_u32_sdwa v33, v35, v73 dst_sel:DWORD dst_unused:UNUSED_PAD src0_sel:DWORD src1_sel:BYTE_0
	v_add_u32_e32 v31, v33, v21
	v_add_u32_e32 v29, v31, v23
	;; [unrolled: 1-line block ×6, first 2 shown]
	s_movk_i32 s4, 0xc1
	v_add_u32_e32 v19, v21, v30
	s_waitcnt lgkmcnt(0)
	v_cmp_gt_u32_e32 vcc, s4, v9
	v_lshlrev_b64 v[12:13], 1, v[17:18]
	v_add_u32_e32 v14, v19, v32
	s_mov_b64 s[2:3], -1
	v_and_b32_e32 v11, 1, v22
	s_cbranch_vccnz .LBB497_108
; %bb.105:
	s_and_b64 vcc, exec, s[2:3]
	s_cbranch_vccnz .LBB497_145
.LBB497_106:
	s_and_b64 s[0:1], s[0:1], s[42:43]
	s_and_saveexec_b64 s[2:3], s[0:1]
	s_cbranch_execnz .LBB497_184
.LBB497_107:
	s_endpgm
.LBB497_108:
	v_mov_b32_e32 v20, s45
	v_add_co_u32_e32 v16, vcc, s44, v12
	v_add_u32_e32 v15, v10, v9
	v_addc_co_u32_e32 v81, vcc, v20, v13, vcc
	v_cmp_lt_u32_e32 vcc, v45, v15
	s_or_b64 s[2:3], s[46:47], vcc
	v_cmp_eq_u32_e32 vcc, 1, v11
	s_and_b64 s[4:5], s[2:3], vcc
	s_and_saveexec_b64 s[2:3], s[4:5]
	s_cbranch_execz .LBB497_110
; %bb.109:
	v_mov_b32_e32 v46, 0
	v_lshlrev_b64 v[82:83], 1, v[45:46]
	v_add_co_u32_e32 v82, vcc, v16, v82
	v_addc_co_u32_e32 v83, vcc, v81, v83, vcc
	global_store_short v[82:83], v7, off
.LBB497_110:
	s_or_b64 exec, exec, s[2:3]
	v_cmp_lt_u32_e32 vcc, v51, v15
	v_and_b32_e32 v20, 1, v80
	s_or_b64 s[2:3], s[46:47], vcc
	v_cmp_eq_u32_e32 vcc, 1, v20
	s_and_b64 s[4:5], s[2:3], vcc
	s_and_saveexec_b64 s[2:3], s[4:5]
	s_cbranch_execz .LBB497_112
; %bb.111:
	v_mov_b32_e32 v52, 0
	v_lshlrev_b64 v[82:83], 1, v[51:52]
	v_add_co_u32_e32 v82, vcc, v16, v82
	v_addc_co_u32_e32 v83, vcc, v81, v83, vcc
	global_store_short v[82:83], v63, off
.LBB497_112:
	s_or_b64 exec, exec, s[2:3]
	v_cmp_lt_u32_e32 vcc, v49, v15
	v_and_b32_e32 v20, 1, v79
	s_or_b64 s[2:3], s[46:47], vcc
	v_cmp_eq_u32_e32 vcc, 1, v20
	s_and_b64 s[4:5], s[2:3], vcc
	s_and_saveexec_b64 s[2:3], s[4:5]
	s_cbranch_execz .LBB497_114
; %bb.113:
	v_mov_b32_e32 v50, 0
	v_lshlrev_b64 v[82:83], 1, v[49:50]
	v_add_co_u32_e32 v82, vcc, v16, v82
	v_addc_co_u32_e32 v83, vcc, v81, v83, vcc
	global_store_short v[82:83], v8, off
.LBB497_114:
	s_or_b64 exec, exec, s[2:3]
	v_cmp_lt_u32_e32 vcc, v47, v15
	v_and_b32_e32 v20, 1, v78
	s_or_b64 s[2:3], s[46:47], vcc
	v_cmp_eq_u32_e32 vcc, 1, v20
	s_and_b64 s[4:5], s[2:3], vcc
	s_and_saveexec_b64 s[2:3], s[4:5]
	s_cbranch_execz .LBB497_116
; %bb.115:
	v_mov_b32_e32 v48, 0
	v_lshlrev_b64 v[82:83], 1, v[47:48]
	v_add_co_u32_e32 v82, vcc, v16, v82
	v_addc_co_u32_e32 v83, vcc, v81, v83, vcc
	global_store_short v[82:83], v62, off
.LBB497_116:
	s_or_b64 exec, exec, s[2:3]
	v_cmp_lt_u32_e32 vcc, v43, v15
	v_and_b32_e32 v20, 1, v77
	s_or_b64 s[2:3], s[46:47], vcc
	v_cmp_eq_u32_e32 vcc, 1, v20
	s_and_b64 s[4:5], s[2:3], vcc
	s_and_saveexec_b64 s[2:3], s[4:5]
	s_cbranch_execz .LBB497_118
; %bb.117:
	v_mov_b32_e32 v44, 0
	v_lshlrev_b64 v[82:83], 1, v[43:44]
	v_add_co_u32_e32 v82, vcc, v16, v82
	v_addc_co_u32_e32 v83, vcc, v81, v83, vcc
	global_store_short v[82:83], v5, off
.LBB497_118:
	s_or_b64 exec, exec, s[2:3]
	v_cmp_lt_u32_e32 vcc, v41, v15
	v_and_b32_e32 v20, 1, v76
	s_or_b64 s[2:3], s[46:47], vcc
	v_cmp_eq_u32_e32 vcc, 1, v20
	s_and_b64 s[4:5], s[2:3], vcc
	s_and_saveexec_b64 s[2:3], s[4:5]
	s_cbranch_execz .LBB497_120
; %bb.119:
	v_mov_b32_e32 v42, 0
	v_lshlrev_b64 v[82:83], 1, v[41:42]
	v_add_co_u32_e32 v82, vcc, v16, v82
	v_addc_co_u32_e32 v83, vcc, v81, v83, vcc
	global_store_short v[82:83], v61, off
.LBB497_120:
	s_or_b64 exec, exec, s[2:3]
	v_cmp_lt_u32_e32 vcc, v39, v15
	v_and_b32_e32 v20, 1, v75
	s_or_b64 s[2:3], s[46:47], vcc
	v_cmp_eq_u32_e32 vcc, 1, v20
	s_and_b64 s[4:5], s[2:3], vcc
	s_and_saveexec_b64 s[2:3], s[4:5]
	s_cbranch_execz .LBB497_122
; %bb.121:
	v_mov_b32_e32 v40, 0
	v_lshlrev_b64 v[82:83], 1, v[39:40]
	v_add_co_u32_e32 v82, vcc, v16, v82
	v_addc_co_u32_e32 v83, vcc, v81, v83, vcc
	global_store_short v[82:83], v6, off
.LBB497_122:
	s_or_b64 exec, exec, s[2:3]
	v_cmp_lt_u32_e32 vcc, v37, v15
	v_and_b32_e32 v20, 1, v74
	s_or_b64 s[2:3], s[46:47], vcc
	v_cmp_eq_u32_e32 vcc, 1, v20
	s_and_b64 s[4:5], s[2:3], vcc
	s_and_saveexec_b64 s[2:3], s[4:5]
	s_cbranch_execz .LBB497_124
; %bb.123:
	v_mov_b32_e32 v38, 0
	v_lshlrev_b64 v[82:83], 1, v[37:38]
	v_add_co_u32_e32 v82, vcc, v16, v82
	v_addc_co_u32_e32 v83, vcc, v81, v83, vcc
	global_store_short v[82:83], v60, off
.LBB497_124:
	s_or_b64 exec, exec, s[2:3]
	v_cmp_lt_u32_e32 vcc, v35, v15
	v_and_b32_e32 v20, 1, v73
	s_or_b64 s[2:3], s[46:47], vcc
	v_cmp_eq_u32_e32 vcc, 1, v20
	s_and_b64 s[4:5], s[2:3], vcc
	s_and_saveexec_b64 s[2:3], s[4:5]
	s_cbranch_execz .LBB497_126
; %bb.125:
	v_mov_b32_e32 v36, 0
	v_lshlrev_b64 v[82:83], 1, v[35:36]
	v_add_co_u32_e32 v82, vcc, v16, v82
	v_addc_co_u32_e32 v83, vcc, v81, v83, vcc
	global_store_short v[82:83], v3, off
.LBB497_126:
	s_or_b64 exec, exec, s[2:3]
	v_cmp_lt_u32_e32 vcc, v33, v15
	v_and_b32_e32 v20, 1, v72
	s_or_b64 s[2:3], s[46:47], vcc
	v_cmp_eq_u32_e32 vcc, 1, v20
	s_and_b64 s[4:5], s[2:3], vcc
	s_and_saveexec_b64 s[2:3], s[4:5]
	s_cbranch_execz .LBB497_128
; %bb.127:
	v_mov_b32_e32 v34, 0
	v_lshlrev_b64 v[82:83], 1, v[33:34]
	v_add_co_u32_e32 v82, vcc, v16, v82
	v_addc_co_u32_e32 v83, vcc, v81, v83, vcc
	global_store_short v[82:83], v59, off
.LBB497_128:
	s_or_b64 exec, exec, s[2:3]
	v_cmp_lt_u32_e32 vcc, v31, v15
	v_and_b32_e32 v20, 1, v71
	s_or_b64 s[2:3], s[46:47], vcc
	v_cmp_eq_u32_e32 vcc, 1, v20
	s_and_b64 s[4:5], s[2:3], vcc
	s_and_saveexec_b64 s[2:3], s[4:5]
	s_cbranch_execz .LBB497_130
; %bb.129:
	v_mov_b32_e32 v32, 0
	v_lshlrev_b64 v[82:83], 1, v[31:32]
	v_add_co_u32_e32 v82, vcc, v16, v82
	v_addc_co_u32_e32 v83, vcc, v81, v83, vcc
	global_store_short v[82:83], v4, off
.LBB497_130:
	s_or_b64 exec, exec, s[2:3]
	v_cmp_lt_u32_e32 vcc, v29, v15
	v_and_b32_e32 v20, 1, v70
	s_or_b64 s[2:3], s[46:47], vcc
	v_cmp_eq_u32_e32 vcc, 1, v20
	s_and_b64 s[4:5], s[2:3], vcc
	s_and_saveexec_b64 s[2:3], s[4:5]
	s_cbranch_execz .LBB497_132
; %bb.131:
	v_mov_b32_e32 v30, 0
	v_lshlrev_b64 v[82:83], 1, v[29:30]
	v_add_co_u32_e32 v82, vcc, v16, v82
	v_addc_co_u32_e32 v83, vcc, v81, v83, vcc
	global_store_short v[82:83], v58, off
.LBB497_132:
	s_or_b64 exec, exec, s[2:3]
	v_cmp_lt_u32_e32 vcc, v27, v15
	v_and_b32_e32 v20, 1, v69
	s_or_b64 s[2:3], s[46:47], vcc
	v_cmp_eq_u32_e32 vcc, 1, v20
	s_and_b64 s[4:5], s[2:3], vcc
	s_and_saveexec_b64 s[2:3], s[4:5]
	s_cbranch_execz .LBB497_134
; %bb.133:
	v_mov_b32_e32 v28, 0
	v_lshlrev_b64 v[82:83], 1, v[27:28]
	v_add_co_u32_e32 v82, vcc, v16, v82
	v_addc_co_u32_e32 v83, vcc, v81, v83, vcc
	global_store_short v[82:83], v1, off
.LBB497_134:
	s_or_b64 exec, exec, s[2:3]
	v_cmp_lt_u32_e32 vcc, v25, v15
	v_and_b32_e32 v20, 1, v68
	s_or_b64 s[2:3], s[46:47], vcc
	v_cmp_eq_u32_e32 vcc, 1, v20
	s_and_b64 s[4:5], s[2:3], vcc
	s_and_saveexec_b64 s[2:3], s[4:5]
	s_cbranch_execz .LBB497_136
; %bb.135:
	v_mov_b32_e32 v26, 0
	v_lshlrev_b64 v[82:83], 1, v[25:26]
	v_add_co_u32_e32 v82, vcc, v16, v82
	v_addc_co_u32_e32 v83, vcc, v81, v83, vcc
	global_store_short v[82:83], v57, off
.LBB497_136:
	s_or_b64 exec, exec, s[2:3]
	v_cmp_lt_u32_e32 vcc, v23, v15
	v_and_b32_e32 v20, 1, v67
	s_or_b64 s[2:3], s[46:47], vcc
	v_cmp_eq_u32_e32 vcc, 1, v20
	s_and_b64 s[4:5], s[2:3], vcc
	s_and_saveexec_b64 s[2:3], s[4:5]
	s_cbranch_execz .LBB497_138
; %bb.137:
	v_mov_b32_e32 v24, 0
	v_lshlrev_b64 v[82:83], 1, v[23:24]
	v_add_co_u32_e32 v82, vcc, v16, v82
	v_addc_co_u32_e32 v83, vcc, v81, v83, vcc
	global_store_short v[82:83], v2, off
.LBB497_138:
	s_or_b64 exec, exec, s[2:3]
	v_cmp_lt_u32_e32 vcc, v21, v15
	v_and_b32_e32 v20, 1, v66
	s_or_b64 s[2:3], s[46:47], vcc
	v_cmp_eq_u32_e32 vcc, 1, v20
	s_and_b64 s[4:5], s[2:3], vcc
	s_and_saveexec_b64 s[2:3], s[4:5]
	s_cbranch_execz .LBB497_140
; %bb.139:
	v_mov_b32_e32 v22, 0
	v_lshlrev_b64 v[82:83], 1, v[21:22]
	v_add_co_u32_e32 v82, vcc, v16, v82
	v_addc_co_u32_e32 v83, vcc, v81, v83, vcc
	global_store_short v[82:83], v56, off
.LBB497_140:
	s_or_b64 exec, exec, s[2:3]
	v_cmp_lt_u32_e32 vcc, v19, v15
	v_and_b32_e32 v20, 1, v65
	s_or_b64 s[2:3], s[46:47], vcc
	v_cmp_eq_u32_e32 vcc, 1, v20
	s_and_b64 s[4:5], s[2:3], vcc
	s_and_saveexec_b64 s[2:3], s[4:5]
	s_cbranch_execz .LBB497_142
; %bb.141:
	v_mov_b32_e32 v20, 0
	v_lshlrev_b64 v[82:83], 1, v[19:20]
	v_add_co_u32_e32 v82, vcc, v16, v82
	v_addc_co_u32_e32 v83, vcc, v81, v83, vcc
	global_store_short v[82:83], v55, off
.LBB497_142:
	s_or_b64 exec, exec, s[2:3]
	v_cmp_lt_u32_e32 vcc, v14, v15
	v_and_b32_e32 v15, 1, v64
	s_or_b64 s[2:3], s[46:47], vcc
	v_cmp_eq_u32_e32 vcc, 1, v15
	s_and_b64 s[4:5], s[2:3], vcc
	s_and_saveexec_b64 s[2:3], s[4:5]
	s_cbranch_execz .LBB497_144
; %bb.143:
	v_mov_b32_e32 v15, 0
	v_lshlrev_b64 v[82:83], 1, v[14:15]
	v_add_co_u32_e32 v15, vcc, v16, v82
	v_addc_co_u32_e32 v16, vcc, v81, v83, vcc
	global_store_short v[15:16], v54, off
.LBB497_144:
	s_or_b64 exec, exec, s[2:3]
	s_branch .LBB497_106
.LBB497_145:
	v_cmp_eq_u32_e32 vcc, 1, v11
	s_and_saveexec_b64 s[2:3], vcc
; %bb.146:
	v_sub_u32_e32 v11, v45, v10
	v_lshlrev_b32_e32 v11, 1, v11
	ds_write_b16 v11, v7
; %bb.147:
	s_or_b64 exec, exec, s[2:3]
	v_and_b32_e32 v7, 1, v80
	v_cmp_eq_u32_e32 vcc, 1, v7
	s_and_saveexec_b64 s[2:3], vcc
; %bb.148:
	v_sub_u32_e32 v7, v51, v10
	v_lshlrev_b32_e32 v7, 1, v7
	ds_write_b16 v7, v63
; %bb.149:
	s_or_b64 exec, exec, s[2:3]
	v_and_b32_e32 v7, 1, v79
	;; [unrolled: 9-line block ×17, first 2 shown]
	v_cmp_eq_u32_e32 vcc, 1, v1
	s_and_saveexec_b64 s[2:3], vcc
; %bb.180:
	v_sub_u32_e32 v1, v14, v10
	v_lshlrev_b32_e32 v1, 1, v1
	ds_write_b16 v1, v54
; %bb.181:
	s_or_b64 exec, exec, s[2:3]
	v_mov_b32_e32 v1, 0
	v_mov_b32_e32 v11, v1
	;; [unrolled: 1-line block ×3, first 2 shown]
	v_add_co_u32_e32 v4, vcc, s44, v12
	v_addc_co_u32_e32 v5, vcc, v2, v13, vcc
	v_lshlrev_b64 v[2:3], 1, v[10:11]
	s_mov_b64 s[4:5], 0
	v_add_co_u32_e32 v2, vcc, v4, v2
	v_addc_co_u32_e32 v3, vcc, v5, v3, vcc
	s_waitcnt vmcnt(0) lgkmcnt(0)
	s_barrier
.LBB497_182:                            ; =>This Inner Loop Header: Depth=1
	ds_read_u16 v6, v53
	v_lshlrev_b64 v[4:5], 1, v[0:1]
	v_add_u32_e32 v0, 0xc0, v0
	v_cmp_ge_u32_e32 vcc, v0, v9
	v_add_co_u32_e64 v4, s[2:3], v2, v4
	v_add_u32_e32 v53, 0x180, v53
	v_addc_co_u32_e64 v5, s[2:3], v3, v5, s[2:3]
	s_or_b64 s[4:5], vcc, s[4:5]
	s_waitcnt lgkmcnt(0)
	global_store_short v[4:5], v6, off
	s_andn2_b64 exec, exec, s[4:5]
	s_cbranch_execnz .LBB497_182
; %bb.183:
	s_or_b64 exec, exec, s[4:5]
	s_and_b64 s[0:1], s[0:1], s[42:43]
	s_and_saveexec_b64 s[2:3], s[0:1]
	s_cbranch_execz .LBB497_107
.LBB497_184:
	v_add_co_u32_e32 v0, vcc, v17, v9
	v_addc_co_u32_e32 v1, vcc, 0, v18, vcc
	v_add_co_u32_e32 v0, vcc, v0, v10
	v_mov_b32_e32 v2, 0
	v_addc_co_u32_e32 v1, vcc, 0, v1, vcc
	global_store_dwordx2 v2, v[0:1], s[40:41]
	s_endpgm
	.section	.rodata,"a",@progbits
	.p2align	6, 0x0
	.amdhsa_kernel _ZN7rocprim17ROCPRIM_400000_NS6detail17trampoline_kernelINS0_14default_configENS1_25partition_config_selectorILNS1_17partition_subalgoE8EsNS0_10empty_typeEbEEZZNS1_14partition_implILS5_8ELb0ES3_jN6thrust23THRUST_200600_302600_NS6detail15normal_iteratorINSA_10device_ptrIsEEEEPS6_PKS6_NS0_5tupleIJSF_S6_EEENSJ_IJSG_SG_EEENS0_18inequality_wrapperINSA_8equal_toIsEEEEPmJS6_EEE10hipError_tPvRmT3_T4_T5_T6_T7_T9_mT8_P12ihipStream_tbDpT10_ENKUlT_T0_E_clISt17integral_constantIbLb0EES19_IbLb1EEEEDaS15_S16_EUlS15_E_NS1_11comp_targetILNS1_3genE2ELNS1_11target_archE906ELNS1_3gpuE6ELNS1_3repE0EEENS1_30default_config_static_selectorELNS0_4arch9wavefront6targetE1EEEvT1_
		.amdhsa_group_segment_fixed_size 6920
		.amdhsa_private_segment_fixed_size 0
		.amdhsa_kernarg_size 128
		.amdhsa_user_sgpr_count 6
		.amdhsa_user_sgpr_private_segment_buffer 1
		.amdhsa_user_sgpr_dispatch_ptr 0
		.amdhsa_user_sgpr_queue_ptr 0
		.amdhsa_user_sgpr_kernarg_segment_ptr 1
		.amdhsa_user_sgpr_dispatch_id 0
		.amdhsa_user_sgpr_flat_scratch_init 0
		.amdhsa_user_sgpr_private_segment_size 0
		.amdhsa_uses_dynamic_stack 0
		.amdhsa_system_sgpr_private_segment_wavefront_offset 0
		.amdhsa_system_sgpr_workgroup_id_x 1
		.amdhsa_system_sgpr_workgroup_id_y 0
		.amdhsa_system_sgpr_workgroup_id_z 0
		.amdhsa_system_sgpr_workgroup_info 0
		.amdhsa_system_vgpr_workitem_id 0
		.amdhsa_next_free_vgpr 84
		.amdhsa_next_free_sgpr 77
		.amdhsa_reserve_vcc 1
		.amdhsa_reserve_flat_scratch 0
		.amdhsa_float_round_mode_32 0
		.amdhsa_float_round_mode_16_64 0
		.amdhsa_float_denorm_mode_32 3
		.amdhsa_float_denorm_mode_16_64 3
		.amdhsa_dx10_clamp 1
		.amdhsa_ieee_mode 1
		.amdhsa_fp16_overflow 0
		.amdhsa_exception_fp_ieee_invalid_op 0
		.amdhsa_exception_fp_denorm_src 0
		.amdhsa_exception_fp_ieee_div_zero 0
		.amdhsa_exception_fp_ieee_overflow 0
		.amdhsa_exception_fp_ieee_underflow 0
		.amdhsa_exception_fp_ieee_inexact 0
		.amdhsa_exception_int_div_zero 0
	.end_amdhsa_kernel
	.section	.text._ZN7rocprim17ROCPRIM_400000_NS6detail17trampoline_kernelINS0_14default_configENS1_25partition_config_selectorILNS1_17partition_subalgoE8EsNS0_10empty_typeEbEEZZNS1_14partition_implILS5_8ELb0ES3_jN6thrust23THRUST_200600_302600_NS6detail15normal_iteratorINSA_10device_ptrIsEEEEPS6_PKS6_NS0_5tupleIJSF_S6_EEENSJ_IJSG_SG_EEENS0_18inequality_wrapperINSA_8equal_toIsEEEEPmJS6_EEE10hipError_tPvRmT3_T4_T5_T6_T7_T9_mT8_P12ihipStream_tbDpT10_ENKUlT_T0_E_clISt17integral_constantIbLb0EES19_IbLb1EEEEDaS15_S16_EUlS15_E_NS1_11comp_targetILNS1_3genE2ELNS1_11target_archE906ELNS1_3gpuE6ELNS1_3repE0EEENS1_30default_config_static_selectorELNS0_4arch9wavefront6targetE1EEEvT1_,"axG",@progbits,_ZN7rocprim17ROCPRIM_400000_NS6detail17trampoline_kernelINS0_14default_configENS1_25partition_config_selectorILNS1_17partition_subalgoE8EsNS0_10empty_typeEbEEZZNS1_14partition_implILS5_8ELb0ES3_jN6thrust23THRUST_200600_302600_NS6detail15normal_iteratorINSA_10device_ptrIsEEEEPS6_PKS6_NS0_5tupleIJSF_S6_EEENSJ_IJSG_SG_EEENS0_18inequality_wrapperINSA_8equal_toIsEEEEPmJS6_EEE10hipError_tPvRmT3_T4_T5_T6_T7_T9_mT8_P12ihipStream_tbDpT10_ENKUlT_T0_E_clISt17integral_constantIbLb0EES19_IbLb1EEEEDaS15_S16_EUlS15_E_NS1_11comp_targetILNS1_3genE2ELNS1_11target_archE906ELNS1_3gpuE6ELNS1_3repE0EEENS1_30default_config_static_selectorELNS0_4arch9wavefront6targetE1EEEvT1_,comdat
.Lfunc_end497:
	.size	_ZN7rocprim17ROCPRIM_400000_NS6detail17trampoline_kernelINS0_14default_configENS1_25partition_config_selectorILNS1_17partition_subalgoE8EsNS0_10empty_typeEbEEZZNS1_14partition_implILS5_8ELb0ES3_jN6thrust23THRUST_200600_302600_NS6detail15normal_iteratorINSA_10device_ptrIsEEEEPS6_PKS6_NS0_5tupleIJSF_S6_EEENSJ_IJSG_SG_EEENS0_18inequality_wrapperINSA_8equal_toIsEEEEPmJS6_EEE10hipError_tPvRmT3_T4_T5_T6_T7_T9_mT8_P12ihipStream_tbDpT10_ENKUlT_T0_E_clISt17integral_constantIbLb0EES19_IbLb1EEEEDaS15_S16_EUlS15_E_NS1_11comp_targetILNS1_3genE2ELNS1_11target_archE906ELNS1_3gpuE6ELNS1_3repE0EEENS1_30default_config_static_selectorELNS0_4arch9wavefront6targetE1EEEvT1_, .Lfunc_end497-_ZN7rocprim17ROCPRIM_400000_NS6detail17trampoline_kernelINS0_14default_configENS1_25partition_config_selectorILNS1_17partition_subalgoE8EsNS0_10empty_typeEbEEZZNS1_14partition_implILS5_8ELb0ES3_jN6thrust23THRUST_200600_302600_NS6detail15normal_iteratorINSA_10device_ptrIsEEEEPS6_PKS6_NS0_5tupleIJSF_S6_EEENSJ_IJSG_SG_EEENS0_18inequality_wrapperINSA_8equal_toIsEEEEPmJS6_EEE10hipError_tPvRmT3_T4_T5_T6_T7_T9_mT8_P12ihipStream_tbDpT10_ENKUlT_T0_E_clISt17integral_constantIbLb0EES19_IbLb1EEEEDaS15_S16_EUlS15_E_NS1_11comp_targetILNS1_3genE2ELNS1_11target_archE906ELNS1_3gpuE6ELNS1_3repE0EEENS1_30default_config_static_selectorELNS0_4arch9wavefront6targetE1EEEvT1_
                                        ; -- End function
	.set _ZN7rocprim17ROCPRIM_400000_NS6detail17trampoline_kernelINS0_14default_configENS1_25partition_config_selectorILNS1_17partition_subalgoE8EsNS0_10empty_typeEbEEZZNS1_14partition_implILS5_8ELb0ES3_jN6thrust23THRUST_200600_302600_NS6detail15normal_iteratorINSA_10device_ptrIsEEEEPS6_PKS6_NS0_5tupleIJSF_S6_EEENSJ_IJSG_SG_EEENS0_18inequality_wrapperINSA_8equal_toIsEEEEPmJS6_EEE10hipError_tPvRmT3_T4_T5_T6_T7_T9_mT8_P12ihipStream_tbDpT10_ENKUlT_T0_E_clISt17integral_constantIbLb0EES19_IbLb1EEEEDaS15_S16_EUlS15_E_NS1_11comp_targetILNS1_3genE2ELNS1_11target_archE906ELNS1_3gpuE6ELNS1_3repE0EEENS1_30default_config_static_selectorELNS0_4arch9wavefront6targetE1EEEvT1_.num_vgpr, 84
	.set _ZN7rocprim17ROCPRIM_400000_NS6detail17trampoline_kernelINS0_14default_configENS1_25partition_config_selectorILNS1_17partition_subalgoE8EsNS0_10empty_typeEbEEZZNS1_14partition_implILS5_8ELb0ES3_jN6thrust23THRUST_200600_302600_NS6detail15normal_iteratorINSA_10device_ptrIsEEEEPS6_PKS6_NS0_5tupleIJSF_S6_EEENSJ_IJSG_SG_EEENS0_18inequality_wrapperINSA_8equal_toIsEEEEPmJS6_EEE10hipError_tPvRmT3_T4_T5_T6_T7_T9_mT8_P12ihipStream_tbDpT10_ENKUlT_T0_E_clISt17integral_constantIbLb0EES19_IbLb1EEEEDaS15_S16_EUlS15_E_NS1_11comp_targetILNS1_3genE2ELNS1_11target_archE906ELNS1_3gpuE6ELNS1_3repE0EEENS1_30default_config_static_selectorELNS0_4arch9wavefront6targetE1EEEvT1_.num_agpr, 0
	.set _ZN7rocprim17ROCPRIM_400000_NS6detail17trampoline_kernelINS0_14default_configENS1_25partition_config_selectorILNS1_17partition_subalgoE8EsNS0_10empty_typeEbEEZZNS1_14partition_implILS5_8ELb0ES3_jN6thrust23THRUST_200600_302600_NS6detail15normal_iteratorINSA_10device_ptrIsEEEEPS6_PKS6_NS0_5tupleIJSF_S6_EEENSJ_IJSG_SG_EEENS0_18inequality_wrapperINSA_8equal_toIsEEEEPmJS6_EEE10hipError_tPvRmT3_T4_T5_T6_T7_T9_mT8_P12ihipStream_tbDpT10_ENKUlT_T0_E_clISt17integral_constantIbLb0EES19_IbLb1EEEEDaS15_S16_EUlS15_E_NS1_11comp_targetILNS1_3genE2ELNS1_11target_archE906ELNS1_3gpuE6ELNS1_3repE0EEENS1_30default_config_static_selectorELNS0_4arch9wavefront6targetE1EEEvT1_.numbered_sgpr, 61
	.set _ZN7rocprim17ROCPRIM_400000_NS6detail17trampoline_kernelINS0_14default_configENS1_25partition_config_selectorILNS1_17partition_subalgoE8EsNS0_10empty_typeEbEEZZNS1_14partition_implILS5_8ELb0ES3_jN6thrust23THRUST_200600_302600_NS6detail15normal_iteratorINSA_10device_ptrIsEEEEPS6_PKS6_NS0_5tupleIJSF_S6_EEENSJ_IJSG_SG_EEENS0_18inequality_wrapperINSA_8equal_toIsEEEEPmJS6_EEE10hipError_tPvRmT3_T4_T5_T6_T7_T9_mT8_P12ihipStream_tbDpT10_ENKUlT_T0_E_clISt17integral_constantIbLb0EES19_IbLb1EEEEDaS15_S16_EUlS15_E_NS1_11comp_targetILNS1_3genE2ELNS1_11target_archE906ELNS1_3gpuE6ELNS1_3repE0EEENS1_30default_config_static_selectorELNS0_4arch9wavefront6targetE1EEEvT1_.num_named_barrier, 0
	.set _ZN7rocprim17ROCPRIM_400000_NS6detail17trampoline_kernelINS0_14default_configENS1_25partition_config_selectorILNS1_17partition_subalgoE8EsNS0_10empty_typeEbEEZZNS1_14partition_implILS5_8ELb0ES3_jN6thrust23THRUST_200600_302600_NS6detail15normal_iteratorINSA_10device_ptrIsEEEEPS6_PKS6_NS0_5tupleIJSF_S6_EEENSJ_IJSG_SG_EEENS0_18inequality_wrapperINSA_8equal_toIsEEEEPmJS6_EEE10hipError_tPvRmT3_T4_T5_T6_T7_T9_mT8_P12ihipStream_tbDpT10_ENKUlT_T0_E_clISt17integral_constantIbLb0EES19_IbLb1EEEEDaS15_S16_EUlS15_E_NS1_11comp_targetILNS1_3genE2ELNS1_11target_archE906ELNS1_3gpuE6ELNS1_3repE0EEENS1_30default_config_static_selectorELNS0_4arch9wavefront6targetE1EEEvT1_.private_seg_size, 0
	.set _ZN7rocprim17ROCPRIM_400000_NS6detail17trampoline_kernelINS0_14default_configENS1_25partition_config_selectorILNS1_17partition_subalgoE8EsNS0_10empty_typeEbEEZZNS1_14partition_implILS5_8ELb0ES3_jN6thrust23THRUST_200600_302600_NS6detail15normal_iteratorINSA_10device_ptrIsEEEEPS6_PKS6_NS0_5tupleIJSF_S6_EEENSJ_IJSG_SG_EEENS0_18inequality_wrapperINSA_8equal_toIsEEEEPmJS6_EEE10hipError_tPvRmT3_T4_T5_T6_T7_T9_mT8_P12ihipStream_tbDpT10_ENKUlT_T0_E_clISt17integral_constantIbLb0EES19_IbLb1EEEEDaS15_S16_EUlS15_E_NS1_11comp_targetILNS1_3genE2ELNS1_11target_archE906ELNS1_3gpuE6ELNS1_3repE0EEENS1_30default_config_static_selectorELNS0_4arch9wavefront6targetE1EEEvT1_.uses_vcc, 1
	.set _ZN7rocprim17ROCPRIM_400000_NS6detail17trampoline_kernelINS0_14default_configENS1_25partition_config_selectorILNS1_17partition_subalgoE8EsNS0_10empty_typeEbEEZZNS1_14partition_implILS5_8ELb0ES3_jN6thrust23THRUST_200600_302600_NS6detail15normal_iteratorINSA_10device_ptrIsEEEEPS6_PKS6_NS0_5tupleIJSF_S6_EEENSJ_IJSG_SG_EEENS0_18inequality_wrapperINSA_8equal_toIsEEEEPmJS6_EEE10hipError_tPvRmT3_T4_T5_T6_T7_T9_mT8_P12ihipStream_tbDpT10_ENKUlT_T0_E_clISt17integral_constantIbLb0EES19_IbLb1EEEEDaS15_S16_EUlS15_E_NS1_11comp_targetILNS1_3genE2ELNS1_11target_archE906ELNS1_3gpuE6ELNS1_3repE0EEENS1_30default_config_static_selectorELNS0_4arch9wavefront6targetE1EEEvT1_.uses_flat_scratch, 0
	.set _ZN7rocprim17ROCPRIM_400000_NS6detail17trampoline_kernelINS0_14default_configENS1_25partition_config_selectorILNS1_17partition_subalgoE8EsNS0_10empty_typeEbEEZZNS1_14partition_implILS5_8ELb0ES3_jN6thrust23THRUST_200600_302600_NS6detail15normal_iteratorINSA_10device_ptrIsEEEEPS6_PKS6_NS0_5tupleIJSF_S6_EEENSJ_IJSG_SG_EEENS0_18inequality_wrapperINSA_8equal_toIsEEEEPmJS6_EEE10hipError_tPvRmT3_T4_T5_T6_T7_T9_mT8_P12ihipStream_tbDpT10_ENKUlT_T0_E_clISt17integral_constantIbLb0EES19_IbLb1EEEEDaS15_S16_EUlS15_E_NS1_11comp_targetILNS1_3genE2ELNS1_11target_archE906ELNS1_3gpuE6ELNS1_3repE0EEENS1_30default_config_static_selectorELNS0_4arch9wavefront6targetE1EEEvT1_.has_dyn_sized_stack, 0
	.set _ZN7rocprim17ROCPRIM_400000_NS6detail17trampoline_kernelINS0_14default_configENS1_25partition_config_selectorILNS1_17partition_subalgoE8EsNS0_10empty_typeEbEEZZNS1_14partition_implILS5_8ELb0ES3_jN6thrust23THRUST_200600_302600_NS6detail15normal_iteratorINSA_10device_ptrIsEEEEPS6_PKS6_NS0_5tupleIJSF_S6_EEENSJ_IJSG_SG_EEENS0_18inequality_wrapperINSA_8equal_toIsEEEEPmJS6_EEE10hipError_tPvRmT3_T4_T5_T6_T7_T9_mT8_P12ihipStream_tbDpT10_ENKUlT_T0_E_clISt17integral_constantIbLb0EES19_IbLb1EEEEDaS15_S16_EUlS15_E_NS1_11comp_targetILNS1_3genE2ELNS1_11target_archE906ELNS1_3gpuE6ELNS1_3repE0EEENS1_30default_config_static_selectorELNS0_4arch9wavefront6targetE1EEEvT1_.has_recursion, 0
	.set _ZN7rocprim17ROCPRIM_400000_NS6detail17trampoline_kernelINS0_14default_configENS1_25partition_config_selectorILNS1_17partition_subalgoE8EsNS0_10empty_typeEbEEZZNS1_14partition_implILS5_8ELb0ES3_jN6thrust23THRUST_200600_302600_NS6detail15normal_iteratorINSA_10device_ptrIsEEEEPS6_PKS6_NS0_5tupleIJSF_S6_EEENSJ_IJSG_SG_EEENS0_18inequality_wrapperINSA_8equal_toIsEEEEPmJS6_EEE10hipError_tPvRmT3_T4_T5_T6_T7_T9_mT8_P12ihipStream_tbDpT10_ENKUlT_T0_E_clISt17integral_constantIbLb0EES19_IbLb1EEEEDaS15_S16_EUlS15_E_NS1_11comp_targetILNS1_3genE2ELNS1_11target_archE906ELNS1_3gpuE6ELNS1_3repE0EEENS1_30default_config_static_selectorELNS0_4arch9wavefront6targetE1EEEvT1_.has_indirect_call, 0
	.section	.AMDGPU.csdata,"",@progbits
; Kernel info:
; codeLenInByte = 8172
; TotalNumSgprs: 65
; NumVgprs: 84
; ScratchSize: 0
; MemoryBound: 0
; FloatMode: 240
; IeeeMode: 1
; LDSByteSize: 6920 bytes/workgroup (compile time only)
; SGPRBlocks: 10
; VGPRBlocks: 20
; NumSGPRsForWavesPerEU: 81
; NumVGPRsForWavesPerEU: 84
; Occupancy: 3
; WaveLimiterHint : 1
; COMPUTE_PGM_RSRC2:SCRATCH_EN: 0
; COMPUTE_PGM_RSRC2:USER_SGPR: 6
; COMPUTE_PGM_RSRC2:TRAP_HANDLER: 0
; COMPUTE_PGM_RSRC2:TGID_X_EN: 1
; COMPUTE_PGM_RSRC2:TGID_Y_EN: 0
; COMPUTE_PGM_RSRC2:TGID_Z_EN: 0
; COMPUTE_PGM_RSRC2:TIDIG_COMP_CNT: 0
	.section	.text._ZN7rocprim17ROCPRIM_400000_NS6detail17trampoline_kernelINS0_14default_configENS1_25partition_config_selectorILNS1_17partition_subalgoE8EsNS0_10empty_typeEbEEZZNS1_14partition_implILS5_8ELb0ES3_jN6thrust23THRUST_200600_302600_NS6detail15normal_iteratorINSA_10device_ptrIsEEEEPS6_PKS6_NS0_5tupleIJSF_S6_EEENSJ_IJSG_SG_EEENS0_18inequality_wrapperINSA_8equal_toIsEEEEPmJS6_EEE10hipError_tPvRmT3_T4_T5_T6_T7_T9_mT8_P12ihipStream_tbDpT10_ENKUlT_T0_E_clISt17integral_constantIbLb0EES19_IbLb1EEEEDaS15_S16_EUlS15_E_NS1_11comp_targetILNS1_3genE10ELNS1_11target_archE1200ELNS1_3gpuE4ELNS1_3repE0EEENS1_30default_config_static_selectorELNS0_4arch9wavefront6targetE1EEEvT1_,"axG",@progbits,_ZN7rocprim17ROCPRIM_400000_NS6detail17trampoline_kernelINS0_14default_configENS1_25partition_config_selectorILNS1_17partition_subalgoE8EsNS0_10empty_typeEbEEZZNS1_14partition_implILS5_8ELb0ES3_jN6thrust23THRUST_200600_302600_NS6detail15normal_iteratorINSA_10device_ptrIsEEEEPS6_PKS6_NS0_5tupleIJSF_S6_EEENSJ_IJSG_SG_EEENS0_18inequality_wrapperINSA_8equal_toIsEEEEPmJS6_EEE10hipError_tPvRmT3_T4_T5_T6_T7_T9_mT8_P12ihipStream_tbDpT10_ENKUlT_T0_E_clISt17integral_constantIbLb0EES19_IbLb1EEEEDaS15_S16_EUlS15_E_NS1_11comp_targetILNS1_3genE10ELNS1_11target_archE1200ELNS1_3gpuE4ELNS1_3repE0EEENS1_30default_config_static_selectorELNS0_4arch9wavefront6targetE1EEEvT1_,comdat
	.protected	_ZN7rocprim17ROCPRIM_400000_NS6detail17trampoline_kernelINS0_14default_configENS1_25partition_config_selectorILNS1_17partition_subalgoE8EsNS0_10empty_typeEbEEZZNS1_14partition_implILS5_8ELb0ES3_jN6thrust23THRUST_200600_302600_NS6detail15normal_iteratorINSA_10device_ptrIsEEEEPS6_PKS6_NS0_5tupleIJSF_S6_EEENSJ_IJSG_SG_EEENS0_18inequality_wrapperINSA_8equal_toIsEEEEPmJS6_EEE10hipError_tPvRmT3_T4_T5_T6_T7_T9_mT8_P12ihipStream_tbDpT10_ENKUlT_T0_E_clISt17integral_constantIbLb0EES19_IbLb1EEEEDaS15_S16_EUlS15_E_NS1_11comp_targetILNS1_3genE10ELNS1_11target_archE1200ELNS1_3gpuE4ELNS1_3repE0EEENS1_30default_config_static_selectorELNS0_4arch9wavefront6targetE1EEEvT1_ ; -- Begin function _ZN7rocprim17ROCPRIM_400000_NS6detail17trampoline_kernelINS0_14default_configENS1_25partition_config_selectorILNS1_17partition_subalgoE8EsNS0_10empty_typeEbEEZZNS1_14partition_implILS5_8ELb0ES3_jN6thrust23THRUST_200600_302600_NS6detail15normal_iteratorINSA_10device_ptrIsEEEEPS6_PKS6_NS0_5tupleIJSF_S6_EEENSJ_IJSG_SG_EEENS0_18inequality_wrapperINSA_8equal_toIsEEEEPmJS6_EEE10hipError_tPvRmT3_T4_T5_T6_T7_T9_mT8_P12ihipStream_tbDpT10_ENKUlT_T0_E_clISt17integral_constantIbLb0EES19_IbLb1EEEEDaS15_S16_EUlS15_E_NS1_11comp_targetILNS1_3genE10ELNS1_11target_archE1200ELNS1_3gpuE4ELNS1_3repE0EEENS1_30default_config_static_selectorELNS0_4arch9wavefront6targetE1EEEvT1_
	.globl	_ZN7rocprim17ROCPRIM_400000_NS6detail17trampoline_kernelINS0_14default_configENS1_25partition_config_selectorILNS1_17partition_subalgoE8EsNS0_10empty_typeEbEEZZNS1_14partition_implILS5_8ELb0ES3_jN6thrust23THRUST_200600_302600_NS6detail15normal_iteratorINSA_10device_ptrIsEEEEPS6_PKS6_NS0_5tupleIJSF_S6_EEENSJ_IJSG_SG_EEENS0_18inequality_wrapperINSA_8equal_toIsEEEEPmJS6_EEE10hipError_tPvRmT3_T4_T5_T6_T7_T9_mT8_P12ihipStream_tbDpT10_ENKUlT_T0_E_clISt17integral_constantIbLb0EES19_IbLb1EEEEDaS15_S16_EUlS15_E_NS1_11comp_targetILNS1_3genE10ELNS1_11target_archE1200ELNS1_3gpuE4ELNS1_3repE0EEENS1_30default_config_static_selectorELNS0_4arch9wavefront6targetE1EEEvT1_
	.p2align	8
	.type	_ZN7rocprim17ROCPRIM_400000_NS6detail17trampoline_kernelINS0_14default_configENS1_25partition_config_selectorILNS1_17partition_subalgoE8EsNS0_10empty_typeEbEEZZNS1_14partition_implILS5_8ELb0ES3_jN6thrust23THRUST_200600_302600_NS6detail15normal_iteratorINSA_10device_ptrIsEEEEPS6_PKS6_NS0_5tupleIJSF_S6_EEENSJ_IJSG_SG_EEENS0_18inequality_wrapperINSA_8equal_toIsEEEEPmJS6_EEE10hipError_tPvRmT3_T4_T5_T6_T7_T9_mT8_P12ihipStream_tbDpT10_ENKUlT_T0_E_clISt17integral_constantIbLb0EES19_IbLb1EEEEDaS15_S16_EUlS15_E_NS1_11comp_targetILNS1_3genE10ELNS1_11target_archE1200ELNS1_3gpuE4ELNS1_3repE0EEENS1_30default_config_static_selectorELNS0_4arch9wavefront6targetE1EEEvT1_,@function
_ZN7rocprim17ROCPRIM_400000_NS6detail17trampoline_kernelINS0_14default_configENS1_25partition_config_selectorILNS1_17partition_subalgoE8EsNS0_10empty_typeEbEEZZNS1_14partition_implILS5_8ELb0ES3_jN6thrust23THRUST_200600_302600_NS6detail15normal_iteratorINSA_10device_ptrIsEEEEPS6_PKS6_NS0_5tupleIJSF_S6_EEENSJ_IJSG_SG_EEENS0_18inequality_wrapperINSA_8equal_toIsEEEEPmJS6_EEE10hipError_tPvRmT3_T4_T5_T6_T7_T9_mT8_P12ihipStream_tbDpT10_ENKUlT_T0_E_clISt17integral_constantIbLb0EES19_IbLb1EEEEDaS15_S16_EUlS15_E_NS1_11comp_targetILNS1_3genE10ELNS1_11target_archE1200ELNS1_3gpuE4ELNS1_3repE0EEENS1_30default_config_static_selectorELNS0_4arch9wavefront6targetE1EEEvT1_: ; @_ZN7rocprim17ROCPRIM_400000_NS6detail17trampoline_kernelINS0_14default_configENS1_25partition_config_selectorILNS1_17partition_subalgoE8EsNS0_10empty_typeEbEEZZNS1_14partition_implILS5_8ELb0ES3_jN6thrust23THRUST_200600_302600_NS6detail15normal_iteratorINSA_10device_ptrIsEEEEPS6_PKS6_NS0_5tupleIJSF_S6_EEENSJ_IJSG_SG_EEENS0_18inequality_wrapperINSA_8equal_toIsEEEEPmJS6_EEE10hipError_tPvRmT3_T4_T5_T6_T7_T9_mT8_P12ihipStream_tbDpT10_ENKUlT_T0_E_clISt17integral_constantIbLb0EES19_IbLb1EEEEDaS15_S16_EUlS15_E_NS1_11comp_targetILNS1_3genE10ELNS1_11target_archE1200ELNS1_3gpuE4ELNS1_3repE0EEENS1_30default_config_static_selectorELNS0_4arch9wavefront6targetE1EEEvT1_
; %bb.0:
	.section	.rodata,"a",@progbits
	.p2align	6, 0x0
	.amdhsa_kernel _ZN7rocprim17ROCPRIM_400000_NS6detail17trampoline_kernelINS0_14default_configENS1_25partition_config_selectorILNS1_17partition_subalgoE8EsNS0_10empty_typeEbEEZZNS1_14partition_implILS5_8ELb0ES3_jN6thrust23THRUST_200600_302600_NS6detail15normal_iteratorINSA_10device_ptrIsEEEEPS6_PKS6_NS0_5tupleIJSF_S6_EEENSJ_IJSG_SG_EEENS0_18inequality_wrapperINSA_8equal_toIsEEEEPmJS6_EEE10hipError_tPvRmT3_T4_T5_T6_T7_T9_mT8_P12ihipStream_tbDpT10_ENKUlT_T0_E_clISt17integral_constantIbLb0EES19_IbLb1EEEEDaS15_S16_EUlS15_E_NS1_11comp_targetILNS1_3genE10ELNS1_11target_archE1200ELNS1_3gpuE4ELNS1_3repE0EEENS1_30default_config_static_selectorELNS0_4arch9wavefront6targetE1EEEvT1_
		.amdhsa_group_segment_fixed_size 0
		.amdhsa_private_segment_fixed_size 0
		.amdhsa_kernarg_size 128
		.amdhsa_user_sgpr_count 6
		.amdhsa_user_sgpr_private_segment_buffer 1
		.amdhsa_user_sgpr_dispatch_ptr 0
		.amdhsa_user_sgpr_queue_ptr 0
		.amdhsa_user_sgpr_kernarg_segment_ptr 1
		.amdhsa_user_sgpr_dispatch_id 0
		.amdhsa_user_sgpr_flat_scratch_init 0
		.amdhsa_user_sgpr_private_segment_size 0
		.amdhsa_uses_dynamic_stack 0
		.amdhsa_system_sgpr_private_segment_wavefront_offset 0
		.amdhsa_system_sgpr_workgroup_id_x 1
		.amdhsa_system_sgpr_workgroup_id_y 0
		.amdhsa_system_sgpr_workgroup_id_z 0
		.amdhsa_system_sgpr_workgroup_info 0
		.amdhsa_system_vgpr_workitem_id 0
		.amdhsa_next_free_vgpr 1
		.amdhsa_next_free_sgpr 0
		.amdhsa_reserve_vcc 0
		.amdhsa_reserve_flat_scratch 0
		.amdhsa_float_round_mode_32 0
		.amdhsa_float_round_mode_16_64 0
		.amdhsa_float_denorm_mode_32 3
		.amdhsa_float_denorm_mode_16_64 3
		.amdhsa_dx10_clamp 1
		.amdhsa_ieee_mode 1
		.amdhsa_fp16_overflow 0
		.amdhsa_exception_fp_ieee_invalid_op 0
		.amdhsa_exception_fp_denorm_src 0
		.amdhsa_exception_fp_ieee_div_zero 0
		.amdhsa_exception_fp_ieee_overflow 0
		.amdhsa_exception_fp_ieee_underflow 0
		.amdhsa_exception_fp_ieee_inexact 0
		.amdhsa_exception_int_div_zero 0
	.end_amdhsa_kernel
	.section	.text._ZN7rocprim17ROCPRIM_400000_NS6detail17trampoline_kernelINS0_14default_configENS1_25partition_config_selectorILNS1_17partition_subalgoE8EsNS0_10empty_typeEbEEZZNS1_14partition_implILS5_8ELb0ES3_jN6thrust23THRUST_200600_302600_NS6detail15normal_iteratorINSA_10device_ptrIsEEEEPS6_PKS6_NS0_5tupleIJSF_S6_EEENSJ_IJSG_SG_EEENS0_18inequality_wrapperINSA_8equal_toIsEEEEPmJS6_EEE10hipError_tPvRmT3_T4_T5_T6_T7_T9_mT8_P12ihipStream_tbDpT10_ENKUlT_T0_E_clISt17integral_constantIbLb0EES19_IbLb1EEEEDaS15_S16_EUlS15_E_NS1_11comp_targetILNS1_3genE10ELNS1_11target_archE1200ELNS1_3gpuE4ELNS1_3repE0EEENS1_30default_config_static_selectorELNS0_4arch9wavefront6targetE1EEEvT1_,"axG",@progbits,_ZN7rocprim17ROCPRIM_400000_NS6detail17trampoline_kernelINS0_14default_configENS1_25partition_config_selectorILNS1_17partition_subalgoE8EsNS0_10empty_typeEbEEZZNS1_14partition_implILS5_8ELb0ES3_jN6thrust23THRUST_200600_302600_NS6detail15normal_iteratorINSA_10device_ptrIsEEEEPS6_PKS6_NS0_5tupleIJSF_S6_EEENSJ_IJSG_SG_EEENS0_18inequality_wrapperINSA_8equal_toIsEEEEPmJS6_EEE10hipError_tPvRmT3_T4_T5_T6_T7_T9_mT8_P12ihipStream_tbDpT10_ENKUlT_T0_E_clISt17integral_constantIbLb0EES19_IbLb1EEEEDaS15_S16_EUlS15_E_NS1_11comp_targetILNS1_3genE10ELNS1_11target_archE1200ELNS1_3gpuE4ELNS1_3repE0EEENS1_30default_config_static_selectorELNS0_4arch9wavefront6targetE1EEEvT1_,comdat
.Lfunc_end498:
	.size	_ZN7rocprim17ROCPRIM_400000_NS6detail17trampoline_kernelINS0_14default_configENS1_25partition_config_selectorILNS1_17partition_subalgoE8EsNS0_10empty_typeEbEEZZNS1_14partition_implILS5_8ELb0ES3_jN6thrust23THRUST_200600_302600_NS6detail15normal_iteratorINSA_10device_ptrIsEEEEPS6_PKS6_NS0_5tupleIJSF_S6_EEENSJ_IJSG_SG_EEENS0_18inequality_wrapperINSA_8equal_toIsEEEEPmJS6_EEE10hipError_tPvRmT3_T4_T5_T6_T7_T9_mT8_P12ihipStream_tbDpT10_ENKUlT_T0_E_clISt17integral_constantIbLb0EES19_IbLb1EEEEDaS15_S16_EUlS15_E_NS1_11comp_targetILNS1_3genE10ELNS1_11target_archE1200ELNS1_3gpuE4ELNS1_3repE0EEENS1_30default_config_static_selectorELNS0_4arch9wavefront6targetE1EEEvT1_, .Lfunc_end498-_ZN7rocprim17ROCPRIM_400000_NS6detail17trampoline_kernelINS0_14default_configENS1_25partition_config_selectorILNS1_17partition_subalgoE8EsNS0_10empty_typeEbEEZZNS1_14partition_implILS5_8ELb0ES3_jN6thrust23THRUST_200600_302600_NS6detail15normal_iteratorINSA_10device_ptrIsEEEEPS6_PKS6_NS0_5tupleIJSF_S6_EEENSJ_IJSG_SG_EEENS0_18inequality_wrapperINSA_8equal_toIsEEEEPmJS6_EEE10hipError_tPvRmT3_T4_T5_T6_T7_T9_mT8_P12ihipStream_tbDpT10_ENKUlT_T0_E_clISt17integral_constantIbLb0EES19_IbLb1EEEEDaS15_S16_EUlS15_E_NS1_11comp_targetILNS1_3genE10ELNS1_11target_archE1200ELNS1_3gpuE4ELNS1_3repE0EEENS1_30default_config_static_selectorELNS0_4arch9wavefront6targetE1EEEvT1_
                                        ; -- End function
	.set _ZN7rocprim17ROCPRIM_400000_NS6detail17trampoline_kernelINS0_14default_configENS1_25partition_config_selectorILNS1_17partition_subalgoE8EsNS0_10empty_typeEbEEZZNS1_14partition_implILS5_8ELb0ES3_jN6thrust23THRUST_200600_302600_NS6detail15normal_iteratorINSA_10device_ptrIsEEEEPS6_PKS6_NS0_5tupleIJSF_S6_EEENSJ_IJSG_SG_EEENS0_18inequality_wrapperINSA_8equal_toIsEEEEPmJS6_EEE10hipError_tPvRmT3_T4_T5_T6_T7_T9_mT8_P12ihipStream_tbDpT10_ENKUlT_T0_E_clISt17integral_constantIbLb0EES19_IbLb1EEEEDaS15_S16_EUlS15_E_NS1_11comp_targetILNS1_3genE10ELNS1_11target_archE1200ELNS1_3gpuE4ELNS1_3repE0EEENS1_30default_config_static_selectorELNS0_4arch9wavefront6targetE1EEEvT1_.num_vgpr, 0
	.set _ZN7rocprim17ROCPRIM_400000_NS6detail17trampoline_kernelINS0_14default_configENS1_25partition_config_selectorILNS1_17partition_subalgoE8EsNS0_10empty_typeEbEEZZNS1_14partition_implILS5_8ELb0ES3_jN6thrust23THRUST_200600_302600_NS6detail15normal_iteratorINSA_10device_ptrIsEEEEPS6_PKS6_NS0_5tupleIJSF_S6_EEENSJ_IJSG_SG_EEENS0_18inequality_wrapperINSA_8equal_toIsEEEEPmJS6_EEE10hipError_tPvRmT3_T4_T5_T6_T7_T9_mT8_P12ihipStream_tbDpT10_ENKUlT_T0_E_clISt17integral_constantIbLb0EES19_IbLb1EEEEDaS15_S16_EUlS15_E_NS1_11comp_targetILNS1_3genE10ELNS1_11target_archE1200ELNS1_3gpuE4ELNS1_3repE0EEENS1_30default_config_static_selectorELNS0_4arch9wavefront6targetE1EEEvT1_.num_agpr, 0
	.set _ZN7rocprim17ROCPRIM_400000_NS6detail17trampoline_kernelINS0_14default_configENS1_25partition_config_selectorILNS1_17partition_subalgoE8EsNS0_10empty_typeEbEEZZNS1_14partition_implILS5_8ELb0ES3_jN6thrust23THRUST_200600_302600_NS6detail15normal_iteratorINSA_10device_ptrIsEEEEPS6_PKS6_NS0_5tupleIJSF_S6_EEENSJ_IJSG_SG_EEENS0_18inequality_wrapperINSA_8equal_toIsEEEEPmJS6_EEE10hipError_tPvRmT3_T4_T5_T6_T7_T9_mT8_P12ihipStream_tbDpT10_ENKUlT_T0_E_clISt17integral_constantIbLb0EES19_IbLb1EEEEDaS15_S16_EUlS15_E_NS1_11comp_targetILNS1_3genE10ELNS1_11target_archE1200ELNS1_3gpuE4ELNS1_3repE0EEENS1_30default_config_static_selectorELNS0_4arch9wavefront6targetE1EEEvT1_.numbered_sgpr, 0
	.set _ZN7rocprim17ROCPRIM_400000_NS6detail17trampoline_kernelINS0_14default_configENS1_25partition_config_selectorILNS1_17partition_subalgoE8EsNS0_10empty_typeEbEEZZNS1_14partition_implILS5_8ELb0ES3_jN6thrust23THRUST_200600_302600_NS6detail15normal_iteratorINSA_10device_ptrIsEEEEPS6_PKS6_NS0_5tupleIJSF_S6_EEENSJ_IJSG_SG_EEENS0_18inequality_wrapperINSA_8equal_toIsEEEEPmJS6_EEE10hipError_tPvRmT3_T4_T5_T6_T7_T9_mT8_P12ihipStream_tbDpT10_ENKUlT_T0_E_clISt17integral_constantIbLb0EES19_IbLb1EEEEDaS15_S16_EUlS15_E_NS1_11comp_targetILNS1_3genE10ELNS1_11target_archE1200ELNS1_3gpuE4ELNS1_3repE0EEENS1_30default_config_static_selectorELNS0_4arch9wavefront6targetE1EEEvT1_.num_named_barrier, 0
	.set _ZN7rocprim17ROCPRIM_400000_NS6detail17trampoline_kernelINS0_14default_configENS1_25partition_config_selectorILNS1_17partition_subalgoE8EsNS0_10empty_typeEbEEZZNS1_14partition_implILS5_8ELb0ES3_jN6thrust23THRUST_200600_302600_NS6detail15normal_iteratorINSA_10device_ptrIsEEEEPS6_PKS6_NS0_5tupleIJSF_S6_EEENSJ_IJSG_SG_EEENS0_18inequality_wrapperINSA_8equal_toIsEEEEPmJS6_EEE10hipError_tPvRmT3_T4_T5_T6_T7_T9_mT8_P12ihipStream_tbDpT10_ENKUlT_T0_E_clISt17integral_constantIbLb0EES19_IbLb1EEEEDaS15_S16_EUlS15_E_NS1_11comp_targetILNS1_3genE10ELNS1_11target_archE1200ELNS1_3gpuE4ELNS1_3repE0EEENS1_30default_config_static_selectorELNS0_4arch9wavefront6targetE1EEEvT1_.private_seg_size, 0
	.set _ZN7rocprim17ROCPRIM_400000_NS6detail17trampoline_kernelINS0_14default_configENS1_25partition_config_selectorILNS1_17partition_subalgoE8EsNS0_10empty_typeEbEEZZNS1_14partition_implILS5_8ELb0ES3_jN6thrust23THRUST_200600_302600_NS6detail15normal_iteratorINSA_10device_ptrIsEEEEPS6_PKS6_NS0_5tupleIJSF_S6_EEENSJ_IJSG_SG_EEENS0_18inequality_wrapperINSA_8equal_toIsEEEEPmJS6_EEE10hipError_tPvRmT3_T4_T5_T6_T7_T9_mT8_P12ihipStream_tbDpT10_ENKUlT_T0_E_clISt17integral_constantIbLb0EES19_IbLb1EEEEDaS15_S16_EUlS15_E_NS1_11comp_targetILNS1_3genE10ELNS1_11target_archE1200ELNS1_3gpuE4ELNS1_3repE0EEENS1_30default_config_static_selectorELNS0_4arch9wavefront6targetE1EEEvT1_.uses_vcc, 0
	.set _ZN7rocprim17ROCPRIM_400000_NS6detail17trampoline_kernelINS0_14default_configENS1_25partition_config_selectorILNS1_17partition_subalgoE8EsNS0_10empty_typeEbEEZZNS1_14partition_implILS5_8ELb0ES3_jN6thrust23THRUST_200600_302600_NS6detail15normal_iteratorINSA_10device_ptrIsEEEEPS6_PKS6_NS0_5tupleIJSF_S6_EEENSJ_IJSG_SG_EEENS0_18inequality_wrapperINSA_8equal_toIsEEEEPmJS6_EEE10hipError_tPvRmT3_T4_T5_T6_T7_T9_mT8_P12ihipStream_tbDpT10_ENKUlT_T0_E_clISt17integral_constantIbLb0EES19_IbLb1EEEEDaS15_S16_EUlS15_E_NS1_11comp_targetILNS1_3genE10ELNS1_11target_archE1200ELNS1_3gpuE4ELNS1_3repE0EEENS1_30default_config_static_selectorELNS0_4arch9wavefront6targetE1EEEvT1_.uses_flat_scratch, 0
	.set _ZN7rocprim17ROCPRIM_400000_NS6detail17trampoline_kernelINS0_14default_configENS1_25partition_config_selectorILNS1_17partition_subalgoE8EsNS0_10empty_typeEbEEZZNS1_14partition_implILS5_8ELb0ES3_jN6thrust23THRUST_200600_302600_NS6detail15normal_iteratorINSA_10device_ptrIsEEEEPS6_PKS6_NS0_5tupleIJSF_S6_EEENSJ_IJSG_SG_EEENS0_18inequality_wrapperINSA_8equal_toIsEEEEPmJS6_EEE10hipError_tPvRmT3_T4_T5_T6_T7_T9_mT8_P12ihipStream_tbDpT10_ENKUlT_T0_E_clISt17integral_constantIbLb0EES19_IbLb1EEEEDaS15_S16_EUlS15_E_NS1_11comp_targetILNS1_3genE10ELNS1_11target_archE1200ELNS1_3gpuE4ELNS1_3repE0EEENS1_30default_config_static_selectorELNS0_4arch9wavefront6targetE1EEEvT1_.has_dyn_sized_stack, 0
	.set _ZN7rocprim17ROCPRIM_400000_NS6detail17trampoline_kernelINS0_14default_configENS1_25partition_config_selectorILNS1_17partition_subalgoE8EsNS0_10empty_typeEbEEZZNS1_14partition_implILS5_8ELb0ES3_jN6thrust23THRUST_200600_302600_NS6detail15normal_iteratorINSA_10device_ptrIsEEEEPS6_PKS6_NS0_5tupleIJSF_S6_EEENSJ_IJSG_SG_EEENS0_18inequality_wrapperINSA_8equal_toIsEEEEPmJS6_EEE10hipError_tPvRmT3_T4_T5_T6_T7_T9_mT8_P12ihipStream_tbDpT10_ENKUlT_T0_E_clISt17integral_constantIbLb0EES19_IbLb1EEEEDaS15_S16_EUlS15_E_NS1_11comp_targetILNS1_3genE10ELNS1_11target_archE1200ELNS1_3gpuE4ELNS1_3repE0EEENS1_30default_config_static_selectorELNS0_4arch9wavefront6targetE1EEEvT1_.has_recursion, 0
	.set _ZN7rocprim17ROCPRIM_400000_NS6detail17trampoline_kernelINS0_14default_configENS1_25partition_config_selectorILNS1_17partition_subalgoE8EsNS0_10empty_typeEbEEZZNS1_14partition_implILS5_8ELb0ES3_jN6thrust23THRUST_200600_302600_NS6detail15normal_iteratorINSA_10device_ptrIsEEEEPS6_PKS6_NS0_5tupleIJSF_S6_EEENSJ_IJSG_SG_EEENS0_18inequality_wrapperINSA_8equal_toIsEEEEPmJS6_EEE10hipError_tPvRmT3_T4_T5_T6_T7_T9_mT8_P12ihipStream_tbDpT10_ENKUlT_T0_E_clISt17integral_constantIbLb0EES19_IbLb1EEEEDaS15_S16_EUlS15_E_NS1_11comp_targetILNS1_3genE10ELNS1_11target_archE1200ELNS1_3gpuE4ELNS1_3repE0EEENS1_30default_config_static_selectorELNS0_4arch9wavefront6targetE1EEEvT1_.has_indirect_call, 0
	.section	.AMDGPU.csdata,"",@progbits
; Kernel info:
; codeLenInByte = 0
; TotalNumSgprs: 4
; NumVgprs: 0
; ScratchSize: 0
; MemoryBound: 0
; FloatMode: 240
; IeeeMode: 1
; LDSByteSize: 0 bytes/workgroup (compile time only)
; SGPRBlocks: 0
; VGPRBlocks: 0
; NumSGPRsForWavesPerEU: 4
; NumVGPRsForWavesPerEU: 1
; Occupancy: 10
; WaveLimiterHint : 0
; COMPUTE_PGM_RSRC2:SCRATCH_EN: 0
; COMPUTE_PGM_RSRC2:USER_SGPR: 6
; COMPUTE_PGM_RSRC2:TRAP_HANDLER: 0
; COMPUTE_PGM_RSRC2:TGID_X_EN: 1
; COMPUTE_PGM_RSRC2:TGID_Y_EN: 0
; COMPUTE_PGM_RSRC2:TGID_Z_EN: 0
; COMPUTE_PGM_RSRC2:TIDIG_COMP_CNT: 0
	.section	.text._ZN7rocprim17ROCPRIM_400000_NS6detail17trampoline_kernelINS0_14default_configENS1_25partition_config_selectorILNS1_17partition_subalgoE8EsNS0_10empty_typeEbEEZZNS1_14partition_implILS5_8ELb0ES3_jN6thrust23THRUST_200600_302600_NS6detail15normal_iteratorINSA_10device_ptrIsEEEEPS6_PKS6_NS0_5tupleIJSF_S6_EEENSJ_IJSG_SG_EEENS0_18inequality_wrapperINSA_8equal_toIsEEEEPmJS6_EEE10hipError_tPvRmT3_T4_T5_T6_T7_T9_mT8_P12ihipStream_tbDpT10_ENKUlT_T0_E_clISt17integral_constantIbLb0EES19_IbLb1EEEEDaS15_S16_EUlS15_E_NS1_11comp_targetILNS1_3genE9ELNS1_11target_archE1100ELNS1_3gpuE3ELNS1_3repE0EEENS1_30default_config_static_selectorELNS0_4arch9wavefront6targetE1EEEvT1_,"axG",@progbits,_ZN7rocprim17ROCPRIM_400000_NS6detail17trampoline_kernelINS0_14default_configENS1_25partition_config_selectorILNS1_17partition_subalgoE8EsNS0_10empty_typeEbEEZZNS1_14partition_implILS5_8ELb0ES3_jN6thrust23THRUST_200600_302600_NS6detail15normal_iteratorINSA_10device_ptrIsEEEEPS6_PKS6_NS0_5tupleIJSF_S6_EEENSJ_IJSG_SG_EEENS0_18inequality_wrapperINSA_8equal_toIsEEEEPmJS6_EEE10hipError_tPvRmT3_T4_T5_T6_T7_T9_mT8_P12ihipStream_tbDpT10_ENKUlT_T0_E_clISt17integral_constantIbLb0EES19_IbLb1EEEEDaS15_S16_EUlS15_E_NS1_11comp_targetILNS1_3genE9ELNS1_11target_archE1100ELNS1_3gpuE3ELNS1_3repE0EEENS1_30default_config_static_selectorELNS0_4arch9wavefront6targetE1EEEvT1_,comdat
	.protected	_ZN7rocprim17ROCPRIM_400000_NS6detail17trampoline_kernelINS0_14default_configENS1_25partition_config_selectorILNS1_17partition_subalgoE8EsNS0_10empty_typeEbEEZZNS1_14partition_implILS5_8ELb0ES3_jN6thrust23THRUST_200600_302600_NS6detail15normal_iteratorINSA_10device_ptrIsEEEEPS6_PKS6_NS0_5tupleIJSF_S6_EEENSJ_IJSG_SG_EEENS0_18inequality_wrapperINSA_8equal_toIsEEEEPmJS6_EEE10hipError_tPvRmT3_T4_T5_T6_T7_T9_mT8_P12ihipStream_tbDpT10_ENKUlT_T0_E_clISt17integral_constantIbLb0EES19_IbLb1EEEEDaS15_S16_EUlS15_E_NS1_11comp_targetILNS1_3genE9ELNS1_11target_archE1100ELNS1_3gpuE3ELNS1_3repE0EEENS1_30default_config_static_selectorELNS0_4arch9wavefront6targetE1EEEvT1_ ; -- Begin function _ZN7rocprim17ROCPRIM_400000_NS6detail17trampoline_kernelINS0_14default_configENS1_25partition_config_selectorILNS1_17partition_subalgoE8EsNS0_10empty_typeEbEEZZNS1_14partition_implILS5_8ELb0ES3_jN6thrust23THRUST_200600_302600_NS6detail15normal_iteratorINSA_10device_ptrIsEEEEPS6_PKS6_NS0_5tupleIJSF_S6_EEENSJ_IJSG_SG_EEENS0_18inequality_wrapperINSA_8equal_toIsEEEEPmJS6_EEE10hipError_tPvRmT3_T4_T5_T6_T7_T9_mT8_P12ihipStream_tbDpT10_ENKUlT_T0_E_clISt17integral_constantIbLb0EES19_IbLb1EEEEDaS15_S16_EUlS15_E_NS1_11comp_targetILNS1_3genE9ELNS1_11target_archE1100ELNS1_3gpuE3ELNS1_3repE0EEENS1_30default_config_static_selectorELNS0_4arch9wavefront6targetE1EEEvT1_
	.globl	_ZN7rocprim17ROCPRIM_400000_NS6detail17trampoline_kernelINS0_14default_configENS1_25partition_config_selectorILNS1_17partition_subalgoE8EsNS0_10empty_typeEbEEZZNS1_14partition_implILS5_8ELb0ES3_jN6thrust23THRUST_200600_302600_NS6detail15normal_iteratorINSA_10device_ptrIsEEEEPS6_PKS6_NS0_5tupleIJSF_S6_EEENSJ_IJSG_SG_EEENS0_18inequality_wrapperINSA_8equal_toIsEEEEPmJS6_EEE10hipError_tPvRmT3_T4_T5_T6_T7_T9_mT8_P12ihipStream_tbDpT10_ENKUlT_T0_E_clISt17integral_constantIbLb0EES19_IbLb1EEEEDaS15_S16_EUlS15_E_NS1_11comp_targetILNS1_3genE9ELNS1_11target_archE1100ELNS1_3gpuE3ELNS1_3repE0EEENS1_30default_config_static_selectorELNS0_4arch9wavefront6targetE1EEEvT1_
	.p2align	8
	.type	_ZN7rocprim17ROCPRIM_400000_NS6detail17trampoline_kernelINS0_14default_configENS1_25partition_config_selectorILNS1_17partition_subalgoE8EsNS0_10empty_typeEbEEZZNS1_14partition_implILS5_8ELb0ES3_jN6thrust23THRUST_200600_302600_NS6detail15normal_iteratorINSA_10device_ptrIsEEEEPS6_PKS6_NS0_5tupleIJSF_S6_EEENSJ_IJSG_SG_EEENS0_18inequality_wrapperINSA_8equal_toIsEEEEPmJS6_EEE10hipError_tPvRmT3_T4_T5_T6_T7_T9_mT8_P12ihipStream_tbDpT10_ENKUlT_T0_E_clISt17integral_constantIbLb0EES19_IbLb1EEEEDaS15_S16_EUlS15_E_NS1_11comp_targetILNS1_3genE9ELNS1_11target_archE1100ELNS1_3gpuE3ELNS1_3repE0EEENS1_30default_config_static_selectorELNS0_4arch9wavefront6targetE1EEEvT1_,@function
_ZN7rocprim17ROCPRIM_400000_NS6detail17trampoline_kernelINS0_14default_configENS1_25partition_config_selectorILNS1_17partition_subalgoE8EsNS0_10empty_typeEbEEZZNS1_14partition_implILS5_8ELb0ES3_jN6thrust23THRUST_200600_302600_NS6detail15normal_iteratorINSA_10device_ptrIsEEEEPS6_PKS6_NS0_5tupleIJSF_S6_EEENSJ_IJSG_SG_EEENS0_18inequality_wrapperINSA_8equal_toIsEEEEPmJS6_EEE10hipError_tPvRmT3_T4_T5_T6_T7_T9_mT8_P12ihipStream_tbDpT10_ENKUlT_T0_E_clISt17integral_constantIbLb0EES19_IbLb1EEEEDaS15_S16_EUlS15_E_NS1_11comp_targetILNS1_3genE9ELNS1_11target_archE1100ELNS1_3gpuE3ELNS1_3repE0EEENS1_30default_config_static_selectorELNS0_4arch9wavefront6targetE1EEEvT1_: ; @_ZN7rocprim17ROCPRIM_400000_NS6detail17trampoline_kernelINS0_14default_configENS1_25partition_config_selectorILNS1_17partition_subalgoE8EsNS0_10empty_typeEbEEZZNS1_14partition_implILS5_8ELb0ES3_jN6thrust23THRUST_200600_302600_NS6detail15normal_iteratorINSA_10device_ptrIsEEEEPS6_PKS6_NS0_5tupleIJSF_S6_EEENSJ_IJSG_SG_EEENS0_18inequality_wrapperINSA_8equal_toIsEEEEPmJS6_EEE10hipError_tPvRmT3_T4_T5_T6_T7_T9_mT8_P12ihipStream_tbDpT10_ENKUlT_T0_E_clISt17integral_constantIbLb0EES19_IbLb1EEEEDaS15_S16_EUlS15_E_NS1_11comp_targetILNS1_3genE9ELNS1_11target_archE1100ELNS1_3gpuE3ELNS1_3repE0EEENS1_30default_config_static_selectorELNS0_4arch9wavefront6targetE1EEEvT1_
; %bb.0:
	.section	.rodata,"a",@progbits
	.p2align	6, 0x0
	.amdhsa_kernel _ZN7rocprim17ROCPRIM_400000_NS6detail17trampoline_kernelINS0_14default_configENS1_25partition_config_selectorILNS1_17partition_subalgoE8EsNS0_10empty_typeEbEEZZNS1_14partition_implILS5_8ELb0ES3_jN6thrust23THRUST_200600_302600_NS6detail15normal_iteratorINSA_10device_ptrIsEEEEPS6_PKS6_NS0_5tupleIJSF_S6_EEENSJ_IJSG_SG_EEENS0_18inequality_wrapperINSA_8equal_toIsEEEEPmJS6_EEE10hipError_tPvRmT3_T4_T5_T6_T7_T9_mT8_P12ihipStream_tbDpT10_ENKUlT_T0_E_clISt17integral_constantIbLb0EES19_IbLb1EEEEDaS15_S16_EUlS15_E_NS1_11comp_targetILNS1_3genE9ELNS1_11target_archE1100ELNS1_3gpuE3ELNS1_3repE0EEENS1_30default_config_static_selectorELNS0_4arch9wavefront6targetE1EEEvT1_
		.amdhsa_group_segment_fixed_size 0
		.amdhsa_private_segment_fixed_size 0
		.amdhsa_kernarg_size 128
		.amdhsa_user_sgpr_count 6
		.amdhsa_user_sgpr_private_segment_buffer 1
		.amdhsa_user_sgpr_dispatch_ptr 0
		.amdhsa_user_sgpr_queue_ptr 0
		.amdhsa_user_sgpr_kernarg_segment_ptr 1
		.amdhsa_user_sgpr_dispatch_id 0
		.amdhsa_user_sgpr_flat_scratch_init 0
		.amdhsa_user_sgpr_private_segment_size 0
		.amdhsa_uses_dynamic_stack 0
		.amdhsa_system_sgpr_private_segment_wavefront_offset 0
		.amdhsa_system_sgpr_workgroup_id_x 1
		.amdhsa_system_sgpr_workgroup_id_y 0
		.amdhsa_system_sgpr_workgroup_id_z 0
		.amdhsa_system_sgpr_workgroup_info 0
		.amdhsa_system_vgpr_workitem_id 0
		.amdhsa_next_free_vgpr 1
		.amdhsa_next_free_sgpr 0
		.amdhsa_reserve_vcc 0
		.amdhsa_reserve_flat_scratch 0
		.amdhsa_float_round_mode_32 0
		.amdhsa_float_round_mode_16_64 0
		.amdhsa_float_denorm_mode_32 3
		.amdhsa_float_denorm_mode_16_64 3
		.amdhsa_dx10_clamp 1
		.amdhsa_ieee_mode 1
		.amdhsa_fp16_overflow 0
		.amdhsa_exception_fp_ieee_invalid_op 0
		.amdhsa_exception_fp_denorm_src 0
		.amdhsa_exception_fp_ieee_div_zero 0
		.amdhsa_exception_fp_ieee_overflow 0
		.amdhsa_exception_fp_ieee_underflow 0
		.amdhsa_exception_fp_ieee_inexact 0
		.amdhsa_exception_int_div_zero 0
	.end_amdhsa_kernel
	.section	.text._ZN7rocprim17ROCPRIM_400000_NS6detail17trampoline_kernelINS0_14default_configENS1_25partition_config_selectorILNS1_17partition_subalgoE8EsNS0_10empty_typeEbEEZZNS1_14partition_implILS5_8ELb0ES3_jN6thrust23THRUST_200600_302600_NS6detail15normal_iteratorINSA_10device_ptrIsEEEEPS6_PKS6_NS0_5tupleIJSF_S6_EEENSJ_IJSG_SG_EEENS0_18inequality_wrapperINSA_8equal_toIsEEEEPmJS6_EEE10hipError_tPvRmT3_T4_T5_T6_T7_T9_mT8_P12ihipStream_tbDpT10_ENKUlT_T0_E_clISt17integral_constantIbLb0EES19_IbLb1EEEEDaS15_S16_EUlS15_E_NS1_11comp_targetILNS1_3genE9ELNS1_11target_archE1100ELNS1_3gpuE3ELNS1_3repE0EEENS1_30default_config_static_selectorELNS0_4arch9wavefront6targetE1EEEvT1_,"axG",@progbits,_ZN7rocprim17ROCPRIM_400000_NS6detail17trampoline_kernelINS0_14default_configENS1_25partition_config_selectorILNS1_17partition_subalgoE8EsNS0_10empty_typeEbEEZZNS1_14partition_implILS5_8ELb0ES3_jN6thrust23THRUST_200600_302600_NS6detail15normal_iteratorINSA_10device_ptrIsEEEEPS6_PKS6_NS0_5tupleIJSF_S6_EEENSJ_IJSG_SG_EEENS0_18inequality_wrapperINSA_8equal_toIsEEEEPmJS6_EEE10hipError_tPvRmT3_T4_T5_T6_T7_T9_mT8_P12ihipStream_tbDpT10_ENKUlT_T0_E_clISt17integral_constantIbLb0EES19_IbLb1EEEEDaS15_S16_EUlS15_E_NS1_11comp_targetILNS1_3genE9ELNS1_11target_archE1100ELNS1_3gpuE3ELNS1_3repE0EEENS1_30default_config_static_selectorELNS0_4arch9wavefront6targetE1EEEvT1_,comdat
.Lfunc_end499:
	.size	_ZN7rocprim17ROCPRIM_400000_NS6detail17trampoline_kernelINS0_14default_configENS1_25partition_config_selectorILNS1_17partition_subalgoE8EsNS0_10empty_typeEbEEZZNS1_14partition_implILS5_8ELb0ES3_jN6thrust23THRUST_200600_302600_NS6detail15normal_iteratorINSA_10device_ptrIsEEEEPS6_PKS6_NS0_5tupleIJSF_S6_EEENSJ_IJSG_SG_EEENS0_18inequality_wrapperINSA_8equal_toIsEEEEPmJS6_EEE10hipError_tPvRmT3_T4_T5_T6_T7_T9_mT8_P12ihipStream_tbDpT10_ENKUlT_T0_E_clISt17integral_constantIbLb0EES19_IbLb1EEEEDaS15_S16_EUlS15_E_NS1_11comp_targetILNS1_3genE9ELNS1_11target_archE1100ELNS1_3gpuE3ELNS1_3repE0EEENS1_30default_config_static_selectorELNS0_4arch9wavefront6targetE1EEEvT1_, .Lfunc_end499-_ZN7rocprim17ROCPRIM_400000_NS6detail17trampoline_kernelINS0_14default_configENS1_25partition_config_selectorILNS1_17partition_subalgoE8EsNS0_10empty_typeEbEEZZNS1_14partition_implILS5_8ELb0ES3_jN6thrust23THRUST_200600_302600_NS6detail15normal_iteratorINSA_10device_ptrIsEEEEPS6_PKS6_NS0_5tupleIJSF_S6_EEENSJ_IJSG_SG_EEENS0_18inequality_wrapperINSA_8equal_toIsEEEEPmJS6_EEE10hipError_tPvRmT3_T4_T5_T6_T7_T9_mT8_P12ihipStream_tbDpT10_ENKUlT_T0_E_clISt17integral_constantIbLb0EES19_IbLb1EEEEDaS15_S16_EUlS15_E_NS1_11comp_targetILNS1_3genE9ELNS1_11target_archE1100ELNS1_3gpuE3ELNS1_3repE0EEENS1_30default_config_static_selectorELNS0_4arch9wavefront6targetE1EEEvT1_
                                        ; -- End function
	.set _ZN7rocprim17ROCPRIM_400000_NS6detail17trampoline_kernelINS0_14default_configENS1_25partition_config_selectorILNS1_17partition_subalgoE8EsNS0_10empty_typeEbEEZZNS1_14partition_implILS5_8ELb0ES3_jN6thrust23THRUST_200600_302600_NS6detail15normal_iteratorINSA_10device_ptrIsEEEEPS6_PKS6_NS0_5tupleIJSF_S6_EEENSJ_IJSG_SG_EEENS0_18inequality_wrapperINSA_8equal_toIsEEEEPmJS6_EEE10hipError_tPvRmT3_T4_T5_T6_T7_T9_mT8_P12ihipStream_tbDpT10_ENKUlT_T0_E_clISt17integral_constantIbLb0EES19_IbLb1EEEEDaS15_S16_EUlS15_E_NS1_11comp_targetILNS1_3genE9ELNS1_11target_archE1100ELNS1_3gpuE3ELNS1_3repE0EEENS1_30default_config_static_selectorELNS0_4arch9wavefront6targetE1EEEvT1_.num_vgpr, 0
	.set _ZN7rocprim17ROCPRIM_400000_NS6detail17trampoline_kernelINS0_14default_configENS1_25partition_config_selectorILNS1_17partition_subalgoE8EsNS0_10empty_typeEbEEZZNS1_14partition_implILS5_8ELb0ES3_jN6thrust23THRUST_200600_302600_NS6detail15normal_iteratorINSA_10device_ptrIsEEEEPS6_PKS6_NS0_5tupleIJSF_S6_EEENSJ_IJSG_SG_EEENS0_18inequality_wrapperINSA_8equal_toIsEEEEPmJS6_EEE10hipError_tPvRmT3_T4_T5_T6_T7_T9_mT8_P12ihipStream_tbDpT10_ENKUlT_T0_E_clISt17integral_constantIbLb0EES19_IbLb1EEEEDaS15_S16_EUlS15_E_NS1_11comp_targetILNS1_3genE9ELNS1_11target_archE1100ELNS1_3gpuE3ELNS1_3repE0EEENS1_30default_config_static_selectorELNS0_4arch9wavefront6targetE1EEEvT1_.num_agpr, 0
	.set _ZN7rocprim17ROCPRIM_400000_NS6detail17trampoline_kernelINS0_14default_configENS1_25partition_config_selectorILNS1_17partition_subalgoE8EsNS0_10empty_typeEbEEZZNS1_14partition_implILS5_8ELb0ES3_jN6thrust23THRUST_200600_302600_NS6detail15normal_iteratorINSA_10device_ptrIsEEEEPS6_PKS6_NS0_5tupleIJSF_S6_EEENSJ_IJSG_SG_EEENS0_18inequality_wrapperINSA_8equal_toIsEEEEPmJS6_EEE10hipError_tPvRmT3_T4_T5_T6_T7_T9_mT8_P12ihipStream_tbDpT10_ENKUlT_T0_E_clISt17integral_constantIbLb0EES19_IbLb1EEEEDaS15_S16_EUlS15_E_NS1_11comp_targetILNS1_3genE9ELNS1_11target_archE1100ELNS1_3gpuE3ELNS1_3repE0EEENS1_30default_config_static_selectorELNS0_4arch9wavefront6targetE1EEEvT1_.numbered_sgpr, 0
	.set _ZN7rocprim17ROCPRIM_400000_NS6detail17trampoline_kernelINS0_14default_configENS1_25partition_config_selectorILNS1_17partition_subalgoE8EsNS0_10empty_typeEbEEZZNS1_14partition_implILS5_8ELb0ES3_jN6thrust23THRUST_200600_302600_NS6detail15normal_iteratorINSA_10device_ptrIsEEEEPS6_PKS6_NS0_5tupleIJSF_S6_EEENSJ_IJSG_SG_EEENS0_18inequality_wrapperINSA_8equal_toIsEEEEPmJS6_EEE10hipError_tPvRmT3_T4_T5_T6_T7_T9_mT8_P12ihipStream_tbDpT10_ENKUlT_T0_E_clISt17integral_constantIbLb0EES19_IbLb1EEEEDaS15_S16_EUlS15_E_NS1_11comp_targetILNS1_3genE9ELNS1_11target_archE1100ELNS1_3gpuE3ELNS1_3repE0EEENS1_30default_config_static_selectorELNS0_4arch9wavefront6targetE1EEEvT1_.num_named_barrier, 0
	.set _ZN7rocprim17ROCPRIM_400000_NS6detail17trampoline_kernelINS0_14default_configENS1_25partition_config_selectorILNS1_17partition_subalgoE8EsNS0_10empty_typeEbEEZZNS1_14partition_implILS5_8ELb0ES3_jN6thrust23THRUST_200600_302600_NS6detail15normal_iteratorINSA_10device_ptrIsEEEEPS6_PKS6_NS0_5tupleIJSF_S6_EEENSJ_IJSG_SG_EEENS0_18inequality_wrapperINSA_8equal_toIsEEEEPmJS6_EEE10hipError_tPvRmT3_T4_T5_T6_T7_T9_mT8_P12ihipStream_tbDpT10_ENKUlT_T0_E_clISt17integral_constantIbLb0EES19_IbLb1EEEEDaS15_S16_EUlS15_E_NS1_11comp_targetILNS1_3genE9ELNS1_11target_archE1100ELNS1_3gpuE3ELNS1_3repE0EEENS1_30default_config_static_selectorELNS0_4arch9wavefront6targetE1EEEvT1_.private_seg_size, 0
	.set _ZN7rocprim17ROCPRIM_400000_NS6detail17trampoline_kernelINS0_14default_configENS1_25partition_config_selectorILNS1_17partition_subalgoE8EsNS0_10empty_typeEbEEZZNS1_14partition_implILS5_8ELb0ES3_jN6thrust23THRUST_200600_302600_NS6detail15normal_iteratorINSA_10device_ptrIsEEEEPS6_PKS6_NS0_5tupleIJSF_S6_EEENSJ_IJSG_SG_EEENS0_18inequality_wrapperINSA_8equal_toIsEEEEPmJS6_EEE10hipError_tPvRmT3_T4_T5_T6_T7_T9_mT8_P12ihipStream_tbDpT10_ENKUlT_T0_E_clISt17integral_constantIbLb0EES19_IbLb1EEEEDaS15_S16_EUlS15_E_NS1_11comp_targetILNS1_3genE9ELNS1_11target_archE1100ELNS1_3gpuE3ELNS1_3repE0EEENS1_30default_config_static_selectorELNS0_4arch9wavefront6targetE1EEEvT1_.uses_vcc, 0
	.set _ZN7rocprim17ROCPRIM_400000_NS6detail17trampoline_kernelINS0_14default_configENS1_25partition_config_selectorILNS1_17partition_subalgoE8EsNS0_10empty_typeEbEEZZNS1_14partition_implILS5_8ELb0ES3_jN6thrust23THRUST_200600_302600_NS6detail15normal_iteratorINSA_10device_ptrIsEEEEPS6_PKS6_NS0_5tupleIJSF_S6_EEENSJ_IJSG_SG_EEENS0_18inequality_wrapperINSA_8equal_toIsEEEEPmJS6_EEE10hipError_tPvRmT3_T4_T5_T6_T7_T9_mT8_P12ihipStream_tbDpT10_ENKUlT_T0_E_clISt17integral_constantIbLb0EES19_IbLb1EEEEDaS15_S16_EUlS15_E_NS1_11comp_targetILNS1_3genE9ELNS1_11target_archE1100ELNS1_3gpuE3ELNS1_3repE0EEENS1_30default_config_static_selectorELNS0_4arch9wavefront6targetE1EEEvT1_.uses_flat_scratch, 0
	.set _ZN7rocprim17ROCPRIM_400000_NS6detail17trampoline_kernelINS0_14default_configENS1_25partition_config_selectorILNS1_17partition_subalgoE8EsNS0_10empty_typeEbEEZZNS1_14partition_implILS5_8ELb0ES3_jN6thrust23THRUST_200600_302600_NS6detail15normal_iteratorINSA_10device_ptrIsEEEEPS6_PKS6_NS0_5tupleIJSF_S6_EEENSJ_IJSG_SG_EEENS0_18inequality_wrapperINSA_8equal_toIsEEEEPmJS6_EEE10hipError_tPvRmT3_T4_T5_T6_T7_T9_mT8_P12ihipStream_tbDpT10_ENKUlT_T0_E_clISt17integral_constantIbLb0EES19_IbLb1EEEEDaS15_S16_EUlS15_E_NS1_11comp_targetILNS1_3genE9ELNS1_11target_archE1100ELNS1_3gpuE3ELNS1_3repE0EEENS1_30default_config_static_selectorELNS0_4arch9wavefront6targetE1EEEvT1_.has_dyn_sized_stack, 0
	.set _ZN7rocprim17ROCPRIM_400000_NS6detail17trampoline_kernelINS0_14default_configENS1_25partition_config_selectorILNS1_17partition_subalgoE8EsNS0_10empty_typeEbEEZZNS1_14partition_implILS5_8ELb0ES3_jN6thrust23THRUST_200600_302600_NS6detail15normal_iteratorINSA_10device_ptrIsEEEEPS6_PKS6_NS0_5tupleIJSF_S6_EEENSJ_IJSG_SG_EEENS0_18inequality_wrapperINSA_8equal_toIsEEEEPmJS6_EEE10hipError_tPvRmT3_T4_T5_T6_T7_T9_mT8_P12ihipStream_tbDpT10_ENKUlT_T0_E_clISt17integral_constantIbLb0EES19_IbLb1EEEEDaS15_S16_EUlS15_E_NS1_11comp_targetILNS1_3genE9ELNS1_11target_archE1100ELNS1_3gpuE3ELNS1_3repE0EEENS1_30default_config_static_selectorELNS0_4arch9wavefront6targetE1EEEvT1_.has_recursion, 0
	.set _ZN7rocprim17ROCPRIM_400000_NS6detail17trampoline_kernelINS0_14default_configENS1_25partition_config_selectorILNS1_17partition_subalgoE8EsNS0_10empty_typeEbEEZZNS1_14partition_implILS5_8ELb0ES3_jN6thrust23THRUST_200600_302600_NS6detail15normal_iteratorINSA_10device_ptrIsEEEEPS6_PKS6_NS0_5tupleIJSF_S6_EEENSJ_IJSG_SG_EEENS0_18inequality_wrapperINSA_8equal_toIsEEEEPmJS6_EEE10hipError_tPvRmT3_T4_T5_T6_T7_T9_mT8_P12ihipStream_tbDpT10_ENKUlT_T0_E_clISt17integral_constantIbLb0EES19_IbLb1EEEEDaS15_S16_EUlS15_E_NS1_11comp_targetILNS1_3genE9ELNS1_11target_archE1100ELNS1_3gpuE3ELNS1_3repE0EEENS1_30default_config_static_selectorELNS0_4arch9wavefront6targetE1EEEvT1_.has_indirect_call, 0
	.section	.AMDGPU.csdata,"",@progbits
; Kernel info:
; codeLenInByte = 0
; TotalNumSgprs: 4
; NumVgprs: 0
; ScratchSize: 0
; MemoryBound: 0
; FloatMode: 240
; IeeeMode: 1
; LDSByteSize: 0 bytes/workgroup (compile time only)
; SGPRBlocks: 0
; VGPRBlocks: 0
; NumSGPRsForWavesPerEU: 4
; NumVGPRsForWavesPerEU: 1
; Occupancy: 10
; WaveLimiterHint : 0
; COMPUTE_PGM_RSRC2:SCRATCH_EN: 0
; COMPUTE_PGM_RSRC2:USER_SGPR: 6
; COMPUTE_PGM_RSRC2:TRAP_HANDLER: 0
; COMPUTE_PGM_RSRC2:TGID_X_EN: 1
; COMPUTE_PGM_RSRC2:TGID_Y_EN: 0
; COMPUTE_PGM_RSRC2:TGID_Z_EN: 0
; COMPUTE_PGM_RSRC2:TIDIG_COMP_CNT: 0
	.section	.text._ZN7rocprim17ROCPRIM_400000_NS6detail17trampoline_kernelINS0_14default_configENS1_25partition_config_selectorILNS1_17partition_subalgoE8EsNS0_10empty_typeEbEEZZNS1_14partition_implILS5_8ELb0ES3_jN6thrust23THRUST_200600_302600_NS6detail15normal_iteratorINSA_10device_ptrIsEEEEPS6_PKS6_NS0_5tupleIJSF_S6_EEENSJ_IJSG_SG_EEENS0_18inequality_wrapperINSA_8equal_toIsEEEEPmJS6_EEE10hipError_tPvRmT3_T4_T5_T6_T7_T9_mT8_P12ihipStream_tbDpT10_ENKUlT_T0_E_clISt17integral_constantIbLb0EES19_IbLb1EEEEDaS15_S16_EUlS15_E_NS1_11comp_targetILNS1_3genE8ELNS1_11target_archE1030ELNS1_3gpuE2ELNS1_3repE0EEENS1_30default_config_static_selectorELNS0_4arch9wavefront6targetE1EEEvT1_,"axG",@progbits,_ZN7rocprim17ROCPRIM_400000_NS6detail17trampoline_kernelINS0_14default_configENS1_25partition_config_selectorILNS1_17partition_subalgoE8EsNS0_10empty_typeEbEEZZNS1_14partition_implILS5_8ELb0ES3_jN6thrust23THRUST_200600_302600_NS6detail15normal_iteratorINSA_10device_ptrIsEEEEPS6_PKS6_NS0_5tupleIJSF_S6_EEENSJ_IJSG_SG_EEENS0_18inequality_wrapperINSA_8equal_toIsEEEEPmJS6_EEE10hipError_tPvRmT3_T4_T5_T6_T7_T9_mT8_P12ihipStream_tbDpT10_ENKUlT_T0_E_clISt17integral_constantIbLb0EES19_IbLb1EEEEDaS15_S16_EUlS15_E_NS1_11comp_targetILNS1_3genE8ELNS1_11target_archE1030ELNS1_3gpuE2ELNS1_3repE0EEENS1_30default_config_static_selectorELNS0_4arch9wavefront6targetE1EEEvT1_,comdat
	.protected	_ZN7rocprim17ROCPRIM_400000_NS6detail17trampoline_kernelINS0_14default_configENS1_25partition_config_selectorILNS1_17partition_subalgoE8EsNS0_10empty_typeEbEEZZNS1_14partition_implILS5_8ELb0ES3_jN6thrust23THRUST_200600_302600_NS6detail15normal_iteratorINSA_10device_ptrIsEEEEPS6_PKS6_NS0_5tupleIJSF_S6_EEENSJ_IJSG_SG_EEENS0_18inequality_wrapperINSA_8equal_toIsEEEEPmJS6_EEE10hipError_tPvRmT3_T4_T5_T6_T7_T9_mT8_P12ihipStream_tbDpT10_ENKUlT_T0_E_clISt17integral_constantIbLb0EES19_IbLb1EEEEDaS15_S16_EUlS15_E_NS1_11comp_targetILNS1_3genE8ELNS1_11target_archE1030ELNS1_3gpuE2ELNS1_3repE0EEENS1_30default_config_static_selectorELNS0_4arch9wavefront6targetE1EEEvT1_ ; -- Begin function _ZN7rocprim17ROCPRIM_400000_NS6detail17trampoline_kernelINS0_14default_configENS1_25partition_config_selectorILNS1_17partition_subalgoE8EsNS0_10empty_typeEbEEZZNS1_14partition_implILS5_8ELb0ES3_jN6thrust23THRUST_200600_302600_NS6detail15normal_iteratorINSA_10device_ptrIsEEEEPS6_PKS6_NS0_5tupleIJSF_S6_EEENSJ_IJSG_SG_EEENS0_18inequality_wrapperINSA_8equal_toIsEEEEPmJS6_EEE10hipError_tPvRmT3_T4_T5_T6_T7_T9_mT8_P12ihipStream_tbDpT10_ENKUlT_T0_E_clISt17integral_constantIbLb0EES19_IbLb1EEEEDaS15_S16_EUlS15_E_NS1_11comp_targetILNS1_3genE8ELNS1_11target_archE1030ELNS1_3gpuE2ELNS1_3repE0EEENS1_30default_config_static_selectorELNS0_4arch9wavefront6targetE1EEEvT1_
	.globl	_ZN7rocprim17ROCPRIM_400000_NS6detail17trampoline_kernelINS0_14default_configENS1_25partition_config_selectorILNS1_17partition_subalgoE8EsNS0_10empty_typeEbEEZZNS1_14partition_implILS5_8ELb0ES3_jN6thrust23THRUST_200600_302600_NS6detail15normal_iteratorINSA_10device_ptrIsEEEEPS6_PKS6_NS0_5tupleIJSF_S6_EEENSJ_IJSG_SG_EEENS0_18inequality_wrapperINSA_8equal_toIsEEEEPmJS6_EEE10hipError_tPvRmT3_T4_T5_T6_T7_T9_mT8_P12ihipStream_tbDpT10_ENKUlT_T0_E_clISt17integral_constantIbLb0EES19_IbLb1EEEEDaS15_S16_EUlS15_E_NS1_11comp_targetILNS1_3genE8ELNS1_11target_archE1030ELNS1_3gpuE2ELNS1_3repE0EEENS1_30default_config_static_selectorELNS0_4arch9wavefront6targetE1EEEvT1_
	.p2align	8
	.type	_ZN7rocprim17ROCPRIM_400000_NS6detail17trampoline_kernelINS0_14default_configENS1_25partition_config_selectorILNS1_17partition_subalgoE8EsNS0_10empty_typeEbEEZZNS1_14partition_implILS5_8ELb0ES3_jN6thrust23THRUST_200600_302600_NS6detail15normal_iteratorINSA_10device_ptrIsEEEEPS6_PKS6_NS0_5tupleIJSF_S6_EEENSJ_IJSG_SG_EEENS0_18inequality_wrapperINSA_8equal_toIsEEEEPmJS6_EEE10hipError_tPvRmT3_T4_T5_T6_T7_T9_mT8_P12ihipStream_tbDpT10_ENKUlT_T0_E_clISt17integral_constantIbLb0EES19_IbLb1EEEEDaS15_S16_EUlS15_E_NS1_11comp_targetILNS1_3genE8ELNS1_11target_archE1030ELNS1_3gpuE2ELNS1_3repE0EEENS1_30default_config_static_selectorELNS0_4arch9wavefront6targetE1EEEvT1_,@function
_ZN7rocprim17ROCPRIM_400000_NS6detail17trampoline_kernelINS0_14default_configENS1_25partition_config_selectorILNS1_17partition_subalgoE8EsNS0_10empty_typeEbEEZZNS1_14partition_implILS5_8ELb0ES3_jN6thrust23THRUST_200600_302600_NS6detail15normal_iteratorINSA_10device_ptrIsEEEEPS6_PKS6_NS0_5tupleIJSF_S6_EEENSJ_IJSG_SG_EEENS0_18inequality_wrapperINSA_8equal_toIsEEEEPmJS6_EEE10hipError_tPvRmT3_T4_T5_T6_T7_T9_mT8_P12ihipStream_tbDpT10_ENKUlT_T0_E_clISt17integral_constantIbLb0EES19_IbLb1EEEEDaS15_S16_EUlS15_E_NS1_11comp_targetILNS1_3genE8ELNS1_11target_archE1030ELNS1_3gpuE2ELNS1_3repE0EEENS1_30default_config_static_selectorELNS0_4arch9wavefront6targetE1EEEvT1_: ; @_ZN7rocprim17ROCPRIM_400000_NS6detail17trampoline_kernelINS0_14default_configENS1_25partition_config_selectorILNS1_17partition_subalgoE8EsNS0_10empty_typeEbEEZZNS1_14partition_implILS5_8ELb0ES3_jN6thrust23THRUST_200600_302600_NS6detail15normal_iteratorINSA_10device_ptrIsEEEEPS6_PKS6_NS0_5tupleIJSF_S6_EEENSJ_IJSG_SG_EEENS0_18inequality_wrapperINSA_8equal_toIsEEEEPmJS6_EEE10hipError_tPvRmT3_T4_T5_T6_T7_T9_mT8_P12ihipStream_tbDpT10_ENKUlT_T0_E_clISt17integral_constantIbLb0EES19_IbLb1EEEEDaS15_S16_EUlS15_E_NS1_11comp_targetILNS1_3genE8ELNS1_11target_archE1030ELNS1_3gpuE2ELNS1_3repE0EEENS1_30default_config_static_selectorELNS0_4arch9wavefront6targetE1EEEvT1_
; %bb.0:
	.section	.rodata,"a",@progbits
	.p2align	6, 0x0
	.amdhsa_kernel _ZN7rocprim17ROCPRIM_400000_NS6detail17trampoline_kernelINS0_14default_configENS1_25partition_config_selectorILNS1_17partition_subalgoE8EsNS0_10empty_typeEbEEZZNS1_14partition_implILS5_8ELb0ES3_jN6thrust23THRUST_200600_302600_NS6detail15normal_iteratorINSA_10device_ptrIsEEEEPS6_PKS6_NS0_5tupleIJSF_S6_EEENSJ_IJSG_SG_EEENS0_18inequality_wrapperINSA_8equal_toIsEEEEPmJS6_EEE10hipError_tPvRmT3_T4_T5_T6_T7_T9_mT8_P12ihipStream_tbDpT10_ENKUlT_T0_E_clISt17integral_constantIbLb0EES19_IbLb1EEEEDaS15_S16_EUlS15_E_NS1_11comp_targetILNS1_3genE8ELNS1_11target_archE1030ELNS1_3gpuE2ELNS1_3repE0EEENS1_30default_config_static_selectorELNS0_4arch9wavefront6targetE1EEEvT1_
		.amdhsa_group_segment_fixed_size 0
		.amdhsa_private_segment_fixed_size 0
		.amdhsa_kernarg_size 128
		.amdhsa_user_sgpr_count 6
		.amdhsa_user_sgpr_private_segment_buffer 1
		.amdhsa_user_sgpr_dispatch_ptr 0
		.amdhsa_user_sgpr_queue_ptr 0
		.amdhsa_user_sgpr_kernarg_segment_ptr 1
		.amdhsa_user_sgpr_dispatch_id 0
		.amdhsa_user_sgpr_flat_scratch_init 0
		.amdhsa_user_sgpr_private_segment_size 0
		.amdhsa_uses_dynamic_stack 0
		.amdhsa_system_sgpr_private_segment_wavefront_offset 0
		.amdhsa_system_sgpr_workgroup_id_x 1
		.amdhsa_system_sgpr_workgroup_id_y 0
		.amdhsa_system_sgpr_workgroup_id_z 0
		.amdhsa_system_sgpr_workgroup_info 0
		.amdhsa_system_vgpr_workitem_id 0
		.amdhsa_next_free_vgpr 1
		.amdhsa_next_free_sgpr 0
		.amdhsa_reserve_vcc 0
		.amdhsa_reserve_flat_scratch 0
		.amdhsa_float_round_mode_32 0
		.amdhsa_float_round_mode_16_64 0
		.amdhsa_float_denorm_mode_32 3
		.amdhsa_float_denorm_mode_16_64 3
		.amdhsa_dx10_clamp 1
		.amdhsa_ieee_mode 1
		.amdhsa_fp16_overflow 0
		.amdhsa_exception_fp_ieee_invalid_op 0
		.amdhsa_exception_fp_denorm_src 0
		.amdhsa_exception_fp_ieee_div_zero 0
		.amdhsa_exception_fp_ieee_overflow 0
		.amdhsa_exception_fp_ieee_underflow 0
		.amdhsa_exception_fp_ieee_inexact 0
		.amdhsa_exception_int_div_zero 0
	.end_amdhsa_kernel
	.section	.text._ZN7rocprim17ROCPRIM_400000_NS6detail17trampoline_kernelINS0_14default_configENS1_25partition_config_selectorILNS1_17partition_subalgoE8EsNS0_10empty_typeEbEEZZNS1_14partition_implILS5_8ELb0ES3_jN6thrust23THRUST_200600_302600_NS6detail15normal_iteratorINSA_10device_ptrIsEEEEPS6_PKS6_NS0_5tupleIJSF_S6_EEENSJ_IJSG_SG_EEENS0_18inequality_wrapperINSA_8equal_toIsEEEEPmJS6_EEE10hipError_tPvRmT3_T4_T5_T6_T7_T9_mT8_P12ihipStream_tbDpT10_ENKUlT_T0_E_clISt17integral_constantIbLb0EES19_IbLb1EEEEDaS15_S16_EUlS15_E_NS1_11comp_targetILNS1_3genE8ELNS1_11target_archE1030ELNS1_3gpuE2ELNS1_3repE0EEENS1_30default_config_static_selectorELNS0_4arch9wavefront6targetE1EEEvT1_,"axG",@progbits,_ZN7rocprim17ROCPRIM_400000_NS6detail17trampoline_kernelINS0_14default_configENS1_25partition_config_selectorILNS1_17partition_subalgoE8EsNS0_10empty_typeEbEEZZNS1_14partition_implILS5_8ELb0ES3_jN6thrust23THRUST_200600_302600_NS6detail15normal_iteratorINSA_10device_ptrIsEEEEPS6_PKS6_NS0_5tupleIJSF_S6_EEENSJ_IJSG_SG_EEENS0_18inequality_wrapperINSA_8equal_toIsEEEEPmJS6_EEE10hipError_tPvRmT3_T4_T5_T6_T7_T9_mT8_P12ihipStream_tbDpT10_ENKUlT_T0_E_clISt17integral_constantIbLb0EES19_IbLb1EEEEDaS15_S16_EUlS15_E_NS1_11comp_targetILNS1_3genE8ELNS1_11target_archE1030ELNS1_3gpuE2ELNS1_3repE0EEENS1_30default_config_static_selectorELNS0_4arch9wavefront6targetE1EEEvT1_,comdat
.Lfunc_end500:
	.size	_ZN7rocprim17ROCPRIM_400000_NS6detail17trampoline_kernelINS0_14default_configENS1_25partition_config_selectorILNS1_17partition_subalgoE8EsNS0_10empty_typeEbEEZZNS1_14partition_implILS5_8ELb0ES3_jN6thrust23THRUST_200600_302600_NS6detail15normal_iteratorINSA_10device_ptrIsEEEEPS6_PKS6_NS0_5tupleIJSF_S6_EEENSJ_IJSG_SG_EEENS0_18inequality_wrapperINSA_8equal_toIsEEEEPmJS6_EEE10hipError_tPvRmT3_T4_T5_T6_T7_T9_mT8_P12ihipStream_tbDpT10_ENKUlT_T0_E_clISt17integral_constantIbLb0EES19_IbLb1EEEEDaS15_S16_EUlS15_E_NS1_11comp_targetILNS1_3genE8ELNS1_11target_archE1030ELNS1_3gpuE2ELNS1_3repE0EEENS1_30default_config_static_selectorELNS0_4arch9wavefront6targetE1EEEvT1_, .Lfunc_end500-_ZN7rocprim17ROCPRIM_400000_NS6detail17trampoline_kernelINS0_14default_configENS1_25partition_config_selectorILNS1_17partition_subalgoE8EsNS0_10empty_typeEbEEZZNS1_14partition_implILS5_8ELb0ES3_jN6thrust23THRUST_200600_302600_NS6detail15normal_iteratorINSA_10device_ptrIsEEEEPS6_PKS6_NS0_5tupleIJSF_S6_EEENSJ_IJSG_SG_EEENS0_18inequality_wrapperINSA_8equal_toIsEEEEPmJS6_EEE10hipError_tPvRmT3_T4_T5_T6_T7_T9_mT8_P12ihipStream_tbDpT10_ENKUlT_T0_E_clISt17integral_constantIbLb0EES19_IbLb1EEEEDaS15_S16_EUlS15_E_NS1_11comp_targetILNS1_3genE8ELNS1_11target_archE1030ELNS1_3gpuE2ELNS1_3repE0EEENS1_30default_config_static_selectorELNS0_4arch9wavefront6targetE1EEEvT1_
                                        ; -- End function
	.set _ZN7rocprim17ROCPRIM_400000_NS6detail17trampoline_kernelINS0_14default_configENS1_25partition_config_selectorILNS1_17partition_subalgoE8EsNS0_10empty_typeEbEEZZNS1_14partition_implILS5_8ELb0ES3_jN6thrust23THRUST_200600_302600_NS6detail15normal_iteratorINSA_10device_ptrIsEEEEPS6_PKS6_NS0_5tupleIJSF_S6_EEENSJ_IJSG_SG_EEENS0_18inequality_wrapperINSA_8equal_toIsEEEEPmJS6_EEE10hipError_tPvRmT3_T4_T5_T6_T7_T9_mT8_P12ihipStream_tbDpT10_ENKUlT_T0_E_clISt17integral_constantIbLb0EES19_IbLb1EEEEDaS15_S16_EUlS15_E_NS1_11comp_targetILNS1_3genE8ELNS1_11target_archE1030ELNS1_3gpuE2ELNS1_3repE0EEENS1_30default_config_static_selectorELNS0_4arch9wavefront6targetE1EEEvT1_.num_vgpr, 0
	.set _ZN7rocprim17ROCPRIM_400000_NS6detail17trampoline_kernelINS0_14default_configENS1_25partition_config_selectorILNS1_17partition_subalgoE8EsNS0_10empty_typeEbEEZZNS1_14partition_implILS5_8ELb0ES3_jN6thrust23THRUST_200600_302600_NS6detail15normal_iteratorINSA_10device_ptrIsEEEEPS6_PKS6_NS0_5tupleIJSF_S6_EEENSJ_IJSG_SG_EEENS0_18inequality_wrapperINSA_8equal_toIsEEEEPmJS6_EEE10hipError_tPvRmT3_T4_T5_T6_T7_T9_mT8_P12ihipStream_tbDpT10_ENKUlT_T0_E_clISt17integral_constantIbLb0EES19_IbLb1EEEEDaS15_S16_EUlS15_E_NS1_11comp_targetILNS1_3genE8ELNS1_11target_archE1030ELNS1_3gpuE2ELNS1_3repE0EEENS1_30default_config_static_selectorELNS0_4arch9wavefront6targetE1EEEvT1_.num_agpr, 0
	.set _ZN7rocprim17ROCPRIM_400000_NS6detail17trampoline_kernelINS0_14default_configENS1_25partition_config_selectorILNS1_17partition_subalgoE8EsNS0_10empty_typeEbEEZZNS1_14partition_implILS5_8ELb0ES3_jN6thrust23THRUST_200600_302600_NS6detail15normal_iteratorINSA_10device_ptrIsEEEEPS6_PKS6_NS0_5tupleIJSF_S6_EEENSJ_IJSG_SG_EEENS0_18inequality_wrapperINSA_8equal_toIsEEEEPmJS6_EEE10hipError_tPvRmT3_T4_T5_T6_T7_T9_mT8_P12ihipStream_tbDpT10_ENKUlT_T0_E_clISt17integral_constantIbLb0EES19_IbLb1EEEEDaS15_S16_EUlS15_E_NS1_11comp_targetILNS1_3genE8ELNS1_11target_archE1030ELNS1_3gpuE2ELNS1_3repE0EEENS1_30default_config_static_selectorELNS0_4arch9wavefront6targetE1EEEvT1_.numbered_sgpr, 0
	.set _ZN7rocprim17ROCPRIM_400000_NS6detail17trampoline_kernelINS0_14default_configENS1_25partition_config_selectorILNS1_17partition_subalgoE8EsNS0_10empty_typeEbEEZZNS1_14partition_implILS5_8ELb0ES3_jN6thrust23THRUST_200600_302600_NS6detail15normal_iteratorINSA_10device_ptrIsEEEEPS6_PKS6_NS0_5tupleIJSF_S6_EEENSJ_IJSG_SG_EEENS0_18inequality_wrapperINSA_8equal_toIsEEEEPmJS6_EEE10hipError_tPvRmT3_T4_T5_T6_T7_T9_mT8_P12ihipStream_tbDpT10_ENKUlT_T0_E_clISt17integral_constantIbLb0EES19_IbLb1EEEEDaS15_S16_EUlS15_E_NS1_11comp_targetILNS1_3genE8ELNS1_11target_archE1030ELNS1_3gpuE2ELNS1_3repE0EEENS1_30default_config_static_selectorELNS0_4arch9wavefront6targetE1EEEvT1_.num_named_barrier, 0
	.set _ZN7rocprim17ROCPRIM_400000_NS6detail17trampoline_kernelINS0_14default_configENS1_25partition_config_selectorILNS1_17partition_subalgoE8EsNS0_10empty_typeEbEEZZNS1_14partition_implILS5_8ELb0ES3_jN6thrust23THRUST_200600_302600_NS6detail15normal_iteratorINSA_10device_ptrIsEEEEPS6_PKS6_NS0_5tupleIJSF_S6_EEENSJ_IJSG_SG_EEENS0_18inequality_wrapperINSA_8equal_toIsEEEEPmJS6_EEE10hipError_tPvRmT3_T4_T5_T6_T7_T9_mT8_P12ihipStream_tbDpT10_ENKUlT_T0_E_clISt17integral_constantIbLb0EES19_IbLb1EEEEDaS15_S16_EUlS15_E_NS1_11comp_targetILNS1_3genE8ELNS1_11target_archE1030ELNS1_3gpuE2ELNS1_3repE0EEENS1_30default_config_static_selectorELNS0_4arch9wavefront6targetE1EEEvT1_.private_seg_size, 0
	.set _ZN7rocprim17ROCPRIM_400000_NS6detail17trampoline_kernelINS0_14default_configENS1_25partition_config_selectorILNS1_17partition_subalgoE8EsNS0_10empty_typeEbEEZZNS1_14partition_implILS5_8ELb0ES3_jN6thrust23THRUST_200600_302600_NS6detail15normal_iteratorINSA_10device_ptrIsEEEEPS6_PKS6_NS0_5tupleIJSF_S6_EEENSJ_IJSG_SG_EEENS0_18inequality_wrapperINSA_8equal_toIsEEEEPmJS6_EEE10hipError_tPvRmT3_T4_T5_T6_T7_T9_mT8_P12ihipStream_tbDpT10_ENKUlT_T0_E_clISt17integral_constantIbLb0EES19_IbLb1EEEEDaS15_S16_EUlS15_E_NS1_11comp_targetILNS1_3genE8ELNS1_11target_archE1030ELNS1_3gpuE2ELNS1_3repE0EEENS1_30default_config_static_selectorELNS0_4arch9wavefront6targetE1EEEvT1_.uses_vcc, 0
	.set _ZN7rocprim17ROCPRIM_400000_NS6detail17trampoline_kernelINS0_14default_configENS1_25partition_config_selectorILNS1_17partition_subalgoE8EsNS0_10empty_typeEbEEZZNS1_14partition_implILS5_8ELb0ES3_jN6thrust23THRUST_200600_302600_NS6detail15normal_iteratorINSA_10device_ptrIsEEEEPS6_PKS6_NS0_5tupleIJSF_S6_EEENSJ_IJSG_SG_EEENS0_18inequality_wrapperINSA_8equal_toIsEEEEPmJS6_EEE10hipError_tPvRmT3_T4_T5_T6_T7_T9_mT8_P12ihipStream_tbDpT10_ENKUlT_T0_E_clISt17integral_constantIbLb0EES19_IbLb1EEEEDaS15_S16_EUlS15_E_NS1_11comp_targetILNS1_3genE8ELNS1_11target_archE1030ELNS1_3gpuE2ELNS1_3repE0EEENS1_30default_config_static_selectorELNS0_4arch9wavefront6targetE1EEEvT1_.uses_flat_scratch, 0
	.set _ZN7rocprim17ROCPRIM_400000_NS6detail17trampoline_kernelINS0_14default_configENS1_25partition_config_selectorILNS1_17partition_subalgoE8EsNS0_10empty_typeEbEEZZNS1_14partition_implILS5_8ELb0ES3_jN6thrust23THRUST_200600_302600_NS6detail15normal_iteratorINSA_10device_ptrIsEEEEPS6_PKS6_NS0_5tupleIJSF_S6_EEENSJ_IJSG_SG_EEENS0_18inequality_wrapperINSA_8equal_toIsEEEEPmJS6_EEE10hipError_tPvRmT3_T4_T5_T6_T7_T9_mT8_P12ihipStream_tbDpT10_ENKUlT_T0_E_clISt17integral_constantIbLb0EES19_IbLb1EEEEDaS15_S16_EUlS15_E_NS1_11comp_targetILNS1_3genE8ELNS1_11target_archE1030ELNS1_3gpuE2ELNS1_3repE0EEENS1_30default_config_static_selectorELNS0_4arch9wavefront6targetE1EEEvT1_.has_dyn_sized_stack, 0
	.set _ZN7rocprim17ROCPRIM_400000_NS6detail17trampoline_kernelINS0_14default_configENS1_25partition_config_selectorILNS1_17partition_subalgoE8EsNS0_10empty_typeEbEEZZNS1_14partition_implILS5_8ELb0ES3_jN6thrust23THRUST_200600_302600_NS6detail15normal_iteratorINSA_10device_ptrIsEEEEPS6_PKS6_NS0_5tupleIJSF_S6_EEENSJ_IJSG_SG_EEENS0_18inequality_wrapperINSA_8equal_toIsEEEEPmJS6_EEE10hipError_tPvRmT3_T4_T5_T6_T7_T9_mT8_P12ihipStream_tbDpT10_ENKUlT_T0_E_clISt17integral_constantIbLb0EES19_IbLb1EEEEDaS15_S16_EUlS15_E_NS1_11comp_targetILNS1_3genE8ELNS1_11target_archE1030ELNS1_3gpuE2ELNS1_3repE0EEENS1_30default_config_static_selectorELNS0_4arch9wavefront6targetE1EEEvT1_.has_recursion, 0
	.set _ZN7rocprim17ROCPRIM_400000_NS6detail17trampoline_kernelINS0_14default_configENS1_25partition_config_selectorILNS1_17partition_subalgoE8EsNS0_10empty_typeEbEEZZNS1_14partition_implILS5_8ELb0ES3_jN6thrust23THRUST_200600_302600_NS6detail15normal_iteratorINSA_10device_ptrIsEEEEPS6_PKS6_NS0_5tupleIJSF_S6_EEENSJ_IJSG_SG_EEENS0_18inequality_wrapperINSA_8equal_toIsEEEEPmJS6_EEE10hipError_tPvRmT3_T4_T5_T6_T7_T9_mT8_P12ihipStream_tbDpT10_ENKUlT_T0_E_clISt17integral_constantIbLb0EES19_IbLb1EEEEDaS15_S16_EUlS15_E_NS1_11comp_targetILNS1_3genE8ELNS1_11target_archE1030ELNS1_3gpuE2ELNS1_3repE0EEENS1_30default_config_static_selectorELNS0_4arch9wavefront6targetE1EEEvT1_.has_indirect_call, 0
	.section	.AMDGPU.csdata,"",@progbits
; Kernel info:
; codeLenInByte = 0
; TotalNumSgprs: 4
; NumVgprs: 0
; ScratchSize: 0
; MemoryBound: 0
; FloatMode: 240
; IeeeMode: 1
; LDSByteSize: 0 bytes/workgroup (compile time only)
; SGPRBlocks: 0
; VGPRBlocks: 0
; NumSGPRsForWavesPerEU: 4
; NumVGPRsForWavesPerEU: 1
; Occupancy: 10
; WaveLimiterHint : 0
; COMPUTE_PGM_RSRC2:SCRATCH_EN: 0
; COMPUTE_PGM_RSRC2:USER_SGPR: 6
; COMPUTE_PGM_RSRC2:TRAP_HANDLER: 0
; COMPUTE_PGM_RSRC2:TGID_X_EN: 1
; COMPUTE_PGM_RSRC2:TGID_Y_EN: 0
; COMPUTE_PGM_RSRC2:TGID_Z_EN: 0
; COMPUTE_PGM_RSRC2:TIDIG_COMP_CNT: 0
	.section	.text._ZN7rocprim17ROCPRIM_400000_NS6detail17trampoline_kernelINS0_14default_configENS1_25partition_config_selectorILNS1_17partition_subalgoE8EsNS0_10empty_typeEbEEZZNS1_14partition_implILS5_8ELb0ES3_jN6thrust23THRUST_200600_302600_NS6detail15normal_iteratorINSA_10device_ptrIsEEEEPS6_PKS6_NS0_5tupleIJSF_S6_EEENSJ_IJSG_SG_EEENS0_18inequality_wrapperI22is_equal_div_10_uniqueIsEEEPmJS6_EEE10hipError_tPvRmT3_T4_T5_T6_T7_T9_mT8_P12ihipStream_tbDpT10_ENKUlT_T0_E_clISt17integral_constantIbLb0EES1A_EEDaS15_S16_EUlS15_E_NS1_11comp_targetILNS1_3genE0ELNS1_11target_archE4294967295ELNS1_3gpuE0ELNS1_3repE0EEENS1_30default_config_static_selectorELNS0_4arch9wavefront6targetE1EEEvT1_,"axG",@progbits,_ZN7rocprim17ROCPRIM_400000_NS6detail17trampoline_kernelINS0_14default_configENS1_25partition_config_selectorILNS1_17partition_subalgoE8EsNS0_10empty_typeEbEEZZNS1_14partition_implILS5_8ELb0ES3_jN6thrust23THRUST_200600_302600_NS6detail15normal_iteratorINSA_10device_ptrIsEEEEPS6_PKS6_NS0_5tupleIJSF_S6_EEENSJ_IJSG_SG_EEENS0_18inequality_wrapperI22is_equal_div_10_uniqueIsEEEPmJS6_EEE10hipError_tPvRmT3_T4_T5_T6_T7_T9_mT8_P12ihipStream_tbDpT10_ENKUlT_T0_E_clISt17integral_constantIbLb0EES1A_EEDaS15_S16_EUlS15_E_NS1_11comp_targetILNS1_3genE0ELNS1_11target_archE4294967295ELNS1_3gpuE0ELNS1_3repE0EEENS1_30default_config_static_selectorELNS0_4arch9wavefront6targetE1EEEvT1_,comdat
	.protected	_ZN7rocprim17ROCPRIM_400000_NS6detail17trampoline_kernelINS0_14default_configENS1_25partition_config_selectorILNS1_17partition_subalgoE8EsNS0_10empty_typeEbEEZZNS1_14partition_implILS5_8ELb0ES3_jN6thrust23THRUST_200600_302600_NS6detail15normal_iteratorINSA_10device_ptrIsEEEEPS6_PKS6_NS0_5tupleIJSF_S6_EEENSJ_IJSG_SG_EEENS0_18inequality_wrapperI22is_equal_div_10_uniqueIsEEEPmJS6_EEE10hipError_tPvRmT3_T4_T5_T6_T7_T9_mT8_P12ihipStream_tbDpT10_ENKUlT_T0_E_clISt17integral_constantIbLb0EES1A_EEDaS15_S16_EUlS15_E_NS1_11comp_targetILNS1_3genE0ELNS1_11target_archE4294967295ELNS1_3gpuE0ELNS1_3repE0EEENS1_30default_config_static_selectorELNS0_4arch9wavefront6targetE1EEEvT1_ ; -- Begin function _ZN7rocprim17ROCPRIM_400000_NS6detail17trampoline_kernelINS0_14default_configENS1_25partition_config_selectorILNS1_17partition_subalgoE8EsNS0_10empty_typeEbEEZZNS1_14partition_implILS5_8ELb0ES3_jN6thrust23THRUST_200600_302600_NS6detail15normal_iteratorINSA_10device_ptrIsEEEEPS6_PKS6_NS0_5tupleIJSF_S6_EEENSJ_IJSG_SG_EEENS0_18inequality_wrapperI22is_equal_div_10_uniqueIsEEEPmJS6_EEE10hipError_tPvRmT3_T4_T5_T6_T7_T9_mT8_P12ihipStream_tbDpT10_ENKUlT_T0_E_clISt17integral_constantIbLb0EES1A_EEDaS15_S16_EUlS15_E_NS1_11comp_targetILNS1_3genE0ELNS1_11target_archE4294967295ELNS1_3gpuE0ELNS1_3repE0EEENS1_30default_config_static_selectorELNS0_4arch9wavefront6targetE1EEEvT1_
	.globl	_ZN7rocprim17ROCPRIM_400000_NS6detail17trampoline_kernelINS0_14default_configENS1_25partition_config_selectorILNS1_17partition_subalgoE8EsNS0_10empty_typeEbEEZZNS1_14partition_implILS5_8ELb0ES3_jN6thrust23THRUST_200600_302600_NS6detail15normal_iteratorINSA_10device_ptrIsEEEEPS6_PKS6_NS0_5tupleIJSF_S6_EEENSJ_IJSG_SG_EEENS0_18inequality_wrapperI22is_equal_div_10_uniqueIsEEEPmJS6_EEE10hipError_tPvRmT3_T4_T5_T6_T7_T9_mT8_P12ihipStream_tbDpT10_ENKUlT_T0_E_clISt17integral_constantIbLb0EES1A_EEDaS15_S16_EUlS15_E_NS1_11comp_targetILNS1_3genE0ELNS1_11target_archE4294967295ELNS1_3gpuE0ELNS1_3repE0EEENS1_30default_config_static_selectorELNS0_4arch9wavefront6targetE1EEEvT1_
	.p2align	8
	.type	_ZN7rocprim17ROCPRIM_400000_NS6detail17trampoline_kernelINS0_14default_configENS1_25partition_config_selectorILNS1_17partition_subalgoE8EsNS0_10empty_typeEbEEZZNS1_14partition_implILS5_8ELb0ES3_jN6thrust23THRUST_200600_302600_NS6detail15normal_iteratorINSA_10device_ptrIsEEEEPS6_PKS6_NS0_5tupleIJSF_S6_EEENSJ_IJSG_SG_EEENS0_18inequality_wrapperI22is_equal_div_10_uniqueIsEEEPmJS6_EEE10hipError_tPvRmT3_T4_T5_T6_T7_T9_mT8_P12ihipStream_tbDpT10_ENKUlT_T0_E_clISt17integral_constantIbLb0EES1A_EEDaS15_S16_EUlS15_E_NS1_11comp_targetILNS1_3genE0ELNS1_11target_archE4294967295ELNS1_3gpuE0ELNS1_3repE0EEENS1_30default_config_static_selectorELNS0_4arch9wavefront6targetE1EEEvT1_,@function
_ZN7rocprim17ROCPRIM_400000_NS6detail17trampoline_kernelINS0_14default_configENS1_25partition_config_selectorILNS1_17partition_subalgoE8EsNS0_10empty_typeEbEEZZNS1_14partition_implILS5_8ELb0ES3_jN6thrust23THRUST_200600_302600_NS6detail15normal_iteratorINSA_10device_ptrIsEEEEPS6_PKS6_NS0_5tupleIJSF_S6_EEENSJ_IJSG_SG_EEENS0_18inequality_wrapperI22is_equal_div_10_uniqueIsEEEPmJS6_EEE10hipError_tPvRmT3_T4_T5_T6_T7_T9_mT8_P12ihipStream_tbDpT10_ENKUlT_T0_E_clISt17integral_constantIbLb0EES1A_EEDaS15_S16_EUlS15_E_NS1_11comp_targetILNS1_3genE0ELNS1_11target_archE4294967295ELNS1_3gpuE0ELNS1_3repE0EEENS1_30default_config_static_selectorELNS0_4arch9wavefront6targetE1EEEvT1_: ; @_ZN7rocprim17ROCPRIM_400000_NS6detail17trampoline_kernelINS0_14default_configENS1_25partition_config_selectorILNS1_17partition_subalgoE8EsNS0_10empty_typeEbEEZZNS1_14partition_implILS5_8ELb0ES3_jN6thrust23THRUST_200600_302600_NS6detail15normal_iteratorINSA_10device_ptrIsEEEEPS6_PKS6_NS0_5tupleIJSF_S6_EEENSJ_IJSG_SG_EEENS0_18inequality_wrapperI22is_equal_div_10_uniqueIsEEEPmJS6_EEE10hipError_tPvRmT3_T4_T5_T6_T7_T9_mT8_P12ihipStream_tbDpT10_ENKUlT_T0_E_clISt17integral_constantIbLb0EES1A_EEDaS15_S16_EUlS15_E_NS1_11comp_targetILNS1_3genE0ELNS1_11target_archE4294967295ELNS1_3gpuE0ELNS1_3repE0EEENS1_30default_config_static_selectorELNS0_4arch9wavefront6targetE1EEEvT1_
; %bb.0:
	.section	.rodata,"a",@progbits
	.p2align	6, 0x0
	.amdhsa_kernel _ZN7rocprim17ROCPRIM_400000_NS6detail17trampoline_kernelINS0_14default_configENS1_25partition_config_selectorILNS1_17partition_subalgoE8EsNS0_10empty_typeEbEEZZNS1_14partition_implILS5_8ELb0ES3_jN6thrust23THRUST_200600_302600_NS6detail15normal_iteratorINSA_10device_ptrIsEEEEPS6_PKS6_NS0_5tupleIJSF_S6_EEENSJ_IJSG_SG_EEENS0_18inequality_wrapperI22is_equal_div_10_uniqueIsEEEPmJS6_EEE10hipError_tPvRmT3_T4_T5_T6_T7_T9_mT8_P12ihipStream_tbDpT10_ENKUlT_T0_E_clISt17integral_constantIbLb0EES1A_EEDaS15_S16_EUlS15_E_NS1_11comp_targetILNS1_3genE0ELNS1_11target_archE4294967295ELNS1_3gpuE0ELNS1_3repE0EEENS1_30default_config_static_selectorELNS0_4arch9wavefront6targetE1EEEvT1_
		.amdhsa_group_segment_fixed_size 0
		.amdhsa_private_segment_fixed_size 0
		.amdhsa_kernarg_size 112
		.amdhsa_user_sgpr_count 6
		.amdhsa_user_sgpr_private_segment_buffer 1
		.amdhsa_user_sgpr_dispatch_ptr 0
		.amdhsa_user_sgpr_queue_ptr 0
		.amdhsa_user_sgpr_kernarg_segment_ptr 1
		.amdhsa_user_sgpr_dispatch_id 0
		.amdhsa_user_sgpr_flat_scratch_init 0
		.amdhsa_user_sgpr_private_segment_size 0
		.amdhsa_uses_dynamic_stack 0
		.amdhsa_system_sgpr_private_segment_wavefront_offset 0
		.amdhsa_system_sgpr_workgroup_id_x 1
		.amdhsa_system_sgpr_workgroup_id_y 0
		.amdhsa_system_sgpr_workgroup_id_z 0
		.amdhsa_system_sgpr_workgroup_info 0
		.amdhsa_system_vgpr_workitem_id 0
		.amdhsa_next_free_vgpr 1
		.amdhsa_next_free_sgpr 0
		.amdhsa_reserve_vcc 0
		.amdhsa_reserve_flat_scratch 0
		.amdhsa_float_round_mode_32 0
		.amdhsa_float_round_mode_16_64 0
		.amdhsa_float_denorm_mode_32 3
		.amdhsa_float_denorm_mode_16_64 3
		.amdhsa_dx10_clamp 1
		.amdhsa_ieee_mode 1
		.amdhsa_fp16_overflow 0
		.amdhsa_exception_fp_ieee_invalid_op 0
		.amdhsa_exception_fp_denorm_src 0
		.amdhsa_exception_fp_ieee_div_zero 0
		.amdhsa_exception_fp_ieee_overflow 0
		.amdhsa_exception_fp_ieee_underflow 0
		.amdhsa_exception_fp_ieee_inexact 0
		.amdhsa_exception_int_div_zero 0
	.end_amdhsa_kernel
	.section	.text._ZN7rocprim17ROCPRIM_400000_NS6detail17trampoline_kernelINS0_14default_configENS1_25partition_config_selectorILNS1_17partition_subalgoE8EsNS0_10empty_typeEbEEZZNS1_14partition_implILS5_8ELb0ES3_jN6thrust23THRUST_200600_302600_NS6detail15normal_iteratorINSA_10device_ptrIsEEEEPS6_PKS6_NS0_5tupleIJSF_S6_EEENSJ_IJSG_SG_EEENS0_18inequality_wrapperI22is_equal_div_10_uniqueIsEEEPmJS6_EEE10hipError_tPvRmT3_T4_T5_T6_T7_T9_mT8_P12ihipStream_tbDpT10_ENKUlT_T0_E_clISt17integral_constantIbLb0EES1A_EEDaS15_S16_EUlS15_E_NS1_11comp_targetILNS1_3genE0ELNS1_11target_archE4294967295ELNS1_3gpuE0ELNS1_3repE0EEENS1_30default_config_static_selectorELNS0_4arch9wavefront6targetE1EEEvT1_,"axG",@progbits,_ZN7rocprim17ROCPRIM_400000_NS6detail17trampoline_kernelINS0_14default_configENS1_25partition_config_selectorILNS1_17partition_subalgoE8EsNS0_10empty_typeEbEEZZNS1_14partition_implILS5_8ELb0ES3_jN6thrust23THRUST_200600_302600_NS6detail15normal_iteratorINSA_10device_ptrIsEEEEPS6_PKS6_NS0_5tupleIJSF_S6_EEENSJ_IJSG_SG_EEENS0_18inequality_wrapperI22is_equal_div_10_uniqueIsEEEPmJS6_EEE10hipError_tPvRmT3_T4_T5_T6_T7_T9_mT8_P12ihipStream_tbDpT10_ENKUlT_T0_E_clISt17integral_constantIbLb0EES1A_EEDaS15_S16_EUlS15_E_NS1_11comp_targetILNS1_3genE0ELNS1_11target_archE4294967295ELNS1_3gpuE0ELNS1_3repE0EEENS1_30default_config_static_selectorELNS0_4arch9wavefront6targetE1EEEvT1_,comdat
.Lfunc_end501:
	.size	_ZN7rocprim17ROCPRIM_400000_NS6detail17trampoline_kernelINS0_14default_configENS1_25partition_config_selectorILNS1_17partition_subalgoE8EsNS0_10empty_typeEbEEZZNS1_14partition_implILS5_8ELb0ES3_jN6thrust23THRUST_200600_302600_NS6detail15normal_iteratorINSA_10device_ptrIsEEEEPS6_PKS6_NS0_5tupleIJSF_S6_EEENSJ_IJSG_SG_EEENS0_18inequality_wrapperI22is_equal_div_10_uniqueIsEEEPmJS6_EEE10hipError_tPvRmT3_T4_T5_T6_T7_T9_mT8_P12ihipStream_tbDpT10_ENKUlT_T0_E_clISt17integral_constantIbLb0EES1A_EEDaS15_S16_EUlS15_E_NS1_11comp_targetILNS1_3genE0ELNS1_11target_archE4294967295ELNS1_3gpuE0ELNS1_3repE0EEENS1_30default_config_static_selectorELNS0_4arch9wavefront6targetE1EEEvT1_, .Lfunc_end501-_ZN7rocprim17ROCPRIM_400000_NS6detail17trampoline_kernelINS0_14default_configENS1_25partition_config_selectorILNS1_17partition_subalgoE8EsNS0_10empty_typeEbEEZZNS1_14partition_implILS5_8ELb0ES3_jN6thrust23THRUST_200600_302600_NS6detail15normal_iteratorINSA_10device_ptrIsEEEEPS6_PKS6_NS0_5tupleIJSF_S6_EEENSJ_IJSG_SG_EEENS0_18inequality_wrapperI22is_equal_div_10_uniqueIsEEEPmJS6_EEE10hipError_tPvRmT3_T4_T5_T6_T7_T9_mT8_P12ihipStream_tbDpT10_ENKUlT_T0_E_clISt17integral_constantIbLb0EES1A_EEDaS15_S16_EUlS15_E_NS1_11comp_targetILNS1_3genE0ELNS1_11target_archE4294967295ELNS1_3gpuE0ELNS1_3repE0EEENS1_30default_config_static_selectorELNS0_4arch9wavefront6targetE1EEEvT1_
                                        ; -- End function
	.set _ZN7rocprim17ROCPRIM_400000_NS6detail17trampoline_kernelINS0_14default_configENS1_25partition_config_selectorILNS1_17partition_subalgoE8EsNS0_10empty_typeEbEEZZNS1_14partition_implILS5_8ELb0ES3_jN6thrust23THRUST_200600_302600_NS6detail15normal_iteratorINSA_10device_ptrIsEEEEPS6_PKS6_NS0_5tupleIJSF_S6_EEENSJ_IJSG_SG_EEENS0_18inequality_wrapperI22is_equal_div_10_uniqueIsEEEPmJS6_EEE10hipError_tPvRmT3_T4_T5_T6_T7_T9_mT8_P12ihipStream_tbDpT10_ENKUlT_T0_E_clISt17integral_constantIbLb0EES1A_EEDaS15_S16_EUlS15_E_NS1_11comp_targetILNS1_3genE0ELNS1_11target_archE4294967295ELNS1_3gpuE0ELNS1_3repE0EEENS1_30default_config_static_selectorELNS0_4arch9wavefront6targetE1EEEvT1_.num_vgpr, 0
	.set _ZN7rocprim17ROCPRIM_400000_NS6detail17trampoline_kernelINS0_14default_configENS1_25partition_config_selectorILNS1_17partition_subalgoE8EsNS0_10empty_typeEbEEZZNS1_14partition_implILS5_8ELb0ES3_jN6thrust23THRUST_200600_302600_NS6detail15normal_iteratorINSA_10device_ptrIsEEEEPS6_PKS6_NS0_5tupleIJSF_S6_EEENSJ_IJSG_SG_EEENS0_18inequality_wrapperI22is_equal_div_10_uniqueIsEEEPmJS6_EEE10hipError_tPvRmT3_T4_T5_T6_T7_T9_mT8_P12ihipStream_tbDpT10_ENKUlT_T0_E_clISt17integral_constantIbLb0EES1A_EEDaS15_S16_EUlS15_E_NS1_11comp_targetILNS1_3genE0ELNS1_11target_archE4294967295ELNS1_3gpuE0ELNS1_3repE0EEENS1_30default_config_static_selectorELNS0_4arch9wavefront6targetE1EEEvT1_.num_agpr, 0
	.set _ZN7rocprim17ROCPRIM_400000_NS6detail17trampoline_kernelINS0_14default_configENS1_25partition_config_selectorILNS1_17partition_subalgoE8EsNS0_10empty_typeEbEEZZNS1_14partition_implILS5_8ELb0ES3_jN6thrust23THRUST_200600_302600_NS6detail15normal_iteratorINSA_10device_ptrIsEEEEPS6_PKS6_NS0_5tupleIJSF_S6_EEENSJ_IJSG_SG_EEENS0_18inequality_wrapperI22is_equal_div_10_uniqueIsEEEPmJS6_EEE10hipError_tPvRmT3_T4_T5_T6_T7_T9_mT8_P12ihipStream_tbDpT10_ENKUlT_T0_E_clISt17integral_constantIbLb0EES1A_EEDaS15_S16_EUlS15_E_NS1_11comp_targetILNS1_3genE0ELNS1_11target_archE4294967295ELNS1_3gpuE0ELNS1_3repE0EEENS1_30default_config_static_selectorELNS0_4arch9wavefront6targetE1EEEvT1_.numbered_sgpr, 0
	.set _ZN7rocprim17ROCPRIM_400000_NS6detail17trampoline_kernelINS0_14default_configENS1_25partition_config_selectorILNS1_17partition_subalgoE8EsNS0_10empty_typeEbEEZZNS1_14partition_implILS5_8ELb0ES3_jN6thrust23THRUST_200600_302600_NS6detail15normal_iteratorINSA_10device_ptrIsEEEEPS6_PKS6_NS0_5tupleIJSF_S6_EEENSJ_IJSG_SG_EEENS0_18inequality_wrapperI22is_equal_div_10_uniqueIsEEEPmJS6_EEE10hipError_tPvRmT3_T4_T5_T6_T7_T9_mT8_P12ihipStream_tbDpT10_ENKUlT_T0_E_clISt17integral_constantIbLb0EES1A_EEDaS15_S16_EUlS15_E_NS1_11comp_targetILNS1_3genE0ELNS1_11target_archE4294967295ELNS1_3gpuE0ELNS1_3repE0EEENS1_30default_config_static_selectorELNS0_4arch9wavefront6targetE1EEEvT1_.num_named_barrier, 0
	.set _ZN7rocprim17ROCPRIM_400000_NS6detail17trampoline_kernelINS0_14default_configENS1_25partition_config_selectorILNS1_17partition_subalgoE8EsNS0_10empty_typeEbEEZZNS1_14partition_implILS5_8ELb0ES3_jN6thrust23THRUST_200600_302600_NS6detail15normal_iteratorINSA_10device_ptrIsEEEEPS6_PKS6_NS0_5tupleIJSF_S6_EEENSJ_IJSG_SG_EEENS0_18inequality_wrapperI22is_equal_div_10_uniqueIsEEEPmJS6_EEE10hipError_tPvRmT3_T4_T5_T6_T7_T9_mT8_P12ihipStream_tbDpT10_ENKUlT_T0_E_clISt17integral_constantIbLb0EES1A_EEDaS15_S16_EUlS15_E_NS1_11comp_targetILNS1_3genE0ELNS1_11target_archE4294967295ELNS1_3gpuE0ELNS1_3repE0EEENS1_30default_config_static_selectorELNS0_4arch9wavefront6targetE1EEEvT1_.private_seg_size, 0
	.set _ZN7rocprim17ROCPRIM_400000_NS6detail17trampoline_kernelINS0_14default_configENS1_25partition_config_selectorILNS1_17partition_subalgoE8EsNS0_10empty_typeEbEEZZNS1_14partition_implILS5_8ELb0ES3_jN6thrust23THRUST_200600_302600_NS6detail15normal_iteratorINSA_10device_ptrIsEEEEPS6_PKS6_NS0_5tupleIJSF_S6_EEENSJ_IJSG_SG_EEENS0_18inequality_wrapperI22is_equal_div_10_uniqueIsEEEPmJS6_EEE10hipError_tPvRmT3_T4_T5_T6_T7_T9_mT8_P12ihipStream_tbDpT10_ENKUlT_T0_E_clISt17integral_constantIbLb0EES1A_EEDaS15_S16_EUlS15_E_NS1_11comp_targetILNS1_3genE0ELNS1_11target_archE4294967295ELNS1_3gpuE0ELNS1_3repE0EEENS1_30default_config_static_selectorELNS0_4arch9wavefront6targetE1EEEvT1_.uses_vcc, 0
	.set _ZN7rocprim17ROCPRIM_400000_NS6detail17trampoline_kernelINS0_14default_configENS1_25partition_config_selectorILNS1_17partition_subalgoE8EsNS0_10empty_typeEbEEZZNS1_14partition_implILS5_8ELb0ES3_jN6thrust23THRUST_200600_302600_NS6detail15normal_iteratorINSA_10device_ptrIsEEEEPS6_PKS6_NS0_5tupleIJSF_S6_EEENSJ_IJSG_SG_EEENS0_18inequality_wrapperI22is_equal_div_10_uniqueIsEEEPmJS6_EEE10hipError_tPvRmT3_T4_T5_T6_T7_T9_mT8_P12ihipStream_tbDpT10_ENKUlT_T0_E_clISt17integral_constantIbLb0EES1A_EEDaS15_S16_EUlS15_E_NS1_11comp_targetILNS1_3genE0ELNS1_11target_archE4294967295ELNS1_3gpuE0ELNS1_3repE0EEENS1_30default_config_static_selectorELNS0_4arch9wavefront6targetE1EEEvT1_.uses_flat_scratch, 0
	.set _ZN7rocprim17ROCPRIM_400000_NS6detail17trampoline_kernelINS0_14default_configENS1_25partition_config_selectorILNS1_17partition_subalgoE8EsNS0_10empty_typeEbEEZZNS1_14partition_implILS5_8ELb0ES3_jN6thrust23THRUST_200600_302600_NS6detail15normal_iteratorINSA_10device_ptrIsEEEEPS6_PKS6_NS0_5tupleIJSF_S6_EEENSJ_IJSG_SG_EEENS0_18inequality_wrapperI22is_equal_div_10_uniqueIsEEEPmJS6_EEE10hipError_tPvRmT3_T4_T5_T6_T7_T9_mT8_P12ihipStream_tbDpT10_ENKUlT_T0_E_clISt17integral_constantIbLb0EES1A_EEDaS15_S16_EUlS15_E_NS1_11comp_targetILNS1_3genE0ELNS1_11target_archE4294967295ELNS1_3gpuE0ELNS1_3repE0EEENS1_30default_config_static_selectorELNS0_4arch9wavefront6targetE1EEEvT1_.has_dyn_sized_stack, 0
	.set _ZN7rocprim17ROCPRIM_400000_NS6detail17trampoline_kernelINS0_14default_configENS1_25partition_config_selectorILNS1_17partition_subalgoE8EsNS0_10empty_typeEbEEZZNS1_14partition_implILS5_8ELb0ES3_jN6thrust23THRUST_200600_302600_NS6detail15normal_iteratorINSA_10device_ptrIsEEEEPS6_PKS6_NS0_5tupleIJSF_S6_EEENSJ_IJSG_SG_EEENS0_18inequality_wrapperI22is_equal_div_10_uniqueIsEEEPmJS6_EEE10hipError_tPvRmT3_T4_T5_T6_T7_T9_mT8_P12ihipStream_tbDpT10_ENKUlT_T0_E_clISt17integral_constantIbLb0EES1A_EEDaS15_S16_EUlS15_E_NS1_11comp_targetILNS1_3genE0ELNS1_11target_archE4294967295ELNS1_3gpuE0ELNS1_3repE0EEENS1_30default_config_static_selectorELNS0_4arch9wavefront6targetE1EEEvT1_.has_recursion, 0
	.set _ZN7rocprim17ROCPRIM_400000_NS6detail17trampoline_kernelINS0_14default_configENS1_25partition_config_selectorILNS1_17partition_subalgoE8EsNS0_10empty_typeEbEEZZNS1_14partition_implILS5_8ELb0ES3_jN6thrust23THRUST_200600_302600_NS6detail15normal_iteratorINSA_10device_ptrIsEEEEPS6_PKS6_NS0_5tupleIJSF_S6_EEENSJ_IJSG_SG_EEENS0_18inequality_wrapperI22is_equal_div_10_uniqueIsEEEPmJS6_EEE10hipError_tPvRmT3_T4_T5_T6_T7_T9_mT8_P12ihipStream_tbDpT10_ENKUlT_T0_E_clISt17integral_constantIbLb0EES1A_EEDaS15_S16_EUlS15_E_NS1_11comp_targetILNS1_3genE0ELNS1_11target_archE4294967295ELNS1_3gpuE0ELNS1_3repE0EEENS1_30default_config_static_selectorELNS0_4arch9wavefront6targetE1EEEvT1_.has_indirect_call, 0
	.section	.AMDGPU.csdata,"",@progbits
; Kernel info:
; codeLenInByte = 0
; TotalNumSgprs: 4
; NumVgprs: 0
; ScratchSize: 0
; MemoryBound: 0
; FloatMode: 240
; IeeeMode: 1
; LDSByteSize: 0 bytes/workgroup (compile time only)
; SGPRBlocks: 0
; VGPRBlocks: 0
; NumSGPRsForWavesPerEU: 4
; NumVGPRsForWavesPerEU: 1
; Occupancy: 10
; WaveLimiterHint : 0
; COMPUTE_PGM_RSRC2:SCRATCH_EN: 0
; COMPUTE_PGM_RSRC2:USER_SGPR: 6
; COMPUTE_PGM_RSRC2:TRAP_HANDLER: 0
; COMPUTE_PGM_RSRC2:TGID_X_EN: 1
; COMPUTE_PGM_RSRC2:TGID_Y_EN: 0
; COMPUTE_PGM_RSRC2:TGID_Z_EN: 0
; COMPUTE_PGM_RSRC2:TIDIG_COMP_CNT: 0
	.section	.text._ZN7rocprim17ROCPRIM_400000_NS6detail17trampoline_kernelINS0_14default_configENS1_25partition_config_selectorILNS1_17partition_subalgoE8EsNS0_10empty_typeEbEEZZNS1_14partition_implILS5_8ELb0ES3_jN6thrust23THRUST_200600_302600_NS6detail15normal_iteratorINSA_10device_ptrIsEEEEPS6_PKS6_NS0_5tupleIJSF_S6_EEENSJ_IJSG_SG_EEENS0_18inequality_wrapperI22is_equal_div_10_uniqueIsEEEPmJS6_EEE10hipError_tPvRmT3_T4_T5_T6_T7_T9_mT8_P12ihipStream_tbDpT10_ENKUlT_T0_E_clISt17integral_constantIbLb0EES1A_EEDaS15_S16_EUlS15_E_NS1_11comp_targetILNS1_3genE5ELNS1_11target_archE942ELNS1_3gpuE9ELNS1_3repE0EEENS1_30default_config_static_selectorELNS0_4arch9wavefront6targetE1EEEvT1_,"axG",@progbits,_ZN7rocprim17ROCPRIM_400000_NS6detail17trampoline_kernelINS0_14default_configENS1_25partition_config_selectorILNS1_17partition_subalgoE8EsNS0_10empty_typeEbEEZZNS1_14partition_implILS5_8ELb0ES3_jN6thrust23THRUST_200600_302600_NS6detail15normal_iteratorINSA_10device_ptrIsEEEEPS6_PKS6_NS0_5tupleIJSF_S6_EEENSJ_IJSG_SG_EEENS0_18inequality_wrapperI22is_equal_div_10_uniqueIsEEEPmJS6_EEE10hipError_tPvRmT3_T4_T5_T6_T7_T9_mT8_P12ihipStream_tbDpT10_ENKUlT_T0_E_clISt17integral_constantIbLb0EES1A_EEDaS15_S16_EUlS15_E_NS1_11comp_targetILNS1_3genE5ELNS1_11target_archE942ELNS1_3gpuE9ELNS1_3repE0EEENS1_30default_config_static_selectorELNS0_4arch9wavefront6targetE1EEEvT1_,comdat
	.protected	_ZN7rocprim17ROCPRIM_400000_NS6detail17trampoline_kernelINS0_14default_configENS1_25partition_config_selectorILNS1_17partition_subalgoE8EsNS0_10empty_typeEbEEZZNS1_14partition_implILS5_8ELb0ES3_jN6thrust23THRUST_200600_302600_NS6detail15normal_iteratorINSA_10device_ptrIsEEEEPS6_PKS6_NS0_5tupleIJSF_S6_EEENSJ_IJSG_SG_EEENS0_18inequality_wrapperI22is_equal_div_10_uniqueIsEEEPmJS6_EEE10hipError_tPvRmT3_T4_T5_T6_T7_T9_mT8_P12ihipStream_tbDpT10_ENKUlT_T0_E_clISt17integral_constantIbLb0EES1A_EEDaS15_S16_EUlS15_E_NS1_11comp_targetILNS1_3genE5ELNS1_11target_archE942ELNS1_3gpuE9ELNS1_3repE0EEENS1_30default_config_static_selectorELNS0_4arch9wavefront6targetE1EEEvT1_ ; -- Begin function _ZN7rocprim17ROCPRIM_400000_NS6detail17trampoline_kernelINS0_14default_configENS1_25partition_config_selectorILNS1_17partition_subalgoE8EsNS0_10empty_typeEbEEZZNS1_14partition_implILS5_8ELb0ES3_jN6thrust23THRUST_200600_302600_NS6detail15normal_iteratorINSA_10device_ptrIsEEEEPS6_PKS6_NS0_5tupleIJSF_S6_EEENSJ_IJSG_SG_EEENS0_18inequality_wrapperI22is_equal_div_10_uniqueIsEEEPmJS6_EEE10hipError_tPvRmT3_T4_T5_T6_T7_T9_mT8_P12ihipStream_tbDpT10_ENKUlT_T0_E_clISt17integral_constantIbLb0EES1A_EEDaS15_S16_EUlS15_E_NS1_11comp_targetILNS1_3genE5ELNS1_11target_archE942ELNS1_3gpuE9ELNS1_3repE0EEENS1_30default_config_static_selectorELNS0_4arch9wavefront6targetE1EEEvT1_
	.globl	_ZN7rocprim17ROCPRIM_400000_NS6detail17trampoline_kernelINS0_14default_configENS1_25partition_config_selectorILNS1_17partition_subalgoE8EsNS0_10empty_typeEbEEZZNS1_14partition_implILS5_8ELb0ES3_jN6thrust23THRUST_200600_302600_NS6detail15normal_iteratorINSA_10device_ptrIsEEEEPS6_PKS6_NS0_5tupleIJSF_S6_EEENSJ_IJSG_SG_EEENS0_18inequality_wrapperI22is_equal_div_10_uniqueIsEEEPmJS6_EEE10hipError_tPvRmT3_T4_T5_T6_T7_T9_mT8_P12ihipStream_tbDpT10_ENKUlT_T0_E_clISt17integral_constantIbLb0EES1A_EEDaS15_S16_EUlS15_E_NS1_11comp_targetILNS1_3genE5ELNS1_11target_archE942ELNS1_3gpuE9ELNS1_3repE0EEENS1_30default_config_static_selectorELNS0_4arch9wavefront6targetE1EEEvT1_
	.p2align	8
	.type	_ZN7rocprim17ROCPRIM_400000_NS6detail17trampoline_kernelINS0_14default_configENS1_25partition_config_selectorILNS1_17partition_subalgoE8EsNS0_10empty_typeEbEEZZNS1_14partition_implILS5_8ELb0ES3_jN6thrust23THRUST_200600_302600_NS6detail15normal_iteratorINSA_10device_ptrIsEEEEPS6_PKS6_NS0_5tupleIJSF_S6_EEENSJ_IJSG_SG_EEENS0_18inequality_wrapperI22is_equal_div_10_uniqueIsEEEPmJS6_EEE10hipError_tPvRmT3_T4_T5_T6_T7_T9_mT8_P12ihipStream_tbDpT10_ENKUlT_T0_E_clISt17integral_constantIbLb0EES1A_EEDaS15_S16_EUlS15_E_NS1_11comp_targetILNS1_3genE5ELNS1_11target_archE942ELNS1_3gpuE9ELNS1_3repE0EEENS1_30default_config_static_selectorELNS0_4arch9wavefront6targetE1EEEvT1_,@function
_ZN7rocprim17ROCPRIM_400000_NS6detail17trampoline_kernelINS0_14default_configENS1_25partition_config_selectorILNS1_17partition_subalgoE8EsNS0_10empty_typeEbEEZZNS1_14partition_implILS5_8ELb0ES3_jN6thrust23THRUST_200600_302600_NS6detail15normal_iteratorINSA_10device_ptrIsEEEEPS6_PKS6_NS0_5tupleIJSF_S6_EEENSJ_IJSG_SG_EEENS0_18inequality_wrapperI22is_equal_div_10_uniqueIsEEEPmJS6_EEE10hipError_tPvRmT3_T4_T5_T6_T7_T9_mT8_P12ihipStream_tbDpT10_ENKUlT_T0_E_clISt17integral_constantIbLb0EES1A_EEDaS15_S16_EUlS15_E_NS1_11comp_targetILNS1_3genE5ELNS1_11target_archE942ELNS1_3gpuE9ELNS1_3repE0EEENS1_30default_config_static_selectorELNS0_4arch9wavefront6targetE1EEEvT1_: ; @_ZN7rocprim17ROCPRIM_400000_NS6detail17trampoline_kernelINS0_14default_configENS1_25partition_config_selectorILNS1_17partition_subalgoE8EsNS0_10empty_typeEbEEZZNS1_14partition_implILS5_8ELb0ES3_jN6thrust23THRUST_200600_302600_NS6detail15normal_iteratorINSA_10device_ptrIsEEEEPS6_PKS6_NS0_5tupleIJSF_S6_EEENSJ_IJSG_SG_EEENS0_18inequality_wrapperI22is_equal_div_10_uniqueIsEEEPmJS6_EEE10hipError_tPvRmT3_T4_T5_T6_T7_T9_mT8_P12ihipStream_tbDpT10_ENKUlT_T0_E_clISt17integral_constantIbLb0EES1A_EEDaS15_S16_EUlS15_E_NS1_11comp_targetILNS1_3genE5ELNS1_11target_archE942ELNS1_3gpuE9ELNS1_3repE0EEENS1_30default_config_static_selectorELNS0_4arch9wavefront6targetE1EEEvT1_
; %bb.0:
	.section	.rodata,"a",@progbits
	.p2align	6, 0x0
	.amdhsa_kernel _ZN7rocprim17ROCPRIM_400000_NS6detail17trampoline_kernelINS0_14default_configENS1_25partition_config_selectorILNS1_17partition_subalgoE8EsNS0_10empty_typeEbEEZZNS1_14partition_implILS5_8ELb0ES3_jN6thrust23THRUST_200600_302600_NS6detail15normal_iteratorINSA_10device_ptrIsEEEEPS6_PKS6_NS0_5tupleIJSF_S6_EEENSJ_IJSG_SG_EEENS0_18inequality_wrapperI22is_equal_div_10_uniqueIsEEEPmJS6_EEE10hipError_tPvRmT3_T4_T5_T6_T7_T9_mT8_P12ihipStream_tbDpT10_ENKUlT_T0_E_clISt17integral_constantIbLb0EES1A_EEDaS15_S16_EUlS15_E_NS1_11comp_targetILNS1_3genE5ELNS1_11target_archE942ELNS1_3gpuE9ELNS1_3repE0EEENS1_30default_config_static_selectorELNS0_4arch9wavefront6targetE1EEEvT1_
		.amdhsa_group_segment_fixed_size 0
		.amdhsa_private_segment_fixed_size 0
		.amdhsa_kernarg_size 112
		.amdhsa_user_sgpr_count 6
		.amdhsa_user_sgpr_private_segment_buffer 1
		.amdhsa_user_sgpr_dispatch_ptr 0
		.amdhsa_user_sgpr_queue_ptr 0
		.amdhsa_user_sgpr_kernarg_segment_ptr 1
		.amdhsa_user_sgpr_dispatch_id 0
		.amdhsa_user_sgpr_flat_scratch_init 0
		.amdhsa_user_sgpr_private_segment_size 0
		.amdhsa_uses_dynamic_stack 0
		.amdhsa_system_sgpr_private_segment_wavefront_offset 0
		.amdhsa_system_sgpr_workgroup_id_x 1
		.amdhsa_system_sgpr_workgroup_id_y 0
		.amdhsa_system_sgpr_workgroup_id_z 0
		.amdhsa_system_sgpr_workgroup_info 0
		.amdhsa_system_vgpr_workitem_id 0
		.amdhsa_next_free_vgpr 1
		.amdhsa_next_free_sgpr 0
		.amdhsa_reserve_vcc 0
		.amdhsa_reserve_flat_scratch 0
		.amdhsa_float_round_mode_32 0
		.amdhsa_float_round_mode_16_64 0
		.amdhsa_float_denorm_mode_32 3
		.amdhsa_float_denorm_mode_16_64 3
		.amdhsa_dx10_clamp 1
		.amdhsa_ieee_mode 1
		.amdhsa_fp16_overflow 0
		.amdhsa_exception_fp_ieee_invalid_op 0
		.amdhsa_exception_fp_denorm_src 0
		.amdhsa_exception_fp_ieee_div_zero 0
		.amdhsa_exception_fp_ieee_overflow 0
		.amdhsa_exception_fp_ieee_underflow 0
		.amdhsa_exception_fp_ieee_inexact 0
		.amdhsa_exception_int_div_zero 0
	.end_amdhsa_kernel
	.section	.text._ZN7rocprim17ROCPRIM_400000_NS6detail17trampoline_kernelINS0_14default_configENS1_25partition_config_selectorILNS1_17partition_subalgoE8EsNS0_10empty_typeEbEEZZNS1_14partition_implILS5_8ELb0ES3_jN6thrust23THRUST_200600_302600_NS6detail15normal_iteratorINSA_10device_ptrIsEEEEPS6_PKS6_NS0_5tupleIJSF_S6_EEENSJ_IJSG_SG_EEENS0_18inequality_wrapperI22is_equal_div_10_uniqueIsEEEPmJS6_EEE10hipError_tPvRmT3_T4_T5_T6_T7_T9_mT8_P12ihipStream_tbDpT10_ENKUlT_T0_E_clISt17integral_constantIbLb0EES1A_EEDaS15_S16_EUlS15_E_NS1_11comp_targetILNS1_3genE5ELNS1_11target_archE942ELNS1_3gpuE9ELNS1_3repE0EEENS1_30default_config_static_selectorELNS0_4arch9wavefront6targetE1EEEvT1_,"axG",@progbits,_ZN7rocprim17ROCPRIM_400000_NS6detail17trampoline_kernelINS0_14default_configENS1_25partition_config_selectorILNS1_17partition_subalgoE8EsNS0_10empty_typeEbEEZZNS1_14partition_implILS5_8ELb0ES3_jN6thrust23THRUST_200600_302600_NS6detail15normal_iteratorINSA_10device_ptrIsEEEEPS6_PKS6_NS0_5tupleIJSF_S6_EEENSJ_IJSG_SG_EEENS0_18inequality_wrapperI22is_equal_div_10_uniqueIsEEEPmJS6_EEE10hipError_tPvRmT3_T4_T5_T6_T7_T9_mT8_P12ihipStream_tbDpT10_ENKUlT_T0_E_clISt17integral_constantIbLb0EES1A_EEDaS15_S16_EUlS15_E_NS1_11comp_targetILNS1_3genE5ELNS1_11target_archE942ELNS1_3gpuE9ELNS1_3repE0EEENS1_30default_config_static_selectorELNS0_4arch9wavefront6targetE1EEEvT1_,comdat
.Lfunc_end502:
	.size	_ZN7rocprim17ROCPRIM_400000_NS6detail17trampoline_kernelINS0_14default_configENS1_25partition_config_selectorILNS1_17partition_subalgoE8EsNS0_10empty_typeEbEEZZNS1_14partition_implILS5_8ELb0ES3_jN6thrust23THRUST_200600_302600_NS6detail15normal_iteratorINSA_10device_ptrIsEEEEPS6_PKS6_NS0_5tupleIJSF_S6_EEENSJ_IJSG_SG_EEENS0_18inequality_wrapperI22is_equal_div_10_uniqueIsEEEPmJS6_EEE10hipError_tPvRmT3_T4_T5_T6_T7_T9_mT8_P12ihipStream_tbDpT10_ENKUlT_T0_E_clISt17integral_constantIbLb0EES1A_EEDaS15_S16_EUlS15_E_NS1_11comp_targetILNS1_3genE5ELNS1_11target_archE942ELNS1_3gpuE9ELNS1_3repE0EEENS1_30default_config_static_selectorELNS0_4arch9wavefront6targetE1EEEvT1_, .Lfunc_end502-_ZN7rocprim17ROCPRIM_400000_NS6detail17trampoline_kernelINS0_14default_configENS1_25partition_config_selectorILNS1_17partition_subalgoE8EsNS0_10empty_typeEbEEZZNS1_14partition_implILS5_8ELb0ES3_jN6thrust23THRUST_200600_302600_NS6detail15normal_iteratorINSA_10device_ptrIsEEEEPS6_PKS6_NS0_5tupleIJSF_S6_EEENSJ_IJSG_SG_EEENS0_18inequality_wrapperI22is_equal_div_10_uniqueIsEEEPmJS6_EEE10hipError_tPvRmT3_T4_T5_T6_T7_T9_mT8_P12ihipStream_tbDpT10_ENKUlT_T0_E_clISt17integral_constantIbLb0EES1A_EEDaS15_S16_EUlS15_E_NS1_11comp_targetILNS1_3genE5ELNS1_11target_archE942ELNS1_3gpuE9ELNS1_3repE0EEENS1_30default_config_static_selectorELNS0_4arch9wavefront6targetE1EEEvT1_
                                        ; -- End function
	.set _ZN7rocprim17ROCPRIM_400000_NS6detail17trampoline_kernelINS0_14default_configENS1_25partition_config_selectorILNS1_17partition_subalgoE8EsNS0_10empty_typeEbEEZZNS1_14partition_implILS5_8ELb0ES3_jN6thrust23THRUST_200600_302600_NS6detail15normal_iteratorINSA_10device_ptrIsEEEEPS6_PKS6_NS0_5tupleIJSF_S6_EEENSJ_IJSG_SG_EEENS0_18inequality_wrapperI22is_equal_div_10_uniqueIsEEEPmJS6_EEE10hipError_tPvRmT3_T4_T5_T6_T7_T9_mT8_P12ihipStream_tbDpT10_ENKUlT_T0_E_clISt17integral_constantIbLb0EES1A_EEDaS15_S16_EUlS15_E_NS1_11comp_targetILNS1_3genE5ELNS1_11target_archE942ELNS1_3gpuE9ELNS1_3repE0EEENS1_30default_config_static_selectorELNS0_4arch9wavefront6targetE1EEEvT1_.num_vgpr, 0
	.set _ZN7rocprim17ROCPRIM_400000_NS6detail17trampoline_kernelINS0_14default_configENS1_25partition_config_selectorILNS1_17partition_subalgoE8EsNS0_10empty_typeEbEEZZNS1_14partition_implILS5_8ELb0ES3_jN6thrust23THRUST_200600_302600_NS6detail15normal_iteratorINSA_10device_ptrIsEEEEPS6_PKS6_NS0_5tupleIJSF_S6_EEENSJ_IJSG_SG_EEENS0_18inequality_wrapperI22is_equal_div_10_uniqueIsEEEPmJS6_EEE10hipError_tPvRmT3_T4_T5_T6_T7_T9_mT8_P12ihipStream_tbDpT10_ENKUlT_T0_E_clISt17integral_constantIbLb0EES1A_EEDaS15_S16_EUlS15_E_NS1_11comp_targetILNS1_3genE5ELNS1_11target_archE942ELNS1_3gpuE9ELNS1_3repE0EEENS1_30default_config_static_selectorELNS0_4arch9wavefront6targetE1EEEvT1_.num_agpr, 0
	.set _ZN7rocprim17ROCPRIM_400000_NS6detail17trampoline_kernelINS0_14default_configENS1_25partition_config_selectorILNS1_17partition_subalgoE8EsNS0_10empty_typeEbEEZZNS1_14partition_implILS5_8ELb0ES3_jN6thrust23THRUST_200600_302600_NS6detail15normal_iteratorINSA_10device_ptrIsEEEEPS6_PKS6_NS0_5tupleIJSF_S6_EEENSJ_IJSG_SG_EEENS0_18inequality_wrapperI22is_equal_div_10_uniqueIsEEEPmJS6_EEE10hipError_tPvRmT3_T4_T5_T6_T7_T9_mT8_P12ihipStream_tbDpT10_ENKUlT_T0_E_clISt17integral_constantIbLb0EES1A_EEDaS15_S16_EUlS15_E_NS1_11comp_targetILNS1_3genE5ELNS1_11target_archE942ELNS1_3gpuE9ELNS1_3repE0EEENS1_30default_config_static_selectorELNS0_4arch9wavefront6targetE1EEEvT1_.numbered_sgpr, 0
	.set _ZN7rocprim17ROCPRIM_400000_NS6detail17trampoline_kernelINS0_14default_configENS1_25partition_config_selectorILNS1_17partition_subalgoE8EsNS0_10empty_typeEbEEZZNS1_14partition_implILS5_8ELb0ES3_jN6thrust23THRUST_200600_302600_NS6detail15normal_iteratorINSA_10device_ptrIsEEEEPS6_PKS6_NS0_5tupleIJSF_S6_EEENSJ_IJSG_SG_EEENS0_18inequality_wrapperI22is_equal_div_10_uniqueIsEEEPmJS6_EEE10hipError_tPvRmT3_T4_T5_T6_T7_T9_mT8_P12ihipStream_tbDpT10_ENKUlT_T0_E_clISt17integral_constantIbLb0EES1A_EEDaS15_S16_EUlS15_E_NS1_11comp_targetILNS1_3genE5ELNS1_11target_archE942ELNS1_3gpuE9ELNS1_3repE0EEENS1_30default_config_static_selectorELNS0_4arch9wavefront6targetE1EEEvT1_.num_named_barrier, 0
	.set _ZN7rocprim17ROCPRIM_400000_NS6detail17trampoline_kernelINS0_14default_configENS1_25partition_config_selectorILNS1_17partition_subalgoE8EsNS0_10empty_typeEbEEZZNS1_14partition_implILS5_8ELb0ES3_jN6thrust23THRUST_200600_302600_NS6detail15normal_iteratorINSA_10device_ptrIsEEEEPS6_PKS6_NS0_5tupleIJSF_S6_EEENSJ_IJSG_SG_EEENS0_18inequality_wrapperI22is_equal_div_10_uniqueIsEEEPmJS6_EEE10hipError_tPvRmT3_T4_T5_T6_T7_T9_mT8_P12ihipStream_tbDpT10_ENKUlT_T0_E_clISt17integral_constantIbLb0EES1A_EEDaS15_S16_EUlS15_E_NS1_11comp_targetILNS1_3genE5ELNS1_11target_archE942ELNS1_3gpuE9ELNS1_3repE0EEENS1_30default_config_static_selectorELNS0_4arch9wavefront6targetE1EEEvT1_.private_seg_size, 0
	.set _ZN7rocprim17ROCPRIM_400000_NS6detail17trampoline_kernelINS0_14default_configENS1_25partition_config_selectorILNS1_17partition_subalgoE8EsNS0_10empty_typeEbEEZZNS1_14partition_implILS5_8ELb0ES3_jN6thrust23THRUST_200600_302600_NS6detail15normal_iteratorINSA_10device_ptrIsEEEEPS6_PKS6_NS0_5tupleIJSF_S6_EEENSJ_IJSG_SG_EEENS0_18inequality_wrapperI22is_equal_div_10_uniqueIsEEEPmJS6_EEE10hipError_tPvRmT3_T4_T5_T6_T7_T9_mT8_P12ihipStream_tbDpT10_ENKUlT_T0_E_clISt17integral_constantIbLb0EES1A_EEDaS15_S16_EUlS15_E_NS1_11comp_targetILNS1_3genE5ELNS1_11target_archE942ELNS1_3gpuE9ELNS1_3repE0EEENS1_30default_config_static_selectorELNS0_4arch9wavefront6targetE1EEEvT1_.uses_vcc, 0
	.set _ZN7rocprim17ROCPRIM_400000_NS6detail17trampoline_kernelINS0_14default_configENS1_25partition_config_selectorILNS1_17partition_subalgoE8EsNS0_10empty_typeEbEEZZNS1_14partition_implILS5_8ELb0ES3_jN6thrust23THRUST_200600_302600_NS6detail15normal_iteratorINSA_10device_ptrIsEEEEPS6_PKS6_NS0_5tupleIJSF_S6_EEENSJ_IJSG_SG_EEENS0_18inequality_wrapperI22is_equal_div_10_uniqueIsEEEPmJS6_EEE10hipError_tPvRmT3_T4_T5_T6_T7_T9_mT8_P12ihipStream_tbDpT10_ENKUlT_T0_E_clISt17integral_constantIbLb0EES1A_EEDaS15_S16_EUlS15_E_NS1_11comp_targetILNS1_3genE5ELNS1_11target_archE942ELNS1_3gpuE9ELNS1_3repE0EEENS1_30default_config_static_selectorELNS0_4arch9wavefront6targetE1EEEvT1_.uses_flat_scratch, 0
	.set _ZN7rocprim17ROCPRIM_400000_NS6detail17trampoline_kernelINS0_14default_configENS1_25partition_config_selectorILNS1_17partition_subalgoE8EsNS0_10empty_typeEbEEZZNS1_14partition_implILS5_8ELb0ES3_jN6thrust23THRUST_200600_302600_NS6detail15normal_iteratorINSA_10device_ptrIsEEEEPS6_PKS6_NS0_5tupleIJSF_S6_EEENSJ_IJSG_SG_EEENS0_18inequality_wrapperI22is_equal_div_10_uniqueIsEEEPmJS6_EEE10hipError_tPvRmT3_T4_T5_T6_T7_T9_mT8_P12ihipStream_tbDpT10_ENKUlT_T0_E_clISt17integral_constantIbLb0EES1A_EEDaS15_S16_EUlS15_E_NS1_11comp_targetILNS1_3genE5ELNS1_11target_archE942ELNS1_3gpuE9ELNS1_3repE0EEENS1_30default_config_static_selectorELNS0_4arch9wavefront6targetE1EEEvT1_.has_dyn_sized_stack, 0
	.set _ZN7rocprim17ROCPRIM_400000_NS6detail17trampoline_kernelINS0_14default_configENS1_25partition_config_selectorILNS1_17partition_subalgoE8EsNS0_10empty_typeEbEEZZNS1_14partition_implILS5_8ELb0ES3_jN6thrust23THRUST_200600_302600_NS6detail15normal_iteratorINSA_10device_ptrIsEEEEPS6_PKS6_NS0_5tupleIJSF_S6_EEENSJ_IJSG_SG_EEENS0_18inequality_wrapperI22is_equal_div_10_uniqueIsEEEPmJS6_EEE10hipError_tPvRmT3_T4_T5_T6_T7_T9_mT8_P12ihipStream_tbDpT10_ENKUlT_T0_E_clISt17integral_constantIbLb0EES1A_EEDaS15_S16_EUlS15_E_NS1_11comp_targetILNS1_3genE5ELNS1_11target_archE942ELNS1_3gpuE9ELNS1_3repE0EEENS1_30default_config_static_selectorELNS0_4arch9wavefront6targetE1EEEvT1_.has_recursion, 0
	.set _ZN7rocprim17ROCPRIM_400000_NS6detail17trampoline_kernelINS0_14default_configENS1_25partition_config_selectorILNS1_17partition_subalgoE8EsNS0_10empty_typeEbEEZZNS1_14partition_implILS5_8ELb0ES3_jN6thrust23THRUST_200600_302600_NS6detail15normal_iteratorINSA_10device_ptrIsEEEEPS6_PKS6_NS0_5tupleIJSF_S6_EEENSJ_IJSG_SG_EEENS0_18inequality_wrapperI22is_equal_div_10_uniqueIsEEEPmJS6_EEE10hipError_tPvRmT3_T4_T5_T6_T7_T9_mT8_P12ihipStream_tbDpT10_ENKUlT_T0_E_clISt17integral_constantIbLb0EES1A_EEDaS15_S16_EUlS15_E_NS1_11comp_targetILNS1_3genE5ELNS1_11target_archE942ELNS1_3gpuE9ELNS1_3repE0EEENS1_30default_config_static_selectorELNS0_4arch9wavefront6targetE1EEEvT1_.has_indirect_call, 0
	.section	.AMDGPU.csdata,"",@progbits
; Kernel info:
; codeLenInByte = 0
; TotalNumSgprs: 4
; NumVgprs: 0
; ScratchSize: 0
; MemoryBound: 0
; FloatMode: 240
; IeeeMode: 1
; LDSByteSize: 0 bytes/workgroup (compile time only)
; SGPRBlocks: 0
; VGPRBlocks: 0
; NumSGPRsForWavesPerEU: 4
; NumVGPRsForWavesPerEU: 1
; Occupancy: 10
; WaveLimiterHint : 0
; COMPUTE_PGM_RSRC2:SCRATCH_EN: 0
; COMPUTE_PGM_RSRC2:USER_SGPR: 6
; COMPUTE_PGM_RSRC2:TRAP_HANDLER: 0
; COMPUTE_PGM_RSRC2:TGID_X_EN: 1
; COMPUTE_PGM_RSRC2:TGID_Y_EN: 0
; COMPUTE_PGM_RSRC2:TGID_Z_EN: 0
; COMPUTE_PGM_RSRC2:TIDIG_COMP_CNT: 0
	.section	.text._ZN7rocprim17ROCPRIM_400000_NS6detail17trampoline_kernelINS0_14default_configENS1_25partition_config_selectorILNS1_17partition_subalgoE8EsNS0_10empty_typeEbEEZZNS1_14partition_implILS5_8ELb0ES3_jN6thrust23THRUST_200600_302600_NS6detail15normal_iteratorINSA_10device_ptrIsEEEEPS6_PKS6_NS0_5tupleIJSF_S6_EEENSJ_IJSG_SG_EEENS0_18inequality_wrapperI22is_equal_div_10_uniqueIsEEEPmJS6_EEE10hipError_tPvRmT3_T4_T5_T6_T7_T9_mT8_P12ihipStream_tbDpT10_ENKUlT_T0_E_clISt17integral_constantIbLb0EES1A_EEDaS15_S16_EUlS15_E_NS1_11comp_targetILNS1_3genE4ELNS1_11target_archE910ELNS1_3gpuE8ELNS1_3repE0EEENS1_30default_config_static_selectorELNS0_4arch9wavefront6targetE1EEEvT1_,"axG",@progbits,_ZN7rocprim17ROCPRIM_400000_NS6detail17trampoline_kernelINS0_14default_configENS1_25partition_config_selectorILNS1_17partition_subalgoE8EsNS0_10empty_typeEbEEZZNS1_14partition_implILS5_8ELb0ES3_jN6thrust23THRUST_200600_302600_NS6detail15normal_iteratorINSA_10device_ptrIsEEEEPS6_PKS6_NS0_5tupleIJSF_S6_EEENSJ_IJSG_SG_EEENS0_18inequality_wrapperI22is_equal_div_10_uniqueIsEEEPmJS6_EEE10hipError_tPvRmT3_T4_T5_T6_T7_T9_mT8_P12ihipStream_tbDpT10_ENKUlT_T0_E_clISt17integral_constantIbLb0EES1A_EEDaS15_S16_EUlS15_E_NS1_11comp_targetILNS1_3genE4ELNS1_11target_archE910ELNS1_3gpuE8ELNS1_3repE0EEENS1_30default_config_static_selectorELNS0_4arch9wavefront6targetE1EEEvT1_,comdat
	.protected	_ZN7rocprim17ROCPRIM_400000_NS6detail17trampoline_kernelINS0_14default_configENS1_25partition_config_selectorILNS1_17partition_subalgoE8EsNS0_10empty_typeEbEEZZNS1_14partition_implILS5_8ELb0ES3_jN6thrust23THRUST_200600_302600_NS6detail15normal_iteratorINSA_10device_ptrIsEEEEPS6_PKS6_NS0_5tupleIJSF_S6_EEENSJ_IJSG_SG_EEENS0_18inequality_wrapperI22is_equal_div_10_uniqueIsEEEPmJS6_EEE10hipError_tPvRmT3_T4_T5_T6_T7_T9_mT8_P12ihipStream_tbDpT10_ENKUlT_T0_E_clISt17integral_constantIbLb0EES1A_EEDaS15_S16_EUlS15_E_NS1_11comp_targetILNS1_3genE4ELNS1_11target_archE910ELNS1_3gpuE8ELNS1_3repE0EEENS1_30default_config_static_selectorELNS0_4arch9wavefront6targetE1EEEvT1_ ; -- Begin function _ZN7rocprim17ROCPRIM_400000_NS6detail17trampoline_kernelINS0_14default_configENS1_25partition_config_selectorILNS1_17partition_subalgoE8EsNS0_10empty_typeEbEEZZNS1_14partition_implILS5_8ELb0ES3_jN6thrust23THRUST_200600_302600_NS6detail15normal_iteratorINSA_10device_ptrIsEEEEPS6_PKS6_NS0_5tupleIJSF_S6_EEENSJ_IJSG_SG_EEENS0_18inequality_wrapperI22is_equal_div_10_uniqueIsEEEPmJS6_EEE10hipError_tPvRmT3_T4_T5_T6_T7_T9_mT8_P12ihipStream_tbDpT10_ENKUlT_T0_E_clISt17integral_constantIbLb0EES1A_EEDaS15_S16_EUlS15_E_NS1_11comp_targetILNS1_3genE4ELNS1_11target_archE910ELNS1_3gpuE8ELNS1_3repE0EEENS1_30default_config_static_selectorELNS0_4arch9wavefront6targetE1EEEvT1_
	.globl	_ZN7rocprim17ROCPRIM_400000_NS6detail17trampoline_kernelINS0_14default_configENS1_25partition_config_selectorILNS1_17partition_subalgoE8EsNS0_10empty_typeEbEEZZNS1_14partition_implILS5_8ELb0ES3_jN6thrust23THRUST_200600_302600_NS6detail15normal_iteratorINSA_10device_ptrIsEEEEPS6_PKS6_NS0_5tupleIJSF_S6_EEENSJ_IJSG_SG_EEENS0_18inequality_wrapperI22is_equal_div_10_uniqueIsEEEPmJS6_EEE10hipError_tPvRmT3_T4_T5_T6_T7_T9_mT8_P12ihipStream_tbDpT10_ENKUlT_T0_E_clISt17integral_constantIbLb0EES1A_EEDaS15_S16_EUlS15_E_NS1_11comp_targetILNS1_3genE4ELNS1_11target_archE910ELNS1_3gpuE8ELNS1_3repE0EEENS1_30default_config_static_selectorELNS0_4arch9wavefront6targetE1EEEvT1_
	.p2align	8
	.type	_ZN7rocprim17ROCPRIM_400000_NS6detail17trampoline_kernelINS0_14default_configENS1_25partition_config_selectorILNS1_17partition_subalgoE8EsNS0_10empty_typeEbEEZZNS1_14partition_implILS5_8ELb0ES3_jN6thrust23THRUST_200600_302600_NS6detail15normal_iteratorINSA_10device_ptrIsEEEEPS6_PKS6_NS0_5tupleIJSF_S6_EEENSJ_IJSG_SG_EEENS0_18inequality_wrapperI22is_equal_div_10_uniqueIsEEEPmJS6_EEE10hipError_tPvRmT3_T4_T5_T6_T7_T9_mT8_P12ihipStream_tbDpT10_ENKUlT_T0_E_clISt17integral_constantIbLb0EES1A_EEDaS15_S16_EUlS15_E_NS1_11comp_targetILNS1_3genE4ELNS1_11target_archE910ELNS1_3gpuE8ELNS1_3repE0EEENS1_30default_config_static_selectorELNS0_4arch9wavefront6targetE1EEEvT1_,@function
_ZN7rocprim17ROCPRIM_400000_NS6detail17trampoline_kernelINS0_14default_configENS1_25partition_config_selectorILNS1_17partition_subalgoE8EsNS0_10empty_typeEbEEZZNS1_14partition_implILS5_8ELb0ES3_jN6thrust23THRUST_200600_302600_NS6detail15normal_iteratorINSA_10device_ptrIsEEEEPS6_PKS6_NS0_5tupleIJSF_S6_EEENSJ_IJSG_SG_EEENS0_18inequality_wrapperI22is_equal_div_10_uniqueIsEEEPmJS6_EEE10hipError_tPvRmT3_T4_T5_T6_T7_T9_mT8_P12ihipStream_tbDpT10_ENKUlT_T0_E_clISt17integral_constantIbLb0EES1A_EEDaS15_S16_EUlS15_E_NS1_11comp_targetILNS1_3genE4ELNS1_11target_archE910ELNS1_3gpuE8ELNS1_3repE0EEENS1_30default_config_static_selectorELNS0_4arch9wavefront6targetE1EEEvT1_: ; @_ZN7rocprim17ROCPRIM_400000_NS6detail17trampoline_kernelINS0_14default_configENS1_25partition_config_selectorILNS1_17partition_subalgoE8EsNS0_10empty_typeEbEEZZNS1_14partition_implILS5_8ELb0ES3_jN6thrust23THRUST_200600_302600_NS6detail15normal_iteratorINSA_10device_ptrIsEEEEPS6_PKS6_NS0_5tupleIJSF_S6_EEENSJ_IJSG_SG_EEENS0_18inequality_wrapperI22is_equal_div_10_uniqueIsEEEPmJS6_EEE10hipError_tPvRmT3_T4_T5_T6_T7_T9_mT8_P12ihipStream_tbDpT10_ENKUlT_T0_E_clISt17integral_constantIbLb0EES1A_EEDaS15_S16_EUlS15_E_NS1_11comp_targetILNS1_3genE4ELNS1_11target_archE910ELNS1_3gpuE8ELNS1_3repE0EEENS1_30default_config_static_selectorELNS0_4arch9wavefront6targetE1EEEvT1_
; %bb.0:
	.section	.rodata,"a",@progbits
	.p2align	6, 0x0
	.amdhsa_kernel _ZN7rocprim17ROCPRIM_400000_NS6detail17trampoline_kernelINS0_14default_configENS1_25partition_config_selectorILNS1_17partition_subalgoE8EsNS0_10empty_typeEbEEZZNS1_14partition_implILS5_8ELb0ES3_jN6thrust23THRUST_200600_302600_NS6detail15normal_iteratorINSA_10device_ptrIsEEEEPS6_PKS6_NS0_5tupleIJSF_S6_EEENSJ_IJSG_SG_EEENS0_18inequality_wrapperI22is_equal_div_10_uniqueIsEEEPmJS6_EEE10hipError_tPvRmT3_T4_T5_T6_T7_T9_mT8_P12ihipStream_tbDpT10_ENKUlT_T0_E_clISt17integral_constantIbLb0EES1A_EEDaS15_S16_EUlS15_E_NS1_11comp_targetILNS1_3genE4ELNS1_11target_archE910ELNS1_3gpuE8ELNS1_3repE0EEENS1_30default_config_static_selectorELNS0_4arch9wavefront6targetE1EEEvT1_
		.amdhsa_group_segment_fixed_size 0
		.amdhsa_private_segment_fixed_size 0
		.amdhsa_kernarg_size 112
		.amdhsa_user_sgpr_count 6
		.amdhsa_user_sgpr_private_segment_buffer 1
		.amdhsa_user_sgpr_dispatch_ptr 0
		.amdhsa_user_sgpr_queue_ptr 0
		.amdhsa_user_sgpr_kernarg_segment_ptr 1
		.amdhsa_user_sgpr_dispatch_id 0
		.amdhsa_user_sgpr_flat_scratch_init 0
		.amdhsa_user_sgpr_private_segment_size 0
		.amdhsa_uses_dynamic_stack 0
		.amdhsa_system_sgpr_private_segment_wavefront_offset 0
		.amdhsa_system_sgpr_workgroup_id_x 1
		.amdhsa_system_sgpr_workgroup_id_y 0
		.amdhsa_system_sgpr_workgroup_id_z 0
		.amdhsa_system_sgpr_workgroup_info 0
		.amdhsa_system_vgpr_workitem_id 0
		.amdhsa_next_free_vgpr 1
		.amdhsa_next_free_sgpr 0
		.amdhsa_reserve_vcc 0
		.amdhsa_reserve_flat_scratch 0
		.amdhsa_float_round_mode_32 0
		.amdhsa_float_round_mode_16_64 0
		.amdhsa_float_denorm_mode_32 3
		.amdhsa_float_denorm_mode_16_64 3
		.amdhsa_dx10_clamp 1
		.amdhsa_ieee_mode 1
		.amdhsa_fp16_overflow 0
		.amdhsa_exception_fp_ieee_invalid_op 0
		.amdhsa_exception_fp_denorm_src 0
		.amdhsa_exception_fp_ieee_div_zero 0
		.amdhsa_exception_fp_ieee_overflow 0
		.amdhsa_exception_fp_ieee_underflow 0
		.amdhsa_exception_fp_ieee_inexact 0
		.amdhsa_exception_int_div_zero 0
	.end_amdhsa_kernel
	.section	.text._ZN7rocprim17ROCPRIM_400000_NS6detail17trampoline_kernelINS0_14default_configENS1_25partition_config_selectorILNS1_17partition_subalgoE8EsNS0_10empty_typeEbEEZZNS1_14partition_implILS5_8ELb0ES3_jN6thrust23THRUST_200600_302600_NS6detail15normal_iteratorINSA_10device_ptrIsEEEEPS6_PKS6_NS0_5tupleIJSF_S6_EEENSJ_IJSG_SG_EEENS0_18inequality_wrapperI22is_equal_div_10_uniqueIsEEEPmJS6_EEE10hipError_tPvRmT3_T4_T5_T6_T7_T9_mT8_P12ihipStream_tbDpT10_ENKUlT_T0_E_clISt17integral_constantIbLb0EES1A_EEDaS15_S16_EUlS15_E_NS1_11comp_targetILNS1_3genE4ELNS1_11target_archE910ELNS1_3gpuE8ELNS1_3repE0EEENS1_30default_config_static_selectorELNS0_4arch9wavefront6targetE1EEEvT1_,"axG",@progbits,_ZN7rocprim17ROCPRIM_400000_NS6detail17trampoline_kernelINS0_14default_configENS1_25partition_config_selectorILNS1_17partition_subalgoE8EsNS0_10empty_typeEbEEZZNS1_14partition_implILS5_8ELb0ES3_jN6thrust23THRUST_200600_302600_NS6detail15normal_iteratorINSA_10device_ptrIsEEEEPS6_PKS6_NS0_5tupleIJSF_S6_EEENSJ_IJSG_SG_EEENS0_18inequality_wrapperI22is_equal_div_10_uniqueIsEEEPmJS6_EEE10hipError_tPvRmT3_T4_T5_T6_T7_T9_mT8_P12ihipStream_tbDpT10_ENKUlT_T0_E_clISt17integral_constantIbLb0EES1A_EEDaS15_S16_EUlS15_E_NS1_11comp_targetILNS1_3genE4ELNS1_11target_archE910ELNS1_3gpuE8ELNS1_3repE0EEENS1_30default_config_static_selectorELNS0_4arch9wavefront6targetE1EEEvT1_,comdat
.Lfunc_end503:
	.size	_ZN7rocprim17ROCPRIM_400000_NS6detail17trampoline_kernelINS0_14default_configENS1_25partition_config_selectorILNS1_17partition_subalgoE8EsNS0_10empty_typeEbEEZZNS1_14partition_implILS5_8ELb0ES3_jN6thrust23THRUST_200600_302600_NS6detail15normal_iteratorINSA_10device_ptrIsEEEEPS6_PKS6_NS0_5tupleIJSF_S6_EEENSJ_IJSG_SG_EEENS0_18inequality_wrapperI22is_equal_div_10_uniqueIsEEEPmJS6_EEE10hipError_tPvRmT3_T4_T5_T6_T7_T9_mT8_P12ihipStream_tbDpT10_ENKUlT_T0_E_clISt17integral_constantIbLb0EES1A_EEDaS15_S16_EUlS15_E_NS1_11comp_targetILNS1_3genE4ELNS1_11target_archE910ELNS1_3gpuE8ELNS1_3repE0EEENS1_30default_config_static_selectorELNS0_4arch9wavefront6targetE1EEEvT1_, .Lfunc_end503-_ZN7rocprim17ROCPRIM_400000_NS6detail17trampoline_kernelINS0_14default_configENS1_25partition_config_selectorILNS1_17partition_subalgoE8EsNS0_10empty_typeEbEEZZNS1_14partition_implILS5_8ELb0ES3_jN6thrust23THRUST_200600_302600_NS6detail15normal_iteratorINSA_10device_ptrIsEEEEPS6_PKS6_NS0_5tupleIJSF_S6_EEENSJ_IJSG_SG_EEENS0_18inequality_wrapperI22is_equal_div_10_uniqueIsEEEPmJS6_EEE10hipError_tPvRmT3_T4_T5_T6_T7_T9_mT8_P12ihipStream_tbDpT10_ENKUlT_T0_E_clISt17integral_constantIbLb0EES1A_EEDaS15_S16_EUlS15_E_NS1_11comp_targetILNS1_3genE4ELNS1_11target_archE910ELNS1_3gpuE8ELNS1_3repE0EEENS1_30default_config_static_selectorELNS0_4arch9wavefront6targetE1EEEvT1_
                                        ; -- End function
	.set _ZN7rocprim17ROCPRIM_400000_NS6detail17trampoline_kernelINS0_14default_configENS1_25partition_config_selectorILNS1_17partition_subalgoE8EsNS0_10empty_typeEbEEZZNS1_14partition_implILS5_8ELb0ES3_jN6thrust23THRUST_200600_302600_NS6detail15normal_iteratorINSA_10device_ptrIsEEEEPS6_PKS6_NS0_5tupleIJSF_S6_EEENSJ_IJSG_SG_EEENS0_18inequality_wrapperI22is_equal_div_10_uniqueIsEEEPmJS6_EEE10hipError_tPvRmT3_T4_T5_T6_T7_T9_mT8_P12ihipStream_tbDpT10_ENKUlT_T0_E_clISt17integral_constantIbLb0EES1A_EEDaS15_S16_EUlS15_E_NS1_11comp_targetILNS1_3genE4ELNS1_11target_archE910ELNS1_3gpuE8ELNS1_3repE0EEENS1_30default_config_static_selectorELNS0_4arch9wavefront6targetE1EEEvT1_.num_vgpr, 0
	.set _ZN7rocprim17ROCPRIM_400000_NS6detail17trampoline_kernelINS0_14default_configENS1_25partition_config_selectorILNS1_17partition_subalgoE8EsNS0_10empty_typeEbEEZZNS1_14partition_implILS5_8ELb0ES3_jN6thrust23THRUST_200600_302600_NS6detail15normal_iteratorINSA_10device_ptrIsEEEEPS6_PKS6_NS0_5tupleIJSF_S6_EEENSJ_IJSG_SG_EEENS0_18inequality_wrapperI22is_equal_div_10_uniqueIsEEEPmJS6_EEE10hipError_tPvRmT3_T4_T5_T6_T7_T9_mT8_P12ihipStream_tbDpT10_ENKUlT_T0_E_clISt17integral_constantIbLb0EES1A_EEDaS15_S16_EUlS15_E_NS1_11comp_targetILNS1_3genE4ELNS1_11target_archE910ELNS1_3gpuE8ELNS1_3repE0EEENS1_30default_config_static_selectorELNS0_4arch9wavefront6targetE1EEEvT1_.num_agpr, 0
	.set _ZN7rocprim17ROCPRIM_400000_NS6detail17trampoline_kernelINS0_14default_configENS1_25partition_config_selectorILNS1_17partition_subalgoE8EsNS0_10empty_typeEbEEZZNS1_14partition_implILS5_8ELb0ES3_jN6thrust23THRUST_200600_302600_NS6detail15normal_iteratorINSA_10device_ptrIsEEEEPS6_PKS6_NS0_5tupleIJSF_S6_EEENSJ_IJSG_SG_EEENS0_18inequality_wrapperI22is_equal_div_10_uniqueIsEEEPmJS6_EEE10hipError_tPvRmT3_T4_T5_T6_T7_T9_mT8_P12ihipStream_tbDpT10_ENKUlT_T0_E_clISt17integral_constantIbLb0EES1A_EEDaS15_S16_EUlS15_E_NS1_11comp_targetILNS1_3genE4ELNS1_11target_archE910ELNS1_3gpuE8ELNS1_3repE0EEENS1_30default_config_static_selectorELNS0_4arch9wavefront6targetE1EEEvT1_.numbered_sgpr, 0
	.set _ZN7rocprim17ROCPRIM_400000_NS6detail17trampoline_kernelINS0_14default_configENS1_25partition_config_selectorILNS1_17partition_subalgoE8EsNS0_10empty_typeEbEEZZNS1_14partition_implILS5_8ELb0ES3_jN6thrust23THRUST_200600_302600_NS6detail15normal_iteratorINSA_10device_ptrIsEEEEPS6_PKS6_NS0_5tupleIJSF_S6_EEENSJ_IJSG_SG_EEENS0_18inequality_wrapperI22is_equal_div_10_uniqueIsEEEPmJS6_EEE10hipError_tPvRmT3_T4_T5_T6_T7_T9_mT8_P12ihipStream_tbDpT10_ENKUlT_T0_E_clISt17integral_constantIbLb0EES1A_EEDaS15_S16_EUlS15_E_NS1_11comp_targetILNS1_3genE4ELNS1_11target_archE910ELNS1_3gpuE8ELNS1_3repE0EEENS1_30default_config_static_selectorELNS0_4arch9wavefront6targetE1EEEvT1_.num_named_barrier, 0
	.set _ZN7rocprim17ROCPRIM_400000_NS6detail17trampoline_kernelINS0_14default_configENS1_25partition_config_selectorILNS1_17partition_subalgoE8EsNS0_10empty_typeEbEEZZNS1_14partition_implILS5_8ELb0ES3_jN6thrust23THRUST_200600_302600_NS6detail15normal_iteratorINSA_10device_ptrIsEEEEPS6_PKS6_NS0_5tupleIJSF_S6_EEENSJ_IJSG_SG_EEENS0_18inequality_wrapperI22is_equal_div_10_uniqueIsEEEPmJS6_EEE10hipError_tPvRmT3_T4_T5_T6_T7_T9_mT8_P12ihipStream_tbDpT10_ENKUlT_T0_E_clISt17integral_constantIbLb0EES1A_EEDaS15_S16_EUlS15_E_NS1_11comp_targetILNS1_3genE4ELNS1_11target_archE910ELNS1_3gpuE8ELNS1_3repE0EEENS1_30default_config_static_selectorELNS0_4arch9wavefront6targetE1EEEvT1_.private_seg_size, 0
	.set _ZN7rocprim17ROCPRIM_400000_NS6detail17trampoline_kernelINS0_14default_configENS1_25partition_config_selectorILNS1_17partition_subalgoE8EsNS0_10empty_typeEbEEZZNS1_14partition_implILS5_8ELb0ES3_jN6thrust23THRUST_200600_302600_NS6detail15normal_iteratorINSA_10device_ptrIsEEEEPS6_PKS6_NS0_5tupleIJSF_S6_EEENSJ_IJSG_SG_EEENS0_18inequality_wrapperI22is_equal_div_10_uniqueIsEEEPmJS6_EEE10hipError_tPvRmT3_T4_T5_T6_T7_T9_mT8_P12ihipStream_tbDpT10_ENKUlT_T0_E_clISt17integral_constantIbLb0EES1A_EEDaS15_S16_EUlS15_E_NS1_11comp_targetILNS1_3genE4ELNS1_11target_archE910ELNS1_3gpuE8ELNS1_3repE0EEENS1_30default_config_static_selectorELNS0_4arch9wavefront6targetE1EEEvT1_.uses_vcc, 0
	.set _ZN7rocprim17ROCPRIM_400000_NS6detail17trampoline_kernelINS0_14default_configENS1_25partition_config_selectorILNS1_17partition_subalgoE8EsNS0_10empty_typeEbEEZZNS1_14partition_implILS5_8ELb0ES3_jN6thrust23THRUST_200600_302600_NS6detail15normal_iteratorINSA_10device_ptrIsEEEEPS6_PKS6_NS0_5tupleIJSF_S6_EEENSJ_IJSG_SG_EEENS0_18inequality_wrapperI22is_equal_div_10_uniqueIsEEEPmJS6_EEE10hipError_tPvRmT3_T4_T5_T6_T7_T9_mT8_P12ihipStream_tbDpT10_ENKUlT_T0_E_clISt17integral_constantIbLb0EES1A_EEDaS15_S16_EUlS15_E_NS1_11comp_targetILNS1_3genE4ELNS1_11target_archE910ELNS1_3gpuE8ELNS1_3repE0EEENS1_30default_config_static_selectorELNS0_4arch9wavefront6targetE1EEEvT1_.uses_flat_scratch, 0
	.set _ZN7rocprim17ROCPRIM_400000_NS6detail17trampoline_kernelINS0_14default_configENS1_25partition_config_selectorILNS1_17partition_subalgoE8EsNS0_10empty_typeEbEEZZNS1_14partition_implILS5_8ELb0ES3_jN6thrust23THRUST_200600_302600_NS6detail15normal_iteratorINSA_10device_ptrIsEEEEPS6_PKS6_NS0_5tupleIJSF_S6_EEENSJ_IJSG_SG_EEENS0_18inequality_wrapperI22is_equal_div_10_uniqueIsEEEPmJS6_EEE10hipError_tPvRmT3_T4_T5_T6_T7_T9_mT8_P12ihipStream_tbDpT10_ENKUlT_T0_E_clISt17integral_constantIbLb0EES1A_EEDaS15_S16_EUlS15_E_NS1_11comp_targetILNS1_3genE4ELNS1_11target_archE910ELNS1_3gpuE8ELNS1_3repE0EEENS1_30default_config_static_selectorELNS0_4arch9wavefront6targetE1EEEvT1_.has_dyn_sized_stack, 0
	.set _ZN7rocprim17ROCPRIM_400000_NS6detail17trampoline_kernelINS0_14default_configENS1_25partition_config_selectorILNS1_17partition_subalgoE8EsNS0_10empty_typeEbEEZZNS1_14partition_implILS5_8ELb0ES3_jN6thrust23THRUST_200600_302600_NS6detail15normal_iteratorINSA_10device_ptrIsEEEEPS6_PKS6_NS0_5tupleIJSF_S6_EEENSJ_IJSG_SG_EEENS0_18inequality_wrapperI22is_equal_div_10_uniqueIsEEEPmJS6_EEE10hipError_tPvRmT3_T4_T5_T6_T7_T9_mT8_P12ihipStream_tbDpT10_ENKUlT_T0_E_clISt17integral_constantIbLb0EES1A_EEDaS15_S16_EUlS15_E_NS1_11comp_targetILNS1_3genE4ELNS1_11target_archE910ELNS1_3gpuE8ELNS1_3repE0EEENS1_30default_config_static_selectorELNS0_4arch9wavefront6targetE1EEEvT1_.has_recursion, 0
	.set _ZN7rocprim17ROCPRIM_400000_NS6detail17trampoline_kernelINS0_14default_configENS1_25partition_config_selectorILNS1_17partition_subalgoE8EsNS0_10empty_typeEbEEZZNS1_14partition_implILS5_8ELb0ES3_jN6thrust23THRUST_200600_302600_NS6detail15normal_iteratorINSA_10device_ptrIsEEEEPS6_PKS6_NS0_5tupleIJSF_S6_EEENSJ_IJSG_SG_EEENS0_18inequality_wrapperI22is_equal_div_10_uniqueIsEEEPmJS6_EEE10hipError_tPvRmT3_T4_T5_T6_T7_T9_mT8_P12ihipStream_tbDpT10_ENKUlT_T0_E_clISt17integral_constantIbLb0EES1A_EEDaS15_S16_EUlS15_E_NS1_11comp_targetILNS1_3genE4ELNS1_11target_archE910ELNS1_3gpuE8ELNS1_3repE0EEENS1_30default_config_static_selectorELNS0_4arch9wavefront6targetE1EEEvT1_.has_indirect_call, 0
	.section	.AMDGPU.csdata,"",@progbits
; Kernel info:
; codeLenInByte = 0
; TotalNumSgprs: 4
; NumVgprs: 0
; ScratchSize: 0
; MemoryBound: 0
; FloatMode: 240
; IeeeMode: 1
; LDSByteSize: 0 bytes/workgroup (compile time only)
; SGPRBlocks: 0
; VGPRBlocks: 0
; NumSGPRsForWavesPerEU: 4
; NumVGPRsForWavesPerEU: 1
; Occupancy: 10
; WaveLimiterHint : 0
; COMPUTE_PGM_RSRC2:SCRATCH_EN: 0
; COMPUTE_PGM_RSRC2:USER_SGPR: 6
; COMPUTE_PGM_RSRC2:TRAP_HANDLER: 0
; COMPUTE_PGM_RSRC2:TGID_X_EN: 1
; COMPUTE_PGM_RSRC2:TGID_Y_EN: 0
; COMPUTE_PGM_RSRC2:TGID_Z_EN: 0
; COMPUTE_PGM_RSRC2:TIDIG_COMP_CNT: 0
	.section	.text._ZN7rocprim17ROCPRIM_400000_NS6detail17trampoline_kernelINS0_14default_configENS1_25partition_config_selectorILNS1_17partition_subalgoE8EsNS0_10empty_typeEbEEZZNS1_14partition_implILS5_8ELb0ES3_jN6thrust23THRUST_200600_302600_NS6detail15normal_iteratorINSA_10device_ptrIsEEEEPS6_PKS6_NS0_5tupleIJSF_S6_EEENSJ_IJSG_SG_EEENS0_18inequality_wrapperI22is_equal_div_10_uniqueIsEEEPmJS6_EEE10hipError_tPvRmT3_T4_T5_T6_T7_T9_mT8_P12ihipStream_tbDpT10_ENKUlT_T0_E_clISt17integral_constantIbLb0EES1A_EEDaS15_S16_EUlS15_E_NS1_11comp_targetILNS1_3genE3ELNS1_11target_archE908ELNS1_3gpuE7ELNS1_3repE0EEENS1_30default_config_static_selectorELNS0_4arch9wavefront6targetE1EEEvT1_,"axG",@progbits,_ZN7rocprim17ROCPRIM_400000_NS6detail17trampoline_kernelINS0_14default_configENS1_25partition_config_selectorILNS1_17partition_subalgoE8EsNS0_10empty_typeEbEEZZNS1_14partition_implILS5_8ELb0ES3_jN6thrust23THRUST_200600_302600_NS6detail15normal_iteratorINSA_10device_ptrIsEEEEPS6_PKS6_NS0_5tupleIJSF_S6_EEENSJ_IJSG_SG_EEENS0_18inequality_wrapperI22is_equal_div_10_uniqueIsEEEPmJS6_EEE10hipError_tPvRmT3_T4_T5_T6_T7_T9_mT8_P12ihipStream_tbDpT10_ENKUlT_T0_E_clISt17integral_constantIbLb0EES1A_EEDaS15_S16_EUlS15_E_NS1_11comp_targetILNS1_3genE3ELNS1_11target_archE908ELNS1_3gpuE7ELNS1_3repE0EEENS1_30default_config_static_selectorELNS0_4arch9wavefront6targetE1EEEvT1_,comdat
	.protected	_ZN7rocprim17ROCPRIM_400000_NS6detail17trampoline_kernelINS0_14default_configENS1_25partition_config_selectorILNS1_17partition_subalgoE8EsNS0_10empty_typeEbEEZZNS1_14partition_implILS5_8ELb0ES3_jN6thrust23THRUST_200600_302600_NS6detail15normal_iteratorINSA_10device_ptrIsEEEEPS6_PKS6_NS0_5tupleIJSF_S6_EEENSJ_IJSG_SG_EEENS0_18inequality_wrapperI22is_equal_div_10_uniqueIsEEEPmJS6_EEE10hipError_tPvRmT3_T4_T5_T6_T7_T9_mT8_P12ihipStream_tbDpT10_ENKUlT_T0_E_clISt17integral_constantIbLb0EES1A_EEDaS15_S16_EUlS15_E_NS1_11comp_targetILNS1_3genE3ELNS1_11target_archE908ELNS1_3gpuE7ELNS1_3repE0EEENS1_30default_config_static_selectorELNS0_4arch9wavefront6targetE1EEEvT1_ ; -- Begin function _ZN7rocprim17ROCPRIM_400000_NS6detail17trampoline_kernelINS0_14default_configENS1_25partition_config_selectorILNS1_17partition_subalgoE8EsNS0_10empty_typeEbEEZZNS1_14partition_implILS5_8ELb0ES3_jN6thrust23THRUST_200600_302600_NS6detail15normal_iteratorINSA_10device_ptrIsEEEEPS6_PKS6_NS0_5tupleIJSF_S6_EEENSJ_IJSG_SG_EEENS0_18inequality_wrapperI22is_equal_div_10_uniqueIsEEEPmJS6_EEE10hipError_tPvRmT3_T4_T5_T6_T7_T9_mT8_P12ihipStream_tbDpT10_ENKUlT_T0_E_clISt17integral_constantIbLb0EES1A_EEDaS15_S16_EUlS15_E_NS1_11comp_targetILNS1_3genE3ELNS1_11target_archE908ELNS1_3gpuE7ELNS1_3repE0EEENS1_30default_config_static_selectorELNS0_4arch9wavefront6targetE1EEEvT1_
	.globl	_ZN7rocprim17ROCPRIM_400000_NS6detail17trampoline_kernelINS0_14default_configENS1_25partition_config_selectorILNS1_17partition_subalgoE8EsNS0_10empty_typeEbEEZZNS1_14partition_implILS5_8ELb0ES3_jN6thrust23THRUST_200600_302600_NS6detail15normal_iteratorINSA_10device_ptrIsEEEEPS6_PKS6_NS0_5tupleIJSF_S6_EEENSJ_IJSG_SG_EEENS0_18inequality_wrapperI22is_equal_div_10_uniqueIsEEEPmJS6_EEE10hipError_tPvRmT3_T4_T5_T6_T7_T9_mT8_P12ihipStream_tbDpT10_ENKUlT_T0_E_clISt17integral_constantIbLb0EES1A_EEDaS15_S16_EUlS15_E_NS1_11comp_targetILNS1_3genE3ELNS1_11target_archE908ELNS1_3gpuE7ELNS1_3repE0EEENS1_30default_config_static_selectorELNS0_4arch9wavefront6targetE1EEEvT1_
	.p2align	8
	.type	_ZN7rocprim17ROCPRIM_400000_NS6detail17trampoline_kernelINS0_14default_configENS1_25partition_config_selectorILNS1_17partition_subalgoE8EsNS0_10empty_typeEbEEZZNS1_14partition_implILS5_8ELb0ES3_jN6thrust23THRUST_200600_302600_NS6detail15normal_iteratorINSA_10device_ptrIsEEEEPS6_PKS6_NS0_5tupleIJSF_S6_EEENSJ_IJSG_SG_EEENS0_18inequality_wrapperI22is_equal_div_10_uniqueIsEEEPmJS6_EEE10hipError_tPvRmT3_T4_T5_T6_T7_T9_mT8_P12ihipStream_tbDpT10_ENKUlT_T0_E_clISt17integral_constantIbLb0EES1A_EEDaS15_S16_EUlS15_E_NS1_11comp_targetILNS1_3genE3ELNS1_11target_archE908ELNS1_3gpuE7ELNS1_3repE0EEENS1_30default_config_static_selectorELNS0_4arch9wavefront6targetE1EEEvT1_,@function
_ZN7rocprim17ROCPRIM_400000_NS6detail17trampoline_kernelINS0_14default_configENS1_25partition_config_selectorILNS1_17partition_subalgoE8EsNS0_10empty_typeEbEEZZNS1_14partition_implILS5_8ELb0ES3_jN6thrust23THRUST_200600_302600_NS6detail15normal_iteratorINSA_10device_ptrIsEEEEPS6_PKS6_NS0_5tupleIJSF_S6_EEENSJ_IJSG_SG_EEENS0_18inequality_wrapperI22is_equal_div_10_uniqueIsEEEPmJS6_EEE10hipError_tPvRmT3_T4_T5_T6_T7_T9_mT8_P12ihipStream_tbDpT10_ENKUlT_T0_E_clISt17integral_constantIbLb0EES1A_EEDaS15_S16_EUlS15_E_NS1_11comp_targetILNS1_3genE3ELNS1_11target_archE908ELNS1_3gpuE7ELNS1_3repE0EEENS1_30default_config_static_selectorELNS0_4arch9wavefront6targetE1EEEvT1_: ; @_ZN7rocprim17ROCPRIM_400000_NS6detail17trampoline_kernelINS0_14default_configENS1_25partition_config_selectorILNS1_17partition_subalgoE8EsNS0_10empty_typeEbEEZZNS1_14partition_implILS5_8ELb0ES3_jN6thrust23THRUST_200600_302600_NS6detail15normal_iteratorINSA_10device_ptrIsEEEEPS6_PKS6_NS0_5tupleIJSF_S6_EEENSJ_IJSG_SG_EEENS0_18inequality_wrapperI22is_equal_div_10_uniqueIsEEEPmJS6_EEE10hipError_tPvRmT3_T4_T5_T6_T7_T9_mT8_P12ihipStream_tbDpT10_ENKUlT_T0_E_clISt17integral_constantIbLb0EES1A_EEDaS15_S16_EUlS15_E_NS1_11comp_targetILNS1_3genE3ELNS1_11target_archE908ELNS1_3gpuE7ELNS1_3repE0EEENS1_30default_config_static_selectorELNS0_4arch9wavefront6targetE1EEEvT1_
; %bb.0:
	.section	.rodata,"a",@progbits
	.p2align	6, 0x0
	.amdhsa_kernel _ZN7rocprim17ROCPRIM_400000_NS6detail17trampoline_kernelINS0_14default_configENS1_25partition_config_selectorILNS1_17partition_subalgoE8EsNS0_10empty_typeEbEEZZNS1_14partition_implILS5_8ELb0ES3_jN6thrust23THRUST_200600_302600_NS6detail15normal_iteratorINSA_10device_ptrIsEEEEPS6_PKS6_NS0_5tupleIJSF_S6_EEENSJ_IJSG_SG_EEENS0_18inequality_wrapperI22is_equal_div_10_uniqueIsEEEPmJS6_EEE10hipError_tPvRmT3_T4_T5_T6_T7_T9_mT8_P12ihipStream_tbDpT10_ENKUlT_T0_E_clISt17integral_constantIbLb0EES1A_EEDaS15_S16_EUlS15_E_NS1_11comp_targetILNS1_3genE3ELNS1_11target_archE908ELNS1_3gpuE7ELNS1_3repE0EEENS1_30default_config_static_selectorELNS0_4arch9wavefront6targetE1EEEvT1_
		.amdhsa_group_segment_fixed_size 0
		.amdhsa_private_segment_fixed_size 0
		.amdhsa_kernarg_size 112
		.amdhsa_user_sgpr_count 6
		.amdhsa_user_sgpr_private_segment_buffer 1
		.amdhsa_user_sgpr_dispatch_ptr 0
		.amdhsa_user_sgpr_queue_ptr 0
		.amdhsa_user_sgpr_kernarg_segment_ptr 1
		.amdhsa_user_sgpr_dispatch_id 0
		.amdhsa_user_sgpr_flat_scratch_init 0
		.amdhsa_user_sgpr_private_segment_size 0
		.amdhsa_uses_dynamic_stack 0
		.amdhsa_system_sgpr_private_segment_wavefront_offset 0
		.amdhsa_system_sgpr_workgroup_id_x 1
		.amdhsa_system_sgpr_workgroup_id_y 0
		.amdhsa_system_sgpr_workgroup_id_z 0
		.amdhsa_system_sgpr_workgroup_info 0
		.amdhsa_system_vgpr_workitem_id 0
		.amdhsa_next_free_vgpr 1
		.amdhsa_next_free_sgpr 0
		.amdhsa_reserve_vcc 0
		.amdhsa_reserve_flat_scratch 0
		.amdhsa_float_round_mode_32 0
		.amdhsa_float_round_mode_16_64 0
		.amdhsa_float_denorm_mode_32 3
		.amdhsa_float_denorm_mode_16_64 3
		.amdhsa_dx10_clamp 1
		.amdhsa_ieee_mode 1
		.amdhsa_fp16_overflow 0
		.amdhsa_exception_fp_ieee_invalid_op 0
		.amdhsa_exception_fp_denorm_src 0
		.amdhsa_exception_fp_ieee_div_zero 0
		.amdhsa_exception_fp_ieee_overflow 0
		.amdhsa_exception_fp_ieee_underflow 0
		.amdhsa_exception_fp_ieee_inexact 0
		.amdhsa_exception_int_div_zero 0
	.end_amdhsa_kernel
	.section	.text._ZN7rocprim17ROCPRIM_400000_NS6detail17trampoline_kernelINS0_14default_configENS1_25partition_config_selectorILNS1_17partition_subalgoE8EsNS0_10empty_typeEbEEZZNS1_14partition_implILS5_8ELb0ES3_jN6thrust23THRUST_200600_302600_NS6detail15normal_iteratorINSA_10device_ptrIsEEEEPS6_PKS6_NS0_5tupleIJSF_S6_EEENSJ_IJSG_SG_EEENS0_18inequality_wrapperI22is_equal_div_10_uniqueIsEEEPmJS6_EEE10hipError_tPvRmT3_T4_T5_T6_T7_T9_mT8_P12ihipStream_tbDpT10_ENKUlT_T0_E_clISt17integral_constantIbLb0EES1A_EEDaS15_S16_EUlS15_E_NS1_11comp_targetILNS1_3genE3ELNS1_11target_archE908ELNS1_3gpuE7ELNS1_3repE0EEENS1_30default_config_static_selectorELNS0_4arch9wavefront6targetE1EEEvT1_,"axG",@progbits,_ZN7rocprim17ROCPRIM_400000_NS6detail17trampoline_kernelINS0_14default_configENS1_25partition_config_selectorILNS1_17partition_subalgoE8EsNS0_10empty_typeEbEEZZNS1_14partition_implILS5_8ELb0ES3_jN6thrust23THRUST_200600_302600_NS6detail15normal_iteratorINSA_10device_ptrIsEEEEPS6_PKS6_NS0_5tupleIJSF_S6_EEENSJ_IJSG_SG_EEENS0_18inequality_wrapperI22is_equal_div_10_uniqueIsEEEPmJS6_EEE10hipError_tPvRmT3_T4_T5_T6_T7_T9_mT8_P12ihipStream_tbDpT10_ENKUlT_T0_E_clISt17integral_constantIbLb0EES1A_EEDaS15_S16_EUlS15_E_NS1_11comp_targetILNS1_3genE3ELNS1_11target_archE908ELNS1_3gpuE7ELNS1_3repE0EEENS1_30default_config_static_selectorELNS0_4arch9wavefront6targetE1EEEvT1_,comdat
.Lfunc_end504:
	.size	_ZN7rocprim17ROCPRIM_400000_NS6detail17trampoline_kernelINS0_14default_configENS1_25partition_config_selectorILNS1_17partition_subalgoE8EsNS0_10empty_typeEbEEZZNS1_14partition_implILS5_8ELb0ES3_jN6thrust23THRUST_200600_302600_NS6detail15normal_iteratorINSA_10device_ptrIsEEEEPS6_PKS6_NS0_5tupleIJSF_S6_EEENSJ_IJSG_SG_EEENS0_18inequality_wrapperI22is_equal_div_10_uniqueIsEEEPmJS6_EEE10hipError_tPvRmT3_T4_T5_T6_T7_T9_mT8_P12ihipStream_tbDpT10_ENKUlT_T0_E_clISt17integral_constantIbLb0EES1A_EEDaS15_S16_EUlS15_E_NS1_11comp_targetILNS1_3genE3ELNS1_11target_archE908ELNS1_3gpuE7ELNS1_3repE0EEENS1_30default_config_static_selectorELNS0_4arch9wavefront6targetE1EEEvT1_, .Lfunc_end504-_ZN7rocprim17ROCPRIM_400000_NS6detail17trampoline_kernelINS0_14default_configENS1_25partition_config_selectorILNS1_17partition_subalgoE8EsNS0_10empty_typeEbEEZZNS1_14partition_implILS5_8ELb0ES3_jN6thrust23THRUST_200600_302600_NS6detail15normal_iteratorINSA_10device_ptrIsEEEEPS6_PKS6_NS0_5tupleIJSF_S6_EEENSJ_IJSG_SG_EEENS0_18inequality_wrapperI22is_equal_div_10_uniqueIsEEEPmJS6_EEE10hipError_tPvRmT3_T4_T5_T6_T7_T9_mT8_P12ihipStream_tbDpT10_ENKUlT_T0_E_clISt17integral_constantIbLb0EES1A_EEDaS15_S16_EUlS15_E_NS1_11comp_targetILNS1_3genE3ELNS1_11target_archE908ELNS1_3gpuE7ELNS1_3repE0EEENS1_30default_config_static_selectorELNS0_4arch9wavefront6targetE1EEEvT1_
                                        ; -- End function
	.set _ZN7rocprim17ROCPRIM_400000_NS6detail17trampoline_kernelINS0_14default_configENS1_25partition_config_selectorILNS1_17partition_subalgoE8EsNS0_10empty_typeEbEEZZNS1_14partition_implILS5_8ELb0ES3_jN6thrust23THRUST_200600_302600_NS6detail15normal_iteratorINSA_10device_ptrIsEEEEPS6_PKS6_NS0_5tupleIJSF_S6_EEENSJ_IJSG_SG_EEENS0_18inequality_wrapperI22is_equal_div_10_uniqueIsEEEPmJS6_EEE10hipError_tPvRmT3_T4_T5_T6_T7_T9_mT8_P12ihipStream_tbDpT10_ENKUlT_T0_E_clISt17integral_constantIbLb0EES1A_EEDaS15_S16_EUlS15_E_NS1_11comp_targetILNS1_3genE3ELNS1_11target_archE908ELNS1_3gpuE7ELNS1_3repE0EEENS1_30default_config_static_selectorELNS0_4arch9wavefront6targetE1EEEvT1_.num_vgpr, 0
	.set _ZN7rocprim17ROCPRIM_400000_NS6detail17trampoline_kernelINS0_14default_configENS1_25partition_config_selectorILNS1_17partition_subalgoE8EsNS0_10empty_typeEbEEZZNS1_14partition_implILS5_8ELb0ES3_jN6thrust23THRUST_200600_302600_NS6detail15normal_iteratorINSA_10device_ptrIsEEEEPS6_PKS6_NS0_5tupleIJSF_S6_EEENSJ_IJSG_SG_EEENS0_18inequality_wrapperI22is_equal_div_10_uniqueIsEEEPmJS6_EEE10hipError_tPvRmT3_T4_T5_T6_T7_T9_mT8_P12ihipStream_tbDpT10_ENKUlT_T0_E_clISt17integral_constantIbLb0EES1A_EEDaS15_S16_EUlS15_E_NS1_11comp_targetILNS1_3genE3ELNS1_11target_archE908ELNS1_3gpuE7ELNS1_3repE0EEENS1_30default_config_static_selectorELNS0_4arch9wavefront6targetE1EEEvT1_.num_agpr, 0
	.set _ZN7rocprim17ROCPRIM_400000_NS6detail17trampoline_kernelINS0_14default_configENS1_25partition_config_selectorILNS1_17partition_subalgoE8EsNS0_10empty_typeEbEEZZNS1_14partition_implILS5_8ELb0ES3_jN6thrust23THRUST_200600_302600_NS6detail15normal_iteratorINSA_10device_ptrIsEEEEPS6_PKS6_NS0_5tupleIJSF_S6_EEENSJ_IJSG_SG_EEENS0_18inequality_wrapperI22is_equal_div_10_uniqueIsEEEPmJS6_EEE10hipError_tPvRmT3_T4_T5_T6_T7_T9_mT8_P12ihipStream_tbDpT10_ENKUlT_T0_E_clISt17integral_constantIbLb0EES1A_EEDaS15_S16_EUlS15_E_NS1_11comp_targetILNS1_3genE3ELNS1_11target_archE908ELNS1_3gpuE7ELNS1_3repE0EEENS1_30default_config_static_selectorELNS0_4arch9wavefront6targetE1EEEvT1_.numbered_sgpr, 0
	.set _ZN7rocprim17ROCPRIM_400000_NS6detail17trampoline_kernelINS0_14default_configENS1_25partition_config_selectorILNS1_17partition_subalgoE8EsNS0_10empty_typeEbEEZZNS1_14partition_implILS5_8ELb0ES3_jN6thrust23THRUST_200600_302600_NS6detail15normal_iteratorINSA_10device_ptrIsEEEEPS6_PKS6_NS0_5tupleIJSF_S6_EEENSJ_IJSG_SG_EEENS0_18inequality_wrapperI22is_equal_div_10_uniqueIsEEEPmJS6_EEE10hipError_tPvRmT3_T4_T5_T6_T7_T9_mT8_P12ihipStream_tbDpT10_ENKUlT_T0_E_clISt17integral_constantIbLb0EES1A_EEDaS15_S16_EUlS15_E_NS1_11comp_targetILNS1_3genE3ELNS1_11target_archE908ELNS1_3gpuE7ELNS1_3repE0EEENS1_30default_config_static_selectorELNS0_4arch9wavefront6targetE1EEEvT1_.num_named_barrier, 0
	.set _ZN7rocprim17ROCPRIM_400000_NS6detail17trampoline_kernelINS0_14default_configENS1_25partition_config_selectorILNS1_17partition_subalgoE8EsNS0_10empty_typeEbEEZZNS1_14partition_implILS5_8ELb0ES3_jN6thrust23THRUST_200600_302600_NS6detail15normal_iteratorINSA_10device_ptrIsEEEEPS6_PKS6_NS0_5tupleIJSF_S6_EEENSJ_IJSG_SG_EEENS0_18inequality_wrapperI22is_equal_div_10_uniqueIsEEEPmJS6_EEE10hipError_tPvRmT3_T4_T5_T6_T7_T9_mT8_P12ihipStream_tbDpT10_ENKUlT_T0_E_clISt17integral_constantIbLb0EES1A_EEDaS15_S16_EUlS15_E_NS1_11comp_targetILNS1_3genE3ELNS1_11target_archE908ELNS1_3gpuE7ELNS1_3repE0EEENS1_30default_config_static_selectorELNS0_4arch9wavefront6targetE1EEEvT1_.private_seg_size, 0
	.set _ZN7rocprim17ROCPRIM_400000_NS6detail17trampoline_kernelINS0_14default_configENS1_25partition_config_selectorILNS1_17partition_subalgoE8EsNS0_10empty_typeEbEEZZNS1_14partition_implILS5_8ELb0ES3_jN6thrust23THRUST_200600_302600_NS6detail15normal_iteratorINSA_10device_ptrIsEEEEPS6_PKS6_NS0_5tupleIJSF_S6_EEENSJ_IJSG_SG_EEENS0_18inequality_wrapperI22is_equal_div_10_uniqueIsEEEPmJS6_EEE10hipError_tPvRmT3_T4_T5_T6_T7_T9_mT8_P12ihipStream_tbDpT10_ENKUlT_T0_E_clISt17integral_constantIbLb0EES1A_EEDaS15_S16_EUlS15_E_NS1_11comp_targetILNS1_3genE3ELNS1_11target_archE908ELNS1_3gpuE7ELNS1_3repE0EEENS1_30default_config_static_selectorELNS0_4arch9wavefront6targetE1EEEvT1_.uses_vcc, 0
	.set _ZN7rocprim17ROCPRIM_400000_NS6detail17trampoline_kernelINS0_14default_configENS1_25partition_config_selectorILNS1_17partition_subalgoE8EsNS0_10empty_typeEbEEZZNS1_14partition_implILS5_8ELb0ES3_jN6thrust23THRUST_200600_302600_NS6detail15normal_iteratorINSA_10device_ptrIsEEEEPS6_PKS6_NS0_5tupleIJSF_S6_EEENSJ_IJSG_SG_EEENS0_18inequality_wrapperI22is_equal_div_10_uniqueIsEEEPmJS6_EEE10hipError_tPvRmT3_T4_T5_T6_T7_T9_mT8_P12ihipStream_tbDpT10_ENKUlT_T0_E_clISt17integral_constantIbLb0EES1A_EEDaS15_S16_EUlS15_E_NS1_11comp_targetILNS1_3genE3ELNS1_11target_archE908ELNS1_3gpuE7ELNS1_3repE0EEENS1_30default_config_static_selectorELNS0_4arch9wavefront6targetE1EEEvT1_.uses_flat_scratch, 0
	.set _ZN7rocprim17ROCPRIM_400000_NS6detail17trampoline_kernelINS0_14default_configENS1_25partition_config_selectorILNS1_17partition_subalgoE8EsNS0_10empty_typeEbEEZZNS1_14partition_implILS5_8ELb0ES3_jN6thrust23THRUST_200600_302600_NS6detail15normal_iteratorINSA_10device_ptrIsEEEEPS6_PKS6_NS0_5tupleIJSF_S6_EEENSJ_IJSG_SG_EEENS0_18inequality_wrapperI22is_equal_div_10_uniqueIsEEEPmJS6_EEE10hipError_tPvRmT3_T4_T5_T6_T7_T9_mT8_P12ihipStream_tbDpT10_ENKUlT_T0_E_clISt17integral_constantIbLb0EES1A_EEDaS15_S16_EUlS15_E_NS1_11comp_targetILNS1_3genE3ELNS1_11target_archE908ELNS1_3gpuE7ELNS1_3repE0EEENS1_30default_config_static_selectorELNS0_4arch9wavefront6targetE1EEEvT1_.has_dyn_sized_stack, 0
	.set _ZN7rocprim17ROCPRIM_400000_NS6detail17trampoline_kernelINS0_14default_configENS1_25partition_config_selectorILNS1_17partition_subalgoE8EsNS0_10empty_typeEbEEZZNS1_14partition_implILS5_8ELb0ES3_jN6thrust23THRUST_200600_302600_NS6detail15normal_iteratorINSA_10device_ptrIsEEEEPS6_PKS6_NS0_5tupleIJSF_S6_EEENSJ_IJSG_SG_EEENS0_18inequality_wrapperI22is_equal_div_10_uniqueIsEEEPmJS6_EEE10hipError_tPvRmT3_T4_T5_T6_T7_T9_mT8_P12ihipStream_tbDpT10_ENKUlT_T0_E_clISt17integral_constantIbLb0EES1A_EEDaS15_S16_EUlS15_E_NS1_11comp_targetILNS1_3genE3ELNS1_11target_archE908ELNS1_3gpuE7ELNS1_3repE0EEENS1_30default_config_static_selectorELNS0_4arch9wavefront6targetE1EEEvT1_.has_recursion, 0
	.set _ZN7rocprim17ROCPRIM_400000_NS6detail17trampoline_kernelINS0_14default_configENS1_25partition_config_selectorILNS1_17partition_subalgoE8EsNS0_10empty_typeEbEEZZNS1_14partition_implILS5_8ELb0ES3_jN6thrust23THRUST_200600_302600_NS6detail15normal_iteratorINSA_10device_ptrIsEEEEPS6_PKS6_NS0_5tupleIJSF_S6_EEENSJ_IJSG_SG_EEENS0_18inequality_wrapperI22is_equal_div_10_uniqueIsEEEPmJS6_EEE10hipError_tPvRmT3_T4_T5_T6_T7_T9_mT8_P12ihipStream_tbDpT10_ENKUlT_T0_E_clISt17integral_constantIbLb0EES1A_EEDaS15_S16_EUlS15_E_NS1_11comp_targetILNS1_3genE3ELNS1_11target_archE908ELNS1_3gpuE7ELNS1_3repE0EEENS1_30default_config_static_selectorELNS0_4arch9wavefront6targetE1EEEvT1_.has_indirect_call, 0
	.section	.AMDGPU.csdata,"",@progbits
; Kernel info:
; codeLenInByte = 0
; TotalNumSgprs: 4
; NumVgprs: 0
; ScratchSize: 0
; MemoryBound: 0
; FloatMode: 240
; IeeeMode: 1
; LDSByteSize: 0 bytes/workgroup (compile time only)
; SGPRBlocks: 0
; VGPRBlocks: 0
; NumSGPRsForWavesPerEU: 4
; NumVGPRsForWavesPerEU: 1
; Occupancy: 10
; WaveLimiterHint : 0
; COMPUTE_PGM_RSRC2:SCRATCH_EN: 0
; COMPUTE_PGM_RSRC2:USER_SGPR: 6
; COMPUTE_PGM_RSRC2:TRAP_HANDLER: 0
; COMPUTE_PGM_RSRC2:TGID_X_EN: 1
; COMPUTE_PGM_RSRC2:TGID_Y_EN: 0
; COMPUTE_PGM_RSRC2:TGID_Z_EN: 0
; COMPUTE_PGM_RSRC2:TIDIG_COMP_CNT: 0
	.section	.text._ZN7rocprim17ROCPRIM_400000_NS6detail17trampoline_kernelINS0_14default_configENS1_25partition_config_selectorILNS1_17partition_subalgoE8EsNS0_10empty_typeEbEEZZNS1_14partition_implILS5_8ELb0ES3_jN6thrust23THRUST_200600_302600_NS6detail15normal_iteratorINSA_10device_ptrIsEEEEPS6_PKS6_NS0_5tupleIJSF_S6_EEENSJ_IJSG_SG_EEENS0_18inequality_wrapperI22is_equal_div_10_uniqueIsEEEPmJS6_EEE10hipError_tPvRmT3_T4_T5_T6_T7_T9_mT8_P12ihipStream_tbDpT10_ENKUlT_T0_E_clISt17integral_constantIbLb0EES1A_EEDaS15_S16_EUlS15_E_NS1_11comp_targetILNS1_3genE2ELNS1_11target_archE906ELNS1_3gpuE6ELNS1_3repE0EEENS1_30default_config_static_selectorELNS0_4arch9wavefront6targetE1EEEvT1_,"axG",@progbits,_ZN7rocprim17ROCPRIM_400000_NS6detail17trampoline_kernelINS0_14default_configENS1_25partition_config_selectorILNS1_17partition_subalgoE8EsNS0_10empty_typeEbEEZZNS1_14partition_implILS5_8ELb0ES3_jN6thrust23THRUST_200600_302600_NS6detail15normal_iteratorINSA_10device_ptrIsEEEEPS6_PKS6_NS0_5tupleIJSF_S6_EEENSJ_IJSG_SG_EEENS0_18inequality_wrapperI22is_equal_div_10_uniqueIsEEEPmJS6_EEE10hipError_tPvRmT3_T4_T5_T6_T7_T9_mT8_P12ihipStream_tbDpT10_ENKUlT_T0_E_clISt17integral_constantIbLb0EES1A_EEDaS15_S16_EUlS15_E_NS1_11comp_targetILNS1_3genE2ELNS1_11target_archE906ELNS1_3gpuE6ELNS1_3repE0EEENS1_30default_config_static_selectorELNS0_4arch9wavefront6targetE1EEEvT1_,comdat
	.protected	_ZN7rocprim17ROCPRIM_400000_NS6detail17trampoline_kernelINS0_14default_configENS1_25partition_config_selectorILNS1_17partition_subalgoE8EsNS0_10empty_typeEbEEZZNS1_14partition_implILS5_8ELb0ES3_jN6thrust23THRUST_200600_302600_NS6detail15normal_iteratorINSA_10device_ptrIsEEEEPS6_PKS6_NS0_5tupleIJSF_S6_EEENSJ_IJSG_SG_EEENS0_18inequality_wrapperI22is_equal_div_10_uniqueIsEEEPmJS6_EEE10hipError_tPvRmT3_T4_T5_T6_T7_T9_mT8_P12ihipStream_tbDpT10_ENKUlT_T0_E_clISt17integral_constantIbLb0EES1A_EEDaS15_S16_EUlS15_E_NS1_11comp_targetILNS1_3genE2ELNS1_11target_archE906ELNS1_3gpuE6ELNS1_3repE0EEENS1_30default_config_static_selectorELNS0_4arch9wavefront6targetE1EEEvT1_ ; -- Begin function _ZN7rocprim17ROCPRIM_400000_NS6detail17trampoline_kernelINS0_14default_configENS1_25partition_config_selectorILNS1_17partition_subalgoE8EsNS0_10empty_typeEbEEZZNS1_14partition_implILS5_8ELb0ES3_jN6thrust23THRUST_200600_302600_NS6detail15normal_iteratorINSA_10device_ptrIsEEEEPS6_PKS6_NS0_5tupleIJSF_S6_EEENSJ_IJSG_SG_EEENS0_18inequality_wrapperI22is_equal_div_10_uniqueIsEEEPmJS6_EEE10hipError_tPvRmT3_T4_T5_T6_T7_T9_mT8_P12ihipStream_tbDpT10_ENKUlT_T0_E_clISt17integral_constantIbLb0EES1A_EEDaS15_S16_EUlS15_E_NS1_11comp_targetILNS1_3genE2ELNS1_11target_archE906ELNS1_3gpuE6ELNS1_3repE0EEENS1_30default_config_static_selectorELNS0_4arch9wavefront6targetE1EEEvT1_
	.globl	_ZN7rocprim17ROCPRIM_400000_NS6detail17trampoline_kernelINS0_14default_configENS1_25partition_config_selectorILNS1_17partition_subalgoE8EsNS0_10empty_typeEbEEZZNS1_14partition_implILS5_8ELb0ES3_jN6thrust23THRUST_200600_302600_NS6detail15normal_iteratorINSA_10device_ptrIsEEEEPS6_PKS6_NS0_5tupleIJSF_S6_EEENSJ_IJSG_SG_EEENS0_18inequality_wrapperI22is_equal_div_10_uniqueIsEEEPmJS6_EEE10hipError_tPvRmT3_T4_T5_T6_T7_T9_mT8_P12ihipStream_tbDpT10_ENKUlT_T0_E_clISt17integral_constantIbLb0EES1A_EEDaS15_S16_EUlS15_E_NS1_11comp_targetILNS1_3genE2ELNS1_11target_archE906ELNS1_3gpuE6ELNS1_3repE0EEENS1_30default_config_static_selectorELNS0_4arch9wavefront6targetE1EEEvT1_
	.p2align	8
	.type	_ZN7rocprim17ROCPRIM_400000_NS6detail17trampoline_kernelINS0_14default_configENS1_25partition_config_selectorILNS1_17partition_subalgoE8EsNS0_10empty_typeEbEEZZNS1_14partition_implILS5_8ELb0ES3_jN6thrust23THRUST_200600_302600_NS6detail15normal_iteratorINSA_10device_ptrIsEEEEPS6_PKS6_NS0_5tupleIJSF_S6_EEENSJ_IJSG_SG_EEENS0_18inequality_wrapperI22is_equal_div_10_uniqueIsEEEPmJS6_EEE10hipError_tPvRmT3_T4_T5_T6_T7_T9_mT8_P12ihipStream_tbDpT10_ENKUlT_T0_E_clISt17integral_constantIbLb0EES1A_EEDaS15_S16_EUlS15_E_NS1_11comp_targetILNS1_3genE2ELNS1_11target_archE906ELNS1_3gpuE6ELNS1_3repE0EEENS1_30default_config_static_selectorELNS0_4arch9wavefront6targetE1EEEvT1_,@function
_ZN7rocprim17ROCPRIM_400000_NS6detail17trampoline_kernelINS0_14default_configENS1_25partition_config_selectorILNS1_17partition_subalgoE8EsNS0_10empty_typeEbEEZZNS1_14partition_implILS5_8ELb0ES3_jN6thrust23THRUST_200600_302600_NS6detail15normal_iteratorINSA_10device_ptrIsEEEEPS6_PKS6_NS0_5tupleIJSF_S6_EEENSJ_IJSG_SG_EEENS0_18inequality_wrapperI22is_equal_div_10_uniqueIsEEEPmJS6_EEE10hipError_tPvRmT3_T4_T5_T6_T7_T9_mT8_P12ihipStream_tbDpT10_ENKUlT_T0_E_clISt17integral_constantIbLb0EES1A_EEDaS15_S16_EUlS15_E_NS1_11comp_targetILNS1_3genE2ELNS1_11target_archE906ELNS1_3gpuE6ELNS1_3repE0EEENS1_30default_config_static_selectorELNS0_4arch9wavefront6targetE1EEEvT1_: ; @_ZN7rocprim17ROCPRIM_400000_NS6detail17trampoline_kernelINS0_14default_configENS1_25partition_config_selectorILNS1_17partition_subalgoE8EsNS0_10empty_typeEbEEZZNS1_14partition_implILS5_8ELb0ES3_jN6thrust23THRUST_200600_302600_NS6detail15normal_iteratorINSA_10device_ptrIsEEEEPS6_PKS6_NS0_5tupleIJSF_S6_EEENSJ_IJSG_SG_EEENS0_18inequality_wrapperI22is_equal_div_10_uniqueIsEEEPmJS6_EEE10hipError_tPvRmT3_T4_T5_T6_T7_T9_mT8_P12ihipStream_tbDpT10_ENKUlT_T0_E_clISt17integral_constantIbLb0EES1A_EEDaS15_S16_EUlS15_E_NS1_11comp_targetILNS1_3genE2ELNS1_11target_archE906ELNS1_3gpuE6ELNS1_3repE0EEENS1_30default_config_static_selectorELNS0_4arch9wavefront6targetE1EEEvT1_
; %bb.0:
	s_load_dwordx4 s[0:3], s[4:5], 0x8
	s_load_dwordx4 s[40:43], s[4:5], 0x40
	s_load_dwordx2 s[8:9], s[4:5], 0x50
	s_load_dword s7, s[4:5], 0x68
	v_lshlrev_b32_e32 v47, 1, v0
	s_waitcnt lgkmcnt(0)
	s_lshl_b64 s[10:11], s[2:3], 1
	s_add_u32 s12, s0, s10
	s_addc_u32 s13, s1, s11
	s_mul_i32 s0, s7, 0xd80
	s_add_i32 s1, s0, s2
	s_add_i32 s14, s7, -1
	s_sub_i32 s7, s8, s1
	s_add_u32 s0, s2, s0
	s_addc_u32 s1, s3, 0
	v_mov_b32_e32 v2, s1
	v_mov_b32_e32 v1, s0
	v_cmp_le_u64_e32 vcc, s[8:9], v[1:2]
	s_cmp_eq_u32 s6, s14
	s_load_dwordx2 s[42:43], s[42:43], 0x0
	s_cselect_b64 s[44:45], -1, 0
	s_mul_i32 s10, s6, 0xd80
	s_mov_b32 s11, 0
	s_and_b64 s[48:49], s[44:45], vcc
	s_xor_b64 s[46:47], s[48:49], -1
	s_lshl_b64 s[8:9], s[10:11], 1
	s_add_u32 s8, s12, s8
	s_mov_b64 s[0:1], -1
	s_addc_u32 s9, s13, s9
	s_and_b64 vcc, exec, s[46:47]
	s_cbranch_vccz .LBB505_2
; %bb.1:
	v_lshlrev_b32_e32 v5, 1, v0
	v_mov_b32_e32 v2, s9
	v_add_co_u32_e32 v1, vcc, s8, v5
	v_addc_co_u32_e32 v2, vcc, 0, v2, vcc
	s_movk_i32 s0, 0x1000
	v_add_co_u32_e32 v3, vcc, s0, v1
	flat_load_ushort v6, v[1:2]
	flat_load_ushort v7, v[1:2] offset:384
	flat_load_ushort v8, v[1:2] offset:768
	;; [unrolled: 1-line block ×7, first 2 shown]
	v_addc_co_u32_e32 v4, vcc, 0, v2, vcc
	flat_load_ushort v14, v[1:2] offset:3072
	flat_load_ushort v15, v[1:2] offset:3456
	;; [unrolled: 1-line block ×10, first 2 shown]
	s_mov_b64 s[0:1], 0
	s_waitcnt vmcnt(0) lgkmcnt(0)
	ds_write_b16 v5, v6
	ds_write_b16 v5, v7 offset:384
	ds_write_b16 v5, v8 offset:768
	;; [unrolled: 1-line block ×17, first 2 shown]
	s_waitcnt lgkmcnt(0)
	s_barrier
.LBB505_2:
	s_andn2_b64 vcc, exec, s[0:1]
	s_addk_i32 s7, 0xd80
	s_cbranch_vccnz .LBB505_40
; %bb.3:
	v_mov_b32_e32 v1, 0
	v_cmp_gt_u32_e32 vcc, s7, v0
	v_mov_b32_e32 v2, v1
	v_mov_b32_e32 v3, v1
	;; [unrolled: 1-line block ×8, first 2 shown]
	s_and_saveexec_b64 s[0:1], vcc
	s_cbranch_execz .LBB505_5
; %bb.4:
	v_lshlrev_b32_e32 v2, 1, v0
	v_mov_b32_e32 v3, s9
	v_add_co_u32_e32 v2, vcc, s8, v2
	v_addc_co_u32_e32 v3, vcc, 0, v3, vcc
	flat_load_ushort v10, v[2:3]
	v_mov_b32_e32 v2, v1
	v_mov_b32_e32 v3, v1
	;; [unrolled: 1-line block ×8, first 2 shown]
	s_waitcnt vmcnt(0) lgkmcnt(0)
	v_and_b32_e32 v1, 0xffff, v10
.LBB505_5:
	s_or_b64 exec, exec, s[0:1]
	v_add_u32_e32 v10, 0xc0, v0
	v_cmp_gt_u32_e32 vcc, s7, v10
	s_and_saveexec_b64 s[0:1], vcc
	s_cbranch_execz .LBB505_7
; %bb.6:
	v_lshlrev_b32_e32 v10, 1, v0
	v_mov_b32_e32 v11, s9
	v_add_co_u32_e32 v10, vcc, s8, v10
	v_addc_co_u32_e32 v11, vcc, 0, v11, vcc
	flat_load_ushort v10, v[10:11] offset:384
	s_mov_b32 s10, 0x5040100
	s_waitcnt vmcnt(0) lgkmcnt(0)
	v_perm_b32 v1, v10, v1, s10
.LBB505_7:
	s_or_b64 exec, exec, s[0:1]
	v_add_u32_e32 v10, 0x180, v0
	v_cmp_gt_u32_e32 vcc, s7, v10
	s_and_saveexec_b64 s[0:1], vcc
	s_cbranch_execz .LBB505_9
; %bb.8:
	v_lshlrev_b32_e32 v10, 1, v0
	v_mov_b32_e32 v11, s9
	v_add_co_u32_e32 v10, vcc, s8, v10
	v_addc_co_u32_e32 v11, vcc, 0, v11, vcc
	flat_load_ushort v10, v[10:11] offset:768
	s_mov_b32 s10, 0xffff
	s_waitcnt vmcnt(0) lgkmcnt(0)
	v_bfi_b32 v2, s10, v10, v2
.LBB505_9:
	s_or_b64 exec, exec, s[0:1]
	v_add_u32_e32 v10, 0x240, v0
	v_cmp_gt_u32_e32 vcc, s7, v10
	s_and_saveexec_b64 s[0:1], vcc
	s_cbranch_execz .LBB505_11
; %bb.10:
	v_lshlrev_b32_e32 v10, 1, v0
	v_mov_b32_e32 v11, s9
	v_add_co_u32_e32 v10, vcc, s8, v10
	v_addc_co_u32_e32 v11, vcc, 0, v11, vcc
	flat_load_ushort v10, v[10:11] offset:1152
	s_mov_b32 s10, 0x5040100
	s_waitcnt vmcnt(0) lgkmcnt(0)
	v_perm_b32 v2, v10, v2, s10
.LBB505_11:
	s_or_b64 exec, exec, s[0:1]
	v_or_b32_e32 v10, 0x300, v0
	v_cmp_gt_u32_e32 vcc, s7, v10
	s_and_saveexec_b64 s[0:1], vcc
	s_cbranch_execz .LBB505_13
; %bb.12:
	v_lshlrev_b32_e32 v10, 1, v0
	v_mov_b32_e32 v11, s9
	v_add_co_u32_e32 v10, vcc, s8, v10
	v_addc_co_u32_e32 v11, vcc, 0, v11, vcc
	flat_load_ushort v10, v[10:11] offset:1536
	s_mov_b32 s10, 0xffff
	s_waitcnt vmcnt(0) lgkmcnt(0)
	v_bfi_b32 v3, s10, v10, v3
.LBB505_13:
	s_or_b64 exec, exec, s[0:1]
	v_add_u32_e32 v10, 0x3c0, v0
	v_cmp_gt_u32_e32 vcc, s7, v10
	s_and_saveexec_b64 s[0:1], vcc
	s_cbranch_execz .LBB505_15
; %bb.14:
	v_lshlrev_b32_e32 v10, 1, v0
	v_mov_b32_e32 v11, s9
	v_add_co_u32_e32 v10, vcc, s8, v10
	v_addc_co_u32_e32 v11, vcc, 0, v11, vcc
	flat_load_ushort v10, v[10:11] offset:1920
	s_mov_b32 s10, 0x5040100
	s_waitcnt vmcnt(0) lgkmcnt(0)
	v_perm_b32 v3, v10, v3, s10
.LBB505_15:
	s_or_b64 exec, exec, s[0:1]
	v_add_u32_e32 v10, 0x480, v0
	v_cmp_gt_u32_e32 vcc, s7, v10
	s_and_saveexec_b64 s[0:1], vcc
	s_cbranch_execz .LBB505_17
; %bb.16:
	v_lshlrev_b32_e32 v10, 1, v0
	v_mov_b32_e32 v11, s9
	v_add_co_u32_e32 v10, vcc, s8, v10
	v_addc_co_u32_e32 v11, vcc, 0, v11, vcc
	flat_load_ushort v10, v[10:11] offset:2304
	s_mov_b32 s10, 0xffff
	s_waitcnt vmcnt(0) lgkmcnt(0)
	v_bfi_b32 v4, s10, v10, v4
.LBB505_17:
	s_or_b64 exec, exec, s[0:1]
	v_add_u32_e32 v10, 0x540, v0
	v_cmp_gt_u32_e32 vcc, s7, v10
	s_and_saveexec_b64 s[0:1], vcc
	s_cbranch_execz .LBB505_19
; %bb.18:
	v_lshlrev_b32_e32 v10, 1, v0
	v_mov_b32_e32 v11, s9
	v_add_co_u32_e32 v10, vcc, s8, v10
	v_addc_co_u32_e32 v11, vcc, 0, v11, vcc
	flat_load_ushort v10, v[10:11] offset:2688
	s_mov_b32 s10, 0x5040100
	s_waitcnt vmcnt(0) lgkmcnt(0)
	v_perm_b32 v4, v10, v4, s10
.LBB505_19:
	s_or_b64 exec, exec, s[0:1]
	v_or_b32_e32 v10, 0x600, v0
	v_cmp_gt_u32_e32 vcc, s7, v10
	s_and_saveexec_b64 s[0:1], vcc
	s_cbranch_execz .LBB505_21
; %bb.20:
	v_lshlrev_b32_e32 v10, 1, v0
	v_mov_b32_e32 v11, s9
	v_add_co_u32_e32 v10, vcc, s8, v10
	v_addc_co_u32_e32 v11, vcc, 0, v11, vcc
	flat_load_ushort v10, v[10:11] offset:3072
	s_mov_b32 s10, 0xffff
	s_waitcnt vmcnt(0) lgkmcnt(0)
	v_bfi_b32 v5, s10, v10, v5
.LBB505_21:
	s_or_b64 exec, exec, s[0:1]
	v_add_u32_e32 v10, 0x6c0, v0
	v_cmp_gt_u32_e32 vcc, s7, v10
	s_and_saveexec_b64 s[0:1], vcc
	s_cbranch_execz .LBB505_23
; %bb.22:
	v_lshlrev_b32_e32 v10, 1, v0
	v_mov_b32_e32 v11, s9
	v_add_co_u32_e32 v10, vcc, s8, v10
	v_addc_co_u32_e32 v11, vcc, 0, v11, vcc
	flat_load_ushort v10, v[10:11] offset:3456
	s_mov_b32 s10, 0x5040100
	s_waitcnt vmcnt(0) lgkmcnt(0)
	v_perm_b32 v5, v10, v5, s10
.LBB505_23:
	s_or_b64 exec, exec, s[0:1]
	v_add_u32_e32 v10, 0x780, v0
	v_cmp_gt_u32_e32 vcc, s7, v10
	s_and_saveexec_b64 s[0:1], vcc
	s_cbranch_execz .LBB505_25
; %bb.24:
	v_lshlrev_b32_e32 v10, 1, v0
	v_mov_b32_e32 v11, s9
	v_add_co_u32_e32 v10, vcc, s8, v10
	v_addc_co_u32_e32 v11, vcc, 0, v11, vcc
	flat_load_ushort v10, v[10:11] offset:3840
	s_mov_b32 s10, 0xffff
	s_waitcnt vmcnt(0) lgkmcnt(0)
	v_bfi_b32 v6, s10, v10, v6
.LBB505_25:
	s_or_b64 exec, exec, s[0:1]
	v_add_u32_e32 v10, 0x840, v0
	v_cmp_gt_u32_e32 vcc, s7, v10
	s_and_saveexec_b64 s[0:1], vcc
	s_cbranch_execz .LBB505_27
; %bb.26:
	v_lshlrev_b32_e32 v10, 1, v10
	v_mov_b32_e32 v11, s9
	v_add_co_u32_e32 v10, vcc, s8, v10
	v_addc_co_u32_e32 v11, vcc, 0, v11, vcc
	flat_load_ushort v10, v[10:11]
	s_mov_b32 s10, 0x5040100
	s_waitcnt vmcnt(0) lgkmcnt(0)
	v_perm_b32 v6, v10, v6, s10
.LBB505_27:
	s_or_b64 exec, exec, s[0:1]
	v_or_b32_e32 v10, 0x900, v0
	v_cmp_gt_u32_e32 vcc, s7, v10
	s_and_saveexec_b64 s[0:1], vcc
	s_cbranch_execz .LBB505_29
; %bb.28:
	v_lshlrev_b32_e32 v10, 1, v10
	v_mov_b32_e32 v11, s9
	v_add_co_u32_e32 v10, vcc, s8, v10
	v_addc_co_u32_e32 v11, vcc, 0, v11, vcc
	flat_load_ushort v10, v[10:11]
	s_mov_b32 s10, 0xffff
	s_waitcnt vmcnt(0) lgkmcnt(0)
	v_bfi_b32 v7, s10, v10, v7
.LBB505_29:
	s_or_b64 exec, exec, s[0:1]
	v_add_u32_e32 v10, 0x9c0, v0
	v_cmp_gt_u32_e32 vcc, s7, v10
	s_and_saveexec_b64 s[0:1], vcc
	s_cbranch_execz .LBB505_31
; %bb.30:
	v_lshlrev_b32_e32 v10, 1, v10
	v_mov_b32_e32 v11, s9
	v_add_co_u32_e32 v10, vcc, s8, v10
	v_addc_co_u32_e32 v11, vcc, 0, v11, vcc
	flat_load_ushort v10, v[10:11]
	s_mov_b32 s10, 0x5040100
	s_waitcnt vmcnt(0) lgkmcnt(0)
	v_perm_b32 v7, v10, v7, s10
.LBB505_31:
	s_or_b64 exec, exec, s[0:1]
	v_add_u32_e32 v10, 0xa80, v0
	v_cmp_gt_u32_e32 vcc, s7, v10
	s_and_saveexec_b64 s[0:1], vcc
	s_cbranch_execz .LBB505_33
; %bb.32:
	v_lshlrev_b32_e32 v10, 1, v10
	v_mov_b32_e32 v11, s9
	v_add_co_u32_e32 v10, vcc, s8, v10
	v_addc_co_u32_e32 v11, vcc, 0, v11, vcc
	flat_load_ushort v10, v[10:11]
	s_mov_b32 s10, 0xffff
	s_waitcnt vmcnt(0) lgkmcnt(0)
	v_bfi_b32 v8, s10, v10, v8
.LBB505_33:
	s_or_b64 exec, exec, s[0:1]
	v_add_u32_e32 v10, 0xb40, v0
	v_cmp_gt_u32_e32 vcc, s7, v10
	s_and_saveexec_b64 s[0:1], vcc
	s_cbranch_execz .LBB505_35
; %bb.34:
	v_lshlrev_b32_e32 v10, 1, v10
	v_mov_b32_e32 v11, s9
	v_add_co_u32_e32 v10, vcc, s8, v10
	v_addc_co_u32_e32 v11, vcc, 0, v11, vcc
	flat_load_ushort v10, v[10:11]
	s_mov_b32 s10, 0x5040100
	s_waitcnt vmcnt(0) lgkmcnt(0)
	v_perm_b32 v8, v10, v8, s10
.LBB505_35:
	s_or_b64 exec, exec, s[0:1]
	v_or_b32_e32 v10, 0xc00, v0
	v_cmp_gt_u32_e32 vcc, s7, v10
	s_and_saveexec_b64 s[0:1], vcc
	s_cbranch_execz .LBB505_37
; %bb.36:
	v_lshlrev_b32_e32 v10, 1, v10
	v_mov_b32_e32 v11, s9
	v_add_co_u32_e32 v10, vcc, s8, v10
	v_addc_co_u32_e32 v11, vcc, 0, v11, vcc
	flat_load_ushort v10, v[10:11]
	s_mov_b32 s10, 0xffff
	s_waitcnt vmcnt(0) lgkmcnt(0)
	v_bfi_b32 v9, s10, v10, v9
.LBB505_37:
	s_or_b64 exec, exec, s[0:1]
	v_add_u32_e32 v10, 0xcc0, v0
	v_cmp_gt_u32_e32 vcc, s7, v10
	s_and_saveexec_b64 s[0:1], vcc
	s_cbranch_execz .LBB505_39
; %bb.38:
	v_lshlrev_b32_e32 v10, 1, v10
	v_mov_b32_e32 v11, s9
	v_add_co_u32_e32 v10, vcc, s8, v10
	v_addc_co_u32_e32 v11, vcc, 0, v11, vcc
	flat_load_ushort v10, v[10:11]
	s_mov_b32 s10, 0x5040100
	s_waitcnt vmcnt(0) lgkmcnt(0)
	v_perm_b32 v9, v10, v9, s10
.LBB505_39:
	s_or_b64 exec, exec, s[0:1]
	v_lshlrev_b32_e32 v10, 1, v0
	ds_write_b16 v10, v1
	ds_write_b16_d16_hi v10, v1 offset:384
	ds_write_b16 v10, v2 offset:768
	ds_write_b16_d16_hi v10, v2 offset:1152
	ds_write_b16 v10, v3 offset:1536
	;; [unrolled: 2-line block ×8, first 2 shown]
	ds_write_b16_d16_hi v10, v9 offset:6528
	s_waitcnt lgkmcnt(0)
	s_barrier
.LBB505_40:
	v_mul_u32_u24_e32 v9, 18, v0
	v_lshlrev_b32_e32 v10, 1, v9
	s_waitcnt lgkmcnt(0)
	ds_read2_b32 v[7:8], v10 offset1:1
	ds_read2_b32 v[5:6], v10 offset0:2 offset1:3
	ds_read2_b32 v[3:4], v10 offset0:4 offset1:5
	;; [unrolled: 1-line block ×3, first 2 shown]
	ds_read_b32 v49, v10 offset:32
	s_cmp_lg_u32 s6, 0
	s_cselect_b64 s[50:51], -1, 0
	s_cmp_lg_u64 s[2:3], 0
	s_cselect_b64 s[0:1], -1, 0
	s_or_b64 s[0:1], s[50:51], s[0:1]
	s_waitcnt lgkmcnt(4)
	v_lshrrev_b32_e32 v57, 16, v7
	v_lshrrev_b32_e32 v56, 16, v8
	s_waitcnt lgkmcnt(3)
	v_lshrrev_b32_e32 v55, 16, v5
	v_lshrrev_b32_e32 v54, 16, v6
	;; [unrolled: 3-line block ×4, first 2 shown]
	s_waitcnt lgkmcnt(0)
	v_lshrrev_b32_e32 v48, 16, v49
	s_mov_b64 s[52:53], 0
	s_and_b64 vcc, exec, s[0:1]
	s_barrier
	s_cbranch_vccz .LBB505_45
; %bb.41:
	v_mov_b32_e32 v12, s9
	v_add_co_u32_e64 v11, vcc, -2, s8
	v_addc_co_u32_e32 v12, vcc, -1, v12, vcc
	flat_load_ushort v11, v[11:12]
	v_lshlrev_b32_e32 v12, 1, v0
	s_and_b64 vcc, exec, s[46:47]
	ds_write_b16 v12, v48
	s_cbranch_vccz .LBB505_46
; %bb.42:
	v_cmp_ne_u32_e32 vcc, 0, v0
	s_waitcnt vmcnt(0) lgkmcnt(0)
	v_mov_b32_e32 v13, v11
	s_barrier
	s_and_saveexec_b64 s[0:1], vcc
; %bb.43:
	v_add_u32_e32 v13, -2, v12
	ds_read_u16 v13, v13
; %bb.44:
	s_or_b64 exec, exec, s[0:1]
	s_movk_i32 s0, 0x6667
	v_mul_i32_i24_sdwa v14, sext(v49), s0 dst_sel:DWORD dst_unused:UNUSED_PAD src0_sel:WORD_0 src1_sel:DWORD
	v_lshrrev_b32_e32 v15, 31, v14
	v_ashrrev_i32_e32 v14, 18, v14
	v_add_u16_e32 v14, v14, v15
	v_mul_i32_i24_sdwa v15, sext(v48), s0 dst_sel:DWORD dst_unused:UNUSED_PAD src0_sel:WORD_0 src1_sel:DWORD
	v_lshrrev_b32_e32 v16, 31, v15
	v_ashrrev_i32_e32 v15, 18, v15
	v_add_u16_e32 v15, v15, v16
	v_cmp_ne_u16_e32 vcc, v14, v15
	v_mul_i32_i24_sdwa v15, sext(v50), s0 dst_sel:DWORD dst_unused:UNUSED_PAD src0_sel:WORD_0 src1_sel:DWORD
	v_lshrrev_b32_e32 v16, 31, v15
	v_ashrrev_i32_e32 v15, 18, v15
	v_add_u16_e32 v15, v15, v16
	v_cndmask_b32_e64 v58, 0, 1, vcc
	v_cmp_ne_u16_e32 vcc, v15, v14
	v_mul_i32_i24_sdwa v14, sext(v2), s0 dst_sel:DWORD dst_unused:UNUSED_PAD src0_sel:WORD_0 src1_sel:DWORD
	v_lshrrev_b32_e32 v16, 31, v14
	v_ashrrev_i32_e32 v14, 18, v14
	v_add_u16_e32 v14, v14, v16
	v_cndmask_b32_e64 v59, 0, 1, vcc
	;; [unrolled: 6-line block ×15, first 2 shown]
	v_cmp_ne_u16_e32 vcc, v15, v14
	v_mul_i32_i24_sdwa v14, sext(v7), s0 dst_sel:DWORD dst_unused:UNUSED_PAD src0_sel:WORD_0 src1_sel:DWORD
	v_lshrrev_b32_e32 v16, 31, v14
	v_ashrrev_i32_e32 v14, 18, v14
	v_add_u16_e32 v14, v14, v16
	s_waitcnt lgkmcnt(0)
	v_mul_i32_i24_sdwa v13, sext(v13), s0 dst_sel:DWORD dst_unused:UNUSED_PAD src0_sel:WORD_0 src1_sel:DWORD
	v_cndmask_b32_e64 v73, 0, 1, vcc
	v_cmp_ne_u16_e32 vcc, v14, v15
	v_lshrrev_b32_e32 v15, 31, v13
	v_ashrrev_i32_e32 v13, 18, v13
	v_add_u16_e32 v13, v13, v15
	v_cndmask_b32_e64 v74, 0, 1, vcc
	v_cmp_ne_u16_e64 s[54:55], v13, v14
	s_branch .LBB505_86
.LBB505_45:
                                        ; implicit-def: $sgpr54_sgpr55
                                        ; implicit-def: $vgpr58
                                        ; implicit-def: $vgpr59
                                        ; implicit-def: $vgpr60
                                        ; implicit-def: $vgpr61
                                        ; implicit-def: $vgpr62
                                        ; implicit-def: $vgpr63
                                        ; implicit-def: $vgpr64
                                        ; implicit-def: $vgpr65
                                        ; implicit-def: $vgpr66
                                        ; implicit-def: $vgpr74
                                        ; implicit-def: $vgpr73
                                        ; implicit-def: $vgpr72
                                        ; implicit-def: $vgpr71
                                        ; implicit-def: $vgpr70
                                        ; implicit-def: $vgpr69
                                        ; implicit-def: $vgpr68
                                        ; implicit-def: $vgpr67
	s_branch .LBB505_87
.LBB505_46:
                                        ; implicit-def: $sgpr54_sgpr55
                                        ; implicit-def: $vgpr58
                                        ; implicit-def: $vgpr59
                                        ; implicit-def: $vgpr60
                                        ; implicit-def: $vgpr61
                                        ; implicit-def: $vgpr62
                                        ; implicit-def: $vgpr63
                                        ; implicit-def: $vgpr64
                                        ; implicit-def: $vgpr65
                                        ; implicit-def: $vgpr66
                                        ; implicit-def: $vgpr74
                                        ; implicit-def: $vgpr73
                                        ; implicit-def: $vgpr72
                                        ; implicit-def: $vgpr71
                                        ; implicit-def: $vgpr70
                                        ; implicit-def: $vgpr69
                                        ; implicit-def: $vgpr68
                                        ; implicit-def: $vgpr67
	s_cbranch_execz .LBB505_86
; %bb.47:
	v_add_u32_e32 v13, 17, v9
	v_cmp_gt_u32_e32 vcc, s7, v13
	s_mov_b64 s[2:3], 0
	s_mov_b64 s[0:1], 0
	s_and_saveexec_b64 s[8:9], vcc
	s_cbranch_execz .LBB505_49
; %bb.48:
	s_movk_i32 s0, 0x6667
	v_mul_i32_i24_sdwa v13, sext(v49), s0 dst_sel:DWORD dst_unused:UNUSED_PAD src0_sel:WORD_0 src1_sel:DWORD
	v_lshrrev_b32_e32 v14, 31, v13
	v_ashrrev_i32_e32 v13, 18, v13
	v_add_u16_e32 v13, v13, v14
	v_mul_i32_i24_sdwa v14, sext(v48), s0 dst_sel:DWORD dst_unused:UNUSED_PAD src0_sel:WORD_0 src1_sel:DWORD
	v_lshrrev_b32_e32 v15, 31, v14
	v_ashrrev_i32_e32 v14, 18, v14
	v_add_u16_e32 v14, v14, v15
	v_cmp_ne_u16_e32 vcc, v13, v14
	s_and_b64 s[0:1], vcc, exec
.LBB505_49:
	s_or_b64 exec, exec, s[8:9]
	v_add_u32_e32 v13, 16, v9
	v_cmp_gt_u32_e32 vcc, s7, v13
	s_and_saveexec_b64 s[8:9], vcc
	s_cbranch_execz .LBB505_51
; %bb.50:
	s_movk_i32 s2, 0x6667
	v_mul_i32_i24_sdwa v13, sext(v50), s2 dst_sel:DWORD dst_unused:UNUSED_PAD src0_sel:WORD_0 src1_sel:DWORD
	v_lshrrev_b32_e32 v14, 31, v13
	v_ashrrev_i32_e32 v13, 18, v13
	v_add_u16_e32 v13, v13, v14
	v_mul_i32_i24_sdwa v14, sext(v49), s2 dst_sel:DWORD dst_unused:UNUSED_PAD src0_sel:WORD_0 src1_sel:DWORD
	v_lshrrev_b32_e32 v15, 31, v14
	v_ashrrev_i32_e32 v14, 18, v14
	v_add_u16_e32 v14, v14, v15
	v_cmp_ne_u16_e32 vcc, v13, v14
	s_and_b64 s[2:3], vcc, exec
.LBB505_51:
	s_or_b64 exec, exec, s[8:9]
	v_add_u32_e32 v13, 15, v9
	v_cmp_gt_u32_e32 vcc, s7, v13
	s_mov_b64 s[10:11], 0
	s_mov_b64 s[8:9], 0
	s_and_saveexec_b64 s[12:13], vcc
	s_cbranch_execz .LBB505_53
; %bb.52:
	s_movk_i32 s8, 0x6667
	v_mul_i32_i24_sdwa v13, sext(v2), s8 dst_sel:DWORD dst_unused:UNUSED_PAD src0_sel:WORD_0 src1_sel:DWORD
	v_lshrrev_b32_e32 v14, 31, v13
	v_ashrrev_i32_e32 v13, 18, v13
	v_add_u16_e32 v13, v13, v14
	v_mul_i32_i24_sdwa v14, sext(v50), s8 dst_sel:DWORD dst_unused:UNUSED_PAD src0_sel:WORD_0 src1_sel:DWORD
	v_lshrrev_b32_e32 v15, 31, v14
	v_ashrrev_i32_e32 v14, 18, v14
	v_add_u16_e32 v14, v14, v15
	v_cmp_ne_u16_e32 vcc, v13, v14
	s_and_b64 s[8:9], vcc, exec
.LBB505_53:
	s_or_b64 exec, exec, s[12:13]
	v_add_u32_e32 v13, 14, v9
	v_cmp_gt_u32_e32 vcc, s7, v13
	s_and_saveexec_b64 s[12:13], vcc
	s_cbranch_execz .LBB505_55
; %bb.54:
	s_movk_i32 s10, 0x6667
	v_mul_i32_i24_sdwa v13, sext(v51), s10 dst_sel:DWORD dst_unused:UNUSED_PAD src0_sel:WORD_0 src1_sel:DWORD
	v_lshrrev_b32_e32 v14, 31, v13
	v_ashrrev_i32_e32 v13, 18, v13
	v_add_u16_e32 v13, v13, v14
	v_mul_i32_i24_sdwa v14, sext(v2), s10 dst_sel:DWORD dst_unused:UNUSED_PAD src0_sel:WORD_0 src1_sel:DWORD
	v_lshrrev_b32_e32 v15, 31, v14
	v_ashrrev_i32_e32 v14, 18, v14
	v_add_u16_e32 v14, v14, v15
	v_cmp_ne_u16_e32 vcc, v13, v14
	s_and_b64 s[10:11], vcc, exec
.LBB505_55:
	s_or_b64 exec, exec, s[12:13]
	;; [unrolled: 38-line block ×8, first 2 shown]
	v_or_b32_e32 v13, 1, v9
	v_cmp_gt_u32_e32 vcc, s7, v13
	s_mov_b64 s[38:39], 0
	s_and_saveexec_b64 s[52:53], vcc
	s_cbranch_execz .LBB505_81
; %bb.80:
	s_movk_i32 s33, 0x6667
	v_mul_i32_i24_sdwa v13, sext(v7), s33 dst_sel:DWORD dst_unused:UNUSED_PAD src0_sel:WORD_0 src1_sel:DWORD
	v_lshrrev_b32_e32 v14, 31, v13
	v_ashrrev_i32_e32 v13, 18, v13
	v_add_u16_e32 v13, v13, v14
	v_mul_i32_i24_sdwa v14, sext(v57), s33 dst_sel:DWORD dst_unused:UNUSED_PAD src0_sel:WORD_0 src1_sel:DWORD
	v_lshrrev_b32_e32 v15, 31, v14
	v_ashrrev_i32_e32 v14, 18, v14
	v_add_u16_e32 v14, v14, v15
	v_cmp_ne_u16_e32 vcc, v13, v14
	s_and_b64 s[38:39], vcc, exec
.LBB505_81:
	s_or_b64 exec, exec, s[52:53]
	v_cmp_ne_u32_e32 vcc, 0, v0
	s_waitcnt vmcnt(0) lgkmcnt(0)
	s_barrier
	s_and_saveexec_b64 s[52:53], vcc
; %bb.82:
	v_add_u32_e32 v11, -2, v12
	ds_read_u16 v11, v11
; %bb.83:
	s_or_b64 exec, exec, s[52:53]
	v_cmp_gt_u32_e32 vcc, s7, v9
	s_mov_b64 s[54:55], 0
	s_and_saveexec_b64 s[52:53], vcc
	s_cbranch_execz .LBB505_85
; %bb.84:
	s_movk_i32 s33, 0x6667
	s_waitcnt lgkmcnt(0)
	v_mul_i32_i24_sdwa v11, sext(v11), s33 dst_sel:DWORD dst_unused:UNUSED_PAD src0_sel:WORD_0 src1_sel:DWORD
	v_lshrrev_b32_e32 v12, 31, v11
	v_ashrrev_i32_e32 v11, 18, v11
	v_add_u16_e32 v11, v11, v12
	v_mul_i32_i24_sdwa v12, sext(v7), s33 dst_sel:DWORD dst_unused:UNUSED_PAD src0_sel:WORD_0 src1_sel:DWORD
	v_lshrrev_b32_e32 v13, 31, v12
	v_ashrrev_i32_e32 v12, 18, v12
	v_add_u16_e32 v12, v12, v13
	v_cmp_ne_u16_e32 vcc, v11, v12
	s_and_b64 s[54:55], vcc, exec
.LBB505_85:
	s_or_b64 exec, exec, s[52:53]
	v_cndmask_b32_e64 v74, 0, 1, s[38:39]
	v_cndmask_b32_e64 v73, 0, 1, s[36:37]
	;; [unrolled: 1-line block ×17, first 2 shown]
.LBB505_86:
	s_mov_b64 s[52:53], -1
	s_cbranch_execnz .LBB505_131
.LBB505_87:
	s_movk_i32 s0, 0xffde
	v_mad_i32_i24 v10, v0, s0, v10
	s_and_b64 vcc, exec, s[46:47]
	ds_write_b16 v10, v48
	s_cbranch_vccz .LBB505_91
; %bb.88:
	s_movk_i32 s33, 0x6667
	s_waitcnt vmcnt(0) lgkmcnt(0)
	v_mul_i32_i24_sdwa v11, sext(v49), s33 dst_sel:DWORD dst_unused:UNUSED_PAD src0_sel:WORD_0 src1_sel:DWORD
	v_lshrrev_b32_e32 v12, 31, v11
	v_ashrrev_i32_e32 v11, 18, v11
	v_add_u16_e32 v11, v11, v12
	v_mul_i32_i24_sdwa v12, sext(v48), s33 dst_sel:DWORD dst_unused:UNUSED_PAD src0_sel:WORD_0 src1_sel:DWORD
	v_lshrrev_b32_e32 v13, 31, v12
	v_ashrrev_i32_e32 v12, 18, v12
	v_add_u16_e32 v12, v12, v13
	v_cmp_ne_u16_e32 vcc, v11, v12
	v_mul_i32_i24_sdwa v12, sext(v50), s33 dst_sel:DWORD dst_unused:UNUSED_PAD src0_sel:WORD_0 src1_sel:DWORD
	v_lshrrev_b32_e32 v13, 31, v12
	v_ashrrev_i32_e32 v12, 18, v12
	v_add_u16_e32 v12, v12, v13
	v_cmp_ne_u16_e64 s[0:1], v12, v11
	v_mul_i32_i24_sdwa v11, sext(v2), s33 dst_sel:DWORD dst_unused:UNUSED_PAD src0_sel:WORD_0 src1_sel:DWORD
	v_lshrrev_b32_e32 v13, 31, v11
	v_ashrrev_i32_e32 v11, 18, v11
	v_add_u16_e32 v11, v11, v13
	v_cmp_ne_u16_e64 s[2:3], v11, v12
	;; [unrolled: 5-line block ×16, first 2 shown]
	v_cmp_ne_u32_e64 s[38:39], 0, v0
	s_barrier
                                        ; implicit-def: $sgpr54_sgpr55
	s_and_saveexec_b64 s[56:57], s[38:39]
	s_xor_b64 s[38:39], exec, s[56:57]
	s_cbranch_execz .LBB505_90
; %bb.89:
	v_add_u32_e32 v12, -2, v10
	ds_read_i16 v12, v12
	s_or_b64 s[52:53], s[52:53], exec
	s_waitcnt lgkmcnt(0)
	v_mul_i32_i24_e32 v12, 0x6667, v12
	v_lshrrev_b32_e32 v13, 31, v12
	v_ashrrev_i32_e32 v12, 18, v12
	v_add_u16_e32 v12, v12, v13
	v_cmp_ne_u16_e64 s[54:55], v12, v11
.LBB505_90:
	s_or_b64 exec, exec, s[38:39]
	v_cndmask_b32_e64 v58, 0, 1, vcc
	v_cndmask_b32_e64 v59, 0, 1, s[0:1]
	v_cndmask_b32_e64 v60, 0, 1, s[2:3]
	;; [unrolled: 1-line block ×16, first 2 shown]
	s_branch .LBB505_131
.LBB505_91:
                                        ; implicit-def: $sgpr54_sgpr55
                                        ; implicit-def: $vgpr58
                                        ; implicit-def: $vgpr59
                                        ; implicit-def: $vgpr60
                                        ; implicit-def: $vgpr61
                                        ; implicit-def: $vgpr62
                                        ; implicit-def: $vgpr63
                                        ; implicit-def: $vgpr64
                                        ; implicit-def: $vgpr65
                                        ; implicit-def: $vgpr66
                                        ; implicit-def: $vgpr74
                                        ; implicit-def: $vgpr73
                                        ; implicit-def: $vgpr72
                                        ; implicit-def: $vgpr71
                                        ; implicit-def: $vgpr70
                                        ; implicit-def: $vgpr69
                                        ; implicit-def: $vgpr68
                                        ; implicit-def: $vgpr67
	s_cbranch_execz .LBB505_131
; %bb.92:
	s_waitcnt vmcnt(0) lgkmcnt(0)
	v_add_u32_e32 v11, 17, v9
	v_cmp_gt_u32_e32 vcc, s7, v11
	s_mov_b64 s[2:3], 0
	s_mov_b64 s[0:1], 0
	s_and_saveexec_b64 s[8:9], vcc
	s_cbranch_execz .LBB505_94
; %bb.93:
	s_movk_i32 s0, 0x6667
	v_mul_i32_i24_sdwa v11, sext(v49), s0 dst_sel:DWORD dst_unused:UNUSED_PAD src0_sel:WORD_0 src1_sel:DWORD
	v_lshrrev_b32_e32 v12, 31, v11
	v_ashrrev_i32_e32 v11, 18, v11
	v_add_u16_e32 v11, v11, v12
	v_mul_i32_i24_sdwa v12, sext(v48), s0 dst_sel:DWORD dst_unused:UNUSED_PAD src0_sel:WORD_0 src1_sel:DWORD
	v_lshrrev_b32_e32 v13, 31, v12
	v_ashrrev_i32_e32 v12, 18, v12
	v_add_u16_e32 v12, v12, v13
	v_cmp_ne_u16_e32 vcc, v11, v12
	s_and_b64 s[0:1], vcc, exec
.LBB505_94:
	s_or_b64 exec, exec, s[8:9]
	v_add_u32_e32 v11, 16, v9
	v_cmp_gt_u32_e32 vcc, s7, v11
	s_and_saveexec_b64 s[8:9], vcc
	s_cbranch_execz .LBB505_96
; %bb.95:
	s_movk_i32 s2, 0x6667
	v_mul_i32_i24_sdwa v11, sext(v50), s2 dst_sel:DWORD dst_unused:UNUSED_PAD src0_sel:WORD_0 src1_sel:DWORD
	v_lshrrev_b32_e32 v12, 31, v11
	v_ashrrev_i32_e32 v11, 18, v11
	v_add_u16_e32 v11, v11, v12
	v_mul_i32_i24_sdwa v12, sext(v49), s2 dst_sel:DWORD dst_unused:UNUSED_PAD src0_sel:WORD_0 src1_sel:DWORD
	v_lshrrev_b32_e32 v13, 31, v12
	v_ashrrev_i32_e32 v12, 18, v12
	v_add_u16_e32 v12, v12, v13
	v_cmp_ne_u16_e32 vcc, v11, v12
	s_and_b64 s[2:3], vcc, exec
.LBB505_96:
	s_or_b64 exec, exec, s[8:9]
	v_add_u32_e32 v11, 15, v9
	v_cmp_gt_u32_e32 vcc, s7, v11
	s_mov_b64 s[10:11], 0
	s_mov_b64 s[8:9], 0
	s_and_saveexec_b64 s[12:13], vcc
	s_cbranch_execz .LBB505_98
; %bb.97:
	s_movk_i32 s8, 0x6667
	v_mul_i32_i24_sdwa v11, sext(v2), s8 dst_sel:DWORD dst_unused:UNUSED_PAD src0_sel:WORD_0 src1_sel:DWORD
	v_lshrrev_b32_e32 v12, 31, v11
	v_ashrrev_i32_e32 v11, 18, v11
	v_add_u16_e32 v11, v11, v12
	v_mul_i32_i24_sdwa v12, sext(v50), s8 dst_sel:DWORD dst_unused:UNUSED_PAD src0_sel:WORD_0 src1_sel:DWORD
	v_lshrrev_b32_e32 v13, 31, v12
	v_ashrrev_i32_e32 v12, 18, v12
	v_add_u16_e32 v12, v12, v13
	v_cmp_ne_u16_e32 vcc, v11, v12
	s_and_b64 s[8:9], vcc, exec
.LBB505_98:
	s_or_b64 exec, exec, s[12:13]
	v_add_u32_e32 v11, 14, v9
	v_cmp_gt_u32_e32 vcc, s7, v11
	s_and_saveexec_b64 s[12:13], vcc
	s_cbranch_execz .LBB505_100
; %bb.99:
	s_movk_i32 s10, 0x6667
	v_mul_i32_i24_sdwa v11, sext(v51), s10 dst_sel:DWORD dst_unused:UNUSED_PAD src0_sel:WORD_0 src1_sel:DWORD
	v_lshrrev_b32_e32 v12, 31, v11
	v_ashrrev_i32_e32 v11, 18, v11
	v_add_u16_e32 v11, v11, v12
	v_mul_i32_i24_sdwa v12, sext(v2), s10 dst_sel:DWORD dst_unused:UNUSED_PAD src0_sel:WORD_0 src1_sel:DWORD
	v_lshrrev_b32_e32 v13, 31, v12
	v_ashrrev_i32_e32 v12, 18, v12
	v_add_u16_e32 v12, v12, v13
	v_cmp_ne_u16_e32 vcc, v11, v12
	s_and_b64 s[10:11], vcc, exec
.LBB505_100:
	s_or_b64 exec, exec, s[12:13]
	;; [unrolled: 38-line block ×8, first 2 shown]
	v_or_b32_e32 v11, 1, v9
	v_cmp_gt_u32_e32 vcc, s7, v11
	s_mov_b64 s[38:39], 0
	s_and_saveexec_b64 s[54:55], vcc
	s_cbranch_execz .LBB505_126
; %bb.125:
	s_movk_i32 s33, 0x6667
	v_mul_i32_i24_sdwa v11, sext(v7), s33 dst_sel:DWORD dst_unused:UNUSED_PAD src0_sel:WORD_0 src1_sel:DWORD
	v_lshrrev_b32_e32 v12, 31, v11
	v_ashrrev_i32_e32 v11, 18, v11
	v_add_u16_e32 v11, v11, v12
	v_mul_i32_i24_sdwa v12, sext(v57), s33 dst_sel:DWORD dst_unused:UNUSED_PAD src0_sel:WORD_0 src1_sel:DWORD
	v_lshrrev_b32_e32 v13, 31, v12
	v_ashrrev_i32_e32 v12, 18, v12
	v_add_u16_e32 v12, v12, v13
	v_cmp_ne_u16_e32 vcc, v11, v12
	s_and_b64 s[38:39], vcc, exec
.LBB505_126:
	s_or_b64 exec, exec, s[54:55]
	v_cmp_ne_u32_e32 vcc, 0, v0
	s_barrier
                                        ; implicit-def: $sgpr54_sgpr55
	s_and_saveexec_b64 s[56:57], vcc
	s_cbranch_execz .LBB505_130
; %bb.127:
	v_cmp_gt_u32_e32 vcc, s7, v9
	s_mov_b64 s[54:55], 0
	s_and_saveexec_b64 s[58:59], vcc
	s_cbranch_execz .LBB505_129
; %bb.128:
	v_add_u32_e32 v10, -2, v10
	ds_read_i16 v10, v10
	s_movk_i32 s33, 0x6667
	v_mul_i32_i24_sdwa v11, sext(v7), s33 dst_sel:DWORD dst_unused:UNUSED_PAD src0_sel:WORD_0 src1_sel:DWORD
	v_lshrrev_b32_e32 v12, 31, v11
	v_ashrrev_i32_e32 v11, 18, v11
	s_waitcnt lgkmcnt(0)
	v_mul_i32_i24_e32 v10, 0x6667, v10
	v_lshrrev_b32_e32 v13, 31, v10
	v_ashrrev_i32_e32 v10, 18, v10
	v_add_u16_e32 v10, v10, v13
	v_add_u16_e32 v11, v11, v12
	v_cmp_ne_u16_e32 vcc, v10, v11
	s_and_b64 s[54:55], vcc, exec
.LBB505_129:
	s_or_b64 exec, exec, s[58:59]
	s_or_b64 s[52:53], s[52:53], exec
.LBB505_130:
	s_or_b64 exec, exec, s[56:57]
	v_cndmask_b32_e64 v73, 0, 1, s[36:37]
	v_cndmask_b32_e64 v72, 0, 1, s[34:35]
	;; [unrolled: 1-line block ×17, first 2 shown]
.LBB505_131:
	v_mov_b32_e32 v20, 1
	s_and_saveexec_b64 s[0:1], s[52:53]
; %bb.132:
	v_cndmask_b32_e64 v20, 0, 1, s[54:55]
; %bb.133:
	s_or_b64 exec, exec, s[0:1]
	s_load_dwordx2 s[22:23], s[4:5], 0x60
	s_andn2_b64 vcc, exec, s[48:49]
	s_cbranch_vccnz .LBB505_135
; %bb.134:
	v_cmp_gt_u32_e32 vcc, s7, v9
	v_or_b32_e32 v10, 1, v9
	v_cndmask_b32_e32 v20, 0, v20, vcc
	v_cmp_gt_u32_e32 vcc, s7, v10
	v_add_u32_e32 v10, 2, v9
	v_cndmask_b32_e32 v74, 0, v74, vcc
	v_cmp_gt_u32_e32 vcc, s7, v10
	v_add_u32_e32 v10, 3, v9
	;; [unrolled: 3-line block ×16, first 2 shown]
	v_cndmask_b32_e32 v59, 0, v59, vcc
	v_cmp_gt_u32_e32 vcc, s7, v9
	v_cndmask_b32_e32 v58, 0, v58, vcc
.LBB505_135:
	v_and_b32_e32 v33, 0xff, v70
	v_and_b32_e32 v34, 0xff, v69
	v_add_u32_sdwa v10, v68, v67 dst_sel:DWORD dst_unused:UNUSED_PAD src0_sel:BYTE_0 src1_sel:BYTE_0
	v_and_b32_e32 v29, 0xff, v72
	v_and_b32_e32 v31, 0xff, v71
	v_add3_u32 v10, v10, v34, v33
	v_and_b32_e32 v25, 0xff, v74
	v_and_b32_e32 v27, 0xff, v73
	v_add3_u32 v10, v10, v31, v29
	;; [unrolled: 3-line block ×7, first 2 shown]
	v_add3_u32 v37, v10, v32, v9
	v_mbcnt_lo_u32_b32 v9, -1, 0
	v_mbcnt_hi_u32_b32 v35, -1, v9
	v_and_b32_e32 v9, 15, v35
	v_cmp_eq_u32_e64 s[14:15], 0, v9
	v_cmp_lt_u32_e64 s[12:13], 1, v9
	v_cmp_lt_u32_e64 s[10:11], 3, v9
	;; [unrolled: 1-line block ×3, first 2 shown]
	v_and_b32_e32 v9, 16, v35
	v_cmp_eq_u32_e64 s[2:3], 0, v9
	v_and_b32_e32 v9, 0xc0, v0
	v_min_u32_e32 v9, 0x80, v9
	v_or_b32_e32 v9, 63, v9
	v_cmp_lt_u32_e64 s[0:1], 31, v35
	v_lshrrev_b32_e32 v36, 6, v0
	v_cmp_eq_u32_e64 s[18:19], v0, v9
	s_and_b64 vcc, exec, s[50:51]
	s_waitcnt vmcnt(0) lgkmcnt(0)
	s_barrier
	s_cbranch_vccz .LBB505_157
; %bb.136:
	v_mov_b32_dpp v9, v37 row_shr:1 row_mask:0xf bank_mask:0xf
	v_cndmask_b32_e64 v9, v9, 0, s[14:15]
	v_add_u32_e32 v9, v9, v37
	s_nop 1
	v_mov_b32_dpp v10, v9 row_shr:2 row_mask:0xf bank_mask:0xf
	v_cndmask_b32_e64 v10, 0, v10, s[12:13]
	v_add_u32_e32 v9, v9, v10
	s_nop 1
	;; [unrolled: 4-line block ×4, first 2 shown]
	v_mov_b32_dpp v10, v9 row_bcast:15 row_mask:0xf bank_mask:0xf
	v_cndmask_b32_e64 v10, v10, 0, s[2:3]
	v_add_u32_e32 v9, v9, v10
	s_nop 1
	v_mov_b32_dpp v10, v9 row_bcast:31 row_mask:0xf bank_mask:0xf
	v_cndmask_b32_e64 v10, 0, v10, s[0:1]
	v_add_u32_e32 v9, v9, v10
	s_and_saveexec_b64 s[16:17], s[18:19]
; %bb.137:
	v_lshlrev_b32_e32 v10, 2, v36
	ds_write_b32 v10, v9
; %bb.138:
	s_or_b64 exec, exec, s[16:17]
	v_cmp_gt_u32_e32 vcc, 3, v0
	s_waitcnt lgkmcnt(0)
	s_barrier
	s_and_saveexec_b64 s[16:17], vcc
	s_cbranch_execz .LBB505_140
; %bb.139:
	v_lshlrev_b32_e32 v10, 2, v0
	ds_read_b32 v11, v10
	v_and_b32_e32 v12, 3, v35
	v_cmp_ne_u32_e32 vcc, 0, v12
	s_waitcnt lgkmcnt(0)
	v_mov_b32_dpp v13, v11 row_shr:1 row_mask:0xf bank_mask:0xf
	v_cndmask_b32_e32 v13, 0, v13, vcc
	v_add_u32_e32 v11, v13, v11
	v_cmp_lt_u32_e32 vcc, 1, v12
	s_nop 0
	v_mov_b32_dpp v13, v11 row_shr:2 row_mask:0xf bank_mask:0xf
	v_cndmask_b32_e32 v12, 0, v13, vcc
	v_add_u32_e32 v11, v11, v12
	ds_write_b32 v10, v11
.LBB505_140:
	s_or_b64 exec, exec, s[16:17]
	v_cmp_gt_u32_e32 vcc, 64, v0
	v_cmp_lt_u32_e64 s[16:17], 63, v0
	s_waitcnt lgkmcnt(0)
	s_barrier
                                        ; implicit-def: $vgpr38
	s_and_saveexec_b64 s[20:21], s[16:17]
	s_cbranch_execz .LBB505_142
; %bb.141:
	v_lshl_add_u32 v10, v36, 2, -4
	ds_read_b32 v38, v10
	s_waitcnt lgkmcnt(0)
	v_add_u32_e32 v9, v38, v9
.LBB505_142:
	s_or_b64 exec, exec, s[20:21]
	v_subrev_co_u32_e64 v10, s[16:17], 1, v35
	v_and_b32_e32 v11, 64, v35
	v_cmp_lt_i32_e64 s[20:21], v10, v11
	v_cndmask_b32_e64 v10, v10, v35, s[20:21]
	v_lshlrev_b32_e32 v10, 2, v10
	ds_bpermute_b32 v39, v10, v9
	s_and_saveexec_b64 s[20:21], vcc
	s_cbranch_execz .LBB505_162
; %bb.143:
	v_mov_b32_e32 v15, 0
	ds_read_b32 v9, v15 offset:8
	s_and_saveexec_b64 s[24:25], s[16:17]
	s_cbranch_execz .LBB505_145
; %bb.144:
	s_add_i32 s26, s6, 64
	s_mov_b32 s27, 0
	s_lshl_b64 s[26:27], s[26:27], 3
	s_add_u32 s26, s22, s26
	v_mov_b32_e32 v10, 1
	s_addc_u32 s27, s23, s27
	s_waitcnt lgkmcnt(0)
	global_store_dwordx2 v15, v[9:10], s[26:27]
.LBB505_145:
	s_or_b64 exec, exec, s[24:25]
	v_xad_u32 v11, v35, -1, s6
	v_add_u32_e32 v14, 64, v11
	v_lshlrev_b64 v[12:13], 3, v[14:15]
	v_mov_b32_e32 v10, s23
	v_add_co_u32_e32 v16, vcc, s22, v12
	v_addc_co_u32_e32 v17, vcc, v10, v13, vcc
	global_load_dwordx2 v[13:14], v[16:17], off glc
	s_waitcnt vmcnt(0)
	v_cmp_eq_u16_sdwa s[26:27], v14, v15 src0_sel:BYTE_0 src1_sel:DWORD
	s_and_saveexec_b64 s[24:25], s[26:27]
	s_cbranch_execz .LBB505_149
; %bb.146:
	s_mov_b64 s[26:27], 0
	v_mov_b32_e32 v10, 0
.LBB505_147:                            ; =>This Inner Loop Header: Depth=1
	global_load_dwordx2 v[13:14], v[16:17], off glc
	s_waitcnt vmcnt(0)
	v_cmp_ne_u16_sdwa s[28:29], v14, v10 src0_sel:BYTE_0 src1_sel:DWORD
	s_or_b64 s[26:27], s[28:29], s[26:27]
	s_andn2_b64 exec, exec, s[26:27]
	s_cbranch_execnz .LBB505_147
; %bb.148:
	s_or_b64 exec, exec, s[26:27]
.LBB505_149:
	s_or_b64 exec, exec, s[24:25]
	v_and_b32_e32 v41, 63, v35
	v_mov_b32_e32 v40, 2
	v_lshlrev_b64 v[15:16], v35, -1
	v_cmp_ne_u32_e32 vcc, 63, v41
	v_cmp_eq_u16_sdwa s[24:25], v14, v40 src0_sel:BYTE_0 src1_sel:DWORD
	v_addc_co_u32_e32 v17, vcc, 0, v35, vcc
	v_and_b32_e32 v10, s25, v16
	v_lshlrev_b32_e32 v42, 2, v17
	v_or_b32_e32 v10, 0x80000000, v10
	ds_bpermute_b32 v17, v42, v13
	v_and_b32_e32 v12, s24, v15
	v_ffbl_b32_e32 v10, v10
	v_add_u32_e32 v10, 32, v10
	v_ffbl_b32_e32 v12, v12
	v_min_u32_e32 v10, v12, v10
	v_cmp_lt_u32_e32 vcc, v41, v10
	s_waitcnt lgkmcnt(0)
	v_cndmask_b32_e32 v12, 0, v17, vcc
	v_cmp_gt_u32_e32 vcc, 62, v41
	v_add_u32_e32 v12, v12, v13
	v_cndmask_b32_e64 v13, 0, 2, vcc
	v_add_lshl_u32 v43, v13, v35, 2
	ds_bpermute_b32 v13, v43, v12
	v_add_u32_e32 v44, 2, v41
	v_cmp_le_u32_e32 vcc, v44, v10
	v_add_u32_e32 v46, 4, v41
	v_add_u32_e32 v76, 8, v41
	s_waitcnt lgkmcnt(0)
	v_cndmask_b32_e32 v13, 0, v13, vcc
	v_cmp_gt_u32_e32 vcc, 60, v41
	v_add_u32_e32 v12, v12, v13
	v_cndmask_b32_e64 v13, 0, 4, vcc
	v_add_lshl_u32 v45, v13, v35, 2
	ds_bpermute_b32 v13, v45, v12
	v_cmp_le_u32_e32 vcc, v46, v10
	v_add_u32_e32 v78, 16, v41
	v_add_u32_e32 v80, 32, v41
	s_waitcnt lgkmcnt(0)
	v_cndmask_b32_e32 v13, 0, v13, vcc
	v_cmp_gt_u32_e32 vcc, 56, v41
	v_add_u32_e32 v12, v12, v13
	v_cndmask_b32_e64 v13, 0, 8, vcc
	v_add_lshl_u32 v75, v13, v35, 2
	ds_bpermute_b32 v13, v75, v12
	v_cmp_le_u32_e32 vcc, v76, v10
	s_waitcnt lgkmcnt(0)
	v_cndmask_b32_e32 v13, 0, v13, vcc
	v_cmp_gt_u32_e32 vcc, 48, v41
	v_add_u32_e32 v12, v12, v13
	v_cndmask_b32_e64 v13, 0, 16, vcc
	v_add_lshl_u32 v77, v13, v35, 2
	ds_bpermute_b32 v13, v77, v12
	v_cmp_le_u32_e32 vcc, v78, v10
	s_waitcnt lgkmcnt(0)
	v_cndmask_b32_e32 v13, 0, v13, vcc
	v_add_u32_e32 v12, v12, v13
	v_mov_b32_e32 v13, 0x80
	v_lshl_or_b32 v79, v35, 2, v13
	ds_bpermute_b32 v13, v79, v12
	v_cmp_le_u32_e32 vcc, v80, v10
	s_waitcnt lgkmcnt(0)
	v_cndmask_b32_e32 v10, 0, v13, vcc
	v_add_u32_e32 v13, v12, v10
	v_mov_b32_e32 v12, 0
	s_branch .LBB505_152
.LBB505_150:                            ;   in Loop: Header=BB505_152 Depth=1
	s_or_b64 exec, exec, s[24:25]
	v_cmp_eq_u16_sdwa s[24:25], v14, v40 src0_sel:BYTE_0 src1_sel:DWORD
	v_and_b32_e32 v17, s25, v16
	v_or_b32_e32 v17, 0x80000000, v17
	ds_bpermute_b32 v81, v42, v13
	v_and_b32_e32 v18, s24, v15
	v_ffbl_b32_e32 v17, v17
	v_add_u32_e32 v17, 32, v17
	v_ffbl_b32_e32 v18, v18
	v_min_u32_e32 v17, v18, v17
	v_cmp_lt_u32_e32 vcc, v41, v17
	s_waitcnt lgkmcnt(0)
	v_cndmask_b32_e32 v18, 0, v81, vcc
	v_add_u32_e32 v13, v18, v13
	ds_bpermute_b32 v18, v43, v13
	v_cmp_le_u32_e32 vcc, v44, v17
	v_subrev_u32_e32 v11, 64, v11
	s_mov_b64 s[24:25], 0
	s_waitcnt lgkmcnt(0)
	v_cndmask_b32_e32 v18, 0, v18, vcc
	v_add_u32_e32 v13, v13, v18
	ds_bpermute_b32 v18, v45, v13
	v_cmp_le_u32_e32 vcc, v46, v17
	s_waitcnt lgkmcnt(0)
	v_cndmask_b32_e32 v18, 0, v18, vcc
	v_add_u32_e32 v13, v13, v18
	ds_bpermute_b32 v18, v75, v13
	v_cmp_le_u32_e32 vcc, v76, v17
	;; [unrolled: 5-line block ×4, first 2 shown]
	s_waitcnt lgkmcnt(0)
	v_cndmask_b32_e32 v17, 0, v18, vcc
	v_add3_u32 v13, v17, v10, v13
.LBB505_151:                            ;   in Loop: Header=BB505_152 Depth=1
	s_and_b64 vcc, exec, s[24:25]
	s_cbranch_vccnz .LBB505_158
.LBB505_152:                            ; =>This Loop Header: Depth=1
                                        ;     Child Loop BB505_155 Depth 2
	v_cmp_ne_u16_sdwa s[24:25], v14, v40 src0_sel:BYTE_0 src1_sel:DWORD
	v_mov_b32_e32 v10, v13
	s_cmp_lg_u64 s[24:25], exec
	s_mov_b64 s[24:25], -1
                                        ; implicit-def: $vgpr13
                                        ; implicit-def: $vgpr14
	s_cbranch_scc1 .LBB505_151
; %bb.153:                              ;   in Loop: Header=BB505_152 Depth=1
	v_lshlrev_b64 v[13:14], 3, v[11:12]
	v_mov_b32_e32 v18, s23
	v_add_co_u32_e32 v17, vcc, s22, v13
	v_addc_co_u32_e32 v18, vcc, v18, v14, vcc
	global_load_dwordx2 v[13:14], v[17:18], off glc
	s_waitcnt vmcnt(0)
	v_cmp_eq_u16_sdwa s[26:27], v14, v12 src0_sel:BYTE_0 src1_sel:DWORD
	s_and_saveexec_b64 s[24:25], s[26:27]
	s_cbranch_execz .LBB505_150
; %bb.154:                              ;   in Loop: Header=BB505_152 Depth=1
	s_mov_b64 s[26:27], 0
.LBB505_155:                            ;   Parent Loop BB505_152 Depth=1
                                        ; =>  This Inner Loop Header: Depth=2
	global_load_dwordx2 v[13:14], v[17:18], off glc
	s_waitcnt vmcnt(0)
	v_cmp_ne_u16_sdwa s[28:29], v14, v12 src0_sel:BYTE_0 src1_sel:DWORD
	s_or_b64 s[26:27], s[28:29], s[26:27]
	s_andn2_b64 exec, exec, s[26:27]
	s_cbranch_execnz .LBB505_155
; %bb.156:                              ;   in Loop: Header=BB505_152 Depth=1
	s_or_b64 exec, exec, s[26:27]
	s_branch .LBB505_150
.LBB505_157:
                                        ; implicit-def: $vgpr10
                                        ; implicit-def: $vgpr9
                                        ; implicit-def: $vgpr39
	s_load_dwordx2 s[4:5], s[4:5], 0x28
	s_cbranch_execnz .LBB505_163
	s_branch .LBB505_172
.LBB505_158:
	s_and_saveexec_b64 s[24:25], s[16:17]
	s_cbranch_execz .LBB505_160
; %bb.159:
	s_add_i32 s6, s6, 64
	s_mov_b32 s7, 0
	s_lshl_b64 s[6:7], s[6:7], 3
	s_add_u32 s6, s22, s6
	v_add_u32_e32 v11, v10, v9
	v_mov_b32_e32 v12, 2
	s_addc_u32 s7, s23, s7
	v_mov_b32_e32 v13, 0
	global_store_dwordx2 v13, v[11:12], s[6:7]
	ds_write_b64 v13, v[9:10] offset:6912
.LBB505_160:
	s_or_b64 exec, exec, s[24:25]
	v_cmp_eq_u32_e32 vcc, 0, v0
	s_and_b64 exec, exec, vcc
; %bb.161:
	v_mov_b32_e32 v9, 0
	ds_write_b32 v9, v10 offset:8
.LBB505_162:
	s_or_b64 exec, exec, s[20:21]
	v_mov_b32_e32 v9, 0
	s_waitcnt vmcnt(0) lgkmcnt(0)
	s_barrier
	ds_read_b32 v12, v9 offset:8
	s_waitcnt lgkmcnt(0)
	s_barrier
	ds_read_b64 v[9:10], v9 offset:6912
	v_cndmask_b32_e64 v11, v39, v38, s[16:17]
	v_cmp_ne_u32_e32 vcc, 0, v0
	v_cndmask_b32_e32 v11, 0, v11, vcc
	v_add_u32_e32 v39, v12, v11
	s_load_dwordx2 s[4:5], s[4:5], 0x28
	s_branch .LBB505_172
.LBB505_163:
	s_waitcnt lgkmcnt(0)
	v_mov_b32_dpp v9, v37 row_shr:1 row_mask:0xf bank_mask:0xf
	v_cndmask_b32_e64 v9, v9, 0, s[14:15]
	v_add_u32_e32 v9, v9, v37
	s_nop 1
	v_mov_b32_dpp v10, v9 row_shr:2 row_mask:0xf bank_mask:0xf
	v_cndmask_b32_e64 v10, 0, v10, s[12:13]
	v_add_u32_e32 v9, v9, v10
	s_nop 1
	;; [unrolled: 4-line block ×4, first 2 shown]
	v_mov_b32_dpp v10, v9 row_bcast:15 row_mask:0xf bank_mask:0xf
	v_cndmask_b32_e64 v10, v10, 0, s[2:3]
	v_add_u32_e32 v9, v9, v10
	s_nop 1
	v_mov_b32_dpp v10, v9 row_bcast:31 row_mask:0xf bank_mask:0xf
	v_cndmask_b32_e64 v10, 0, v10, s[0:1]
	v_add_u32_e32 v9, v9, v10
	s_and_saveexec_b64 s[0:1], s[18:19]
; %bb.164:
	v_lshlrev_b32_e32 v10, 2, v36
	ds_write_b32 v10, v9
; %bb.165:
	s_or_b64 exec, exec, s[0:1]
	v_cmp_gt_u32_e32 vcc, 3, v0
	s_waitcnt lgkmcnt(0)
	s_barrier
	s_and_saveexec_b64 s[0:1], vcc
	s_cbranch_execz .LBB505_167
; %bb.166:
	v_lshlrev_b32_e32 v10, 2, v0
	ds_read_b32 v11, v10
	v_and_b32_e32 v12, 3, v35
	v_cmp_ne_u32_e32 vcc, 0, v12
	s_waitcnt lgkmcnt(0)
	v_mov_b32_dpp v13, v11 row_shr:1 row_mask:0xf bank_mask:0xf
	v_cndmask_b32_e32 v13, 0, v13, vcc
	v_add_u32_e32 v11, v13, v11
	v_cmp_lt_u32_e32 vcc, 1, v12
	s_nop 0
	v_mov_b32_dpp v13, v11 row_shr:2 row_mask:0xf bank_mask:0xf
	v_cndmask_b32_e32 v12, 0, v13, vcc
	v_add_u32_e32 v11, v11, v12
	ds_write_b32 v10, v11
.LBB505_167:
	s_or_b64 exec, exec, s[0:1]
	v_cmp_lt_u32_e32 vcc, 63, v0
	v_mov_b32_e32 v10, 0
	v_mov_b32_e32 v11, 0
	s_waitcnt lgkmcnt(0)
	s_barrier
	s_and_saveexec_b64 s[0:1], vcc
; %bb.168:
	v_lshl_add_u32 v11, v36, 2, -4
	ds_read_b32 v11, v11
; %bb.169:
	s_or_b64 exec, exec, s[0:1]
	v_subrev_co_u32_e32 v12, vcc, 1, v35
	v_and_b32_e32 v13, 64, v35
	v_cmp_lt_i32_e64 s[0:1], v12, v13
	v_cndmask_b32_e64 v12, v12, v35, s[0:1]
	s_waitcnt lgkmcnt(0)
	v_add_u32_e32 v9, v11, v9
	v_lshlrev_b32_e32 v12, 2, v12
	ds_bpermute_b32 v12, v12, v9
	ds_read_b32 v9, v10 offset:8
	v_cmp_eq_u32_e64 s[0:1], 0, v0
	s_and_saveexec_b64 s[2:3], s[0:1]
	s_cbranch_execz .LBB505_171
; %bb.170:
	v_mov_b32_e32 v13, 0
	v_mov_b32_e32 v10, 2
	s_waitcnt lgkmcnt(0)
	global_store_dwordx2 v13, v[9:10], s[22:23] offset:512
.LBB505_171:
	s_or_b64 exec, exec, s[2:3]
	s_waitcnt lgkmcnt(1)
	v_cndmask_b32_e32 v10, v12, v11, vcc
	v_cndmask_b32_e64 v39, v10, 0, s[0:1]
	s_waitcnt vmcnt(0) lgkmcnt(0)
	s_barrier
	v_mov_b32_e32 v10, 0
.LBB505_172:
	v_add_u32_e32 v45, v39, v23
	v_add_u32_e32 v43, v45, v25
	;; [unrolled: 1-line block ×7, first 2 shown]
	v_add_u32_sdwa v29, v31, v68 dst_sel:DWORD dst_unused:UNUSED_PAD src0_sel:DWORD src1_sel:BYTE_0
	v_add_u32_sdwa v27, v29, v67 dst_sel:DWORD dst_unused:UNUSED_PAD src0_sel:DWORD src1_sel:BYTE_0
	v_add_u32_e32 v25, v27, v19
	v_add_u32_e32 v23, v25, v21
	;; [unrolled: 1-line block ×6, first 2 shown]
	s_movk_i32 s2, 0xc1
	v_add_u32_e32 v13, v15, v30
	s_waitcnt lgkmcnt(0)
	v_cmp_gt_u32_e32 vcc, s2, v9
	v_add_u32_e32 v11, v13, v32
	s_mov_b64 s[0:1], -1
	v_and_b32_e32 v75, 1, v20
	s_cbranch_vccnz .LBB505_176
; %bb.173:
	s_and_b64 vcc, exec, s[0:1]
	s_cbranch_vccnz .LBB505_213
.LBB505_174:
	v_cmp_eq_u32_e32 vcc, 0, v0
	s_and_b64 s[0:1], vcc, s[44:45]
	s_and_saveexec_b64 s[2:3], s[0:1]
	s_cbranch_execnz .LBB505_252
.LBB505_175:
	s_endpgm
.LBB505_176:
	v_add_u32_e32 v12, v10, v9
	s_lshl_b64 s[0:1], s[42:43], 1
	s_add_u32 s2, s4, s0
	v_cmp_lt_u32_e32 vcc, v39, v12
	s_addc_u32 s3, s5, s1
	s_or_b64 s[0:1], s[46:47], vcc
	v_cmp_eq_u32_e32 vcc, 1, v75
	s_and_b64 s[6:7], s[0:1], vcc
	s_and_saveexec_b64 s[0:1], s[6:7]
	s_cbranch_execz .LBB505_178
; %bb.177:
	v_mov_b32_e32 v40, 0
	v_lshlrev_b64 v[76:77], 1, v[39:40]
	v_mov_b32_e32 v14, s3
	v_add_co_u32_e32 v76, vcc, s2, v76
	v_addc_co_u32_e32 v77, vcc, v14, v77, vcc
	global_store_short v[76:77], v7, off
.LBB505_178:
	s_or_b64 exec, exec, s[0:1]
	v_cmp_lt_u32_e32 vcc, v45, v12
	v_and_b32_e32 v14, 1, v74
	s_or_b64 s[0:1], s[46:47], vcc
	v_cmp_eq_u32_e32 vcc, 1, v14
	s_and_b64 s[6:7], s[0:1], vcc
	s_and_saveexec_b64 s[0:1], s[6:7]
	s_cbranch_execz .LBB505_180
; %bb.179:
	v_mov_b32_e32 v46, 0
	v_lshlrev_b64 v[76:77], 1, v[45:46]
	v_mov_b32_e32 v14, s3
	v_add_co_u32_e32 v76, vcc, s2, v76
	v_addc_co_u32_e32 v77, vcc, v14, v77, vcc
	global_store_short v[76:77], v57, off
.LBB505_180:
	s_or_b64 exec, exec, s[0:1]
	v_cmp_lt_u32_e32 vcc, v43, v12
	v_and_b32_e32 v14, 1, v73
	;; [unrolled: 16-line block ×17, first 2 shown]
	s_or_b64 s[0:1], s[46:47], vcc
	v_cmp_eq_u32_e32 vcc, 1, v12
	s_and_b64 s[6:7], s[0:1], vcc
	s_and_saveexec_b64 s[0:1], s[6:7]
	s_cbranch_execz .LBB505_212
; %bb.211:
	v_mov_b32_e32 v12, 0
	v_lshlrev_b64 v[76:77], 1, v[11:12]
	v_mov_b32_e32 v12, s3
	v_add_co_u32_e32 v76, vcc, s2, v76
	v_addc_co_u32_e32 v77, vcc, v12, v77, vcc
	global_store_short v[76:77], v48, off
.LBB505_212:
	s_or_b64 exec, exec, s[0:1]
	s_branch .LBB505_174
.LBB505_213:
	v_cmp_eq_u32_e32 vcc, 1, v75
	s_and_saveexec_b64 s[0:1], vcc
; %bb.214:
	v_sub_u32_e32 v12, v39, v10
	v_lshlrev_b32_e32 v12, 1, v12
	ds_write_b16 v12, v7
; %bb.215:
	s_or_b64 exec, exec, s[0:1]
	v_and_b32_e32 v7, 1, v74
	v_cmp_eq_u32_e32 vcc, 1, v7
	s_and_saveexec_b64 s[0:1], vcc
; %bb.216:
	v_sub_u32_e32 v7, v45, v10
	v_lshlrev_b32_e32 v7, 1, v7
	ds_write_b16 v7, v57
; %bb.217:
	s_or_b64 exec, exec, s[0:1]
	v_and_b32_e32 v7, 1, v73
	v_cmp_eq_u32_e32 vcc, 1, v7
	s_and_saveexec_b64 s[0:1], vcc
; %bb.218:
	v_sub_u32_e32 v7, v43, v10
	v_lshlrev_b32_e32 v7, 1, v7
	ds_write_b16 v7, v8
; %bb.219:
	s_or_b64 exec, exec, s[0:1]
	v_and_b32_e32 v7, 1, v72
	v_cmp_eq_u32_e32 vcc, 1, v7
	s_and_saveexec_b64 s[0:1], vcc
; %bb.220:
	v_sub_u32_e32 v7, v41, v10
	v_lshlrev_b32_e32 v7, 1, v7
	ds_write_b16 v7, v56
; %bb.221:
	s_or_b64 exec, exec, s[0:1]
	v_and_b32_e32 v7, 1, v71
	v_cmp_eq_u32_e32 vcc, 1, v7
	s_and_saveexec_b64 s[0:1], vcc
; %bb.222:
	v_sub_u32_e32 v7, v37, v10
	v_lshlrev_b32_e32 v7, 1, v7
	ds_write_b16 v7, v5
; %bb.223:
	s_or_b64 exec, exec, s[0:1]
	v_and_b32_e32 v5, 1, v70
	v_cmp_eq_u32_e32 vcc, 1, v5
	s_and_saveexec_b64 s[0:1], vcc
; %bb.224:
	v_sub_u32_e32 v5, v35, v10
	v_lshlrev_b32_e32 v5, 1, v5
	ds_write_b16 v5, v55
; %bb.225:
	s_or_b64 exec, exec, s[0:1]
	v_and_b32_e32 v5, 1, v69
	v_cmp_eq_u32_e32 vcc, 1, v5
	s_and_saveexec_b64 s[0:1], vcc
; %bb.226:
	v_sub_u32_e32 v5, v33, v10
	v_lshlrev_b32_e32 v5, 1, v5
	ds_write_b16 v5, v6
; %bb.227:
	s_or_b64 exec, exec, s[0:1]
	v_and_b32_e32 v5, 1, v68
	v_cmp_eq_u32_e32 vcc, 1, v5
	s_and_saveexec_b64 s[0:1], vcc
; %bb.228:
	v_sub_u32_e32 v5, v31, v10
	v_lshlrev_b32_e32 v5, 1, v5
	ds_write_b16 v5, v54
; %bb.229:
	s_or_b64 exec, exec, s[0:1]
	v_and_b32_e32 v5, 1, v67
	v_cmp_eq_u32_e32 vcc, 1, v5
	s_and_saveexec_b64 s[0:1], vcc
; %bb.230:
	v_sub_u32_e32 v5, v29, v10
	v_lshlrev_b32_e32 v5, 1, v5
	ds_write_b16 v5, v3
; %bb.231:
	s_or_b64 exec, exec, s[0:1]
	v_and_b32_e32 v3, 1, v66
	v_cmp_eq_u32_e32 vcc, 1, v3
	s_and_saveexec_b64 s[0:1], vcc
; %bb.232:
	v_sub_u32_e32 v3, v27, v10
	v_lshlrev_b32_e32 v3, 1, v3
	ds_write_b16 v3, v53
; %bb.233:
	s_or_b64 exec, exec, s[0:1]
	v_and_b32_e32 v3, 1, v65
	v_cmp_eq_u32_e32 vcc, 1, v3
	s_and_saveexec_b64 s[0:1], vcc
; %bb.234:
	v_sub_u32_e32 v3, v25, v10
	v_lshlrev_b32_e32 v3, 1, v3
	ds_write_b16 v3, v4
; %bb.235:
	s_or_b64 exec, exec, s[0:1]
	v_and_b32_e32 v3, 1, v64
	v_cmp_eq_u32_e32 vcc, 1, v3
	s_and_saveexec_b64 s[0:1], vcc
; %bb.236:
	v_sub_u32_e32 v3, v23, v10
	v_lshlrev_b32_e32 v3, 1, v3
	ds_write_b16 v3, v52
; %bb.237:
	s_or_b64 exec, exec, s[0:1]
	v_and_b32_e32 v3, 1, v63
	v_cmp_eq_u32_e32 vcc, 1, v3
	s_and_saveexec_b64 s[0:1], vcc
; %bb.238:
	v_sub_u32_e32 v3, v21, v10
	v_lshlrev_b32_e32 v3, 1, v3
	ds_write_b16 v3, v1
; %bb.239:
	s_or_b64 exec, exec, s[0:1]
	v_and_b32_e32 v1, 1, v62
	v_cmp_eq_u32_e32 vcc, 1, v1
	s_and_saveexec_b64 s[0:1], vcc
; %bb.240:
	v_sub_u32_e32 v1, v19, v10
	v_lshlrev_b32_e32 v1, 1, v1
	ds_write_b16 v1, v51
; %bb.241:
	s_or_b64 exec, exec, s[0:1]
	v_and_b32_e32 v1, 1, v61
	v_cmp_eq_u32_e32 vcc, 1, v1
	s_and_saveexec_b64 s[0:1], vcc
; %bb.242:
	v_sub_u32_e32 v1, v17, v10
	v_lshlrev_b32_e32 v1, 1, v1
	ds_write_b16 v1, v2
; %bb.243:
	s_or_b64 exec, exec, s[0:1]
	v_and_b32_e32 v1, 1, v60
	v_cmp_eq_u32_e32 vcc, 1, v1
	s_and_saveexec_b64 s[0:1], vcc
; %bb.244:
	v_sub_u32_e32 v1, v15, v10
	v_lshlrev_b32_e32 v1, 1, v1
	ds_write_b16 v1, v50
; %bb.245:
	s_or_b64 exec, exec, s[0:1]
	v_and_b32_e32 v1, 1, v59
	v_cmp_eq_u32_e32 vcc, 1, v1
	s_and_saveexec_b64 s[0:1], vcc
; %bb.246:
	v_sub_u32_e32 v1, v13, v10
	v_lshlrev_b32_e32 v1, 1, v1
	ds_write_b16 v1, v49
; %bb.247:
	s_or_b64 exec, exec, s[0:1]
	v_and_b32_e32 v1, 1, v58
	v_cmp_eq_u32_e32 vcc, 1, v1
	s_and_saveexec_b64 s[0:1], vcc
; %bb.248:
	v_sub_u32_e32 v1, v11, v10
	v_lshlrev_b32_e32 v1, 1, v1
	ds_write_b16 v1, v48
; %bb.249:
	s_or_b64 exec, exec, s[0:1]
	v_mov_b32_e32 v2, 0
	v_mov_b32_e32 v11, v2
	s_lshl_b64 s[0:1], s[42:43], 1
	s_add_u32 s0, s4, s0
	v_lshlrev_b64 v[3:4], 1, v[10:11]
	s_addc_u32 s1, s5, s1
	v_mov_b32_e32 v1, s1
	v_add_co_u32_e32 v3, vcc, s0, v3
	v_addc_co_u32_e32 v4, vcc, v1, v4, vcc
	s_mov_b64 s[2:3], 0
	v_mov_b32_e32 v1, v0
	s_waitcnt vmcnt(0) lgkmcnt(0)
	s_barrier
.LBB505_250:                            ; =>This Inner Loop Header: Depth=1
	ds_read_u16 v7, v47
	v_lshlrev_b64 v[5:6], 1, v[1:2]
	v_add_u32_e32 v1, 0xc0, v1
	v_cmp_ge_u32_e32 vcc, v1, v9
	v_add_co_u32_e64 v5, s[0:1], v3, v5
	v_add_u32_e32 v47, 0x180, v47
	v_addc_co_u32_e64 v6, s[0:1], v4, v6, s[0:1]
	s_or_b64 s[2:3], vcc, s[2:3]
	s_waitcnt lgkmcnt(0)
	global_store_short v[5:6], v7, off
	s_andn2_b64 exec, exec, s[2:3]
	s_cbranch_execnz .LBB505_250
; %bb.251:
	s_or_b64 exec, exec, s[2:3]
	v_cmp_eq_u32_e32 vcc, 0, v0
	s_and_b64 s[0:1], vcc, s[44:45]
	s_and_saveexec_b64 s[2:3], s[0:1]
	s_cbranch_execz .LBB505_175
.LBB505_252:
	v_mov_b32_e32 v0, s43
	v_add_co_u32_e32 v1, vcc, s42, v9
	v_addc_co_u32_e32 v3, vcc, 0, v0, vcc
	v_add_co_u32_e32 v0, vcc, v1, v10
	v_mov_b32_e32 v2, 0
	v_addc_co_u32_e32 v1, vcc, 0, v3, vcc
	global_store_dwordx2 v2, v[0:1], s[40:41]
	s_endpgm
	.section	.rodata,"a",@progbits
	.p2align	6, 0x0
	.amdhsa_kernel _ZN7rocprim17ROCPRIM_400000_NS6detail17trampoline_kernelINS0_14default_configENS1_25partition_config_selectorILNS1_17partition_subalgoE8EsNS0_10empty_typeEbEEZZNS1_14partition_implILS5_8ELb0ES3_jN6thrust23THRUST_200600_302600_NS6detail15normal_iteratorINSA_10device_ptrIsEEEEPS6_PKS6_NS0_5tupleIJSF_S6_EEENSJ_IJSG_SG_EEENS0_18inequality_wrapperI22is_equal_div_10_uniqueIsEEEPmJS6_EEE10hipError_tPvRmT3_T4_T5_T6_T7_T9_mT8_P12ihipStream_tbDpT10_ENKUlT_T0_E_clISt17integral_constantIbLb0EES1A_EEDaS15_S16_EUlS15_E_NS1_11comp_targetILNS1_3genE2ELNS1_11target_archE906ELNS1_3gpuE6ELNS1_3repE0EEENS1_30default_config_static_selectorELNS0_4arch9wavefront6targetE1EEEvT1_
		.amdhsa_group_segment_fixed_size 6920
		.amdhsa_private_segment_fixed_size 0
		.amdhsa_kernarg_size 112
		.amdhsa_user_sgpr_count 6
		.amdhsa_user_sgpr_private_segment_buffer 1
		.amdhsa_user_sgpr_dispatch_ptr 0
		.amdhsa_user_sgpr_queue_ptr 0
		.amdhsa_user_sgpr_kernarg_segment_ptr 1
		.amdhsa_user_sgpr_dispatch_id 0
		.amdhsa_user_sgpr_flat_scratch_init 0
		.amdhsa_user_sgpr_private_segment_size 0
		.amdhsa_uses_dynamic_stack 0
		.amdhsa_system_sgpr_private_segment_wavefront_offset 0
		.amdhsa_system_sgpr_workgroup_id_x 1
		.amdhsa_system_sgpr_workgroup_id_y 0
		.amdhsa_system_sgpr_workgroup_id_z 0
		.amdhsa_system_sgpr_workgroup_info 0
		.amdhsa_system_vgpr_workitem_id 0
		.amdhsa_next_free_vgpr 82
		.amdhsa_next_free_sgpr 77
		.amdhsa_reserve_vcc 1
		.amdhsa_reserve_flat_scratch 0
		.amdhsa_float_round_mode_32 0
		.amdhsa_float_round_mode_16_64 0
		.amdhsa_float_denorm_mode_32 3
		.amdhsa_float_denorm_mode_16_64 3
		.amdhsa_dx10_clamp 1
		.amdhsa_ieee_mode 1
		.amdhsa_fp16_overflow 0
		.amdhsa_exception_fp_ieee_invalid_op 0
		.amdhsa_exception_fp_denorm_src 0
		.amdhsa_exception_fp_ieee_div_zero 0
		.amdhsa_exception_fp_ieee_overflow 0
		.amdhsa_exception_fp_ieee_underflow 0
		.amdhsa_exception_fp_ieee_inexact 0
		.amdhsa_exception_int_div_zero 0
	.end_amdhsa_kernel
	.section	.text._ZN7rocprim17ROCPRIM_400000_NS6detail17trampoline_kernelINS0_14default_configENS1_25partition_config_selectorILNS1_17partition_subalgoE8EsNS0_10empty_typeEbEEZZNS1_14partition_implILS5_8ELb0ES3_jN6thrust23THRUST_200600_302600_NS6detail15normal_iteratorINSA_10device_ptrIsEEEEPS6_PKS6_NS0_5tupleIJSF_S6_EEENSJ_IJSG_SG_EEENS0_18inequality_wrapperI22is_equal_div_10_uniqueIsEEEPmJS6_EEE10hipError_tPvRmT3_T4_T5_T6_T7_T9_mT8_P12ihipStream_tbDpT10_ENKUlT_T0_E_clISt17integral_constantIbLb0EES1A_EEDaS15_S16_EUlS15_E_NS1_11comp_targetILNS1_3genE2ELNS1_11target_archE906ELNS1_3gpuE6ELNS1_3repE0EEENS1_30default_config_static_selectorELNS0_4arch9wavefront6targetE1EEEvT1_,"axG",@progbits,_ZN7rocprim17ROCPRIM_400000_NS6detail17trampoline_kernelINS0_14default_configENS1_25partition_config_selectorILNS1_17partition_subalgoE8EsNS0_10empty_typeEbEEZZNS1_14partition_implILS5_8ELb0ES3_jN6thrust23THRUST_200600_302600_NS6detail15normal_iteratorINSA_10device_ptrIsEEEEPS6_PKS6_NS0_5tupleIJSF_S6_EEENSJ_IJSG_SG_EEENS0_18inequality_wrapperI22is_equal_div_10_uniqueIsEEEPmJS6_EEE10hipError_tPvRmT3_T4_T5_T6_T7_T9_mT8_P12ihipStream_tbDpT10_ENKUlT_T0_E_clISt17integral_constantIbLb0EES1A_EEDaS15_S16_EUlS15_E_NS1_11comp_targetILNS1_3genE2ELNS1_11target_archE906ELNS1_3gpuE6ELNS1_3repE0EEENS1_30default_config_static_selectorELNS0_4arch9wavefront6targetE1EEEvT1_,comdat
.Lfunc_end505:
	.size	_ZN7rocprim17ROCPRIM_400000_NS6detail17trampoline_kernelINS0_14default_configENS1_25partition_config_selectorILNS1_17partition_subalgoE8EsNS0_10empty_typeEbEEZZNS1_14partition_implILS5_8ELb0ES3_jN6thrust23THRUST_200600_302600_NS6detail15normal_iteratorINSA_10device_ptrIsEEEEPS6_PKS6_NS0_5tupleIJSF_S6_EEENSJ_IJSG_SG_EEENS0_18inequality_wrapperI22is_equal_div_10_uniqueIsEEEPmJS6_EEE10hipError_tPvRmT3_T4_T5_T6_T7_T9_mT8_P12ihipStream_tbDpT10_ENKUlT_T0_E_clISt17integral_constantIbLb0EES1A_EEDaS15_S16_EUlS15_E_NS1_11comp_targetILNS1_3genE2ELNS1_11target_archE906ELNS1_3gpuE6ELNS1_3repE0EEENS1_30default_config_static_selectorELNS0_4arch9wavefront6targetE1EEEvT1_, .Lfunc_end505-_ZN7rocprim17ROCPRIM_400000_NS6detail17trampoline_kernelINS0_14default_configENS1_25partition_config_selectorILNS1_17partition_subalgoE8EsNS0_10empty_typeEbEEZZNS1_14partition_implILS5_8ELb0ES3_jN6thrust23THRUST_200600_302600_NS6detail15normal_iteratorINSA_10device_ptrIsEEEEPS6_PKS6_NS0_5tupleIJSF_S6_EEENSJ_IJSG_SG_EEENS0_18inequality_wrapperI22is_equal_div_10_uniqueIsEEEPmJS6_EEE10hipError_tPvRmT3_T4_T5_T6_T7_T9_mT8_P12ihipStream_tbDpT10_ENKUlT_T0_E_clISt17integral_constantIbLb0EES1A_EEDaS15_S16_EUlS15_E_NS1_11comp_targetILNS1_3genE2ELNS1_11target_archE906ELNS1_3gpuE6ELNS1_3repE0EEENS1_30default_config_static_selectorELNS0_4arch9wavefront6targetE1EEEvT1_
                                        ; -- End function
	.set _ZN7rocprim17ROCPRIM_400000_NS6detail17trampoline_kernelINS0_14default_configENS1_25partition_config_selectorILNS1_17partition_subalgoE8EsNS0_10empty_typeEbEEZZNS1_14partition_implILS5_8ELb0ES3_jN6thrust23THRUST_200600_302600_NS6detail15normal_iteratorINSA_10device_ptrIsEEEEPS6_PKS6_NS0_5tupleIJSF_S6_EEENSJ_IJSG_SG_EEENS0_18inequality_wrapperI22is_equal_div_10_uniqueIsEEEPmJS6_EEE10hipError_tPvRmT3_T4_T5_T6_T7_T9_mT8_P12ihipStream_tbDpT10_ENKUlT_T0_E_clISt17integral_constantIbLb0EES1A_EEDaS15_S16_EUlS15_E_NS1_11comp_targetILNS1_3genE2ELNS1_11target_archE906ELNS1_3gpuE6ELNS1_3repE0EEENS1_30default_config_static_selectorELNS0_4arch9wavefront6targetE1EEEvT1_.num_vgpr, 82
	.set _ZN7rocprim17ROCPRIM_400000_NS6detail17trampoline_kernelINS0_14default_configENS1_25partition_config_selectorILNS1_17partition_subalgoE8EsNS0_10empty_typeEbEEZZNS1_14partition_implILS5_8ELb0ES3_jN6thrust23THRUST_200600_302600_NS6detail15normal_iteratorINSA_10device_ptrIsEEEEPS6_PKS6_NS0_5tupleIJSF_S6_EEENSJ_IJSG_SG_EEENS0_18inequality_wrapperI22is_equal_div_10_uniqueIsEEEPmJS6_EEE10hipError_tPvRmT3_T4_T5_T6_T7_T9_mT8_P12ihipStream_tbDpT10_ENKUlT_T0_E_clISt17integral_constantIbLb0EES1A_EEDaS15_S16_EUlS15_E_NS1_11comp_targetILNS1_3genE2ELNS1_11target_archE906ELNS1_3gpuE6ELNS1_3repE0EEENS1_30default_config_static_selectorELNS0_4arch9wavefront6targetE1EEEvT1_.num_agpr, 0
	.set _ZN7rocprim17ROCPRIM_400000_NS6detail17trampoline_kernelINS0_14default_configENS1_25partition_config_selectorILNS1_17partition_subalgoE8EsNS0_10empty_typeEbEEZZNS1_14partition_implILS5_8ELb0ES3_jN6thrust23THRUST_200600_302600_NS6detail15normal_iteratorINSA_10device_ptrIsEEEEPS6_PKS6_NS0_5tupleIJSF_S6_EEENSJ_IJSG_SG_EEENS0_18inequality_wrapperI22is_equal_div_10_uniqueIsEEEPmJS6_EEE10hipError_tPvRmT3_T4_T5_T6_T7_T9_mT8_P12ihipStream_tbDpT10_ENKUlT_T0_E_clISt17integral_constantIbLb0EES1A_EEDaS15_S16_EUlS15_E_NS1_11comp_targetILNS1_3genE2ELNS1_11target_archE906ELNS1_3gpuE6ELNS1_3repE0EEENS1_30default_config_static_selectorELNS0_4arch9wavefront6targetE1EEEvT1_.numbered_sgpr, 60
	.set _ZN7rocprim17ROCPRIM_400000_NS6detail17trampoline_kernelINS0_14default_configENS1_25partition_config_selectorILNS1_17partition_subalgoE8EsNS0_10empty_typeEbEEZZNS1_14partition_implILS5_8ELb0ES3_jN6thrust23THRUST_200600_302600_NS6detail15normal_iteratorINSA_10device_ptrIsEEEEPS6_PKS6_NS0_5tupleIJSF_S6_EEENSJ_IJSG_SG_EEENS0_18inequality_wrapperI22is_equal_div_10_uniqueIsEEEPmJS6_EEE10hipError_tPvRmT3_T4_T5_T6_T7_T9_mT8_P12ihipStream_tbDpT10_ENKUlT_T0_E_clISt17integral_constantIbLb0EES1A_EEDaS15_S16_EUlS15_E_NS1_11comp_targetILNS1_3genE2ELNS1_11target_archE906ELNS1_3gpuE6ELNS1_3repE0EEENS1_30default_config_static_selectorELNS0_4arch9wavefront6targetE1EEEvT1_.num_named_barrier, 0
	.set _ZN7rocprim17ROCPRIM_400000_NS6detail17trampoline_kernelINS0_14default_configENS1_25partition_config_selectorILNS1_17partition_subalgoE8EsNS0_10empty_typeEbEEZZNS1_14partition_implILS5_8ELb0ES3_jN6thrust23THRUST_200600_302600_NS6detail15normal_iteratorINSA_10device_ptrIsEEEEPS6_PKS6_NS0_5tupleIJSF_S6_EEENSJ_IJSG_SG_EEENS0_18inequality_wrapperI22is_equal_div_10_uniqueIsEEEPmJS6_EEE10hipError_tPvRmT3_T4_T5_T6_T7_T9_mT8_P12ihipStream_tbDpT10_ENKUlT_T0_E_clISt17integral_constantIbLb0EES1A_EEDaS15_S16_EUlS15_E_NS1_11comp_targetILNS1_3genE2ELNS1_11target_archE906ELNS1_3gpuE6ELNS1_3repE0EEENS1_30default_config_static_selectorELNS0_4arch9wavefront6targetE1EEEvT1_.private_seg_size, 0
	.set _ZN7rocprim17ROCPRIM_400000_NS6detail17trampoline_kernelINS0_14default_configENS1_25partition_config_selectorILNS1_17partition_subalgoE8EsNS0_10empty_typeEbEEZZNS1_14partition_implILS5_8ELb0ES3_jN6thrust23THRUST_200600_302600_NS6detail15normal_iteratorINSA_10device_ptrIsEEEEPS6_PKS6_NS0_5tupleIJSF_S6_EEENSJ_IJSG_SG_EEENS0_18inequality_wrapperI22is_equal_div_10_uniqueIsEEEPmJS6_EEE10hipError_tPvRmT3_T4_T5_T6_T7_T9_mT8_P12ihipStream_tbDpT10_ENKUlT_T0_E_clISt17integral_constantIbLb0EES1A_EEDaS15_S16_EUlS15_E_NS1_11comp_targetILNS1_3genE2ELNS1_11target_archE906ELNS1_3gpuE6ELNS1_3repE0EEENS1_30default_config_static_selectorELNS0_4arch9wavefront6targetE1EEEvT1_.uses_vcc, 1
	.set _ZN7rocprim17ROCPRIM_400000_NS6detail17trampoline_kernelINS0_14default_configENS1_25partition_config_selectorILNS1_17partition_subalgoE8EsNS0_10empty_typeEbEEZZNS1_14partition_implILS5_8ELb0ES3_jN6thrust23THRUST_200600_302600_NS6detail15normal_iteratorINSA_10device_ptrIsEEEEPS6_PKS6_NS0_5tupleIJSF_S6_EEENSJ_IJSG_SG_EEENS0_18inequality_wrapperI22is_equal_div_10_uniqueIsEEEPmJS6_EEE10hipError_tPvRmT3_T4_T5_T6_T7_T9_mT8_P12ihipStream_tbDpT10_ENKUlT_T0_E_clISt17integral_constantIbLb0EES1A_EEDaS15_S16_EUlS15_E_NS1_11comp_targetILNS1_3genE2ELNS1_11target_archE906ELNS1_3gpuE6ELNS1_3repE0EEENS1_30default_config_static_selectorELNS0_4arch9wavefront6targetE1EEEvT1_.uses_flat_scratch, 0
	.set _ZN7rocprim17ROCPRIM_400000_NS6detail17trampoline_kernelINS0_14default_configENS1_25partition_config_selectorILNS1_17partition_subalgoE8EsNS0_10empty_typeEbEEZZNS1_14partition_implILS5_8ELb0ES3_jN6thrust23THRUST_200600_302600_NS6detail15normal_iteratorINSA_10device_ptrIsEEEEPS6_PKS6_NS0_5tupleIJSF_S6_EEENSJ_IJSG_SG_EEENS0_18inequality_wrapperI22is_equal_div_10_uniqueIsEEEPmJS6_EEE10hipError_tPvRmT3_T4_T5_T6_T7_T9_mT8_P12ihipStream_tbDpT10_ENKUlT_T0_E_clISt17integral_constantIbLb0EES1A_EEDaS15_S16_EUlS15_E_NS1_11comp_targetILNS1_3genE2ELNS1_11target_archE906ELNS1_3gpuE6ELNS1_3repE0EEENS1_30default_config_static_selectorELNS0_4arch9wavefront6targetE1EEEvT1_.has_dyn_sized_stack, 0
	.set _ZN7rocprim17ROCPRIM_400000_NS6detail17trampoline_kernelINS0_14default_configENS1_25partition_config_selectorILNS1_17partition_subalgoE8EsNS0_10empty_typeEbEEZZNS1_14partition_implILS5_8ELb0ES3_jN6thrust23THRUST_200600_302600_NS6detail15normal_iteratorINSA_10device_ptrIsEEEEPS6_PKS6_NS0_5tupleIJSF_S6_EEENSJ_IJSG_SG_EEENS0_18inequality_wrapperI22is_equal_div_10_uniqueIsEEEPmJS6_EEE10hipError_tPvRmT3_T4_T5_T6_T7_T9_mT8_P12ihipStream_tbDpT10_ENKUlT_T0_E_clISt17integral_constantIbLb0EES1A_EEDaS15_S16_EUlS15_E_NS1_11comp_targetILNS1_3genE2ELNS1_11target_archE906ELNS1_3gpuE6ELNS1_3repE0EEENS1_30default_config_static_selectorELNS0_4arch9wavefront6targetE1EEEvT1_.has_recursion, 0
	.set _ZN7rocprim17ROCPRIM_400000_NS6detail17trampoline_kernelINS0_14default_configENS1_25partition_config_selectorILNS1_17partition_subalgoE8EsNS0_10empty_typeEbEEZZNS1_14partition_implILS5_8ELb0ES3_jN6thrust23THRUST_200600_302600_NS6detail15normal_iteratorINSA_10device_ptrIsEEEEPS6_PKS6_NS0_5tupleIJSF_S6_EEENSJ_IJSG_SG_EEENS0_18inequality_wrapperI22is_equal_div_10_uniqueIsEEEPmJS6_EEE10hipError_tPvRmT3_T4_T5_T6_T7_T9_mT8_P12ihipStream_tbDpT10_ENKUlT_T0_E_clISt17integral_constantIbLb0EES1A_EEDaS15_S16_EUlS15_E_NS1_11comp_targetILNS1_3genE2ELNS1_11target_archE906ELNS1_3gpuE6ELNS1_3repE0EEENS1_30default_config_static_selectorELNS0_4arch9wavefront6targetE1EEEvT1_.has_indirect_call, 0
	.section	.AMDGPU.csdata,"",@progbits
; Kernel info:
; codeLenInByte = 11004
; TotalNumSgprs: 64
; NumVgprs: 82
; ScratchSize: 0
; MemoryBound: 0
; FloatMode: 240
; IeeeMode: 1
; LDSByteSize: 6920 bytes/workgroup (compile time only)
; SGPRBlocks: 10
; VGPRBlocks: 20
; NumSGPRsForWavesPerEU: 81
; NumVGPRsForWavesPerEU: 82
; Occupancy: 3
; WaveLimiterHint : 1
; COMPUTE_PGM_RSRC2:SCRATCH_EN: 0
; COMPUTE_PGM_RSRC2:USER_SGPR: 6
; COMPUTE_PGM_RSRC2:TRAP_HANDLER: 0
; COMPUTE_PGM_RSRC2:TGID_X_EN: 1
; COMPUTE_PGM_RSRC2:TGID_Y_EN: 0
; COMPUTE_PGM_RSRC2:TGID_Z_EN: 0
; COMPUTE_PGM_RSRC2:TIDIG_COMP_CNT: 0
	.section	.text._ZN7rocprim17ROCPRIM_400000_NS6detail17trampoline_kernelINS0_14default_configENS1_25partition_config_selectorILNS1_17partition_subalgoE8EsNS0_10empty_typeEbEEZZNS1_14partition_implILS5_8ELb0ES3_jN6thrust23THRUST_200600_302600_NS6detail15normal_iteratorINSA_10device_ptrIsEEEEPS6_PKS6_NS0_5tupleIJSF_S6_EEENSJ_IJSG_SG_EEENS0_18inequality_wrapperI22is_equal_div_10_uniqueIsEEEPmJS6_EEE10hipError_tPvRmT3_T4_T5_T6_T7_T9_mT8_P12ihipStream_tbDpT10_ENKUlT_T0_E_clISt17integral_constantIbLb0EES1A_EEDaS15_S16_EUlS15_E_NS1_11comp_targetILNS1_3genE10ELNS1_11target_archE1200ELNS1_3gpuE4ELNS1_3repE0EEENS1_30default_config_static_selectorELNS0_4arch9wavefront6targetE1EEEvT1_,"axG",@progbits,_ZN7rocprim17ROCPRIM_400000_NS6detail17trampoline_kernelINS0_14default_configENS1_25partition_config_selectorILNS1_17partition_subalgoE8EsNS0_10empty_typeEbEEZZNS1_14partition_implILS5_8ELb0ES3_jN6thrust23THRUST_200600_302600_NS6detail15normal_iteratorINSA_10device_ptrIsEEEEPS6_PKS6_NS0_5tupleIJSF_S6_EEENSJ_IJSG_SG_EEENS0_18inequality_wrapperI22is_equal_div_10_uniqueIsEEEPmJS6_EEE10hipError_tPvRmT3_T4_T5_T6_T7_T9_mT8_P12ihipStream_tbDpT10_ENKUlT_T0_E_clISt17integral_constantIbLb0EES1A_EEDaS15_S16_EUlS15_E_NS1_11comp_targetILNS1_3genE10ELNS1_11target_archE1200ELNS1_3gpuE4ELNS1_3repE0EEENS1_30default_config_static_selectorELNS0_4arch9wavefront6targetE1EEEvT1_,comdat
	.protected	_ZN7rocprim17ROCPRIM_400000_NS6detail17trampoline_kernelINS0_14default_configENS1_25partition_config_selectorILNS1_17partition_subalgoE8EsNS0_10empty_typeEbEEZZNS1_14partition_implILS5_8ELb0ES3_jN6thrust23THRUST_200600_302600_NS6detail15normal_iteratorINSA_10device_ptrIsEEEEPS6_PKS6_NS0_5tupleIJSF_S6_EEENSJ_IJSG_SG_EEENS0_18inequality_wrapperI22is_equal_div_10_uniqueIsEEEPmJS6_EEE10hipError_tPvRmT3_T4_T5_T6_T7_T9_mT8_P12ihipStream_tbDpT10_ENKUlT_T0_E_clISt17integral_constantIbLb0EES1A_EEDaS15_S16_EUlS15_E_NS1_11comp_targetILNS1_3genE10ELNS1_11target_archE1200ELNS1_3gpuE4ELNS1_3repE0EEENS1_30default_config_static_selectorELNS0_4arch9wavefront6targetE1EEEvT1_ ; -- Begin function _ZN7rocprim17ROCPRIM_400000_NS6detail17trampoline_kernelINS0_14default_configENS1_25partition_config_selectorILNS1_17partition_subalgoE8EsNS0_10empty_typeEbEEZZNS1_14partition_implILS5_8ELb0ES3_jN6thrust23THRUST_200600_302600_NS6detail15normal_iteratorINSA_10device_ptrIsEEEEPS6_PKS6_NS0_5tupleIJSF_S6_EEENSJ_IJSG_SG_EEENS0_18inequality_wrapperI22is_equal_div_10_uniqueIsEEEPmJS6_EEE10hipError_tPvRmT3_T4_T5_T6_T7_T9_mT8_P12ihipStream_tbDpT10_ENKUlT_T0_E_clISt17integral_constantIbLb0EES1A_EEDaS15_S16_EUlS15_E_NS1_11comp_targetILNS1_3genE10ELNS1_11target_archE1200ELNS1_3gpuE4ELNS1_3repE0EEENS1_30default_config_static_selectorELNS0_4arch9wavefront6targetE1EEEvT1_
	.globl	_ZN7rocprim17ROCPRIM_400000_NS6detail17trampoline_kernelINS0_14default_configENS1_25partition_config_selectorILNS1_17partition_subalgoE8EsNS0_10empty_typeEbEEZZNS1_14partition_implILS5_8ELb0ES3_jN6thrust23THRUST_200600_302600_NS6detail15normal_iteratorINSA_10device_ptrIsEEEEPS6_PKS6_NS0_5tupleIJSF_S6_EEENSJ_IJSG_SG_EEENS0_18inequality_wrapperI22is_equal_div_10_uniqueIsEEEPmJS6_EEE10hipError_tPvRmT3_T4_T5_T6_T7_T9_mT8_P12ihipStream_tbDpT10_ENKUlT_T0_E_clISt17integral_constantIbLb0EES1A_EEDaS15_S16_EUlS15_E_NS1_11comp_targetILNS1_3genE10ELNS1_11target_archE1200ELNS1_3gpuE4ELNS1_3repE0EEENS1_30default_config_static_selectorELNS0_4arch9wavefront6targetE1EEEvT1_
	.p2align	8
	.type	_ZN7rocprim17ROCPRIM_400000_NS6detail17trampoline_kernelINS0_14default_configENS1_25partition_config_selectorILNS1_17partition_subalgoE8EsNS0_10empty_typeEbEEZZNS1_14partition_implILS5_8ELb0ES3_jN6thrust23THRUST_200600_302600_NS6detail15normal_iteratorINSA_10device_ptrIsEEEEPS6_PKS6_NS0_5tupleIJSF_S6_EEENSJ_IJSG_SG_EEENS0_18inequality_wrapperI22is_equal_div_10_uniqueIsEEEPmJS6_EEE10hipError_tPvRmT3_T4_T5_T6_T7_T9_mT8_P12ihipStream_tbDpT10_ENKUlT_T0_E_clISt17integral_constantIbLb0EES1A_EEDaS15_S16_EUlS15_E_NS1_11comp_targetILNS1_3genE10ELNS1_11target_archE1200ELNS1_3gpuE4ELNS1_3repE0EEENS1_30default_config_static_selectorELNS0_4arch9wavefront6targetE1EEEvT1_,@function
_ZN7rocprim17ROCPRIM_400000_NS6detail17trampoline_kernelINS0_14default_configENS1_25partition_config_selectorILNS1_17partition_subalgoE8EsNS0_10empty_typeEbEEZZNS1_14partition_implILS5_8ELb0ES3_jN6thrust23THRUST_200600_302600_NS6detail15normal_iteratorINSA_10device_ptrIsEEEEPS6_PKS6_NS0_5tupleIJSF_S6_EEENSJ_IJSG_SG_EEENS0_18inequality_wrapperI22is_equal_div_10_uniqueIsEEEPmJS6_EEE10hipError_tPvRmT3_T4_T5_T6_T7_T9_mT8_P12ihipStream_tbDpT10_ENKUlT_T0_E_clISt17integral_constantIbLb0EES1A_EEDaS15_S16_EUlS15_E_NS1_11comp_targetILNS1_3genE10ELNS1_11target_archE1200ELNS1_3gpuE4ELNS1_3repE0EEENS1_30default_config_static_selectorELNS0_4arch9wavefront6targetE1EEEvT1_: ; @_ZN7rocprim17ROCPRIM_400000_NS6detail17trampoline_kernelINS0_14default_configENS1_25partition_config_selectorILNS1_17partition_subalgoE8EsNS0_10empty_typeEbEEZZNS1_14partition_implILS5_8ELb0ES3_jN6thrust23THRUST_200600_302600_NS6detail15normal_iteratorINSA_10device_ptrIsEEEEPS6_PKS6_NS0_5tupleIJSF_S6_EEENSJ_IJSG_SG_EEENS0_18inequality_wrapperI22is_equal_div_10_uniqueIsEEEPmJS6_EEE10hipError_tPvRmT3_T4_T5_T6_T7_T9_mT8_P12ihipStream_tbDpT10_ENKUlT_T0_E_clISt17integral_constantIbLb0EES1A_EEDaS15_S16_EUlS15_E_NS1_11comp_targetILNS1_3genE10ELNS1_11target_archE1200ELNS1_3gpuE4ELNS1_3repE0EEENS1_30default_config_static_selectorELNS0_4arch9wavefront6targetE1EEEvT1_
; %bb.0:
	.section	.rodata,"a",@progbits
	.p2align	6, 0x0
	.amdhsa_kernel _ZN7rocprim17ROCPRIM_400000_NS6detail17trampoline_kernelINS0_14default_configENS1_25partition_config_selectorILNS1_17partition_subalgoE8EsNS0_10empty_typeEbEEZZNS1_14partition_implILS5_8ELb0ES3_jN6thrust23THRUST_200600_302600_NS6detail15normal_iteratorINSA_10device_ptrIsEEEEPS6_PKS6_NS0_5tupleIJSF_S6_EEENSJ_IJSG_SG_EEENS0_18inequality_wrapperI22is_equal_div_10_uniqueIsEEEPmJS6_EEE10hipError_tPvRmT3_T4_T5_T6_T7_T9_mT8_P12ihipStream_tbDpT10_ENKUlT_T0_E_clISt17integral_constantIbLb0EES1A_EEDaS15_S16_EUlS15_E_NS1_11comp_targetILNS1_3genE10ELNS1_11target_archE1200ELNS1_3gpuE4ELNS1_3repE0EEENS1_30default_config_static_selectorELNS0_4arch9wavefront6targetE1EEEvT1_
		.amdhsa_group_segment_fixed_size 0
		.amdhsa_private_segment_fixed_size 0
		.amdhsa_kernarg_size 112
		.amdhsa_user_sgpr_count 6
		.amdhsa_user_sgpr_private_segment_buffer 1
		.amdhsa_user_sgpr_dispatch_ptr 0
		.amdhsa_user_sgpr_queue_ptr 0
		.amdhsa_user_sgpr_kernarg_segment_ptr 1
		.amdhsa_user_sgpr_dispatch_id 0
		.amdhsa_user_sgpr_flat_scratch_init 0
		.amdhsa_user_sgpr_private_segment_size 0
		.amdhsa_uses_dynamic_stack 0
		.amdhsa_system_sgpr_private_segment_wavefront_offset 0
		.amdhsa_system_sgpr_workgroup_id_x 1
		.amdhsa_system_sgpr_workgroup_id_y 0
		.amdhsa_system_sgpr_workgroup_id_z 0
		.amdhsa_system_sgpr_workgroup_info 0
		.amdhsa_system_vgpr_workitem_id 0
		.amdhsa_next_free_vgpr 1
		.amdhsa_next_free_sgpr 0
		.amdhsa_reserve_vcc 0
		.amdhsa_reserve_flat_scratch 0
		.amdhsa_float_round_mode_32 0
		.amdhsa_float_round_mode_16_64 0
		.amdhsa_float_denorm_mode_32 3
		.amdhsa_float_denorm_mode_16_64 3
		.amdhsa_dx10_clamp 1
		.amdhsa_ieee_mode 1
		.amdhsa_fp16_overflow 0
		.amdhsa_exception_fp_ieee_invalid_op 0
		.amdhsa_exception_fp_denorm_src 0
		.amdhsa_exception_fp_ieee_div_zero 0
		.amdhsa_exception_fp_ieee_overflow 0
		.amdhsa_exception_fp_ieee_underflow 0
		.amdhsa_exception_fp_ieee_inexact 0
		.amdhsa_exception_int_div_zero 0
	.end_amdhsa_kernel
	.section	.text._ZN7rocprim17ROCPRIM_400000_NS6detail17trampoline_kernelINS0_14default_configENS1_25partition_config_selectorILNS1_17partition_subalgoE8EsNS0_10empty_typeEbEEZZNS1_14partition_implILS5_8ELb0ES3_jN6thrust23THRUST_200600_302600_NS6detail15normal_iteratorINSA_10device_ptrIsEEEEPS6_PKS6_NS0_5tupleIJSF_S6_EEENSJ_IJSG_SG_EEENS0_18inequality_wrapperI22is_equal_div_10_uniqueIsEEEPmJS6_EEE10hipError_tPvRmT3_T4_T5_T6_T7_T9_mT8_P12ihipStream_tbDpT10_ENKUlT_T0_E_clISt17integral_constantIbLb0EES1A_EEDaS15_S16_EUlS15_E_NS1_11comp_targetILNS1_3genE10ELNS1_11target_archE1200ELNS1_3gpuE4ELNS1_3repE0EEENS1_30default_config_static_selectorELNS0_4arch9wavefront6targetE1EEEvT1_,"axG",@progbits,_ZN7rocprim17ROCPRIM_400000_NS6detail17trampoline_kernelINS0_14default_configENS1_25partition_config_selectorILNS1_17partition_subalgoE8EsNS0_10empty_typeEbEEZZNS1_14partition_implILS5_8ELb0ES3_jN6thrust23THRUST_200600_302600_NS6detail15normal_iteratorINSA_10device_ptrIsEEEEPS6_PKS6_NS0_5tupleIJSF_S6_EEENSJ_IJSG_SG_EEENS0_18inequality_wrapperI22is_equal_div_10_uniqueIsEEEPmJS6_EEE10hipError_tPvRmT3_T4_T5_T6_T7_T9_mT8_P12ihipStream_tbDpT10_ENKUlT_T0_E_clISt17integral_constantIbLb0EES1A_EEDaS15_S16_EUlS15_E_NS1_11comp_targetILNS1_3genE10ELNS1_11target_archE1200ELNS1_3gpuE4ELNS1_3repE0EEENS1_30default_config_static_selectorELNS0_4arch9wavefront6targetE1EEEvT1_,comdat
.Lfunc_end506:
	.size	_ZN7rocprim17ROCPRIM_400000_NS6detail17trampoline_kernelINS0_14default_configENS1_25partition_config_selectorILNS1_17partition_subalgoE8EsNS0_10empty_typeEbEEZZNS1_14partition_implILS5_8ELb0ES3_jN6thrust23THRUST_200600_302600_NS6detail15normal_iteratorINSA_10device_ptrIsEEEEPS6_PKS6_NS0_5tupleIJSF_S6_EEENSJ_IJSG_SG_EEENS0_18inequality_wrapperI22is_equal_div_10_uniqueIsEEEPmJS6_EEE10hipError_tPvRmT3_T4_T5_T6_T7_T9_mT8_P12ihipStream_tbDpT10_ENKUlT_T0_E_clISt17integral_constantIbLb0EES1A_EEDaS15_S16_EUlS15_E_NS1_11comp_targetILNS1_3genE10ELNS1_11target_archE1200ELNS1_3gpuE4ELNS1_3repE0EEENS1_30default_config_static_selectorELNS0_4arch9wavefront6targetE1EEEvT1_, .Lfunc_end506-_ZN7rocprim17ROCPRIM_400000_NS6detail17trampoline_kernelINS0_14default_configENS1_25partition_config_selectorILNS1_17partition_subalgoE8EsNS0_10empty_typeEbEEZZNS1_14partition_implILS5_8ELb0ES3_jN6thrust23THRUST_200600_302600_NS6detail15normal_iteratorINSA_10device_ptrIsEEEEPS6_PKS6_NS0_5tupleIJSF_S6_EEENSJ_IJSG_SG_EEENS0_18inequality_wrapperI22is_equal_div_10_uniqueIsEEEPmJS6_EEE10hipError_tPvRmT3_T4_T5_T6_T7_T9_mT8_P12ihipStream_tbDpT10_ENKUlT_T0_E_clISt17integral_constantIbLb0EES1A_EEDaS15_S16_EUlS15_E_NS1_11comp_targetILNS1_3genE10ELNS1_11target_archE1200ELNS1_3gpuE4ELNS1_3repE0EEENS1_30default_config_static_selectorELNS0_4arch9wavefront6targetE1EEEvT1_
                                        ; -- End function
	.set _ZN7rocprim17ROCPRIM_400000_NS6detail17trampoline_kernelINS0_14default_configENS1_25partition_config_selectorILNS1_17partition_subalgoE8EsNS0_10empty_typeEbEEZZNS1_14partition_implILS5_8ELb0ES3_jN6thrust23THRUST_200600_302600_NS6detail15normal_iteratorINSA_10device_ptrIsEEEEPS6_PKS6_NS0_5tupleIJSF_S6_EEENSJ_IJSG_SG_EEENS0_18inequality_wrapperI22is_equal_div_10_uniqueIsEEEPmJS6_EEE10hipError_tPvRmT3_T4_T5_T6_T7_T9_mT8_P12ihipStream_tbDpT10_ENKUlT_T0_E_clISt17integral_constantIbLb0EES1A_EEDaS15_S16_EUlS15_E_NS1_11comp_targetILNS1_3genE10ELNS1_11target_archE1200ELNS1_3gpuE4ELNS1_3repE0EEENS1_30default_config_static_selectorELNS0_4arch9wavefront6targetE1EEEvT1_.num_vgpr, 0
	.set _ZN7rocprim17ROCPRIM_400000_NS6detail17trampoline_kernelINS0_14default_configENS1_25partition_config_selectorILNS1_17partition_subalgoE8EsNS0_10empty_typeEbEEZZNS1_14partition_implILS5_8ELb0ES3_jN6thrust23THRUST_200600_302600_NS6detail15normal_iteratorINSA_10device_ptrIsEEEEPS6_PKS6_NS0_5tupleIJSF_S6_EEENSJ_IJSG_SG_EEENS0_18inequality_wrapperI22is_equal_div_10_uniqueIsEEEPmJS6_EEE10hipError_tPvRmT3_T4_T5_T6_T7_T9_mT8_P12ihipStream_tbDpT10_ENKUlT_T0_E_clISt17integral_constantIbLb0EES1A_EEDaS15_S16_EUlS15_E_NS1_11comp_targetILNS1_3genE10ELNS1_11target_archE1200ELNS1_3gpuE4ELNS1_3repE0EEENS1_30default_config_static_selectorELNS0_4arch9wavefront6targetE1EEEvT1_.num_agpr, 0
	.set _ZN7rocprim17ROCPRIM_400000_NS6detail17trampoline_kernelINS0_14default_configENS1_25partition_config_selectorILNS1_17partition_subalgoE8EsNS0_10empty_typeEbEEZZNS1_14partition_implILS5_8ELb0ES3_jN6thrust23THRUST_200600_302600_NS6detail15normal_iteratorINSA_10device_ptrIsEEEEPS6_PKS6_NS0_5tupleIJSF_S6_EEENSJ_IJSG_SG_EEENS0_18inequality_wrapperI22is_equal_div_10_uniqueIsEEEPmJS6_EEE10hipError_tPvRmT3_T4_T5_T6_T7_T9_mT8_P12ihipStream_tbDpT10_ENKUlT_T0_E_clISt17integral_constantIbLb0EES1A_EEDaS15_S16_EUlS15_E_NS1_11comp_targetILNS1_3genE10ELNS1_11target_archE1200ELNS1_3gpuE4ELNS1_3repE0EEENS1_30default_config_static_selectorELNS0_4arch9wavefront6targetE1EEEvT1_.numbered_sgpr, 0
	.set _ZN7rocprim17ROCPRIM_400000_NS6detail17trampoline_kernelINS0_14default_configENS1_25partition_config_selectorILNS1_17partition_subalgoE8EsNS0_10empty_typeEbEEZZNS1_14partition_implILS5_8ELb0ES3_jN6thrust23THRUST_200600_302600_NS6detail15normal_iteratorINSA_10device_ptrIsEEEEPS6_PKS6_NS0_5tupleIJSF_S6_EEENSJ_IJSG_SG_EEENS0_18inequality_wrapperI22is_equal_div_10_uniqueIsEEEPmJS6_EEE10hipError_tPvRmT3_T4_T5_T6_T7_T9_mT8_P12ihipStream_tbDpT10_ENKUlT_T0_E_clISt17integral_constantIbLb0EES1A_EEDaS15_S16_EUlS15_E_NS1_11comp_targetILNS1_3genE10ELNS1_11target_archE1200ELNS1_3gpuE4ELNS1_3repE0EEENS1_30default_config_static_selectorELNS0_4arch9wavefront6targetE1EEEvT1_.num_named_barrier, 0
	.set _ZN7rocprim17ROCPRIM_400000_NS6detail17trampoline_kernelINS0_14default_configENS1_25partition_config_selectorILNS1_17partition_subalgoE8EsNS0_10empty_typeEbEEZZNS1_14partition_implILS5_8ELb0ES3_jN6thrust23THRUST_200600_302600_NS6detail15normal_iteratorINSA_10device_ptrIsEEEEPS6_PKS6_NS0_5tupleIJSF_S6_EEENSJ_IJSG_SG_EEENS0_18inequality_wrapperI22is_equal_div_10_uniqueIsEEEPmJS6_EEE10hipError_tPvRmT3_T4_T5_T6_T7_T9_mT8_P12ihipStream_tbDpT10_ENKUlT_T0_E_clISt17integral_constantIbLb0EES1A_EEDaS15_S16_EUlS15_E_NS1_11comp_targetILNS1_3genE10ELNS1_11target_archE1200ELNS1_3gpuE4ELNS1_3repE0EEENS1_30default_config_static_selectorELNS0_4arch9wavefront6targetE1EEEvT1_.private_seg_size, 0
	.set _ZN7rocprim17ROCPRIM_400000_NS6detail17trampoline_kernelINS0_14default_configENS1_25partition_config_selectorILNS1_17partition_subalgoE8EsNS0_10empty_typeEbEEZZNS1_14partition_implILS5_8ELb0ES3_jN6thrust23THRUST_200600_302600_NS6detail15normal_iteratorINSA_10device_ptrIsEEEEPS6_PKS6_NS0_5tupleIJSF_S6_EEENSJ_IJSG_SG_EEENS0_18inequality_wrapperI22is_equal_div_10_uniqueIsEEEPmJS6_EEE10hipError_tPvRmT3_T4_T5_T6_T7_T9_mT8_P12ihipStream_tbDpT10_ENKUlT_T0_E_clISt17integral_constantIbLb0EES1A_EEDaS15_S16_EUlS15_E_NS1_11comp_targetILNS1_3genE10ELNS1_11target_archE1200ELNS1_3gpuE4ELNS1_3repE0EEENS1_30default_config_static_selectorELNS0_4arch9wavefront6targetE1EEEvT1_.uses_vcc, 0
	.set _ZN7rocprim17ROCPRIM_400000_NS6detail17trampoline_kernelINS0_14default_configENS1_25partition_config_selectorILNS1_17partition_subalgoE8EsNS0_10empty_typeEbEEZZNS1_14partition_implILS5_8ELb0ES3_jN6thrust23THRUST_200600_302600_NS6detail15normal_iteratorINSA_10device_ptrIsEEEEPS6_PKS6_NS0_5tupleIJSF_S6_EEENSJ_IJSG_SG_EEENS0_18inequality_wrapperI22is_equal_div_10_uniqueIsEEEPmJS6_EEE10hipError_tPvRmT3_T4_T5_T6_T7_T9_mT8_P12ihipStream_tbDpT10_ENKUlT_T0_E_clISt17integral_constantIbLb0EES1A_EEDaS15_S16_EUlS15_E_NS1_11comp_targetILNS1_3genE10ELNS1_11target_archE1200ELNS1_3gpuE4ELNS1_3repE0EEENS1_30default_config_static_selectorELNS0_4arch9wavefront6targetE1EEEvT1_.uses_flat_scratch, 0
	.set _ZN7rocprim17ROCPRIM_400000_NS6detail17trampoline_kernelINS0_14default_configENS1_25partition_config_selectorILNS1_17partition_subalgoE8EsNS0_10empty_typeEbEEZZNS1_14partition_implILS5_8ELb0ES3_jN6thrust23THRUST_200600_302600_NS6detail15normal_iteratorINSA_10device_ptrIsEEEEPS6_PKS6_NS0_5tupleIJSF_S6_EEENSJ_IJSG_SG_EEENS0_18inequality_wrapperI22is_equal_div_10_uniqueIsEEEPmJS6_EEE10hipError_tPvRmT3_T4_T5_T6_T7_T9_mT8_P12ihipStream_tbDpT10_ENKUlT_T0_E_clISt17integral_constantIbLb0EES1A_EEDaS15_S16_EUlS15_E_NS1_11comp_targetILNS1_3genE10ELNS1_11target_archE1200ELNS1_3gpuE4ELNS1_3repE0EEENS1_30default_config_static_selectorELNS0_4arch9wavefront6targetE1EEEvT1_.has_dyn_sized_stack, 0
	.set _ZN7rocprim17ROCPRIM_400000_NS6detail17trampoline_kernelINS0_14default_configENS1_25partition_config_selectorILNS1_17partition_subalgoE8EsNS0_10empty_typeEbEEZZNS1_14partition_implILS5_8ELb0ES3_jN6thrust23THRUST_200600_302600_NS6detail15normal_iteratorINSA_10device_ptrIsEEEEPS6_PKS6_NS0_5tupleIJSF_S6_EEENSJ_IJSG_SG_EEENS0_18inequality_wrapperI22is_equal_div_10_uniqueIsEEEPmJS6_EEE10hipError_tPvRmT3_T4_T5_T6_T7_T9_mT8_P12ihipStream_tbDpT10_ENKUlT_T0_E_clISt17integral_constantIbLb0EES1A_EEDaS15_S16_EUlS15_E_NS1_11comp_targetILNS1_3genE10ELNS1_11target_archE1200ELNS1_3gpuE4ELNS1_3repE0EEENS1_30default_config_static_selectorELNS0_4arch9wavefront6targetE1EEEvT1_.has_recursion, 0
	.set _ZN7rocprim17ROCPRIM_400000_NS6detail17trampoline_kernelINS0_14default_configENS1_25partition_config_selectorILNS1_17partition_subalgoE8EsNS0_10empty_typeEbEEZZNS1_14partition_implILS5_8ELb0ES3_jN6thrust23THRUST_200600_302600_NS6detail15normal_iteratorINSA_10device_ptrIsEEEEPS6_PKS6_NS0_5tupleIJSF_S6_EEENSJ_IJSG_SG_EEENS0_18inequality_wrapperI22is_equal_div_10_uniqueIsEEEPmJS6_EEE10hipError_tPvRmT3_T4_T5_T6_T7_T9_mT8_P12ihipStream_tbDpT10_ENKUlT_T0_E_clISt17integral_constantIbLb0EES1A_EEDaS15_S16_EUlS15_E_NS1_11comp_targetILNS1_3genE10ELNS1_11target_archE1200ELNS1_3gpuE4ELNS1_3repE0EEENS1_30default_config_static_selectorELNS0_4arch9wavefront6targetE1EEEvT1_.has_indirect_call, 0
	.section	.AMDGPU.csdata,"",@progbits
; Kernel info:
; codeLenInByte = 0
; TotalNumSgprs: 4
; NumVgprs: 0
; ScratchSize: 0
; MemoryBound: 0
; FloatMode: 240
; IeeeMode: 1
; LDSByteSize: 0 bytes/workgroup (compile time only)
; SGPRBlocks: 0
; VGPRBlocks: 0
; NumSGPRsForWavesPerEU: 4
; NumVGPRsForWavesPerEU: 1
; Occupancy: 10
; WaveLimiterHint : 0
; COMPUTE_PGM_RSRC2:SCRATCH_EN: 0
; COMPUTE_PGM_RSRC2:USER_SGPR: 6
; COMPUTE_PGM_RSRC2:TRAP_HANDLER: 0
; COMPUTE_PGM_RSRC2:TGID_X_EN: 1
; COMPUTE_PGM_RSRC2:TGID_Y_EN: 0
; COMPUTE_PGM_RSRC2:TGID_Z_EN: 0
; COMPUTE_PGM_RSRC2:TIDIG_COMP_CNT: 0
	.section	.text._ZN7rocprim17ROCPRIM_400000_NS6detail17trampoline_kernelINS0_14default_configENS1_25partition_config_selectorILNS1_17partition_subalgoE8EsNS0_10empty_typeEbEEZZNS1_14partition_implILS5_8ELb0ES3_jN6thrust23THRUST_200600_302600_NS6detail15normal_iteratorINSA_10device_ptrIsEEEEPS6_PKS6_NS0_5tupleIJSF_S6_EEENSJ_IJSG_SG_EEENS0_18inequality_wrapperI22is_equal_div_10_uniqueIsEEEPmJS6_EEE10hipError_tPvRmT3_T4_T5_T6_T7_T9_mT8_P12ihipStream_tbDpT10_ENKUlT_T0_E_clISt17integral_constantIbLb0EES1A_EEDaS15_S16_EUlS15_E_NS1_11comp_targetILNS1_3genE9ELNS1_11target_archE1100ELNS1_3gpuE3ELNS1_3repE0EEENS1_30default_config_static_selectorELNS0_4arch9wavefront6targetE1EEEvT1_,"axG",@progbits,_ZN7rocprim17ROCPRIM_400000_NS6detail17trampoline_kernelINS0_14default_configENS1_25partition_config_selectorILNS1_17partition_subalgoE8EsNS0_10empty_typeEbEEZZNS1_14partition_implILS5_8ELb0ES3_jN6thrust23THRUST_200600_302600_NS6detail15normal_iteratorINSA_10device_ptrIsEEEEPS6_PKS6_NS0_5tupleIJSF_S6_EEENSJ_IJSG_SG_EEENS0_18inequality_wrapperI22is_equal_div_10_uniqueIsEEEPmJS6_EEE10hipError_tPvRmT3_T4_T5_T6_T7_T9_mT8_P12ihipStream_tbDpT10_ENKUlT_T0_E_clISt17integral_constantIbLb0EES1A_EEDaS15_S16_EUlS15_E_NS1_11comp_targetILNS1_3genE9ELNS1_11target_archE1100ELNS1_3gpuE3ELNS1_3repE0EEENS1_30default_config_static_selectorELNS0_4arch9wavefront6targetE1EEEvT1_,comdat
	.protected	_ZN7rocprim17ROCPRIM_400000_NS6detail17trampoline_kernelINS0_14default_configENS1_25partition_config_selectorILNS1_17partition_subalgoE8EsNS0_10empty_typeEbEEZZNS1_14partition_implILS5_8ELb0ES3_jN6thrust23THRUST_200600_302600_NS6detail15normal_iteratorINSA_10device_ptrIsEEEEPS6_PKS6_NS0_5tupleIJSF_S6_EEENSJ_IJSG_SG_EEENS0_18inequality_wrapperI22is_equal_div_10_uniqueIsEEEPmJS6_EEE10hipError_tPvRmT3_T4_T5_T6_T7_T9_mT8_P12ihipStream_tbDpT10_ENKUlT_T0_E_clISt17integral_constantIbLb0EES1A_EEDaS15_S16_EUlS15_E_NS1_11comp_targetILNS1_3genE9ELNS1_11target_archE1100ELNS1_3gpuE3ELNS1_3repE0EEENS1_30default_config_static_selectorELNS0_4arch9wavefront6targetE1EEEvT1_ ; -- Begin function _ZN7rocprim17ROCPRIM_400000_NS6detail17trampoline_kernelINS0_14default_configENS1_25partition_config_selectorILNS1_17partition_subalgoE8EsNS0_10empty_typeEbEEZZNS1_14partition_implILS5_8ELb0ES3_jN6thrust23THRUST_200600_302600_NS6detail15normal_iteratorINSA_10device_ptrIsEEEEPS6_PKS6_NS0_5tupleIJSF_S6_EEENSJ_IJSG_SG_EEENS0_18inequality_wrapperI22is_equal_div_10_uniqueIsEEEPmJS6_EEE10hipError_tPvRmT3_T4_T5_T6_T7_T9_mT8_P12ihipStream_tbDpT10_ENKUlT_T0_E_clISt17integral_constantIbLb0EES1A_EEDaS15_S16_EUlS15_E_NS1_11comp_targetILNS1_3genE9ELNS1_11target_archE1100ELNS1_3gpuE3ELNS1_3repE0EEENS1_30default_config_static_selectorELNS0_4arch9wavefront6targetE1EEEvT1_
	.globl	_ZN7rocprim17ROCPRIM_400000_NS6detail17trampoline_kernelINS0_14default_configENS1_25partition_config_selectorILNS1_17partition_subalgoE8EsNS0_10empty_typeEbEEZZNS1_14partition_implILS5_8ELb0ES3_jN6thrust23THRUST_200600_302600_NS6detail15normal_iteratorINSA_10device_ptrIsEEEEPS6_PKS6_NS0_5tupleIJSF_S6_EEENSJ_IJSG_SG_EEENS0_18inequality_wrapperI22is_equal_div_10_uniqueIsEEEPmJS6_EEE10hipError_tPvRmT3_T4_T5_T6_T7_T9_mT8_P12ihipStream_tbDpT10_ENKUlT_T0_E_clISt17integral_constantIbLb0EES1A_EEDaS15_S16_EUlS15_E_NS1_11comp_targetILNS1_3genE9ELNS1_11target_archE1100ELNS1_3gpuE3ELNS1_3repE0EEENS1_30default_config_static_selectorELNS0_4arch9wavefront6targetE1EEEvT1_
	.p2align	8
	.type	_ZN7rocprim17ROCPRIM_400000_NS6detail17trampoline_kernelINS0_14default_configENS1_25partition_config_selectorILNS1_17partition_subalgoE8EsNS0_10empty_typeEbEEZZNS1_14partition_implILS5_8ELb0ES3_jN6thrust23THRUST_200600_302600_NS6detail15normal_iteratorINSA_10device_ptrIsEEEEPS6_PKS6_NS0_5tupleIJSF_S6_EEENSJ_IJSG_SG_EEENS0_18inequality_wrapperI22is_equal_div_10_uniqueIsEEEPmJS6_EEE10hipError_tPvRmT3_T4_T5_T6_T7_T9_mT8_P12ihipStream_tbDpT10_ENKUlT_T0_E_clISt17integral_constantIbLb0EES1A_EEDaS15_S16_EUlS15_E_NS1_11comp_targetILNS1_3genE9ELNS1_11target_archE1100ELNS1_3gpuE3ELNS1_3repE0EEENS1_30default_config_static_selectorELNS0_4arch9wavefront6targetE1EEEvT1_,@function
_ZN7rocprim17ROCPRIM_400000_NS6detail17trampoline_kernelINS0_14default_configENS1_25partition_config_selectorILNS1_17partition_subalgoE8EsNS0_10empty_typeEbEEZZNS1_14partition_implILS5_8ELb0ES3_jN6thrust23THRUST_200600_302600_NS6detail15normal_iteratorINSA_10device_ptrIsEEEEPS6_PKS6_NS0_5tupleIJSF_S6_EEENSJ_IJSG_SG_EEENS0_18inequality_wrapperI22is_equal_div_10_uniqueIsEEEPmJS6_EEE10hipError_tPvRmT3_T4_T5_T6_T7_T9_mT8_P12ihipStream_tbDpT10_ENKUlT_T0_E_clISt17integral_constantIbLb0EES1A_EEDaS15_S16_EUlS15_E_NS1_11comp_targetILNS1_3genE9ELNS1_11target_archE1100ELNS1_3gpuE3ELNS1_3repE0EEENS1_30default_config_static_selectorELNS0_4arch9wavefront6targetE1EEEvT1_: ; @_ZN7rocprim17ROCPRIM_400000_NS6detail17trampoline_kernelINS0_14default_configENS1_25partition_config_selectorILNS1_17partition_subalgoE8EsNS0_10empty_typeEbEEZZNS1_14partition_implILS5_8ELb0ES3_jN6thrust23THRUST_200600_302600_NS6detail15normal_iteratorINSA_10device_ptrIsEEEEPS6_PKS6_NS0_5tupleIJSF_S6_EEENSJ_IJSG_SG_EEENS0_18inequality_wrapperI22is_equal_div_10_uniqueIsEEEPmJS6_EEE10hipError_tPvRmT3_T4_T5_T6_T7_T9_mT8_P12ihipStream_tbDpT10_ENKUlT_T0_E_clISt17integral_constantIbLb0EES1A_EEDaS15_S16_EUlS15_E_NS1_11comp_targetILNS1_3genE9ELNS1_11target_archE1100ELNS1_3gpuE3ELNS1_3repE0EEENS1_30default_config_static_selectorELNS0_4arch9wavefront6targetE1EEEvT1_
; %bb.0:
	.section	.rodata,"a",@progbits
	.p2align	6, 0x0
	.amdhsa_kernel _ZN7rocprim17ROCPRIM_400000_NS6detail17trampoline_kernelINS0_14default_configENS1_25partition_config_selectorILNS1_17partition_subalgoE8EsNS0_10empty_typeEbEEZZNS1_14partition_implILS5_8ELb0ES3_jN6thrust23THRUST_200600_302600_NS6detail15normal_iteratorINSA_10device_ptrIsEEEEPS6_PKS6_NS0_5tupleIJSF_S6_EEENSJ_IJSG_SG_EEENS0_18inequality_wrapperI22is_equal_div_10_uniqueIsEEEPmJS6_EEE10hipError_tPvRmT3_T4_T5_T6_T7_T9_mT8_P12ihipStream_tbDpT10_ENKUlT_T0_E_clISt17integral_constantIbLb0EES1A_EEDaS15_S16_EUlS15_E_NS1_11comp_targetILNS1_3genE9ELNS1_11target_archE1100ELNS1_3gpuE3ELNS1_3repE0EEENS1_30default_config_static_selectorELNS0_4arch9wavefront6targetE1EEEvT1_
		.amdhsa_group_segment_fixed_size 0
		.amdhsa_private_segment_fixed_size 0
		.amdhsa_kernarg_size 112
		.amdhsa_user_sgpr_count 6
		.amdhsa_user_sgpr_private_segment_buffer 1
		.amdhsa_user_sgpr_dispatch_ptr 0
		.amdhsa_user_sgpr_queue_ptr 0
		.amdhsa_user_sgpr_kernarg_segment_ptr 1
		.amdhsa_user_sgpr_dispatch_id 0
		.amdhsa_user_sgpr_flat_scratch_init 0
		.amdhsa_user_sgpr_private_segment_size 0
		.amdhsa_uses_dynamic_stack 0
		.amdhsa_system_sgpr_private_segment_wavefront_offset 0
		.amdhsa_system_sgpr_workgroup_id_x 1
		.amdhsa_system_sgpr_workgroup_id_y 0
		.amdhsa_system_sgpr_workgroup_id_z 0
		.amdhsa_system_sgpr_workgroup_info 0
		.amdhsa_system_vgpr_workitem_id 0
		.amdhsa_next_free_vgpr 1
		.amdhsa_next_free_sgpr 0
		.amdhsa_reserve_vcc 0
		.amdhsa_reserve_flat_scratch 0
		.amdhsa_float_round_mode_32 0
		.amdhsa_float_round_mode_16_64 0
		.amdhsa_float_denorm_mode_32 3
		.amdhsa_float_denorm_mode_16_64 3
		.amdhsa_dx10_clamp 1
		.amdhsa_ieee_mode 1
		.amdhsa_fp16_overflow 0
		.amdhsa_exception_fp_ieee_invalid_op 0
		.amdhsa_exception_fp_denorm_src 0
		.amdhsa_exception_fp_ieee_div_zero 0
		.amdhsa_exception_fp_ieee_overflow 0
		.amdhsa_exception_fp_ieee_underflow 0
		.amdhsa_exception_fp_ieee_inexact 0
		.amdhsa_exception_int_div_zero 0
	.end_amdhsa_kernel
	.section	.text._ZN7rocprim17ROCPRIM_400000_NS6detail17trampoline_kernelINS0_14default_configENS1_25partition_config_selectorILNS1_17partition_subalgoE8EsNS0_10empty_typeEbEEZZNS1_14partition_implILS5_8ELb0ES3_jN6thrust23THRUST_200600_302600_NS6detail15normal_iteratorINSA_10device_ptrIsEEEEPS6_PKS6_NS0_5tupleIJSF_S6_EEENSJ_IJSG_SG_EEENS0_18inequality_wrapperI22is_equal_div_10_uniqueIsEEEPmJS6_EEE10hipError_tPvRmT3_T4_T5_T6_T7_T9_mT8_P12ihipStream_tbDpT10_ENKUlT_T0_E_clISt17integral_constantIbLb0EES1A_EEDaS15_S16_EUlS15_E_NS1_11comp_targetILNS1_3genE9ELNS1_11target_archE1100ELNS1_3gpuE3ELNS1_3repE0EEENS1_30default_config_static_selectorELNS0_4arch9wavefront6targetE1EEEvT1_,"axG",@progbits,_ZN7rocprim17ROCPRIM_400000_NS6detail17trampoline_kernelINS0_14default_configENS1_25partition_config_selectorILNS1_17partition_subalgoE8EsNS0_10empty_typeEbEEZZNS1_14partition_implILS5_8ELb0ES3_jN6thrust23THRUST_200600_302600_NS6detail15normal_iteratorINSA_10device_ptrIsEEEEPS6_PKS6_NS0_5tupleIJSF_S6_EEENSJ_IJSG_SG_EEENS0_18inequality_wrapperI22is_equal_div_10_uniqueIsEEEPmJS6_EEE10hipError_tPvRmT3_T4_T5_T6_T7_T9_mT8_P12ihipStream_tbDpT10_ENKUlT_T0_E_clISt17integral_constantIbLb0EES1A_EEDaS15_S16_EUlS15_E_NS1_11comp_targetILNS1_3genE9ELNS1_11target_archE1100ELNS1_3gpuE3ELNS1_3repE0EEENS1_30default_config_static_selectorELNS0_4arch9wavefront6targetE1EEEvT1_,comdat
.Lfunc_end507:
	.size	_ZN7rocprim17ROCPRIM_400000_NS6detail17trampoline_kernelINS0_14default_configENS1_25partition_config_selectorILNS1_17partition_subalgoE8EsNS0_10empty_typeEbEEZZNS1_14partition_implILS5_8ELb0ES3_jN6thrust23THRUST_200600_302600_NS6detail15normal_iteratorINSA_10device_ptrIsEEEEPS6_PKS6_NS0_5tupleIJSF_S6_EEENSJ_IJSG_SG_EEENS0_18inequality_wrapperI22is_equal_div_10_uniqueIsEEEPmJS6_EEE10hipError_tPvRmT3_T4_T5_T6_T7_T9_mT8_P12ihipStream_tbDpT10_ENKUlT_T0_E_clISt17integral_constantIbLb0EES1A_EEDaS15_S16_EUlS15_E_NS1_11comp_targetILNS1_3genE9ELNS1_11target_archE1100ELNS1_3gpuE3ELNS1_3repE0EEENS1_30default_config_static_selectorELNS0_4arch9wavefront6targetE1EEEvT1_, .Lfunc_end507-_ZN7rocprim17ROCPRIM_400000_NS6detail17trampoline_kernelINS0_14default_configENS1_25partition_config_selectorILNS1_17partition_subalgoE8EsNS0_10empty_typeEbEEZZNS1_14partition_implILS5_8ELb0ES3_jN6thrust23THRUST_200600_302600_NS6detail15normal_iteratorINSA_10device_ptrIsEEEEPS6_PKS6_NS0_5tupleIJSF_S6_EEENSJ_IJSG_SG_EEENS0_18inequality_wrapperI22is_equal_div_10_uniqueIsEEEPmJS6_EEE10hipError_tPvRmT3_T4_T5_T6_T7_T9_mT8_P12ihipStream_tbDpT10_ENKUlT_T0_E_clISt17integral_constantIbLb0EES1A_EEDaS15_S16_EUlS15_E_NS1_11comp_targetILNS1_3genE9ELNS1_11target_archE1100ELNS1_3gpuE3ELNS1_3repE0EEENS1_30default_config_static_selectorELNS0_4arch9wavefront6targetE1EEEvT1_
                                        ; -- End function
	.set _ZN7rocprim17ROCPRIM_400000_NS6detail17trampoline_kernelINS0_14default_configENS1_25partition_config_selectorILNS1_17partition_subalgoE8EsNS0_10empty_typeEbEEZZNS1_14partition_implILS5_8ELb0ES3_jN6thrust23THRUST_200600_302600_NS6detail15normal_iteratorINSA_10device_ptrIsEEEEPS6_PKS6_NS0_5tupleIJSF_S6_EEENSJ_IJSG_SG_EEENS0_18inequality_wrapperI22is_equal_div_10_uniqueIsEEEPmJS6_EEE10hipError_tPvRmT3_T4_T5_T6_T7_T9_mT8_P12ihipStream_tbDpT10_ENKUlT_T0_E_clISt17integral_constantIbLb0EES1A_EEDaS15_S16_EUlS15_E_NS1_11comp_targetILNS1_3genE9ELNS1_11target_archE1100ELNS1_3gpuE3ELNS1_3repE0EEENS1_30default_config_static_selectorELNS0_4arch9wavefront6targetE1EEEvT1_.num_vgpr, 0
	.set _ZN7rocprim17ROCPRIM_400000_NS6detail17trampoline_kernelINS0_14default_configENS1_25partition_config_selectorILNS1_17partition_subalgoE8EsNS0_10empty_typeEbEEZZNS1_14partition_implILS5_8ELb0ES3_jN6thrust23THRUST_200600_302600_NS6detail15normal_iteratorINSA_10device_ptrIsEEEEPS6_PKS6_NS0_5tupleIJSF_S6_EEENSJ_IJSG_SG_EEENS0_18inequality_wrapperI22is_equal_div_10_uniqueIsEEEPmJS6_EEE10hipError_tPvRmT3_T4_T5_T6_T7_T9_mT8_P12ihipStream_tbDpT10_ENKUlT_T0_E_clISt17integral_constantIbLb0EES1A_EEDaS15_S16_EUlS15_E_NS1_11comp_targetILNS1_3genE9ELNS1_11target_archE1100ELNS1_3gpuE3ELNS1_3repE0EEENS1_30default_config_static_selectorELNS0_4arch9wavefront6targetE1EEEvT1_.num_agpr, 0
	.set _ZN7rocprim17ROCPRIM_400000_NS6detail17trampoline_kernelINS0_14default_configENS1_25partition_config_selectorILNS1_17partition_subalgoE8EsNS0_10empty_typeEbEEZZNS1_14partition_implILS5_8ELb0ES3_jN6thrust23THRUST_200600_302600_NS6detail15normal_iteratorINSA_10device_ptrIsEEEEPS6_PKS6_NS0_5tupleIJSF_S6_EEENSJ_IJSG_SG_EEENS0_18inequality_wrapperI22is_equal_div_10_uniqueIsEEEPmJS6_EEE10hipError_tPvRmT3_T4_T5_T6_T7_T9_mT8_P12ihipStream_tbDpT10_ENKUlT_T0_E_clISt17integral_constantIbLb0EES1A_EEDaS15_S16_EUlS15_E_NS1_11comp_targetILNS1_3genE9ELNS1_11target_archE1100ELNS1_3gpuE3ELNS1_3repE0EEENS1_30default_config_static_selectorELNS0_4arch9wavefront6targetE1EEEvT1_.numbered_sgpr, 0
	.set _ZN7rocprim17ROCPRIM_400000_NS6detail17trampoline_kernelINS0_14default_configENS1_25partition_config_selectorILNS1_17partition_subalgoE8EsNS0_10empty_typeEbEEZZNS1_14partition_implILS5_8ELb0ES3_jN6thrust23THRUST_200600_302600_NS6detail15normal_iteratorINSA_10device_ptrIsEEEEPS6_PKS6_NS0_5tupleIJSF_S6_EEENSJ_IJSG_SG_EEENS0_18inequality_wrapperI22is_equal_div_10_uniqueIsEEEPmJS6_EEE10hipError_tPvRmT3_T4_T5_T6_T7_T9_mT8_P12ihipStream_tbDpT10_ENKUlT_T0_E_clISt17integral_constantIbLb0EES1A_EEDaS15_S16_EUlS15_E_NS1_11comp_targetILNS1_3genE9ELNS1_11target_archE1100ELNS1_3gpuE3ELNS1_3repE0EEENS1_30default_config_static_selectorELNS0_4arch9wavefront6targetE1EEEvT1_.num_named_barrier, 0
	.set _ZN7rocprim17ROCPRIM_400000_NS6detail17trampoline_kernelINS0_14default_configENS1_25partition_config_selectorILNS1_17partition_subalgoE8EsNS0_10empty_typeEbEEZZNS1_14partition_implILS5_8ELb0ES3_jN6thrust23THRUST_200600_302600_NS6detail15normal_iteratorINSA_10device_ptrIsEEEEPS6_PKS6_NS0_5tupleIJSF_S6_EEENSJ_IJSG_SG_EEENS0_18inequality_wrapperI22is_equal_div_10_uniqueIsEEEPmJS6_EEE10hipError_tPvRmT3_T4_T5_T6_T7_T9_mT8_P12ihipStream_tbDpT10_ENKUlT_T0_E_clISt17integral_constantIbLb0EES1A_EEDaS15_S16_EUlS15_E_NS1_11comp_targetILNS1_3genE9ELNS1_11target_archE1100ELNS1_3gpuE3ELNS1_3repE0EEENS1_30default_config_static_selectorELNS0_4arch9wavefront6targetE1EEEvT1_.private_seg_size, 0
	.set _ZN7rocprim17ROCPRIM_400000_NS6detail17trampoline_kernelINS0_14default_configENS1_25partition_config_selectorILNS1_17partition_subalgoE8EsNS0_10empty_typeEbEEZZNS1_14partition_implILS5_8ELb0ES3_jN6thrust23THRUST_200600_302600_NS6detail15normal_iteratorINSA_10device_ptrIsEEEEPS6_PKS6_NS0_5tupleIJSF_S6_EEENSJ_IJSG_SG_EEENS0_18inequality_wrapperI22is_equal_div_10_uniqueIsEEEPmJS6_EEE10hipError_tPvRmT3_T4_T5_T6_T7_T9_mT8_P12ihipStream_tbDpT10_ENKUlT_T0_E_clISt17integral_constantIbLb0EES1A_EEDaS15_S16_EUlS15_E_NS1_11comp_targetILNS1_3genE9ELNS1_11target_archE1100ELNS1_3gpuE3ELNS1_3repE0EEENS1_30default_config_static_selectorELNS0_4arch9wavefront6targetE1EEEvT1_.uses_vcc, 0
	.set _ZN7rocprim17ROCPRIM_400000_NS6detail17trampoline_kernelINS0_14default_configENS1_25partition_config_selectorILNS1_17partition_subalgoE8EsNS0_10empty_typeEbEEZZNS1_14partition_implILS5_8ELb0ES3_jN6thrust23THRUST_200600_302600_NS6detail15normal_iteratorINSA_10device_ptrIsEEEEPS6_PKS6_NS0_5tupleIJSF_S6_EEENSJ_IJSG_SG_EEENS0_18inequality_wrapperI22is_equal_div_10_uniqueIsEEEPmJS6_EEE10hipError_tPvRmT3_T4_T5_T6_T7_T9_mT8_P12ihipStream_tbDpT10_ENKUlT_T0_E_clISt17integral_constantIbLb0EES1A_EEDaS15_S16_EUlS15_E_NS1_11comp_targetILNS1_3genE9ELNS1_11target_archE1100ELNS1_3gpuE3ELNS1_3repE0EEENS1_30default_config_static_selectorELNS0_4arch9wavefront6targetE1EEEvT1_.uses_flat_scratch, 0
	.set _ZN7rocprim17ROCPRIM_400000_NS6detail17trampoline_kernelINS0_14default_configENS1_25partition_config_selectorILNS1_17partition_subalgoE8EsNS0_10empty_typeEbEEZZNS1_14partition_implILS5_8ELb0ES3_jN6thrust23THRUST_200600_302600_NS6detail15normal_iteratorINSA_10device_ptrIsEEEEPS6_PKS6_NS0_5tupleIJSF_S6_EEENSJ_IJSG_SG_EEENS0_18inequality_wrapperI22is_equal_div_10_uniqueIsEEEPmJS6_EEE10hipError_tPvRmT3_T4_T5_T6_T7_T9_mT8_P12ihipStream_tbDpT10_ENKUlT_T0_E_clISt17integral_constantIbLb0EES1A_EEDaS15_S16_EUlS15_E_NS1_11comp_targetILNS1_3genE9ELNS1_11target_archE1100ELNS1_3gpuE3ELNS1_3repE0EEENS1_30default_config_static_selectorELNS0_4arch9wavefront6targetE1EEEvT1_.has_dyn_sized_stack, 0
	.set _ZN7rocprim17ROCPRIM_400000_NS6detail17trampoline_kernelINS0_14default_configENS1_25partition_config_selectorILNS1_17partition_subalgoE8EsNS0_10empty_typeEbEEZZNS1_14partition_implILS5_8ELb0ES3_jN6thrust23THRUST_200600_302600_NS6detail15normal_iteratorINSA_10device_ptrIsEEEEPS6_PKS6_NS0_5tupleIJSF_S6_EEENSJ_IJSG_SG_EEENS0_18inequality_wrapperI22is_equal_div_10_uniqueIsEEEPmJS6_EEE10hipError_tPvRmT3_T4_T5_T6_T7_T9_mT8_P12ihipStream_tbDpT10_ENKUlT_T0_E_clISt17integral_constantIbLb0EES1A_EEDaS15_S16_EUlS15_E_NS1_11comp_targetILNS1_3genE9ELNS1_11target_archE1100ELNS1_3gpuE3ELNS1_3repE0EEENS1_30default_config_static_selectorELNS0_4arch9wavefront6targetE1EEEvT1_.has_recursion, 0
	.set _ZN7rocprim17ROCPRIM_400000_NS6detail17trampoline_kernelINS0_14default_configENS1_25partition_config_selectorILNS1_17partition_subalgoE8EsNS0_10empty_typeEbEEZZNS1_14partition_implILS5_8ELb0ES3_jN6thrust23THRUST_200600_302600_NS6detail15normal_iteratorINSA_10device_ptrIsEEEEPS6_PKS6_NS0_5tupleIJSF_S6_EEENSJ_IJSG_SG_EEENS0_18inequality_wrapperI22is_equal_div_10_uniqueIsEEEPmJS6_EEE10hipError_tPvRmT3_T4_T5_T6_T7_T9_mT8_P12ihipStream_tbDpT10_ENKUlT_T0_E_clISt17integral_constantIbLb0EES1A_EEDaS15_S16_EUlS15_E_NS1_11comp_targetILNS1_3genE9ELNS1_11target_archE1100ELNS1_3gpuE3ELNS1_3repE0EEENS1_30default_config_static_selectorELNS0_4arch9wavefront6targetE1EEEvT1_.has_indirect_call, 0
	.section	.AMDGPU.csdata,"",@progbits
; Kernel info:
; codeLenInByte = 0
; TotalNumSgprs: 4
; NumVgprs: 0
; ScratchSize: 0
; MemoryBound: 0
; FloatMode: 240
; IeeeMode: 1
; LDSByteSize: 0 bytes/workgroup (compile time only)
; SGPRBlocks: 0
; VGPRBlocks: 0
; NumSGPRsForWavesPerEU: 4
; NumVGPRsForWavesPerEU: 1
; Occupancy: 10
; WaveLimiterHint : 0
; COMPUTE_PGM_RSRC2:SCRATCH_EN: 0
; COMPUTE_PGM_RSRC2:USER_SGPR: 6
; COMPUTE_PGM_RSRC2:TRAP_HANDLER: 0
; COMPUTE_PGM_RSRC2:TGID_X_EN: 1
; COMPUTE_PGM_RSRC2:TGID_Y_EN: 0
; COMPUTE_PGM_RSRC2:TGID_Z_EN: 0
; COMPUTE_PGM_RSRC2:TIDIG_COMP_CNT: 0
	.section	.text._ZN7rocprim17ROCPRIM_400000_NS6detail17trampoline_kernelINS0_14default_configENS1_25partition_config_selectorILNS1_17partition_subalgoE8EsNS0_10empty_typeEbEEZZNS1_14partition_implILS5_8ELb0ES3_jN6thrust23THRUST_200600_302600_NS6detail15normal_iteratorINSA_10device_ptrIsEEEEPS6_PKS6_NS0_5tupleIJSF_S6_EEENSJ_IJSG_SG_EEENS0_18inequality_wrapperI22is_equal_div_10_uniqueIsEEEPmJS6_EEE10hipError_tPvRmT3_T4_T5_T6_T7_T9_mT8_P12ihipStream_tbDpT10_ENKUlT_T0_E_clISt17integral_constantIbLb0EES1A_EEDaS15_S16_EUlS15_E_NS1_11comp_targetILNS1_3genE8ELNS1_11target_archE1030ELNS1_3gpuE2ELNS1_3repE0EEENS1_30default_config_static_selectorELNS0_4arch9wavefront6targetE1EEEvT1_,"axG",@progbits,_ZN7rocprim17ROCPRIM_400000_NS6detail17trampoline_kernelINS0_14default_configENS1_25partition_config_selectorILNS1_17partition_subalgoE8EsNS0_10empty_typeEbEEZZNS1_14partition_implILS5_8ELb0ES3_jN6thrust23THRUST_200600_302600_NS6detail15normal_iteratorINSA_10device_ptrIsEEEEPS6_PKS6_NS0_5tupleIJSF_S6_EEENSJ_IJSG_SG_EEENS0_18inequality_wrapperI22is_equal_div_10_uniqueIsEEEPmJS6_EEE10hipError_tPvRmT3_T4_T5_T6_T7_T9_mT8_P12ihipStream_tbDpT10_ENKUlT_T0_E_clISt17integral_constantIbLb0EES1A_EEDaS15_S16_EUlS15_E_NS1_11comp_targetILNS1_3genE8ELNS1_11target_archE1030ELNS1_3gpuE2ELNS1_3repE0EEENS1_30default_config_static_selectorELNS0_4arch9wavefront6targetE1EEEvT1_,comdat
	.protected	_ZN7rocprim17ROCPRIM_400000_NS6detail17trampoline_kernelINS0_14default_configENS1_25partition_config_selectorILNS1_17partition_subalgoE8EsNS0_10empty_typeEbEEZZNS1_14partition_implILS5_8ELb0ES3_jN6thrust23THRUST_200600_302600_NS6detail15normal_iteratorINSA_10device_ptrIsEEEEPS6_PKS6_NS0_5tupleIJSF_S6_EEENSJ_IJSG_SG_EEENS0_18inequality_wrapperI22is_equal_div_10_uniqueIsEEEPmJS6_EEE10hipError_tPvRmT3_T4_T5_T6_T7_T9_mT8_P12ihipStream_tbDpT10_ENKUlT_T0_E_clISt17integral_constantIbLb0EES1A_EEDaS15_S16_EUlS15_E_NS1_11comp_targetILNS1_3genE8ELNS1_11target_archE1030ELNS1_3gpuE2ELNS1_3repE0EEENS1_30default_config_static_selectorELNS0_4arch9wavefront6targetE1EEEvT1_ ; -- Begin function _ZN7rocprim17ROCPRIM_400000_NS6detail17trampoline_kernelINS0_14default_configENS1_25partition_config_selectorILNS1_17partition_subalgoE8EsNS0_10empty_typeEbEEZZNS1_14partition_implILS5_8ELb0ES3_jN6thrust23THRUST_200600_302600_NS6detail15normal_iteratorINSA_10device_ptrIsEEEEPS6_PKS6_NS0_5tupleIJSF_S6_EEENSJ_IJSG_SG_EEENS0_18inequality_wrapperI22is_equal_div_10_uniqueIsEEEPmJS6_EEE10hipError_tPvRmT3_T4_T5_T6_T7_T9_mT8_P12ihipStream_tbDpT10_ENKUlT_T0_E_clISt17integral_constantIbLb0EES1A_EEDaS15_S16_EUlS15_E_NS1_11comp_targetILNS1_3genE8ELNS1_11target_archE1030ELNS1_3gpuE2ELNS1_3repE0EEENS1_30default_config_static_selectorELNS0_4arch9wavefront6targetE1EEEvT1_
	.globl	_ZN7rocprim17ROCPRIM_400000_NS6detail17trampoline_kernelINS0_14default_configENS1_25partition_config_selectorILNS1_17partition_subalgoE8EsNS0_10empty_typeEbEEZZNS1_14partition_implILS5_8ELb0ES3_jN6thrust23THRUST_200600_302600_NS6detail15normal_iteratorINSA_10device_ptrIsEEEEPS6_PKS6_NS0_5tupleIJSF_S6_EEENSJ_IJSG_SG_EEENS0_18inequality_wrapperI22is_equal_div_10_uniqueIsEEEPmJS6_EEE10hipError_tPvRmT3_T4_T5_T6_T7_T9_mT8_P12ihipStream_tbDpT10_ENKUlT_T0_E_clISt17integral_constantIbLb0EES1A_EEDaS15_S16_EUlS15_E_NS1_11comp_targetILNS1_3genE8ELNS1_11target_archE1030ELNS1_3gpuE2ELNS1_3repE0EEENS1_30default_config_static_selectorELNS0_4arch9wavefront6targetE1EEEvT1_
	.p2align	8
	.type	_ZN7rocprim17ROCPRIM_400000_NS6detail17trampoline_kernelINS0_14default_configENS1_25partition_config_selectorILNS1_17partition_subalgoE8EsNS0_10empty_typeEbEEZZNS1_14partition_implILS5_8ELb0ES3_jN6thrust23THRUST_200600_302600_NS6detail15normal_iteratorINSA_10device_ptrIsEEEEPS6_PKS6_NS0_5tupleIJSF_S6_EEENSJ_IJSG_SG_EEENS0_18inequality_wrapperI22is_equal_div_10_uniqueIsEEEPmJS6_EEE10hipError_tPvRmT3_T4_T5_T6_T7_T9_mT8_P12ihipStream_tbDpT10_ENKUlT_T0_E_clISt17integral_constantIbLb0EES1A_EEDaS15_S16_EUlS15_E_NS1_11comp_targetILNS1_3genE8ELNS1_11target_archE1030ELNS1_3gpuE2ELNS1_3repE0EEENS1_30default_config_static_selectorELNS0_4arch9wavefront6targetE1EEEvT1_,@function
_ZN7rocprim17ROCPRIM_400000_NS6detail17trampoline_kernelINS0_14default_configENS1_25partition_config_selectorILNS1_17partition_subalgoE8EsNS0_10empty_typeEbEEZZNS1_14partition_implILS5_8ELb0ES3_jN6thrust23THRUST_200600_302600_NS6detail15normal_iteratorINSA_10device_ptrIsEEEEPS6_PKS6_NS0_5tupleIJSF_S6_EEENSJ_IJSG_SG_EEENS0_18inequality_wrapperI22is_equal_div_10_uniqueIsEEEPmJS6_EEE10hipError_tPvRmT3_T4_T5_T6_T7_T9_mT8_P12ihipStream_tbDpT10_ENKUlT_T0_E_clISt17integral_constantIbLb0EES1A_EEDaS15_S16_EUlS15_E_NS1_11comp_targetILNS1_3genE8ELNS1_11target_archE1030ELNS1_3gpuE2ELNS1_3repE0EEENS1_30default_config_static_selectorELNS0_4arch9wavefront6targetE1EEEvT1_: ; @_ZN7rocprim17ROCPRIM_400000_NS6detail17trampoline_kernelINS0_14default_configENS1_25partition_config_selectorILNS1_17partition_subalgoE8EsNS0_10empty_typeEbEEZZNS1_14partition_implILS5_8ELb0ES3_jN6thrust23THRUST_200600_302600_NS6detail15normal_iteratorINSA_10device_ptrIsEEEEPS6_PKS6_NS0_5tupleIJSF_S6_EEENSJ_IJSG_SG_EEENS0_18inequality_wrapperI22is_equal_div_10_uniqueIsEEEPmJS6_EEE10hipError_tPvRmT3_T4_T5_T6_T7_T9_mT8_P12ihipStream_tbDpT10_ENKUlT_T0_E_clISt17integral_constantIbLb0EES1A_EEDaS15_S16_EUlS15_E_NS1_11comp_targetILNS1_3genE8ELNS1_11target_archE1030ELNS1_3gpuE2ELNS1_3repE0EEENS1_30default_config_static_selectorELNS0_4arch9wavefront6targetE1EEEvT1_
; %bb.0:
	.section	.rodata,"a",@progbits
	.p2align	6, 0x0
	.amdhsa_kernel _ZN7rocprim17ROCPRIM_400000_NS6detail17trampoline_kernelINS0_14default_configENS1_25partition_config_selectorILNS1_17partition_subalgoE8EsNS0_10empty_typeEbEEZZNS1_14partition_implILS5_8ELb0ES3_jN6thrust23THRUST_200600_302600_NS6detail15normal_iteratorINSA_10device_ptrIsEEEEPS6_PKS6_NS0_5tupleIJSF_S6_EEENSJ_IJSG_SG_EEENS0_18inequality_wrapperI22is_equal_div_10_uniqueIsEEEPmJS6_EEE10hipError_tPvRmT3_T4_T5_T6_T7_T9_mT8_P12ihipStream_tbDpT10_ENKUlT_T0_E_clISt17integral_constantIbLb0EES1A_EEDaS15_S16_EUlS15_E_NS1_11comp_targetILNS1_3genE8ELNS1_11target_archE1030ELNS1_3gpuE2ELNS1_3repE0EEENS1_30default_config_static_selectorELNS0_4arch9wavefront6targetE1EEEvT1_
		.amdhsa_group_segment_fixed_size 0
		.amdhsa_private_segment_fixed_size 0
		.amdhsa_kernarg_size 112
		.amdhsa_user_sgpr_count 6
		.amdhsa_user_sgpr_private_segment_buffer 1
		.amdhsa_user_sgpr_dispatch_ptr 0
		.amdhsa_user_sgpr_queue_ptr 0
		.amdhsa_user_sgpr_kernarg_segment_ptr 1
		.amdhsa_user_sgpr_dispatch_id 0
		.amdhsa_user_sgpr_flat_scratch_init 0
		.amdhsa_user_sgpr_private_segment_size 0
		.amdhsa_uses_dynamic_stack 0
		.amdhsa_system_sgpr_private_segment_wavefront_offset 0
		.amdhsa_system_sgpr_workgroup_id_x 1
		.amdhsa_system_sgpr_workgroup_id_y 0
		.amdhsa_system_sgpr_workgroup_id_z 0
		.amdhsa_system_sgpr_workgroup_info 0
		.amdhsa_system_vgpr_workitem_id 0
		.amdhsa_next_free_vgpr 1
		.amdhsa_next_free_sgpr 0
		.amdhsa_reserve_vcc 0
		.amdhsa_reserve_flat_scratch 0
		.amdhsa_float_round_mode_32 0
		.amdhsa_float_round_mode_16_64 0
		.amdhsa_float_denorm_mode_32 3
		.amdhsa_float_denorm_mode_16_64 3
		.amdhsa_dx10_clamp 1
		.amdhsa_ieee_mode 1
		.amdhsa_fp16_overflow 0
		.amdhsa_exception_fp_ieee_invalid_op 0
		.amdhsa_exception_fp_denorm_src 0
		.amdhsa_exception_fp_ieee_div_zero 0
		.amdhsa_exception_fp_ieee_overflow 0
		.amdhsa_exception_fp_ieee_underflow 0
		.amdhsa_exception_fp_ieee_inexact 0
		.amdhsa_exception_int_div_zero 0
	.end_amdhsa_kernel
	.section	.text._ZN7rocprim17ROCPRIM_400000_NS6detail17trampoline_kernelINS0_14default_configENS1_25partition_config_selectorILNS1_17partition_subalgoE8EsNS0_10empty_typeEbEEZZNS1_14partition_implILS5_8ELb0ES3_jN6thrust23THRUST_200600_302600_NS6detail15normal_iteratorINSA_10device_ptrIsEEEEPS6_PKS6_NS0_5tupleIJSF_S6_EEENSJ_IJSG_SG_EEENS0_18inequality_wrapperI22is_equal_div_10_uniqueIsEEEPmJS6_EEE10hipError_tPvRmT3_T4_T5_T6_T7_T9_mT8_P12ihipStream_tbDpT10_ENKUlT_T0_E_clISt17integral_constantIbLb0EES1A_EEDaS15_S16_EUlS15_E_NS1_11comp_targetILNS1_3genE8ELNS1_11target_archE1030ELNS1_3gpuE2ELNS1_3repE0EEENS1_30default_config_static_selectorELNS0_4arch9wavefront6targetE1EEEvT1_,"axG",@progbits,_ZN7rocprim17ROCPRIM_400000_NS6detail17trampoline_kernelINS0_14default_configENS1_25partition_config_selectorILNS1_17partition_subalgoE8EsNS0_10empty_typeEbEEZZNS1_14partition_implILS5_8ELb0ES3_jN6thrust23THRUST_200600_302600_NS6detail15normal_iteratorINSA_10device_ptrIsEEEEPS6_PKS6_NS0_5tupleIJSF_S6_EEENSJ_IJSG_SG_EEENS0_18inequality_wrapperI22is_equal_div_10_uniqueIsEEEPmJS6_EEE10hipError_tPvRmT3_T4_T5_T6_T7_T9_mT8_P12ihipStream_tbDpT10_ENKUlT_T0_E_clISt17integral_constantIbLb0EES1A_EEDaS15_S16_EUlS15_E_NS1_11comp_targetILNS1_3genE8ELNS1_11target_archE1030ELNS1_3gpuE2ELNS1_3repE0EEENS1_30default_config_static_selectorELNS0_4arch9wavefront6targetE1EEEvT1_,comdat
.Lfunc_end508:
	.size	_ZN7rocprim17ROCPRIM_400000_NS6detail17trampoline_kernelINS0_14default_configENS1_25partition_config_selectorILNS1_17partition_subalgoE8EsNS0_10empty_typeEbEEZZNS1_14partition_implILS5_8ELb0ES3_jN6thrust23THRUST_200600_302600_NS6detail15normal_iteratorINSA_10device_ptrIsEEEEPS6_PKS6_NS0_5tupleIJSF_S6_EEENSJ_IJSG_SG_EEENS0_18inequality_wrapperI22is_equal_div_10_uniqueIsEEEPmJS6_EEE10hipError_tPvRmT3_T4_T5_T6_T7_T9_mT8_P12ihipStream_tbDpT10_ENKUlT_T0_E_clISt17integral_constantIbLb0EES1A_EEDaS15_S16_EUlS15_E_NS1_11comp_targetILNS1_3genE8ELNS1_11target_archE1030ELNS1_3gpuE2ELNS1_3repE0EEENS1_30default_config_static_selectorELNS0_4arch9wavefront6targetE1EEEvT1_, .Lfunc_end508-_ZN7rocprim17ROCPRIM_400000_NS6detail17trampoline_kernelINS0_14default_configENS1_25partition_config_selectorILNS1_17partition_subalgoE8EsNS0_10empty_typeEbEEZZNS1_14partition_implILS5_8ELb0ES3_jN6thrust23THRUST_200600_302600_NS6detail15normal_iteratorINSA_10device_ptrIsEEEEPS6_PKS6_NS0_5tupleIJSF_S6_EEENSJ_IJSG_SG_EEENS0_18inequality_wrapperI22is_equal_div_10_uniqueIsEEEPmJS6_EEE10hipError_tPvRmT3_T4_T5_T6_T7_T9_mT8_P12ihipStream_tbDpT10_ENKUlT_T0_E_clISt17integral_constantIbLb0EES1A_EEDaS15_S16_EUlS15_E_NS1_11comp_targetILNS1_3genE8ELNS1_11target_archE1030ELNS1_3gpuE2ELNS1_3repE0EEENS1_30default_config_static_selectorELNS0_4arch9wavefront6targetE1EEEvT1_
                                        ; -- End function
	.set _ZN7rocprim17ROCPRIM_400000_NS6detail17trampoline_kernelINS0_14default_configENS1_25partition_config_selectorILNS1_17partition_subalgoE8EsNS0_10empty_typeEbEEZZNS1_14partition_implILS5_8ELb0ES3_jN6thrust23THRUST_200600_302600_NS6detail15normal_iteratorINSA_10device_ptrIsEEEEPS6_PKS6_NS0_5tupleIJSF_S6_EEENSJ_IJSG_SG_EEENS0_18inequality_wrapperI22is_equal_div_10_uniqueIsEEEPmJS6_EEE10hipError_tPvRmT3_T4_T5_T6_T7_T9_mT8_P12ihipStream_tbDpT10_ENKUlT_T0_E_clISt17integral_constantIbLb0EES1A_EEDaS15_S16_EUlS15_E_NS1_11comp_targetILNS1_3genE8ELNS1_11target_archE1030ELNS1_3gpuE2ELNS1_3repE0EEENS1_30default_config_static_selectorELNS0_4arch9wavefront6targetE1EEEvT1_.num_vgpr, 0
	.set _ZN7rocprim17ROCPRIM_400000_NS6detail17trampoline_kernelINS0_14default_configENS1_25partition_config_selectorILNS1_17partition_subalgoE8EsNS0_10empty_typeEbEEZZNS1_14partition_implILS5_8ELb0ES3_jN6thrust23THRUST_200600_302600_NS6detail15normal_iteratorINSA_10device_ptrIsEEEEPS6_PKS6_NS0_5tupleIJSF_S6_EEENSJ_IJSG_SG_EEENS0_18inequality_wrapperI22is_equal_div_10_uniqueIsEEEPmJS6_EEE10hipError_tPvRmT3_T4_T5_T6_T7_T9_mT8_P12ihipStream_tbDpT10_ENKUlT_T0_E_clISt17integral_constantIbLb0EES1A_EEDaS15_S16_EUlS15_E_NS1_11comp_targetILNS1_3genE8ELNS1_11target_archE1030ELNS1_3gpuE2ELNS1_3repE0EEENS1_30default_config_static_selectorELNS0_4arch9wavefront6targetE1EEEvT1_.num_agpr, 0
	.set _ZN7rocprim17ROCPRIM_400000_NS6detail17trampoline_kernelINS0_14default_configENS1_25partition_config_selectorILNS1_17partition_subalgoE8EsNS0_10empty_typeEbEEZZNS1_14partition_implILS5_8ELb0ES3_jN6thrust23THRUST_200600_302600_NS6detail15normal_iteratorINSA_10device_ptrIsEEEEPS6_PKS6_NS0_5tupleIJSF_S6_EEENSJ_IJSG_SG_EEENS0_18inequality_wrapperI22is_equal_div_10_uniqueIsEEEPmJS6_EEE10hipError_tPvRmT3_T4_T5_T6_T7_T9_mT8_P12ihipStream_tbDpT10_ENKUlT_T0_E_clISt17integral_constantIbLb0EES1A_EEDaS15_S16_EUlS15_E_NS1_11comp_targetILNS1_3genE8ELNS1_11target_archE1030ELNS1_3gpuE2ELNS1_3repE0EEENS1_30default_config_static_selectorELNS0_4arch9wavefront6targetE1EEEvT1_.numbered_sgpr, 0
	.set _ZN7rocprim17ROCPRIM_400000_NS6detail17trampoline_kernelINS0_14default_configENS1_25partition_config_selectorILNS1_17partition_subalgoE8EsNS0_10empty_typeEbEEZZNS1_14partition_implILS5_8ELb0ES3_jN6thrust23THRUST_200600_302600_NS6detail15normal_iteratorINSA_10device_ptrIsEEEEPS6_PKS6_NS0_5tupleIJSF_S6_EEENSJ_IJSG_SG_EEENS0_18inequality_wrapperI22is_equal_div_10_uniqueIsEEEPmJS6_EEE10hipError_tPvRmT3_T4_T5_T6_T7_T9_mT8_P12ihipStream_tbDpT10_ENKUlT_T0_E_clISt17integral_constantIbLb0EES1A_EEDaS15_S16_EUlS15_E_NS1_11comp_targetILNS1_3genE8ELNS1_11target_archE1030ELNS1_3gpuE2ELNS1_3repE0EEENS1_30default_config_static_selectorELNS0_4arch9wavefront6targetE1EEEvT1_.num_named_barrier, 0
	.set _ZN7rocprim17ROCPRIM_400000_NS6detail17trampoline_kernelINS0_14default_configENS1_25partition_config_selectorILNS1_17partition_subalgoE8EsNS0_10empty_typeEbEEZZNS1_14partition_implILS5_8ELb0ES3_jN6thrust23THRUST_200600_302600_NS6detail15normal_iteratorINSA_10device_ptrIsEEEEPS6_PKS6_NS0_5tupleIJSF_S6_EEENSJ_IJSG_SG_EEENS0_18inequality_wrapperI22is_equal_div_10_uniqueIsEEEPmJS6_EEE10hipError_tPvRmT3_T4_T5_T6_T7_T9_mT8_P12ihipStream_tbDpT10_ENKUlT_T0_E_clISt17integral_constantIbLb0EES1A_EEDaS15_S16_EUlS15_E_NS1_11comp_targetILNS1_3genE8ELNS1_11target_archE1030ELNS1_3gpuE2ELNS1_3repE0EEENS1_30default_config_static_selectorELNS0_4arch9wavefront6targetE1EEEvT1_.private_seg_size, 0
	.set _ZN7rocprim17ROCPRIM_400000_NS6detail17trampoline_kernelINS0_14default_configENS1_25partition_config_selectorILNS1_17partition_subalgoE8EsNS0_10empty_typeEbEEZZNS1_14partition_implILS5_8ELb0ES3_jN6thrust23THRUST_200600_302600_NS6detail15normal_iteratorINSA_10device_ptrIsEEEEPS6_PKS6_NS0_5tupleIJSF_S6_EEENSJ_IJSG_SG_EEENS0_18inequality_wrapperI22is_equal_div_10_uniqueIsEEEPmJS6_EEE10hipError_tPvRmT3_T4_T5_T6_T7_T9_mT8_P12ihipStream_tbDpT10_ENKUlT_T0_E_clISt17integral_constantIbLb0EES1A_EEDaS15_S16_EUlS15_E_NS1_11comp_targetILNS1_3genE8ELNS1_11target_archE1030ELNS1_3gpuE2ELNS1_3repE0EEENS1_30default_config_static_selectorELNS0_4arch9wavefront6targetE1EEEvT1_.uses_vcc, 0
	.set _ZN7rocprim17ROCPRIM_400000_NS6detail17trampoline_kernelINS0_14default_configENS1_25partition_config_selectorILNS1_17partition_subalgoE8EsNS0_10empty_typeEbEEZZNS1_14partition_implILS5_8ELb0ES3_jN6thrust23THRUST_200600_302600_NS6detail15normal_iteratorINSA_10device_ptrIsEEEEPS6_PKS6_NS0_5tupleIJSF_S6_EEENSJ_IJSG_SG_EEENS0_18inequality_wrapperI22is_equal_div_10_uniqueIsEEEPmJS6_EEE10hipError_tPvRmT3_T4_T5_T6_T7_T9_mT8_P12ihipStream_tbDpT10_ENKUlT_T0_E_clISt17integral_constantIbLb0EES1A_EEDaS15_S16_EUlS15_E_NS1_11comp_targetILNS1_3genE8ELNS1_11target_archE1030ELNS1_3gpuE2ELNS1_3repE0EEENS1_30default_config_static_selectorELNS0_4arch9wavefront6targetE1EEEvT1_.uses_flat_scratch, 0
	.set _ZN7rocprim17ROCPRIM_400000_NS6detail17trampoline_kernelINS0_14default_configENS1_25partition_config_selectorILNS1_17partition_subalgoE8EsNS0_10empty_typeEbEEZZNS1_14partition_implILS5_8ELb0ES3_jN6thrust23THRUST_200600_302600_NS6detail15normal_iteratorINSA_10device_ptrIsEEEEPS6_PKS6_NS0_5tupleIJSF_S6_EEENSJ_IJSG_SG_EEENS0_18inequality_wrapperI22is_equal_div_10_uniqueIsEEEPmJS6_EEE10hipError_tPvRmT3_T4_T5_T6_T7_T9_mT8_P12ihipStream_tbDpT10_ENKUlT_T0_E_clISt17integral_constantIbLb0EES1A_EEDaS15_S16_EUlS15_E_NS1_11comp_targetILNS1_3genE8ELNS1_11target_archE1030ELNS1_3gpuE2ELNS1_3repE0EEENS1_30default_config_static_selectorELNS0_4arch9wavefront6targetE1EEEvT1_.has_dyn_sized_stack, 0
	.set _ZN7rocprim17ROCPRIM_400000_NS6detail17trampoline_kernelINS0_14default_configENS1_25partition_config_selectorILNS1_17partition_subalgoE8EsNS0_10empty_typeEbEEZZNS1_14partition_implILS5_8ELb0ES3_jN6thrust23THRUST_200600_302600_NS6detail15normal_iteratorINSA_10device_ptrIsEEEEPS6_PKS6_NS0_5tupleIJSF_S6_EEENSJ_IJSG_SG_EEENS0_18inequality_wrapperI22is_equal_div_10_uniqueIsEEEPmJS6_EEE10hipError_tPvRmT3_T4_T5_T6_T7_T9_mT8_P12ihipStream_tbDpT10_ENKUlT_T0_E_clISt17integral_constantIbLb0EES1A_EEDaS15_S16_EUlS15_E_NS1_11comp_targetILNS1_3genE8ELNS1_11target_archE1030ELNS1_3gpuE2ELNS1_3repE0EEENS1_30default_config_static_selectorELNS0_4arch9wavefront6targetE1EEEvT1_.has_recursion, 0
	.set _ZN7rocprim17ROCPRIM_400000_NS6detail17trampoline_kernelINS0_14default_configENS1_25partition_config_selectorILNS1_17partition_subalgoE8EsNS0_10empty_typeEbEEZZNS1_14partition_implILS5_8ELb0ES3_jN6thrust23THRUST_200600_302600_NS6detail15normal_iteratorINSA_10device_ptrIsEEEEPS6_PKS6_NS0_5tupleIJSF_S6_EEENSJ_IJSG_SG_EEENS0_18inequality_wrapperI22is_equal_div_10_uniqueIsEEEPmJS6_EEE10hipError_tPvRmT3_T4_T5_T6_T7_T9_mT8_P12ihipStream_tbDpT10_ENKUlT_T0_E_clISt17integral_constantIbLb0EES1A_EEDaS15_S16_EUlS15_E_NS1_11comp_targetILNS1_3genE8ELNS1_11target_archE1030ELNS1_3gpuE2ELNS1_3repE0EEENS1_30default_config_static_selectorELNS0_4arch9wavefront6targetE1EEEvT1_.has_indirect_call, 0
	.section	.AMDGPU.csdata,"",@progbits
; Kernel info:
; codeLenInByte = 0
; TotalNumSgprs: 4
; NumVgprs: 0
; ScratchSize: 0
; MemoryBound: 0
; FloatMode: 240
; IeeeMode: 1
; LDSByteSize: 0 bytes/workgroup (compile time only)
; SGPRBlocks: 0
; VGPRBlocks: 0
; NumSGPRsForWavesPerEU: 4
; NumVGPRsForWavesPerEU: 1
; Occupancy: 10
; WaveLimiterHint : 0
; COMPUTE_PGM_RSRC2:SCRATCH_EN: 0
; COMPUTE_PGM_RSRC2:USER_SGPR: 6
; COMPUTE_PGM_RSRC2:TRAP_HANDLER: 0
; COMPUTE_PGM_RSRC2:TGID_X_EN: 1
; COMPUTE_PGM_RSRC2:TGID_Y_EN: 0
; COMPUTE_PGM_RSRC2:TGID_Z_EN: 0
; COMPUTE_PGM_RSRC2:TIDIG_COMP_CNT: 0
	.section	.text._ZN7rocprim17ROCPRIM_400000_NS6detail17trampoline_kernelINS0_14default_configENS1_25partition_config_selectorILNS1_17partition_subalgoE8EsNS0_10empty_typeEbEEZZNS1_14partition_implILS5_8ELb0ES3_jN6thrust23THRUST_200600_302600_NS6detail15normal_iteratorINSA_10device_ptrIsEEEEPS6_PKS6_NS0_5tupleIJSF_S6_EEENSJ_IJSG_SG_EEENS0_18inequality_wrapperI22is_equal_div_10_uniqueIsEEEPmJS6_EEE10hipError_tPvRmT3_T4_T5_T6_T7_T9_mT8_P12ihipStream_tbDpT10_ENKUlT_T0_E_clISt17integral_constantIbLb1EES1A_EEDaS15_S16_EUlS15_E_NS1_11comp_targetILNS1_3genE0ELNS1_11target_archE4294967295ELNS1_3gpuE0ELNS1_3repE0EEENS1_30default_config_static_selectorELNS0_4arch9wavefront6targetE1EEEvT1_,"axG",@progbits,_ZN7rocprim17ROCPRIM_400000_NS6detail17trampoline_kernelINS0_14default_configENS1_25partition_config_selectorILNS1_17partition_subalgoE8EsNS0_10empty_typeEbEEZZNS1_14partition_implILS5_8ELb0ES3_jN6thrust23THRUST_200600_302600_NS6detail15normal_iteratorINSA_10device_ptrIsEEEEPS6_PKS6_NS0_5tupleIJSF_S6_EEENSJ_IJSG_SG_EEENS0_18inequality_wrapperI22is_equal_div_10_uniqueIsEEEPmJS6_EEE10hipError_tPvRmT3_T4_T5_T6_T7_T9_mT8_P12ihipStream_tbDpT10_ENKUlT_T0_E_clISt17integral_constantIbLb1EES1A_EEDaS15_S16_EUlS15_E_NS1_11comp_targetILNS1_3genE0ELNS1_11target_archE4294967295ELNS1_3gpuE0ELNS1_3repE0EEENS1_30default_config_static_selectorELNS0_4arch9wavefront6targetE1EEEvT1_,comdat
	.protected	_ZN7rocprim17ROCPRIM_400000_NS6detail17trampoline_kernelINS0_14default_configENS1_25partition_config_selectorILNS1_17partition_subalgoE8EsNS0_10empty_typeEbEEZZNS1_14partition_implILS5_8ELb0ES3_jN6thrust23THRUST_200600_302600_NS6detail15normal_iteratorINSA_10device_ptrIsEEEEPS6_PKS6_NS0_5tupleIJSF_S6_EEENSJ_IJSG_SG_EEENS0_18inequality_wrapperI22is_equal_div_10_uniqueIsEEEPmJS6_EEE10hipError_tPvRmT3_T4_T5_T6_T7_T9_mT8_P12ihipStream_tbDpT10_ENKUlT_T0_E_clISt17integral_constantIbLb1EES1A_EEDaS15_S16_EUlS15_E_NS1_11comp_targetILNS1_3genE0ELNS1_11target_archE4294967295ELNS1_3gpuE0ELNS1_3repE0EEENS1_30default_config_static_selectorELNS0_4arch9wavefront6targetE1EEEvT1_ ; -- Begin function _ZN7rocprim17ROCPRIM_400000_NS6detail17trampoline_kernelINS0_14default_configENS1_25partition_config_selectorILNS1_17partition_subalgoE8EsNS0_10empty_typeEbEEZZNS1_14partition_implILS5_8ELb0ES3_jN6thrust23THRUST_200600_302600_NS6detail15normal_iteratorINSA_10device_ptrIsEEEEPS6_PKS6_NS0_5tupleIJSF_S6_EEENSJ_IJSG_SG_EEENS0_18inequality_wrapperI22is_equal_div_10_uniqueIsEEEPmJS6_EEE10hipError_tPvRmT3_T4_T5_T6_T7_T9_mT8_P12ihipStream_tbDpT10_ENKUlT_T0_E_clISt17integral_constantIbLb1EES1A_EEDaS15_S16_EUlS15_E_NS1_11comp_targetILNS1_3genE0ELNS1_11target_archE4294967295ELNS1_3gpuE0ELNS1_3repE0EEENS1_30default_config_static_selectorELNS0_4arch9wavefront6targetE1EEEvT1_
	.globl	_ZN7rocprim17ROCPRIM_400000_NS6detail17trampoline_kernelINS0_14default_configENS1_25partition_config_selectorILNS1_17partition_subalgoE8EsNS0_10empty_typeEbEEZZNS1_14partition_implILS5_8ELb0ES3_jN6thrust23THRUST_200600_302600_NS6detail15normal_iteratorINSA_10device_ptrIsEEEEPS6_PKS6_NS0_5tupleIJSF_S6_EEENSJ_IJSG_SG_EEENS0_18inequality_wrapperI22is_equal_div_10_uniqueIsEEEPmJS6_EEE10hipError_tPvRmT3_T4_T5_T6_T7_T9_mT8_P12ihipStream_tbDpT10_ENKUlT_T0_E_clISt17integral_constantIbLb1EES1A_EEDaS15_S16_EUlS15_E_NS1_11comp_targetILNS1_3genE0ELNS1_11target_archE4294967295ELNS1_3gpuE0ELNS1_3repE0EEENS1_30default_config_static_selectorELNS0_4arch9wavefront6targetE1EEEvT1_
	.p2align	8
	.type	_ZN7rocprim17ROCPRIM_400000_NS6detail17trampoline_kernelINS0_14default_configENS1_25partition_config_selectorILNS1_17partition_subalgoE8EsNS0_10empty_typeEbEEZZNS1_14partition_implILS5_8ELb0ES3_jN6thrust23THRUST_200600_302600_NS6detail15normal_iteratorINSA_10device_ptrIsEEEEPS6_PKS6_NS0_5tupleIJSF_S6_EEENSJ_IJSG_SG_EEENS0_18inequality_wrapperI22is_equal_div_10_uniqueIsEEEPmJS6_EEE10hipError_tPvRmT3_T4_T5_T6_T7_T9_mT8_P12ihipStream_tbDpT10_ENKUlT_T0_E_clISt17integral_constantIbLb1EES1A_EEDaS15_S16_EUlS15_E_NS1_11comp_targetILNS1_3genE0ELNS1_11target_archE4294967295ELNS1_3gpuE0ELNS1_3repE0EEENS1_30default_config_static_selectorELNS0_4arch9wavefront6targetE1EEEvT1_,@function
_ZN7rocprim17ROCPRIM_400000_NS6detail17trampoline_kernelINS0_14default_configENS1_25partition_config_selectorILNS1_17partition_subalgoE8EsNS0_10empty_typeEbEEZZNS1_14partition_implILS5_8ELb0ES3_jN6thrust23THRUST_200600_302600_NS6detail15normal_iteratorINSA_10device_ptrIsEEEEPS6_PKS6_NS0_5tupleIJSF_S6_EEENSJ_IJSG_SG_EEENS0_18inequality_wrapperI22is_equal_div_10_uniqueIsEEEPmJS6_EEE10hipError_tPvRmT3_T4_T5_T6_T7_T9_mT8_P12ihipStream_tbDpT10_ENKUlT_T0_E_clISt17integral_constantIbLb1EES1A_EEDaS15_S16_EUlS15_E_NS1_11comp_targetILNS1_3genE0ELNS1_11target_archE4294967295ELNS1_3gpuE0ELNS1_3repE0EEENS1_30default_config_static_selectorELNS0_4arch9wavefront6targetE1EEEvT1_: ; @_ZN7rocprim17ROCPRIM_400000_NS6detail17trampoline_kernelINS0_14default_configENS1_25partition_config_selectorILNS1_17partition_subalgoE8EsNS0_10empty_typeEbEEZZNS1_14partition_implILS5_8ELb0ES3_jN6thrust23THRUST_200600_302600_NS6detail15normal_iteratorINSA_10device_ptrIsEEEEPS6_PKS6_NS0_5tupleIJSF_S6_EEENSJ_IJSG_SG_EEENS0_18inequality_wrapperI22is_equal_div_10_uniqueIsEEEPmJS6_EEE10hipError_tPvRmT3_T4_T5_T6_T7_T9_mT8_P12ihipStream_tbDpT10_ENKUlT_T0_E_clISt17integral_constantIbLb1EES1A_EEDaS15_S16_EUlS15_E_NS1_11comp_targetILNS1_3genE0ELNS1_11target_archE4294967295ELNS1_3gpuE0ELNS1_3repE0EEENS1_30default_config_static_selectorELNS0_4arch9wavefront6targetE1EEEvT1_
; %bb.0:
	.section	.rodata,"a",@progbits
	.p2align	6, 0x0
	.amdhsa_kernel _ZN7rocprim17ROCPRIM_400000_NS6detail17trampoline_kernelINS0_14default_configENS1_25partition_config_selectorILNS1_17partition_subalgoE8EsNS0_10empty_typeEbEEZZNS1_14partition_implILS5_8ELb0ES3_jN6thrust23THRUST_200600_302600_NS6detail15normal_iteratorINSA_10device_ptrIsEEEEPS6_PKS6_NS0_5tupleIJSF_S6_EEENSJ_IJSG_SG_EEENS0_18inequality_wrapperI22is_equal_div_10_uniqueIsEEEPmJS6_EEE10hipError_tPvRmT3_T4_T5_T6_T7_T9_mT8_P12ihipStream_tbDpT10_ENKUlT_T0_E_clISt17integral_constantIbLb1EES1A_EEDaS15_S16_EUlS15_E_NS1_11comp_targetILNS1_3genE0ELNS1_11target_archE4294967295ELNS1_3gpuE0ELNS1_3repE0EEENS1_30default_config_static_selectorELNS0_4arch9wavefront6targetE1EEEvT1_
		.amdhsa_group_segment_fixed_size 0
		.amdhsa_private_segment_fixed_size 0
		.amdhsa_kernarg_size 128
		.amdhsa_user_sgpr_count 6
		.amdhsa_user_sgpr_private_segment_buffer 1
		.amdhsa_user_sgpr_dispatch_ptr 0
		.amdhsa_user_sgpr_queue_ptr 0
		.amdhsa_user_sgpr_kernarg_segment_ptr 1
		.amdhsa_user_sgpr_dispatch_id 0
		.amdhsa_user_sgpr_flat_scratch_init 0
		.amdhsa_user_sgpr_private_segment_size 0
		.amdhsa_uses_dynamic_stack 0
		.amdhsa_system_sgpr_private_segment_wavefront_offset 0
		.amdhsa_system_sgpr_workgroup_id_x 1
		.amdhsa_system_sgpr_workgroup_id_y 0
		.amdhsa_system_sgpr_workgroup_id_z 0
		.amdhsa_system_sgpr_workgroup_info 0
		.amdhsa_system_vgpr_workitem_id 0
		.amdhsa_next_free_vgpr 1
		.amdhsa_next_free_sgpr 0
		.amdhsa_reserve_vcc 0
		.amdhsa_reserve_flat_scratch 0
		.amdhsa_float_round_mode_32 0
		.amdhsa_float_round_mode_16_64 0
		.amdhsa_float_denorm_mode_32 3
		.amdhsa_float_denorm_mode_16_64 3
		.amdhsa_dx10_clamp 1
		.amdhsa_ieee_mode 1
		.amdhsa_fp16_overflow 0
		.amdhsa_exception_fp_ieee_invalid_op 0
		.amdhsa_exception_fp_denorm_src 0
		.amdhsa_exception_fp_ieee_div_zero 0
		.amdhsa_exception_fp_ieee_overflow 0
		.amdhsa_exception_fp_ieee_underflow 0
		.amdhsa_exception_fp_ieee_inexact 0
		.amdhsa_exception_int_div_zero 0
	.end_amdhsa_kernel
	.section	.text._ZN7rocprim17ROCPRIM_400000_NS6detail17trampoline_kernelINS0_14default_configENS1_25partition_config_selectorILNS1_17partition_subalgoE8EsNS0_10empty_typeEbEEZZNS1_14partition_implILS5_8ELb0ES3_jN6thrust23THRUST_200600_302600_NS6detail15normal_iteratorINSA_10device_ptrIsEEEEPS6_PKS6_NS0_5tupleIJSF_S6_EEENSJ_IJSG_SG_EEENS0_18inequality_wrapperI22is_equal_div_10_uniqueIsEEEPmJS6_EEE10hipError_tPvRmT3_T4_T5_T6_T7_T9_mT8_P12ihipStream_tbDpT10_ENKUlT_T0_E_clISt17integral_constantIbLb1EES1A_EEDaS15_S16_EUlS15_E_NS1_11comp_targetILNS1_3genE0ELNS1_11target_archE4294967295ELNS1_3gpuE0ELNS1_3repE0EEENS1_30default_config_static_selectorELNS0_4arch9wavefront6targetE1EEEvT1_,"axG",@progbits,_ZN7rocprim17ROCPRIM_400000_NS6detail17trampoline_kernelINS0_14default_configENS1_25partition_config_selectorILNS1_17partition_subalgoE8EsNS0_10empty_typeEbEEZZNS1_14partition_implILS5_8ELb0ES3_jN6thrust23THRUST_200600_302600_NS6detail15normal_iteratorINSA_10device_ptrIsEEEEPS6_PKS6_NS0_5tupleIJSF_S6_EEENSJ_IJSG_SG_EEENS0_18inequality_wrapperI22is_equal_div_10_uniqueIsEEEPmJS6_EEE10hipError_tPvRmT3_T4_T5_T6_T7_T9_mT8_P12ihipStream_tbDpT10_ENKUlT_T0_E_clISt17integral_constantIbLb1EES1A_EEDaS15_S16_EUlS15_E_NS1_11comp_targetILNS1_3genE0ELNS1_11target_archE4294967295ELNS1_3gpuE0ELNS1_3repE0EEENS1_30default_config_static_selectorELNS0_4arch9wavefront6targetE1EEEvT1_,comdat
.Lfunc_end509:
	.size	_ZN7rocprim17ROCPRIM_400000_NS6detail17trampoline_kernelINS0_14default_configENS1_25partition_config_selectorILNS1_17partition_subalgoE8EsNS0_10empty_typeEbEEZZNS1_14partition_implILS5_8ELb0ES3_jN6thrust23THRUST_200600_302600_NS6detail15normal_iteratorINSA_10device_ptrIsEEEEPS6_PKS6_NS0_5tupleIJSF_S6_EEENSJ_IJSG_SG_EEENS0_18inequality_wrapperI22is_equal_div_10_uniqueIsEEEPmJS6_EEE10hipError_tPvRmT3_T4_T5_T6_T7_T9_mT8_P12ihipStream_tbDpT10_ENKUlT_T0_E_clISt17integral_constantIbLb1EES1A_EEDaS15_S16_EUlS15_E_NS1_11comp_targetILNS1_3genE0ELNS1_11target_archE4294967295ELNS1_3gpuE0ELNS1_3repE0EEENS1_30default_config_static_selectorELNS0_4arch9wavefront6targetE1EEEvT1_, .Lfunc_end509-_ZN7rocprim17ROCPRIM_400000_NS6detail17trampoline_kernelINS0_14default_configENS1_25partition_config_selectorILNS1_17partition_subalgoE8EsNS0_10empty_typeEbEEZZNS1_14partition_implILS5_8ELb0ES3_jN6thrust23THRUST_200600_302600_NS6detail15normal_iteratorINSA_10device_ptrIsEEEEPS6_PKS6_NS0_5tupleIJSF_S6_EEENSJ_IJSG_SG_EEENS0_18inequality_wrapperI22is_equal_div_10_uniqueIsEEEPmJS6_EEE10hipError_tPvRmT3_T4_T5_T6_T7_T9_mT8_P12ihipStream_tbDpT10_ENKUlT_T0_E_clISt17integral_constantIbLb1EES1A_EEDaS15_S16_EUlS15_E_NS1_11comp_targetILNS1_3genE0ELNS1_11target_archE4294967295ELNS1_3gpuE0ELNS1_3repE0EEENS1_30default_config_static_selectorELNS0_4arch9wavefront6targetE1EEEvT1_
                                        ; -- End function
	.set _ZN7rocprim17ROCPRIM_400000_NS6detail17trampoline_kernelINS0_14default_configENS1_25partition_config_selectorILNS1_17partition_subalgoE8EsNS0_10empty_typeEbEEZZNS1_14partition_implILS5_8ELb0ES3_jN6thrust23THRUST_200600_302600_NS6detail15normal_iteratorINSA_10device_ptrIsEEEEPS6_PKS6_NS0_5tupleIJSF_S6_EEENSJ_IJSG_SG_EEENS0_18inequality_wrapperI22is_equal_div_10_uniqueIsEEEPmJS6_EEE10hipError_tPvRmT3_T4_T5_T6_T7_T9_mT8_P12ihipStream_tbDpT10_ENKUlT_T0_E_clISt17integral_constantIbLb1EES1A_EEDaS15_S16_EUlS15_E_NS1_11comp_targetILNS1_3genE0ELNS1_11target_archE4294967295ELNS1_3gpuE0ELNS1_3repE0EEENS1_30default_config_static_selectorELNS0_4arch9wavefront6targetE1EEEvT1_.num_vgpr, 0
	.set _ZN7rocprim17ROCPRIM_400000_NS6detail17trampoline_kernelINS0_14default_configENS1_25partition_config_selectorILNS1_17partition_subalgoE8EsNS0_10empty_typeEbEEZZNS1_14partition_implILS5_8ELb0ES3_jN6thrust23THRUST_200600_302600_NS6detail15normal_iteratorINSA_10device_ptrIsEEEEPS6_PKS6_NS0_5tupleIJSF_S6_EEENSJ_IJSG_SG_EEENS0_18inequality_wrapperI22is_equal_div_10_uniqueIsEEEPmJS6_EEE10hipError_tPvRmT3_T4_T5_T6_T7_T9_mT8_P12ihipStream_tbDpT10_ENKUlT_T0_E_clISt17integral_constantIbLb1EES1A_EEDaS15_S16_EUlS15_E_NS1_11comp_targetILNS1_3genE0ELNS1_11target_archE4294967295ELNS1_3gpuE0ELNS1_3repE0EEENS1_30default_config_static_selectorELNS0_4arch9wavefront6targetE1EEEvT1_.num_agpr, 0
	.set _ZN7rocprim17ROCPRIM_400000_NS6detail17trampoline_kernelINS0_14default_configENS1_25partition_config_selectorILNS1_17partition_subalgoE8EsNS0_10empty_typeEbEEZZNS1_14partition_implILS5_8ELb0ES3_jN6thrust23THRUST_200600_302600_NS6detail15normal_iteratorINSA_10device_ptrIsEEEEPS6_PKS6_NS0_5tupleIJSF_S6_EEENSJ_IJSG_SG_EEENS0_18inequality_wrapperI22is_equal_div_10_uniqueIsEEEPmJS6_EEE10hipError_tPvRmT3_T4_T5_T6_T7_T9_mT8_P12ihipStream_tbDpT10_ENKUlT_T0_E_clISt17integral_constantIbLb1EES1A_EEDaS15_S16_EUlS15_E_NS1_11comp_targetILNS1_3genE0ELNS1_11target_archE4294967295ELNS1_3gpuE0ELNS1_3repE0EEENS1_30default_config_static_selectorELNS0_4arch9wavefront6targetE1EEEvT1_.numbered_sgpr, 0
	.set _ZN7rocprim17ROCPRIM_400000_NS6detail17trampoline_kernelINS0_14default_configENS1_25partition_config_selectorILNS1_17partition_subalgoE8EsNS0_10empty_typeEbEEZZNS1_14partition_implILS5_8ELb0ES3_jN6thrust23THRUST_200600_302600_NS6detail15normal_iteratorINSA_10device_ptrIsEEEEPS6_PKS6_NS0_5tupleIJSF_S6_EEENSJ_IJSG_SG_EEENS0_18inequality_wrapperI22is_equal_div_10_uniqueIsEEEPmJS6_EEE10hipError_tPvRmT3_T4_T5_T6_T7_T9_mT8_P12ihipStream_tbDpT10_ENKUlT_T0_E_clISt17integral_constantIbLb1EES1A_EEDaS15_S16_EUlS15_E_NS1_11comp_targetILNS1_3genE0ELNS1_11target_archE4294967295ELNS1_3gpuE0ELNS1_3repE0EEENS1_30default_config_static_selectorELNS0_4arch9wavefront6targetE1EEEvT1_.num_named_barrier, 0
	.set _ZN7rocprim17ROCPRIM_400000_NS6detail17trampoline_kernelINS0_14default_configENS1_25partition_config_selectorILNS1_17partition_subalgoE8EsNS0_10empty_typeEbEEZZNS1_14partition_implILS5_8ELb0ES3_jN6thrust23THRUST_200600_302600_NS6detail15normal_iteratorINSA_10device_ptrIsEEEEPS6_PKS6_NS0_5tupleIJSF_S6_EEENSJ_IJSG_SG_EEENS0_18inequality_wrapperI22is_equal_div_10_uniqueIsEEEPmJS6_EEE10hipError_tPvRmT3_T4_T5_T6_T7_T9_mT8_P12ihipStream_tbDpT10_ENKUlT_T0_E_clISt17integral_constantIbLb1EES1A_EEDaS15_S16_EUlS15_E_NS1_11comp_targetILNS1_3genE0ELNS1_11target_archE4294967295ELNS1_3gpuE0ELNS1_3repE0EEENS1_30default_config_static_selectorELNS0_4arch9wavefront6targetE1EEEvT1_.private_seg_size, 0
	.set _ZN7rocprim17ROCPRIM_400000_NS6detail17trampoline_kernelINS0_14default_configENS1_25partition_config_selectorILNS1_17partition_subalgoE8EsNS0_10empty_typeEbEEZZNS1_14partition_implILS5_8ELb0ES3_jN6thrust23THRUST_200600_302600_NS6detail15normal_iteratorINSA_10device_ptrIsEEEEPS6_PKS6_NS0_5tupleIJSF_S6_EEENSJ_IJSG_SG_EEENS0_18inequality_wrapperI22is_equal_div_10_uniqueIsEEEPmJS6_EEE10hipError_tPvRmT3_T4_T5_T6_T7_T9_mT8_P12ihipStream_tbDpT10_ENKUlT_T0_E_clISt17integral_constantIbLb1EES1A_EEDaS15_S16_EUlS15_E_NS1_11comp_targetILNS1_3genE0ELNS1_11target_archE4294967295ELNS1_3gpuE0ELNS1_3repE0EEENS1_30default_config_static_selectorELNS0_4arch9wavefront6targetE1EEEvT1_.uses_vcc, 0
	.set _ZN7rocprim17ROCPRIM_400000_NS6detail17trampoline_kernelINS0_14default_configENS1_25partition_config_selectorILNS1_17partition_subalgoE8EsNS0_10empty_typeEbEEZZNS1_14partition_implILS5_8ELb0ES3_jN6thrust23THRUST_200600_302600_NS6detail15normal_iteratorINSA_10device_ptrIsEEEEPS6_PKS6_NS0_5tupleIJSF_S6_EEENSJ_IJSG_SG_EEENS0_18inequality_wrapperI22is_equal_div_10_uniqueIsEEEPmJS6_EEE10hipError_tPvRmT3_T4_T5_T6_T7_T9_mT8_P12ihipStream_tbDpT10_ENKUlT_T0_E_clISt17integral_constantIbLb1EES1A_EEDaS15_S16_EUlS15_E_NS1_11comp_targetILNS1_3genE0ELNS1_11target_archE4294967295ELNS1_3gpuE0ELNS1_3repE0EEENS1_30default_config_static_selectorELNS0_4arch9wavefront6targetE1EEEvT1_.uses_flat_scratch, 0
	.set _ZN7rocprim17ROCPRIM_400000_NS6detail17trampoline_kernelINS0_14default_configENS1_25partition_config_selectorILNS1_17partition_subalgoE8EsNS0_10empty_typeEbEEZZNS1_14partition_implILS5_8ELb0ES3_jN6thrust23THRUST_200600_302600_NS6detail15normal_iteratorINSA_10device_ptrIsEEEEPS6_PKS6_NS0_5tupleIJSF_S6_EEENSJ_IJSG_SG_EEENS0_18inequality_wrapperI22is_equal_div_10_uniqueIsEEEPmJS6_EEE10hipError_tPvRmT3_T4_T5_T6_T7_T9_mT8_P12ihipStream_tbDpT10_ENKUlT_T0_E_clISt17integral_constantIbLb1EES1A_EEDaS15_S16_EUlS15_E_NS1_11comp_targetILNS1_3genE0ELNS1_11target_archE4294967295ELNS1_3gpuE0ELNS1_3repE0EEENS1_30default_config_static_selectorELNS0_4arch9wavefront6targetE1EEEvT1_.has_dyn_sized_stack, 0
	.set _ZN7rocprim17ROCPRIM_400000_NS6detail17trampoline_kernelINS0_14default_configENS1_25partition_config_selectorILNS1_17partition_subalgoE8EsNS0_10empty_typeEbEEZZNS1_14partition_implILS5_8ELb0ES3_jN6thrust23THRUST_200600_302600_NS6detail15normal_iteratorINSA_10device_ptrIsEEEEPS6_PKS6_NS0_5tupleIJSF_S6_EEENSJ_IJSG_SG_EEENS0_18inequality_wrapperI22is_equal_div_10_uniqueIsEEEPmJS6_EEE10hipError_tPvRmT3_T4_T5_T6_T7_T9_mT8_P12ihipStream_tbDpT10_ENKUlT_T0_E_clISt17integral_constantIbLb1EES1A_EEDaS15_S16_EUlS15_E_NS1_11comp_targetILNS1_3genE0ELNS1_11target_archE4294967295ELNS1_3gpuE0ELNS1_3repE0EEENS1_30default_config_static_selectorELNS0_4arch9wavefront6targetE1EEEvT1_.has_recursion, 0
	.set _ZN7rocprim17ROCPRIM_400000_NS6detail17trampoline_kernelINS0_14default_configENS1_25partition_config_selectorILNS1_17partition_subalgoE8EsNS0_10empty_typeEbEEZZNS1_14partition_implILS5_8ELb0ES3_jN6thrust23THRUST_200600_302600_NS6detail15normal_iteratorINSA_10device_ptrIsEEEEPS6_PKS6_NS0_5tupleIJSF_S6_EEENSJ_IJSG_SG_EEENS0_18inequality_wrapperI22is_equal_div_10_uniqueIsEEEPmJS6_EEE10hipError_tPvRmT3_T4_T5_T6_T7_T9_mT8_P12ihipStream_tbDpT10_ENKUlT_T0_E_clISt17integral_constantIbLb1EES1A_EEDaS15_S16_EUlS15_E_NS1_11comp_targetILNS1_3genE0ELNS1_11target_archE4294967295ELNS1_3gpuE0ELNS1_3repE0EEENS1_30default_config_static_selectorELNS0_4arch9wavefront6targetE1EEEvT1_.has_indirect_call, 0
	.section	.AMDGPU.csdata,"",@progbits
; Kernel info:
; codeLenInByte = 0
; TotalNumSgprs: 4
; NumVgprs: 0
; ScratchSize: 0
; MemoryBound: 0
; FloatMode: 240
; IeeeMode: 1
; LDSByteSize: 0 bytes/workgroup (compile time only)
; SGPRBlocks: 0
; VGPRBlocks: 0
; NumSGPRsForWavesPerEU: 4
; NumVGPRsForWavesPerEU: 1
; Occupancy: 10
; WaveLimiterHint : 0
; COMPUTE_PGM_RSRC2:SCRATCH_EN: 0
; COMPUTE_PGM_RSRC2:USER_SGPR: 6
; COMPUTE_PGM_RSRC2:TRAP_HANDLER: 0
; COMPUTE_PGM_RSRC2:TGID_X_EN: 1
; COMPUTE_PGM_RSRC2:TGID_Y_EN: 0
; COMPUTE_PGM_RSRC2:TGID_Z_EN: 0
; COMPUTE_PGM_RSRC2:TIDIG_COMP_CNT: 0
	.section	.text._ZN7rocprim17ROCPRIM_400000_NS6detail17trampoline_kernelINS0_14default_configENS1_25partition_config_selectorILNS1_17partition_subalgoE8EsNS0_10empty_typeEbEEZZNS1_14partition_implILS5_8ELb0ES3_jN6thrust23THRUST_200600_302600_NS6detail15normal_iteratorINSA_10device_ptrIsEEEEPS6_PKS6_NS0_5tupleIJSF_S6_EEENSJ_IJSG_SG_EEENS0_18inequality_wrapperI22is_equal_div_10_uniqueIsEEEPmJS6_EEE10hipError_tPvRmT3_T4_T5_T6_T7_T9_mT8_P12ihipStream_tbDpT10_ENKUlT_T0_E_clISt17integral_constantIbLb1EES1A_EEDaS15_S16_EUlS15_E_NS1_11comp_targetILNS1_3genE5ELNS1_11target_archE942ELNS1_3gpuE9ELNS1_3repE0EEENS1_30default_config_static_selectorELNS0_4arch9wavefront6targetE1EEEvT1_,"axG",@progbits,_ZN7rocprim17ROCPRIM_400000_NS6detail17trampoline_kernelINS0_14default_configENS1_25partition_config_selectorILNS1_17partition_subalgoE8EsNS0_10empty_typeEbEEZZNS1_14partition_implILS5_8ELb0ES3_jN6thrust23THRUST_200600_302600_NS6detail15normal_iteratorINSA_10device_ptrIsEEEEPS6_PKS6_NS0_5tupleIJSF_S6_EEENSJ_IJSG_SG_EEENS0_18inequality_wrapperI22is_equal_div_10_uniqueIsEEEPmJS6_EEE10hipError_tPvRmT3_T4_T5_T6_T7_T9_mT8_P12ihipStream_tbDpT10_ENKUlT_T0_E_clISt17integral_constantIbLb1EES1A_EEDaS15_S16_EUlS15_E_NS1_11comp_targetILNS1_3genE5ELNS1_11target_archE942ELNS1_3gpuE9ELNS1_3repE0EEENS1_30default_config_static_selectorELNS0_4arch9wavefront6targetE1EEEvT1_,comdat
	.protected	_ZN7rocprim17ROCPRIM_400000_NS6detail17trampoline_kernelINS0_14default_configENS1_25partition_config_selectorILNS1_17partition_subalgoE8EsNS0_10empty_typeEbEEZZNS1_14partition_implILS5_8ELb0ES3_jN6thrust23THRUST_200600_302600_NS6detail15normal_iteratorINSA_10device_ptrIsEEEEPS6_PKS6_NS0_5tupleIJSF_S6_EEENSJ_IJSG_SG_EEENS0_18inequality_wrapperI22is_equal_div_10_uniqueIsEEEPmJS6_EEE10hipError_tPvRmT3_T4_T5_T6_T7_T9_mT8_P12ihipStream_tbDpT10_ENKUlT_T0_E_clISt17integral_constantIbLb1EES1A_EEDaS15_S16_EUlS15_E_NS1_11comp_targetILNS1_3genE5ELNS1_11target_archE942ELNS1_3gpuE9ELNS1_3repE0EEENS1_30default_config_static_selectorELNS0_4arch9wavefront6targetE1EEEvT1_ ; -- Begin function _ZN7rocprim17ROCPRIM_400000_NS6detail17trampoline_kernelINS0_14default_configENS1_25partition_config_selectorILNS1_17partition_subalgoE8EsNS0_10empty_typeEbEEZZNS1_14partition_implILS5_8ELb0ES3_jN6thrust23THRUST_200600_302600_NS6detail15normal_iteratorINSA_10device_ptrIsEEEEPS6_PKS6_NS0_5tupleIJSF_S6_EEENSJ_IJSG_SG_EEENS0_18inequality_wrapperI22is_equal_div_10_uniqueIsEEEPmJS6_EEE10hipError_tPvRmT3_T4_T5_T6_T7_T9_mT8_P12ihipStream_tbDpT10_ENKUlT_T0_E_clISt17integral_constantIbLb1EES1A_EEDaS15_S16_EUlS15_E_NS1_11comp_targetILNS1_3genE5ELNS1_11target_archE942ELNS1_3gpuE9ELNS1_3repE0EEENS1_30default_config_static_selectorELNS0_4arch9wavefront6targetE1EEEvT1_
	.globl	_ZN7rocprim17ROCPRIM_400000_NS6detail17trampoline_kernelINS0_14default_configENS1_25partition_config_selectorILNS1_17partition_subalgoE8EsNS0_10empty_typeEbEEZZNS1_14partition_implILS5_8ELb0ES3_jN6thrust23THRUST_200600_302600_NS6detail15normal_iteratorINSA_10device_ptrIsEEEEPS6_PKS6_NS0_5tupleIJSF_S6_EEENSJ_IJSG_SG_EEENS0_18inequality_wrapperI22is_equal_div_10_uniqueIsEEEPmJS6_EEE10hipError_tPvRmT3_T4_T5_T6_T7_T9_mT8_P12ihipStream_tbDpT10_ENKUlT_T0_E_clISt17integral_constantIbLb1EES1A_EEDaS15_S16_EUlS15_E_NS1_11comp_targetILNS1_3genE5ELNS1_11target_archE942ELNS1_3gpuE9ELNS1_3repE0EEENS1_30default_config_static_selectorELNS0_4arch9wavefront6targetE1EEEvT1_
	.p2align	8
	.type	_ZN7rocprim17ROCPRIM_400000_NS6detail17trampoline_kernelINS0_14default_configENS1_25partition_config_selectorILNS1_17partition_subalgoE8EsNS0_10empty_typeEbEEZZNS1_14partition_implILS5_8ELb0ES3_jN6thrust23THRUST_200600_302600_NS6detail15normal_iteratorINSA_10device_ptrIsEEEEPS6_PKS6_NS0_5tupleIJSF_S6_EEENSJ_IJSG_SG_EEENS0_18inequality_wrapperI22is_equal_div_10_uniqueIsEEEPmJS6_EEE10hipError_tPvRmT3_T4_T5_T6_T7_T9_mT8_P12ihipStream_tbDpT10_ENKUlT_T0_E_clISt17integral_constantIbLb1EES1A_EEDaS15_S16_EUlS15_E_NS1_11comp_targetILNS1_3genE5ELNS1_11target_archE942ELNS1_3gpuE9ELNS1_3repE0EEENS1_30default_config_static_selectorELNS0_4arch9wavefront6targetE1EEEvT1_,@function
_ZN7rocprim17ROCPRIM_400000_NS6detail17trampoline_kernelINS0_14default_configENS1_25partition_config_selectorILNS1_17partition_subalgoE8EsNS0_10empty_typeEbEEZZNS1_14partition_implILS5_8ELb0ES3_jN6thrust23THRUST_200600_302600_NS6detail15normal_iteratorINSA_10device_ptrIsEEEEPS6_PKS6_NS0_5tupleIJSF_S6_EEENSJ_IJSG_SG_EEENS0_18inequality_wrapperI22is_equal_div_10_uniqueIsEEEPmJS6_EEE10hipError_tPvRmT3_T4_T5_T6_T7_T9_mT8_P12ihipStream_tbDpT10_ENKUlT_T0_E_clISt17integral_constantIbLb1EES1A_EEDaS15_S16_EUlS15_E_NS1_11comp_targetILNS1_3genE5ELNS1_11target_archE942ELNS1_3gpuE9ELNS1_3repE0EEENS1_30default_config_static_selectorELNS0_4arch9wavefront6targetE1EEEvT1_: ; @_ZN7rocprim17ROCPRIM_400000_NS6detail17trampoline_kernelINS0_14default_configENS1_25partition_config_selectorILNS1_17partition_subalgoE8EsNS0_10empty_typeEbEEZZNS1_14partition_implILS5_8ELb0ES3_jN6thrust23THRUST_200600_302600_NS6detail15normal_iteratorINSA_10device_ptrIsEEEEPS6_PKS6_NS0_5tupleIJSF_S6_EEENSJ_IJSG_SG_EEENS0_18inequality_wrapperI22is_equal_div_10_uniqueIsEEEPmJS6_EEE10hipError_tPvRmT3_T4_T5_T6_T7_T9_mT8_P12ihipStream_tbDpT10_ENKUlT_T0_E_clISt17integral_constantIbLb1EES1A_EEDaS15_S16_EUlS15_E_NS1_11comp_targetILNS1_3genE5ELNS1_11target_archE942ELNS1_3gpuE9ELNS1_3repE0EEENS1_30default_config_static_selectorELNS0_4arch9wavefront6targetE1EEEvT1_
; %bb.0:
	.section	.rodata,"a",@progbits
	.p2align	6, 0x0
	.amdhsa_kernel _ZN7rocprim17ROCPRIM_400000_NS6detail17trampoline_kernelINS0_14default_configENS1_25partition_config_selectorILNS1_17partition_subalgoE8EsNS0_10empty_typeEbEEZZNS1_14partition_implILS5_8ELb0ES3_jN6thrust23THRUST_200600_302600_NS6detail15normal_iteratorINSA_10device_ptrIsEEEEPS6_PKS6_NS0_5tupleIJSF_S6_EEENSJ_IJSG_SG_EEENS0_18inequality_wrapperI22is_equal_div_10_uniqueIsEEEPmJS6_EEE10hipError_tPvRmT3_T4_T5_T6_T7_T9_mT8_P12ihipStream_tbDpT10_ENKUlT_T0_E_clISt17integral_constantIbLb1EES1A_EEDaS15_S16_EUlS15_E_NS1_11comp_targetILNS1_3genE5ELNS1_11target_archE942ELNS1_3gpuE9ELNS1_3repE0EEENS1_30default_config_static_selectorELNS0_4arch9wavefront6targetE1EEEvT1_
		.amdhsa_group_segment_fixed_size 0
		.amdhsa_private_segment_fixed_size 0
		.amdhsa_kernarg_size 128
		.amdhsa_user_sgpr_count 6
		.amdhsa_user_sgpr_private_segment_buffer 1
		.amdhsa_user_sgpr_dispatch_ptr 0
		.amdhsa_user_sgpr_queue_ptr 0
		.amdhsa_user_sgpr_kernarg_segment_ptr 1
		.amdhsa_user_sgpr_dispatch_id 0
		.amdhsa_user_sgpr_flat_scratch_init 0
		.amdhsa_user_sgpr_private_segment_size 0
		.amdhsa_uses_dynamic_stack 0
		.amdhsa_system_sgpr_private_segment_wavefront_offset 0
		.amdhsa_system_sgpr_workgroup_id_x 1
		.amdhsa_system_sgpr_workgroup_id_y 0
		.amdhsa_system_sgpr_workgroup_id_z 0
		.amdhsa_system_sgpr_workgroup_info 0
		.amdhsa_system_vgpr_workitem_id 0
		.amdhsa_next_free_vgpr 1
		.amdhsa_next_free_sgpr 0
		.amdhsa_reserve_vcc 0
		.amdhsa_reserve_flat_scratch 0
		.amdhsa_float_round_mode_32 0
		.amdhsa_float_round_mode_16_64 0
		.amdhsa_float_denorm_mode_32 3
		.amdhsa_float_denorm_mode_16_64 3
		.amdhsa_dx10_clamp 1
		.amdhsa_ieee_mode 1
		.amdhsa_fp16_overflow 0
		.amdhsa_exception_fp_ieee_invalid_op 0
		.amdhsa_exception_fp_denorm_src 0
		.amdhsa_exception_fp_ieee_div_zero 0
		.amdhsa_exception_fp_ieee_overflow 0
		.amdhsa_exception_fp_ieee_underflow 0
		.amdhsa_exception_fp_ieee_inexact 0
		.amdhsa_exception_int_div_zero 0
	.end_amdhsa_kernel
	.section	.text._ZN7rocprim17ROCPRIM_400000_NS6detail17trampoline_kernelINS0_14default_configENS1_25partition_config_selectorILNS1_17partition_subalgoE8EsNS0_10empty_typeEbEEZZNS1_14partition_implILS5_8ELb0ES3_jN6thrust23THRUST_200600_302600_NS6detail15normal_iteratorINSA_10device_ptrIsEEEEPS6_PKS6_NS0_5tupleIJSF_S6_EEENSJ_IJSG_SG_EEENS0_18inequality_wrapperI22is_equal_div_10_uniqueIsEEEPmJS6_EEE10hipError_tPvRmT3_T4_T5_T6_T7_T9_mT8_P12ihipStream_tbDpT10_ENKUlT_T0_E_clISt17integral_constantIbLb1EES1A_EEDaS15_S16_EUlS15_E_NS1_11comp_targetILNS1_3genE5ELNS1_11target_archE942ELNS1_3gpuE9ELNS1_3repE0EEENS1_30default_config_static_selectorELNS0_4arch9wavefront6targetE1EEEvT1_,"axG",@progbits,_ZN7rocprim17ROCPRIM_400000_NS6detail17trampoline_kernelINS0_14default_configENS1_25partition_config_selectorILNS1_17partition_subalgoE8EsNS0_10empty_typeEbEEZZNS1_14partition_implILS5_8ELb0ES3_jN6thrust23THRUST_200600_302600_NS6detail15normal_iteratorINSA_10device_ptrIsEEEEPS6_PKS6_NS0_5tupleIJSF_S6_EEENSJ_IJSG_SG_EEENS0_18inequality_wrapperI22is_equal_div_10_uniqueIsEEEPmJS6_EEE10hipError_tPvRmT3_T4_T5_T6_T7_T9_mT8_P12ihipStream_tbDpT10_ENKUlT_T0_E_clISt17integral_constantIbLb1EES1A_EEDaS15_S16_EUlS15_E_NS1_11comp_targetILNS1_3genE5ELNS1_11target_archE942ELNS1_3gpuE9ELNS1_3repE0EEENS1_30default_config_static_selectorELNS0_4arch9wavefront6targetE1EEEvT1_,comdat
.Lfunc_end510:
	.size	_ZN7rocprim17ROCPRIM_400000_NS6detail17trampoline_kernelINS0_14default_configENS1_25partition_config_selectorILNS1_17partition_subalgoE8EsNS0_10empty_typeEbEEZZNS1_14partition_implILS5_8ELb0ES3_jN6thrust23THRUST_200600_302600_NS6detail15normal_iteratorINSA_10device_ptrIsEEEEPS6_PKS6_NS0_5tupleIJSF_S6_EEENSJ_IJSG_SG_EEENS0_18inequality_wrapperI22is_equal_div_10_uniqueIsEEEPmJS6_EEE10hipError_tPvRmT3_T4_T5_T6_T7_T9_mT8_P12ihipStream_tbDpT10_ENKUlT_T0_E_clISt17integral_constantIbLb1EES1A_EEDaS15_S16_EUlS15_E_NS1_11comp_targetILNS1_3genE5ELNS1_11target_archE942ELNS1_3gpuE9ELNS1_3repE0EEENS1_30default_config_static_selectorELNS0_4arch9wavefront6targetE1EEEvT1_, .Lfunc_end510-_ZN7rocprim17ROCPRIM_400000_NS6detail17trampoline_kernelINS0_14default_configENS1_25partition_config_selectorILNS1_17partition_subalgoE8EsNS0_10empty_typeEbEEZZNS1_14partition_implILS5_8ELb0ES3_jN6thrust23THRUST_200600_302600_NS6detail15normal_iteratorINSA_10device_ptrIsEEEEPS6_PKS6_NS0_5tupleIJSF_S6_EEENSJ_IJSG_SG_EEENS0_18inequality_wrapperI22is_equal_div_10_uniqueIsEEEPmJS6_EEE10hipError_tPvRmT3_T4_T5_T6_T7_T9_mT8_P12ihipStream_tbDpT10_ENKUlT_T0_E_clISt17integral_constantIbLb1EES1A_EEDaS15_S16_EUlS15_E_NS1_11comp_targetILNS1_3genE5ELNS1_11target_archE942ELNS1_3gpuE9ELNS1_3repE0EEENS1_30default_config_static_selectorELNS0_4arch9wavefront6targetE1EEEvT1_
                                        ; -- End function
	.set _ZN7rocprim17ROCPRIM_400000_NS6detail17trampoline_kernelINS0_14default_configENS1_25partition_config_selectorILNS1_17partition_subalgoE8EsNS0_10empty_typeEbEEZZNS1_14partition_implILS5_8ELb0ES3_jN6thrust23THRUST_200600_302600_NS6detail15normal_iteratorINSA_10device_ptrIsEEEEPS6_PKS6_NS0_5tupleIJSF_S6_EEENSJ_IJSG_SG_EEENS0_18inequality_wrapperI22is_equal_div_10_uniqueIsEEEPmJS6_EEE10hipError_tPvRmT3_T4_T5_T6_T7_T9_mT8_P12ihipStream_tbDpT10_ENKUlT_T0_E_clISt17integral_constantIbLb1EES1A_EEDaS15_S16_EUlS15_E_NS1_11comp_targetILNS1_3genE5ELNS1_11target_archE942ELNS1_3gpuE9ELNS1_3repE0EEENS1_30default_config_static_selectorELNS0_4arch9wavefront6targetE1EEEvT1_.num_vgpr, 0
	.set _ZN7rocprim17ROCPRIM_400000_NS6detail17trampoline_kernelINS0_14default_configENS1_25partition_config_selectorILNS1_17partition_subalgoE8EsNS0_10empty_typeEbEEZZNS1_14partition_implILS5_8ELb0ES3_jN6thrust23THRUST_200600_302600_NS6detail15normal_iteratorINSA_10device_ptrIsEEEEPS6_PKS6_NS0_5tupleIJSF_S6_EEENSJ_IJSG_SG_EEENS0_18inequality_wrapperI22is_equal_div_10_uniqueIsEEEPmJS6_EEE10hipError_tPvRmT3_T4_T5_T6_T7_T9_mT8_P12ihipStream_tbDpT10_ENKUlT_T0_E_clISt17integral_constantIbLb1EES1A_EEDaS15_S16_EUlS15_E_NS1_11comp_targetILNS1_3genE5ELNS1_11target_archE942ELNS1_3gpuE9ELNS1_3repE0EEENS1_30default_config_static_selectorELNS0_4arch9wavefront6targetE1EEEvT1_.num_agpr, 0
	.set _ZN7rocprim17ROCPRIM_400000_NS6detail17trampoline_kernelINS0_14default_configENS1_25partition_config_selectorILNS1_17partition_subalgoE8EsNS0_10empty_typeEbEEZZNS1_14partition_implILS5_8ELb0ES3_jN6thrust23THRUST_200600_302600_NS6detail15normal_iteratorINSA_10device_ptrIsEEEEPS6_PKS6_NS0_5tupleIJSF_S6_EEENSJ_IJSG_SG_EEENS0_18inequality_wrapperI22is_equal_div_10_uniqueIsEEEPmJS6_EEE10hipError_tPvRmT3_T4_T5_T6_T7_T9_mT8_P12ihipStream_tbDpT10_ENKUlT_T0_E_clISt17integral_constantIbLb1EES1A_EEDaS15_S16_EUlS15_E_NS1_11comp_targetILNS1_3genE5ELNS1_11target_archE942ELNS1_3gpuE9ELNS1_3repE0EEENS1_30default_config_static_selectorELNS0_4arch9wavefront6targetE1EEEvT1_.numbered_sgpr, 0
	.set _ZN7rocprim17ROCPRIM_400000_NS6detail17trampoline_kernelINS0_14default_configENS1_25partition_config_selectorILNS1_17partition_subalgoE8EsNS0_10empty_typeEbEEZZNS1_14partition_implILS5_8ELb0ES3_jN6thrust23THRUST_200600_302600_NS6detail15normal_iteratorINSA_10device_ptrIsEEEEPS6_PKS6_NS0_5tupleIJSF_S6_EEENSJ_IJSG_SG_EEENS0_18inequality_wrapperI22is_equal_div_10_uniqueIsEEEPmJS6_EEE10hipError_tPvRmT3_T4_T5_T6_T7_T9_mT8_P12ihipStream_tbDpT10_ENKUlT_T0_E_clISt17integral_constantIbLb1EES1A_EEDaS15_S16_EUlS15_E_NS1_11comp_targetILNS1_3genE5ELNS1_11target_archE942ELNS1_3gpuE9ELNS1_3repE0EEENS1_30default_config_static_selectorELNS0_4arch9wavefront6targetE1EEEvT1_.num_named_barrier, 0
	.set _ZN7rocprim17ROCPRIM_400000_NS6detail17trampoline_kernelINS0_14default_configENS1_25partition_config_selectorILNS1_17partition_subalgoE8EsNS0_10empty_typeEbEEZZNS1_14partition_implILS5_8ELb0ES3_jN6thrust23THRUST_200600_302600_NS6detail15normal_iteratorINSA_10device_ptrIsEEEEPS6_PKS6_NS0_5tupleIJSF_S6_EEENSJ_IJSG_SG_EEENS0_18inequality_wrapperI22is_equal_div_10_uniqueIsEEEPmJS6_EEE10hipError_tPvRmT3_T4_T5_T6_T7_T9_mT8_P12ihipStream_tbDpT10_ENKUlT_T0_E_clISt17integral_constantIbLb1EES1A_EEDaS15_S16_EUlS15_E_NS1_11comp_targetILNS1_3genE5ELNS1_11target_archE942ELNS1_3gpuE9ELNS1_3repE0EEENS1_30default_config_static_selectorELNS0_4arch9wavefront6targetE1EEEvT1_.private_seg_size, 0
	.set _ZN7rocprim17ROCPRIM_400000_NS6detail17trampoline_kernelINS0_14default_configENS1_25partition_config_selectorILNS1_17partition_subalgoE8EsNS0_10empty_typeEbEEZZNS1_14partition_implILS5_8ELb0ES3_jN6thrust23THRUST_200600_302600_NS6detail15normal_iteratorINSA_10device_ptrIsEEEEPS6_PKS6_NS0_5tupleIJSF_S6_EEENSJ_IJSG_SG_EEENS0_18inequality_wrapperI22is_equal_div_10_uniqueIsEEEPmJS6_EEE10hipError_tPvRmT3_T4_T5_T6_T7_T9_mT8_P12ihipStream_tbDpT10_ENKUlT_T0_E_clISt17integral_constantIbLb1EES1A_EEDaS15_S16_EUlS15_E_NS1_11comp_targetILNS1_3genE5ELNS1_11target_archE942ELNS1_3gpuE9ELNS1_3repE0EEENS1_30default_config_static_selectorELNS0_4arch9wavefront6targetE1EEEvT1_.uses_vcc, 0
	.set _ZN7rocprim17ROCPRIM_400000_NS6detail17trampoline_kernelINS0_14default_configENS1_25partition_config_selectorILNS1_17partition_subalgoE8EsNS0_10empty_typeEbEEZZNS1_14partition_implILS5_8ELb0ES3_jN6thrust23THRUST_200600_302600_NS6detail15normal_iteratorINSA_10device_ptrIsEEEEPS6_PKS6_NS0_5tupleIJSF_S6_EEENSJ_IJSG_SG_EEENS0_18inequality_wrapperI22is_equal_div_10_uniqueIsEEEPmJS6_EEE10hipError_tPvRmT3_T4_T5_T6_T7_T9_mT8_P12ihipStream_tbDpT10_ENKUlT_T0_E_clISt17integral_constantIbLb1EES1A_EEDaS15_S16_EUlS15_E_NS1_11comp_targetILNS1_3genE5ELNS1_11target_archE942ELNS1_3gpuE9ELNS1_3repE0EEENS1_30default_config_static_selectorELNS0_4arch9wavefront6targetE1EEEvT1_.uses_flat_scratch, 0
	.set _ZN7rocprim17ROCPRIM_400000_NS6detail17trampoline_kernelINS0_14default_configENS1_25partition_config_selectorILNS1_17partition_subalgoE8EsNS0_10empty_typeEbEEZZNS1_14partition_implILS5_8ELb0ES3_jN6thrust23THRUST_200600_302600_NS6detail15normal_iteratorINSA_10device_ptrIsEEEEPS6_PKS6_NS0_5tupleIJSF_S6_EEENSJ_IJSG_SG_EEENS0_18inequality_wrapperI22is_equal_div_10_uniqueIsEEEPmJS6_EEE10hipError_tPvRmT3_T4_T5_T6_T7_T9_mT8_P12ihipStream_tbDpT10_ENKUlT_T0_E_clISt17integral_constantIbLb1EES1A_EEDaS15_S16_EUlS15_E_NS1_11comp_targetILNS1_3genE5ELNS1_11target_archE942ELNS1_3gpuE9ELNS1_3repE0EEENS1_30default_config_static_selectorELNS0_4arch9wavefront6targetE1EEEvT1_.has_dyn_sized_stack, 0
	.set _ZN7rocprim17ROCPRIM_400000_NS6detail17trampoline_kernelINS0_14default_configENS1_25partition_config_selectorILNS1_17partition_subalgoE8EsNS0_10empty_typeEbEEZZNS1_14partition_implILS5_8ELb0ES3_jN6thrust23THRUST_200600_302600_NS6detail15normal_iteratorINSA_10device_ptrIsEEEEPS6_PKS6_NS0_5tupleIJSF_S6_EEENSJ_IJSG_SG_EEENS0_18inequality_wrapperI22is_equal_div_10_uniqueIsEEEPmJS6_EEE10hipError_tPvRmT3_T4_T5_T6_T7_T9_mT8_P12ihipStream_tbDpT10_ENKUlT_T0_E_clISt17integral_constantIbLb1EES1A_EEDaS15_S16_EUlS15_E_NS1_11comp_targetILNS1_3genE5ELNS1_11target_archE942ELNS1_3gpuE9ELNS1_3repE0EEENS1_30default_config_static_selectorELNS0_4arch9wavefront6targetE1EEEvT1_.has_recursion, 0
	.set _ZN7rocprim17ROCPRIM_400000_NS6detail17trampoline_kernelINS0_14default_configENS1_25partition_config_selectorILNS1_17partition_subalgoE8EsNS0_10empty_typeEbEEZZNS1_14partition_implILS5_8ELb0ES3_jN6thrust23THRUST_200600_302600_NS6detail15normal_iteratorINSA_10device_ptrIsEEEEPS6_PKS6_NS0_5tupleIJSF_S6_EEENSJ_IJSG_SG_EEENS0_18inequality_wrapperI22is_equal_div_10_uniqueIsEEEPmJS6_EEE10hipError_tPvRmT3_T4_T5_T6_T7_T9_mT8_P12ihipStream_tbDpT10_ENKUlT_T0_E_clISt17integral_constantIbLb1EES1A_EEDaS15_S16_EUlS15_E_NS1_11comp_targetILNS1_3genE5ELNS1_11target_archE942ELNS1_3gpuE9ELNS1_3repE0EEENS1_30default_config_static_selectorELNS0_4arch9wavefront6targetE1EEEvT1_.has_indirect_call, 0
	.section	.AMDGPU.csdata,"",@progbits
; Kernel info:
; codeLenInByte = 0
; TotalNumSgprs: 4
; NumVgprs: 0
; ScratchSize: 0
; MemoryBound: 0
; FloatMode: 240
; IeeeMode: 1
; LDSByteSize: 0 bytes/workgroup (compile time only)
; SGPRBlocks: 0
; VGPRBlocks: 0
; NumSGPRsForWavesPerEU: 4
; NumVGPRsForWavesPerEU: 1
; Occupancy: 10
; WaveLimiterHint : 0
; COMPUTE_PGM_RSRC2:SCRATCH_EN: 0
; COMPUTE_PGM_RSRC2:USER_SGPR: 6
; COMPUTE_PGM_RSRC2:TRAP_HANDLER: 0
; COMPUTE_PGM_RSRC2:TGID_X_EN: 1
; COMPUTE_PGM_RSRC2:TGID_Y_EN: 0
; COMPUTE_PGM_RSRC2:TGID_Z_EN: 0
; COMPUTE_PGM_RSRC2:TIDIG_COMP_CNT: 0
	.section	.text._ZN7rocprim17ROCPRIM_400000_NS6detail17trampoline_kernelINS0_14default_configENS1_25partition_config_selectorILNS1_17partition_subalgoE8EsNS0_10empty_typeEbEEZZNS1_14partition_implILS5_8ELb0ES3_jN6thrust23THRUST_200600_302600_NS6detail15normal_iteratorINSA_10device_ptrIsEEEEPS6_PKS6_NS0_5tupleIJSF_S6_EEENSJ_IJSG_SG_EEENS0_18inequality_wrapperI22is_equal_div_10_uniqueIsEEEPmJS6_EEE10hipError_tPvRmT3_T4_T5_T6_T7_T9_mT8_P12ihipStream_tbDpT10_ENKUlT_T0_E_clISt17integral_constantIbLb1EES1A_EEDaS15_S16_EUlS15_E_NS1_11comp_targetILNS1_3genE4ELNS1_11target_archE910ELNS1_3gpuE8ELNS1_3repE0EEENS1_30default_config_static_selectorELNS0_4arch9wavefront6targetE1EEEvT1_,"axG",@progbits,_ZN7rocprim17ROCPRIM_400000_NS6detail17trampoline_kernelINS0_14default_configENS1_25partition_config_selectorILNS1_17partition_subalgoE8EsNS0_10empty_typeEbEEZZNS1_14partition_implILS5_8ELb0ES3_jN6thrust23THRUST_200600_302600_NS6detail15normal_iteratorINSA_10device_ptrIsEEEEPS6_PKS6_NS0_5tupleIJSF_S6_EEENSJ_IJSG_SG_EEENS0_18inequality_wrapperI22is_equal_div_10_uniqueIsEEEPmJS6_EEE10hipError_tPvRmT3_T4_T5_T6_T7_T9_mT8_P12ihipStream_tbDpT10_ENKUlT_T0_E_clISt17integral_constantIbLb1EES1A_EEDaS15_S16_EUlS15_E_NS1_11comp_targetILNS1_3genE4ELNS1_11target_archE910ELNS1_3gpuE8ELNS1_3repE0EEENS1_30default_config_static_selectorELNS0_4arch9wavefront6targetE1EEEvT1_,comdat
	.protected	_ZN7rocprim17ROCPRIM_400000_NS6detail17trampoline_kernelINS0_14default_configENS1_25partition_config_selectorILNS1_17partition_subalgoE8EsNS0_10empty_typeEbEEZZNS1_14partition_implILS5_8ELb0ES3_jN6thrust23THRUST_200600_302600_NS6detail15normal_iteratorINSA_10device_ptrIsEEEEPS6_PKS6_NS0_5tupleIJSF_S6_EEENSJ_IJSG_SG_EEENS0_18inequality_wrapperI22is_equal_div_10_uniqueIsEEEPmJS6_EEE10hipError_tPvRmT3_T4_T5_T6_T7_T9_mT8_P12ihipStream_tbDpT10_ENKUlT_T0_E_clISt17integral_constantIbLb1EES1A_EEDaS15_S16_EUlS15_E_NS1_11comp_targetILNS1_3genE4ELNS1_11target_archE910ELNS1_3gpuE8ELNS1_3repE0EEENS1_30default_config_static_selectorELNS0_4arch9wavefront6targetE1EEEvT1_ ; -- Begin function _ZN7rocprim17ROCPRIM_400000_NS6detail17trampoline_kernelINS0_14default_configENS1_25partition_config_selectorILNS1_17partition_subalgoE8EsNS0_10empty_typeEbEEZZNS1_14partition_implILS5_8ELb0ES3_jN6thrust23THRUST_200600_302600_NS6detail15normal_iteratorINSA_10device_ptrIsEEEEPS6_PKS6_NS0_5tupleIJSF_S6_EEENSJ_IJSG_SG_EEENS0_18inequality_wrapperI22is_equal_div_10_uniqueIsEEEPmJS6_EEE10hipError_tPvRmT3_T4_T5_T6_T7_T9_mT8_P12ihipStream_tbDpT10_ENKUlT_T0_E_clISt17integral_constantIbLb1EES1A_EEDaS15_S16_EUlS15_E_NS1_11comp_targetILNS1_3genE4ELNS1_11target_archE910ELNS1_3gpuE8ELNS1_3repE0EEENS1_30default_config_static_selectorELNS0_4arch9wavefront6targetE1EEEvT1_
	.globl	_ZN7rocprim17ROCPRIM_400000_NS6detail17trampoline_kernelINS0_14default_configENS1_25partition_config_selectorILNS1_17partition_subalgoE8EsNS0_10empty_typeEbEEZZNS1_14partition_implILS5_8ELb0ES3_jN6thrust23THRUST_200600_302600_NS6detail15normal_iteratorINSA_10device_ptrIsEEEEPS6_PKS6_NS0_5tupleIJSF_S6_EEENSJ_IJSG_SG_EEENS0_18inequality_wrapperI22is_equal_div_10_uniqueIsEEEPmJS6_EEE10hipError_tPvRmT3_T4_T5_T6_T7_T9_mT8_P12ihipStream_tbDpT10_ENKUlT_T0_E_clISt17integral_constantIbLb1EES1A_EEDaS15_S16_EUlS15_E_NS1_11comp_targetILNS1_3genE4ELNS1_11target_archE910ELNS1_3gpuE8ELNS1_3repE0EEENS1_30default_config_static_selectorELNS0_4arch9wavefront6targetE1EEEvT1_
	.p2align	8
	.type	_ZN7rocprim17ROCPRIM_400000_NS6detail17trampoline_kernelINS0_14default_configENS1_25partition_config_selectorILNS1_17partition_subalgoE8EsNS0_10empty_typeEbEEZZNS1_14partition_implILS5_8ELb0ES3_jN6thrust23THRUST_200600_302600_NS6detail15normal_iteratorINSA_10device_ptrIsEEEEPS6_PKS6_NS0_5tupleIJSF_S6_EEENSJ_IJSG_SG_EEENS0_18inequality_wrapperI22is_equal_div_10_uniqueIsEEEPmJS6_EEE10hipError_tPvRmT3_T4_T5_T6_T7_T9_mT8_P12ihipStream_tbDpT10_ENKUlT_T0_E_clISt17integral_constantIbLb1EES1A_EEDaS15_S16_EUlS15_E_NS1_11comp_targetILNS1_3genE4ELNS1_11target_archE910ELNS1_3gpuE8ELNS1_3repE0EEENS1_30default_config_static_selectorELNS0_4arch9wavefront6targetE1EEEvT1_,@function
_ZN7rocprim17ROCPRIM_400000_NS6detail17trampoline_kernelINS0_14default_configENS1_25partition_config_selectorILNS1_17partition_subalgoE8EsNS0_10empty_typeEbEEZZNS1_14partition_implILS5_8ELb0ES3_jN6thrust23THRUST_200600_302600_NS6detail15normal_iteratorINSA_10device_ptrIsEEEEPS6_PKS6_NS0_5tupleIJSF_S6_EEENSJ_IJSG_SG_EEENS0_18inequality_wrapperI22is_equal_div_10_uniqueIsEEEPmJS6_EEE10hipError_tPvRmT3_T4_T5_T6_T7_T9_mT8_P12ihipStream_tbDpT10_ENKUlT_T0_E_clISt17integral_constantIbLb1EES1A_EEDaS15_S16_EUlS15_E_NS1_11comp_targetILNS1_3genE4ELNS1_11target_archE910ELNS1_3gpuE8ELNS1_3repE0EEENS1_30default_config_static_selectorELNS0_4arch9wavefront6targetE1EEEvT1_: ; @_ZN7rocprim17ROCPRIM_400000_NS6detail17trampoline_kernelINS0_14default_configENS1_25partition_config_selectorILNS1_17partition_subalgoE8EsNS0_10empty_typeEbEEZZNS1_14partition_implILS5_8ELb0ES3_jN6thrust23THRUST_200600_302600_NS6detail15normal_iteratorINSA_10device_ptrIsEEEEPS6_PKS6_NS0_5tupleIJSF_S6_EEENSJ_IJSG_SG_EEENS0_18inequality_wrapperI22is_equal_div_10_uniqueIsEEEPmJS6_EEE10hipError_tPvRmT3_T4_T5_T6_T7_T9_mT8_P12ihipStream_tbDpT10_ENKUlT_T0_E_clISt17integral_constantIbLb1EES1A_EEDaS15_S16_EUlS15_E_NS1_11comp_targetILNS1_3genE4ELNS1_11target_archE910ELNS1_3gpuE8ELNS1_3repE0EEENS1_30default_config_static_selectorELNS0_4arch9wavefront6targetE1EEEvT1_
; %bb.0:
	.section	.rodata,"a",@progbits
	.p2align	6, 0x0
	.amdhsa_kernel _ZN7rocprim17ROCPRIM_400000_NS6detail17trampoline_kernelINS0_14default_configENS1_25partition_config_selectorILNS1_17partition_subalgoE8EsNS0_10empty_typeEbEEZZNS1_14partition_implILS5_8ELb0ES3_jN6thrust23THRUST_200600_302600_NS6detail15normal_iteratorINSA_10device_ptrIsEEEEPS6_PKS6_NS0_5tupleIJSF_S6_EEENSJ_IJSG_SG_EEENS0_18inequality_wrapperI22is_equal_div_10_uniqueIsEEEPmJS6_EEE10hipError_tPvRmT3_T4_T5_T6_T7_T9_mT8_P12ihipStream_tbDpT10_ENKUlT_T0_E_clISt17integral_constantIbLb1EES1A_EEDaS15_S16_EUlS15_E_NS1_11comp_targetILNS1_3genE4ELNS1_11target_archE910ELNS1_3gpuE8ELNS1_3repE0EEENS1_30default_config_static_selectorELNS0_4arch9wavefront6targetE1EEEvT1_
		.amdhsa_group_segment_fixed_size 0
		.amdhsa_private_segment_fixed_size 0
		.amdhsa_kernarg_size 128
		.amdhsa_user_sgpr_count 6
		.amdhsa_user_sgpr_private_segment_buffer 1
		.amdhsa_user_sgpr_dispatch_ptr 0
		.amdhsa_user_sgpr_queue_ptr 0
		.amdhsa_user_sgpr_kernarg_segment_ptr 1
		.amdhsa_user_sgpr_dispatch_id 0
		.amdhsa_user_sgpr_flat_scratch_init 0
		.amdhsa_user_sgpr_private_segment_size 0
		.amdhsa_uses_dynamic_stack 0
		.amdhsa_system_sgpr_private_segment_wavefront_offset 0
		.amdhsa_system_sgpr_workgroup_id_x 1
		.amdhsa_system_sgpr_workgroup_id_y 0
		.amdhsa_system_sgpr_workgroup_id_z 0
		.amdhsa_system_sgpr_workgroup_info 0
		.amdhsa_system_vgpr_workitem_id 0
		.amdhsa_next_free_vgpr 1
		.amdhsa_next_free_sgpr 0
		.amdhsa_reserve_vcc 0
		.amdhsa_reserve_flat_scratch 0
		.amdhsa_float_round_mode_32 0
		.amdhsa_float_round_mode_16_64 0
		.amdhsa_float_denorm_mode_32 3
		.amdhsa_float_denorm_mode_16_64 3
		.amdhsa_dx10_clamp 1
		.amdhsa_ieee_mode 1
		.amdhsa_fp16_overflow 0
		.amdhsa_exception_fp_ieee_invalid_op 0
		.amdhsa_exception_fp_denorm_src 0
		.amdhsa_exception_fp_ieee_div_zero 0
		.amdhsa_exception_fp_ieee_overflow 0
		.amdhsa_exception_fp_ieee_underflow 0
		.amdhsa_exception_fp_ieee_inexact 0
		.amdhsa_exception_int_div_zero 0
	.end_amdhsa_kernel
	.section	.text._ZN7rocprim17ROCPRIM_400000_NS6detail17trampoline_kernelINS0_14default_configENS1_25partition_config_selectorILNS1_17partition_subalgoE8EsNS0_10empty_typeEbEEZZNS1_14partition_implILS5_8ELb0ES3_jN6thrust23THRUST_200600_302600_NS6detail15normal_iteratorINSA_10device_ptrIsEEEEPS6_PKS6_NS0_5tupleIJSF_S6_EEENSJ_IJSG_SG_EEENS0_18inequality_wrapperI22is_equal_div_10_uniqueIsEEEPmJS6_EEE10hipError_tPvRmT3_T4_T5_T6_T7_T9_mT8_P12ihipStream_tbDpT10_ENKUlT_T0_E_clISt17integral_constantIbLb1EES1A_EEDaS15_S16_EUlS15_E_NS1_11comp_targetILNS1_3genE4ELNS1_11target_archE910ELNS1_3gpuE8ELNS1_3repE0EEENS1_30default_config_static_selectorELNS0_4arch9wavefront6targetE1EEEvT1_,"axG",@progbits,_ZN7rocprim17ROCPRIM_400000_NS6detail17trampoline_kernelINS0_14default_configENS1_25partition_config_selectorILNS1_17partition_subalgoE8EsNS0_10empty_typeEbEEZZNS1_14partition_implILS5_8ELb0ES3_jN6thrust23THRUST_200600_302600_NS6detail15normal_iteratorINSA_10device_ptrIsEEEEPS6_PKS6_NS0_5tupleIJSF_S6_EEENSJ_IJSG_SG_EEENS0_18inequality_wrapperI22is_equal_div_10_uniqueIsEEEPmJS6_EEE10hipError_tPvRmT3_T4_T5_T6_T7_T9_mT8_P12ihipStream_tbDpT10_ENKUlT_T0_E_clISt17integral_constantIbLb1EES1A_EEDaS15_S16_EUlS15_E_NS1_11comp_targetILNS1_3genE4ELNS1_11target_archE910ELNS1_3gpuE8ELNS1_3repE0EEENS1_30default_config_static_selectorELNS0_4arch9wavefront6targetE1EEEvT1_,comdat
.Lfunc_end511:
	.size	_ZN7rocprim17ROCPRIM_400000_NS6detail17trampoline_kernelINS0_14default_configENS1_25partition_config_selectorILNS1_17partition_subalgoE8EsNS0_10empty_typeEbEEZZNS1_14partition_implILS5_8ELb0ES3_jN6thrust23THRUST_200600_302600_NS6detail15normal_iteratorINSA_10device_ptrIsEEEEPS6_PKS6_NS0_5tupleIJSF_S6_EEENSJ_IJSG_SG_EEENS0_18inequality_wrapperI22is_equal_div_10_uniqueIsEEEPmJS6_EEE10hipError_tPvRmT3_T4_T5_T6_T7_T9_mT8_P12ihipStream_tbDpT10_ENKUlT_T0_E_clISt17integral_constantIbLb1EES1A_EEDaS15_S16_EUlS15_E_NS1_11comp_targetILNS1_3genE4ELNS1_11target_archE910ELNS1_3gpuE8ELNS1_3repE0EEENS1_30default_config_static_selectorELNS0_4arch9wavefront6targetE1EEEvT1_, .Lfunc_end511-_ZN7rocprim17ROCPRIM_400000_NS6detail17trampoline_kernelINS0_14default_configENS1_25partition_config_selectorILNS1_17partition_subalgoE8EsNS0_10empty_typeEbEEZZNS1_14partition_implILS5_8ELb0ES3_jN6thrust23THRUST_200600_302600_NS6detail15normal_iteratorINSA_10device_ptrIsEEEEPS6_PKS6_NS0_5tupleIJSF_S6_EEENSJ_IJSG_SG_EEENS0_18inequality_wrapperI22is_equal_div_10_uniqueIsEEEPmJS6_EEE10hipError_tPvRmT3_T4_T5_T6_T7_T9_mT8_P12ihipStream_tbDpT10_ENKUlT_T0_E_clISt17integral_constantIbLb1EES1A_EEDaS15_S16_EUlS15_E_NS1_11comp_targetILNS1_3genE4ELNS1_11target_archE910ELNS1_3gpuE8ELNS1_3repE0EEENS1_30default_config_static_selectorELNS0_4arch9wavefront6targetE1EEEvT1_
                                        ; -- End function
	.set _ZN7rocprim17ROCPRIM_400000_NS6detail17trampoline_kernelINS0_14default_configENS1_25partition_config_selectorILNS1_17partition_subalgoE8EsNS0_10empty_typeEbEEZZNS1_14partition_implILS5_8ELb0ES3_jN6thrust23THRUST_200600_302600_NS6detail15normal_iteratorINSA_10device_ptrIsEEEEPS6_PKS6_NS0_5tupleIJSF_S6_EEENSJ_IJSG_SG_EEENS0_18inequality_wrapperI22is_equal_div_10_uniqueIsEEEPmJS6_EEE10hipError_tPvRmT3_T4_T5_T6_T7_T9_mT8_P12ihipStream_tbDpT10_ENKUlT_T0_E_clISt17integral_constantIbLb1EES1A_EEDaS15_S16_EUlS15_E_NS1_11comp_targetILNS1_3genE4ELNS1_11target_archE910ELNS1_3gpuE8ELNS1_3repE0EEENS1_30default_config_static_selectorELNS0_4arch9wavefront6targetE1EEEvT1_.num_vgpr, 0
	.set _ZN7rocprim17ROCPRIM_400000_NS6detail17trampoline_kernelINS0_14default_configENS1_25partition_config_selectorILNS1_17partition_subalgoE8EsNS0_10empty_typeEbEEZZNS1_14partition_implILS5_8ELb0ES3_jN6thrust23THRUST_200600_302600_NS6detail15normal_iteratorINSA_10device_ptrIsEEEEPS6_PKS6_NS0_5tupleIJSF_S6_EEENSJ_IJSG_SG_EEENS0_18inequality_wrapperI22is_equal_div_10_uniqueIsEEEPmJS6_EEE10hipError_tPvRmT3_T4_T5_T6_T7_T9_mT8_P12ihipStream_tbDpT10_ENKUlT_T0_E_clISt17integral_constantIbLb1EES1A_EEDaS15_S16_EUlS15_E_NS1_11comp_targetILNS1_3genE4ELNS1_11target_archE910ELNS1_3gpuE8ELNS1_3repE0EEENS1_30default_config_static_selectorELNS0_4arch9wavefront6targetE1EEEvT1_.num_agpr, 0
	.set _ZN7rocprim17ROCPRIM_400000_NS6detail17trampoline_kernelINS0_14default_configENS1_25partition_config_selectorILNS1_17partition_subalgoE8EsNS0_10empty_typeEbEEZZNS1_14partition_implILS5_8ELb0ES3_jN6thrust23THRUST_200600_302600_NS6detail15normal_iteratorINSA_10device_ptrIsEEEEPS6_PKS6_NS0_5tupleIJSF_S6_EEENSJ_IJSG_SG_EEENS0_18inequality_wrapperI22is_equal_div_10_uniqueIsEEEPmJS6_EEE10hipError_tPvRmT3_T4_T5_T6_T7_T9_mT8_P12ihipStream_tbDpT10_ENKUlT_T0_E_clISt17integral_constantIbLb1EES1A_EEDaS15_S16_EUlS15_E_NS1_11comp_targetILNS1_3genE4ELNS1_11target_archE910ELNS1_3gpuE8ELNS1_3repE0EEENS1_30default_config_static_selectorELNS0_4arch9wavefront6targetE1EEEvT1_.numbered_sgpr, 0
	.set _ZN7rocprim17ROCPRIM_400000_NS6detail17trampoline_kernelINS0_14default_configENS1_25partition_config_selectorILNS1_17partition_subalgoE8EsNS0_10empty_typeEbEEZZNS1_14partition_implILS5_8ELb0ES3_jN6thrust23THRUST_200600_302600_NS6detail15normal_iteratorINSA_10device_ptrIsEEEEPS6_PKS6_NS0_5tupleIJSF_S6_EEENSJ_IJSG_SG_EEENS0_18inequality_wrapperI22is_equal_div_10_uniqueIsEEEPmJS6_EEE10hipError_tPvRmT3_T4_T5_T6_T7_T9_mT8_P12ihipStream_tbDpT10_ENKUlT_T0_E_clISt17integral_constantIbLb1EES1A_EEDaS15_S16_EUlS15_E_NS1_11comp_targetILNS1_3genE4ELNS1_11target_archE910ELNS1_3gpuE8ELNS1_3repE0EEENS1_30default_config_static_selectorELNS0_4arch9wavefront6targetE1EEEvT1_.num_named_barrier, 0
	.set _ZN7rocprim17ROCPRIM_400000_NS6detail17trampoline_kernelINS0_14default_configENS1_25partition_config_selectorILNS1_17partition_subalgoE8EsNS0_10empty_typeEbEEZZNS1_14partition_implILS5_8ELb0ES3_jN6thrust23THRUST_200600_302600_NS6detail15normal_iteratorINSA_10device_ptrIsEEEEPS6_PKS6_NS0_5tupleIJSF_S6_EEENSJ_IJSG_SG_EEENS0_18inequality_wrapperI22is_equal_div_10_uniqueIsEEEPmJS6_EEE10hipError_tPvRmT3_T4_T5_T6_T7_T9_mT8_P12ihipStream_tbDpT10_ENKUlT_T0_E_clISt17integral_constantIbLb1EES1A_EEDaS15_S16_EUlS15_E_NS1_11comp_targetILNS1_3genE4ELNS1_11target_archE910ELNS1_3gpuE8ELNS1_3repE0EEENS1_30default_config_static_selectorELNS0_4arch9wavefront6targetE1EEEvT1_.private_seg_size, 0
	.set _ZN7rocprim17ROCPRIM_400000_NS6detail17trampoline_kernelINS0_14default_configENS1_25partition_config_selectorILNS1_17partition_subalgoE8EsNS0_10empty_typeEbEEZZNS1_14partition_implILS5_8ELb0ES3_jN6thrust23THRUST_200600_302600_NS6detail15normal_iteratorINSA_10device_ptrIsEEEEPS6_PKS6_NS0_5tupleIJSF_S6_EEENSJ_IJSG_SG_EEENS0_18inequality_wrapperI22is_equal_div_10_uniqueIsEEEPmJS6_EEE10hipError_tPvRmT3_T4_T5_T6_T7_T9_mT8_P12ihipStream_tbDpT10_ENKUlT_T0_E_clISt17integral_constantIbLb1EES1A_EEDaS15_S16_EUlS15_E_NS1_11comp_targetILNS1_3genE4ELNS1_11target_archE910ELNS1_3gpuE8ELNS1_3repE0EEENS1_30default_config_static_selectorELNS0_4arch9wavefront6targetE1EEEvT1_.uses_vcc, 0
	.set _ZN7rocprim17ROCPRIM_400000_NS6detail17trampoline_kernelINS0_14default_configENS1_25partition_config_selectorILNS1_17partition_subalgoE8EsNS0_10empty_typeEbEEZZNS1_14partition_implILS5_8ELb0ES3_jN6thrust23THRUST_200600_302600_NS6detail15normal_iteratorINSA_10device_ptrIsEEEEPS6_PKS6_NS0_5tupleIJSF_S6_EEENSJ_IJSG_SG_EEENS0_18inequality_wrapperI22is_equal_div_10_uniqueIsEEEPmJS6_EEE10hipError_tPvRmT3_T4_T5_T6_T7_T9_mT8_P12ihipStream_tbDpT10_ENKUlT_T0_E_clISt17integral_constantIbLb1EES1A_EEDaS15_S16_EUlS15_E_NS1_11comp_targetILNS1_3genE4ELNS1_11target_archE910ELNS1_3gpuE8ELNS1_3repE0EEENS1_30default_config_static_selectorELNS0_4arch9wavefront6targetE1EEEvT1_.uses_flat_scratch, 0
	.set _ZN7rocprim17ROCPRIM_400000_NS6detail17trampoline_kernelINS0_14default_configENS1_25partition_config_selectorILNS1_17partition_subalgoE8EsNS0_10empty_typeEbEEZZNS1_14partition_implILS5_8ELb0ES3_jN6thrust23THRUST_200600_302600_NS6detail15normal_iteratorINSA_10device_ptrIsEEEEPS6_PKS6_NS0_5tupleIJSF_S6_EEENSJ_IJSG_SG_EEENS0_18inequality_wrapperI22is_equal_div_10_uniqueIsEEEPmJS6_EEE10hipError_tPvRmT3_T4_T5_T6_T7_T9_mT8_P12ihipStream_tbDpT10_ENKUlT_T0_E_clISt17integral_constantIbLb1EES1A_EEDaS15_S16_EUlS15_E_NS1_11comp_targetILNS1_3genE4ELNS1_11target_archE910ELNS1_3gpuE8ELNS1_3repE0EEENS1_30default_config_static_selectorELNS0_4arch9wavefront6targetE1EEEvT1_.has_dyn_sized_stack, 0
	.set _ZN7rocprim17ROCPRIM_400000_NS6detail17trampoline_kernelINS0_14default_configENS1_25partition_config_selectorILNS1_17partition_subalgoE8EsNS0_10empty_typeEbEEZZNS1_14partition_implILS5_8ELb0ES3_jN6thrust23THRUST_200600_302600_NS6detail15normal_iteratorINSA_10device_ptrIsEEEEPS6_PKS6_NS0_5tupleIJSF_S6_EEENSJ_IJSG_SG_EEENS0_18inequality_wrapperI22is_equal_div_10_uniqueIsEEEPmJS6_EEE10hipError_tPvRmT3_T4_T5_T6_T7_T9_mT8_P12ihipStream_tbDpT10_ENKUlT_T0_E_clISt17integral_constantIbLb1EES1A_EEDaS15_S16_EUlS15_E_NS1_11comp_targetILNS1_3genE4ELNS1_11target_archE910ELNS1_3gpuE8ELNS1_3repE0EEENS1_30default_config_static_selectorELNS0_4arch9wavefront6targetE1EEEvT1_.has_recursion, 0
	.set _ZN7rocprim17ROCPRIM_400000_NS6detail17trampoline_kernelINS0_14default_configENS1_25partition_config_selectorILNS1_17partition_subalgoE8EsNS0_10empty_typeEbEEZZNS1_14partition_implILS5_8ELb0ES3_jN6thrust23THRUST_200600_302600_NS6detail15normal_iteratorINSA_10device_ptrIsEEEEPS6_PKS6_NS0_5tupleIJSF_S6_EEENSJ_IJSG_SG_EEENS0_18inequality_wrapperI22is_equal_div_10_uniqueIsEEEPmJS6_EEE10hipError_tPvRmT3_T4_T5_T6_T7_T9_mT8_P12ihipStream_tbDpT10_ENKUlT_T0_E_clISt17integral_constantIbLb1EES1A_EEDaS15_S16_EUlS15_E_NS1_11comp_targetILNS1_3genE4ELNS1_11target_archE910ELNS1_3gpuE8ELNS1_3repE0EEENS1_30default_config_static_selectorELNS0_4arch9wavefront6targetE1EEEvT1_.has_indirect_call, 0
	.section	.AMDGPU.csdata,"",@progbits
; Kernel info:
; codeLenInByte = 0
; TotalNumSgprs: 4
; NumVgprs: 0
; ScratchSize: 0
; MemoryBound: 0
; FloatMode: 240
; IeeeMode: 1
; LDSByteSize: 0 bytes/workgroup (compile time only)
; SGPRBlocks: 0
; VGPRBlocks: 0
; NumSGPRsForWavesPerEU: 4
; NumVGPRsForWavesPerEU: 1
; Occupancy: 10
; WaveLimiterHint : 0
; COMPUTE_PGM_RSRC2:SCRATCH_EN: 0
; COMPUTE_PGM_RSRC2:USER_SGPR: 6
; COMPUTE_PGM_RSRC2:TRAP_HANDLER: 0
; COMPUTE_PGM_RSRC2:TGID_X_EN: 1
; COMPUTE_PGM_RSRC2:TGID_Y_EN: 0
; COMPUTE_PGM_RSRC2:TGID_Z_EN: 0
; COMPUTE_PGM_RSRC2:TIDIG_COMP_CNT: 0
	.section	.text._ZN7rocprim17ROCPRIM_400000_NS6detail17trampoline_kernelINS0_14default_configENS1_25partition_config_selectorILNS1_17partition_subalgoE8EsNS0_10empty_typeEbEEZZNS1_14partition_implILS5_8ELb0ES3_jN6thrust23THRUST_200600_302600_NS6detail15normal_iteratorINSA_10device_ptrIsEEEEPS6_PKS6_NS0_5tupleIJSF_S6_EEENSJ_IJSG_SG_EEENS0_18inequality_wrapperI22is_equal_div_10_uniqueIsEEEPmJS6_EEE10hipError_tPvRmT3_T4_T5_T6_T7_T9_mT8_P12ihipStream_tbDpT10_ENKUlT_T0_E_clISt17integral_constantIbLb1EES1A_EEDaS15_S16_EUlS15_E_NS1_11comp_targetILNS1_3genE3ELNS1_11target_archE908ELNS1_3gpuE7ELNS1_3repE0EEENS1_30default_config_static_selectorELNS0_4arch9wavefront6targetE1EEEvT1_,"axG",@progbits,_ZN7rocprim17ROCPRIM_400000_NS6detail17trampoline_kernelINS0_14default_configENS1_25partition_config_selectorILNS1_17partition_subalgoE8EsNS0_10empty_typeEbEEZZNS1_14partition_implILS5_8ELb0ES3_jN6thrust23THRUST_200600_302600_NS6detail15normal_iteratorINSA_10device_ptrIsEEEEPS6_PKS6_NS0_5tupleIJSF_S6_EEENSJ_IJSG_SG_EEENS0_18inequality_wrapperI22is_equal_div_10_uniqueIsEEEPmJS6_EEE10hipError_tPvRmT3_T4_T5_T6_T7_T9_mT8_P12ihipStream_tbDpT10_ENKUlT_T0_E_clISt17integral_constantIbLb1EES1A_EEDaS15_S16_EUlS15_E_NS1_11comp_targetILNS1_3genE3ELNS1_11target_archE908ELNS1_3gpuE7ELNS1_3repE0EEENS1_30default_config_static_selectorELNS0_4arch9wavefront6targetE1EEEvT1_,comdat
	.protected	_ZN7rocprim17ROCPRIM_400000_NS6detail17trampoline_kernelINS0_14default_configENS1_25partition_config_selectorILNS1_17partition_subalgoE8EsNS0_10empty_typeEbEEZZNS1_14partition_implILS5_8ELb0ES3_jN6thrust23THRUST_200600_302600_NS6detail15normal_iteratorINSA_10device_ptrIsEEEEPS6_PKS6_NS0_5tupleIJSF_S6_EEENSJ_IJSG_SG_EEENS0_18inequality_wrapperI22is_equal_div_10_uniqueIsEEEPmJS6_EEE10hipError_tPvRmT3_T4_T5_T6_T7_T9_mT8_P12ihipStream_tbDpT10_ENKUlT_T0_E_clISt17integral_constantIbLb1EES1A_EEDaS15_S16_EUlS15_E_NS1_11comp_targetILNS1_3genE3ELNS1_11target_archE908ELNS1_3gpuE7ELNS1_3repE0EEENS1_30default_config_static_selectorELNS0_4arch9wavefront6targetE1EEEvT1_ ; -- Begin function _ZN7rocprim17ROCPRIM_400000_NS6detail17trampoline_kernelINS0_14default_configENS1_25partition_config_selectorILNS1_17partition_subalgoE8EsNS0_10empty_typeEbEEZZNS1_14partition_implILS5_8ELb0ES3_jN6thrust23THRUST_200600_302600_NS6detail15normal_iteratorINSA_10device_ptrIsEEEEPS6_PKS6_NS0_5tupleIJSF_S6_EEENSJ_IJSG_SG_EEENS0_18inequality_wrapperI22is_equal_div_10_uniqueIsEEEPmJS6_EEE10hipError_tPvRmT3_T4_T5_T6_T7_T9_mT8_P12ihipStream_tbDpT10_ENKUlT_T0_E_clISt17integral_constantIbLb1EES1A_EEDaS15_S16_EUlS15_E_NS1_11comp_targetILNS1_3genE3ELNS1_11target_archE908ELNS1_3gpuE7ELNS1_3repE0EEENS1_30default_config_static_selectorELNS0_4arch9wavefront6targetE1EEEvT1_
	.globl	_ZN7rocprim17ROCPRIM_400000_NS6detail17trampoline_kernelINS0_14default_configENS1_25partition_config_selectorILNS1_17partition_subalgoE8EsNS0_10empty_typeEbEEZZNS1_14partition_implILS5_8ELb0ES3_jN6thrust23THRUST_200600_302600_NS6detail15normal_iteratorINSA_10device_ptrIsEEEEPS6_PKS6_NS0_5tupleIJSF_S6_EEENSJ_IJSG_SG_EEENS0_18inequality_wrapperI22is_equal_div_10_uniqueIsEEEPmJS6_EEE10hipError_tPvRmT3_T4_T5_T6_T7_T9_mT8_P12ihipStream_tbDpT10_ENKUlT_T0_E_clISt17integral_constantIbLb1EES1A_EEDaS15_S16_EUlS15_E_NS1_11comp_targetILNS1_3genE3ELNS1_11target_archE908ELNS1_3gpuE7ELNS1_3repE0EEENS1_30default_config_static_selectorELNS0_4arch9wavefront6targetE1EEEvT1_
	.p2align	8
	.type	_ZN7rocprim17ROCPRIM_400000_NS6detail17trampoline_kernelINS0_14default_configENS1_25partition_config_selectorILNS1_17partition_subalgoE8EsNS0_10empty_typeEbEEZZNS1_14partition_implILS5_8ELb0ES3_jN6thrust23THRUST_200600_302600_NS6detail15normal_iteratorINSA_10device_ptrIsEEEEPS6_PKS6_NS0_5tupleIJSF_S6_EEENSJ_IJSG_SG_EEENS0_18inequality_wrapperI22is_equal_div_10_uniqueIsEEEPmJS6_EEE10hipError_tPvRmT3_T4_T5_T6_T7_T9_mT8_P12ihipStream_tbDpT10_ENKUlT_T0_E_clISt17integral_constantIbLb1EES1A_EEDaS15_S16_EUlS15_E_NS1_11comp_targetILNS1_3genE3ELNS1_11target_archE908ELNS1_3gpuE7ELNS1_3repE0EEENS1_30default_config_static_selectorELNS0_4arch9wavefront6targetE1EEEvT1_,@function
_ZN7rocprim17ROCPRIM_400000_NS6detail17trampoline_kernelINS0_14default_configENS1_25partition_config_selectorILNS1_17partition_subalgoE8EsNS0_10empty_typeEbEEZZNS1_14partition_implILS5_8ELb0ES3_jN6thrust23THRUST_200600_302600_NS6detail15normal_iteratorINSA_10device_ptrIsEEEEPS6_PKS6_NS0_5tupleIJSF_S6_EEENSJ_IJSG_SG_EEENS0_18inequality_wrapperI22is_equal_div_10_uniqueIsEEEPmJS6_EEE10hipError_tPvRmT3_T4_T5_T6_T7_T9_mT8_P12ihipStream_tbDpT10_ENKUlT_T0_E_clISt17integral_constantIbLb1EES1A_EEDaS15_S16_EUlS15_E_NS1_11comp_targetILNS1_3genE3ELNS1_11target_archE908ELNS1_3gpuE7ELNS1_3repE0EEENS1_30default_config_static_selectorELNS0_4arch9wavefront6targetE1EEEvT1_: ; @_ZN7rocprim17ROCPRIM_400000_NS6detail17trampoline_kernelINS0_14default_configENS1_25partition_config_selectorILNS1_17partition_subalgoE8EsNS0_10empty_typeEbEEZZNS1_14partition_implILS5_8ELb0ES3_jN6thrust23THRUST_200600_302600_NS6detail15normal_iteratorINSA_10device_ptrIsEEEEPS6_PKS6_NS0_5tupleIJSF_S6_EEENSJ_IJSG_SG_EEENS0_18inequality_wrapperI22is_equal_div_10_uniqueIsEEEPmJS6_EEE10hipError_tPvRmT3_T4_T5_T6_T7_T9_mT8_P12ihipStream_tbDpT10_ENKUlT_T0_E_clISt17integral_constantIbLb1EES1A_EEDaS15_S16_EUlS15_E_NS1_11comp_targetILNS1_3genE3ELNS1_11target_archE908ELNS1_3gpuE7ELNS1_3repE0EEENS1_30default_config_static_selectorELNS0_4arch9wavefront6targetE1EEEvT1_
; %bb.0:
	.section	.rodata,"a",@progbits
	.p2align	6, 0x0
	.amdhsa_kernel _ZN7rocprim17ROCPRIM_400000_NS6detail17trampoline_kernelINS0_14default_configENS1_25partition_config_selectorILNS1_17partition_subalgoE8EsNS0_10empty_typeEbEEZZNS1_14partition_implILS5_8ELb0ES3_jN6thrust23THRUST_200600_302600_NS6detail15normal_iteratorINSA_10device_ptrIsEEEEPS6_PKS6_NS0_5tupleIJSF_S6_EEENSJ_IJSG_SG_EEENS0_18inequality_wrapperI22is_equal_div_10_uniqueIsEEEPmJS6_EEE10hipError_tPvRmT3_T4_T5_T6_T7_T9_mT8_P12ihipStream_tbDpT10_ENKUlT_T0_E_clISt17integral_constantIbLb1EES1A_EEDaS15_S16_EUlS15_E_NS1_11comp_targetILNS1_3genE3ELNS1_11target_archE908ELNS1_3gpuE7ELNS1_3repE0EEENS1_30default_config_static_selectorELNS0_4arch9wavefront6targetE1EEEvT1_
		.amdhsa_group_segment_fixed_size 0
		.amdhsa_private_segment_fixed_size 0
		.amdhsa_kernarg_size 128
		.amdhsa_user_sgpr_count 6
		.amdhsa_user_sgpr_private_segment_buffer 1
		.amdhsa_user_sgpr_dispatch_ptr 0
		.amdhsa_user_sgpr_queue_ptr 0
		.amdhsa_user_sgpr_kernarg_segment_ptr 1
		.amdhsa_user_sgpr_dispatch_id 0
		.amdhsa_user_sgpr_flat_scratch_init 0
		.amdhsa_user_sgpr_private_segment_size 0
		.amdhsa_uses_dynamic_stack 0
		.amdhsa_system_sgpr_private_segment_wavefront_offset 0
		.amdhsa_system_sgpr_workgroup_id_x 1
		.amdhsa_system_sgpr_workgroup_id_y 0
		.amdhsa_system_sgpr_workgroup_id_z 0
		.amdhsa_system_sgpr_workgroup_info 0
		.amdhsa_system_vgpr_workitem_id 0
		.amdhsa_next_free_vgpr 1
		.amdhsa_next_free_sgpr 0
		.amdhsa_reserve_vcc 0
		.amdhsa_reserve_flat_scratch 0
		.amdhsa_float_round_mode_32 0
		.amdhsa_float_round_mode_16_64 0
		.amdhsa_float_denorm_mode_32 3
		.amdhsa_float_denorm_mode_16_64 3
		.amdhsa_dx10_clamp 1
		.amdhsa_ieee_mode 1
		.amdhsa_fp16_overflow 0
		.amdhsa_exception_fp_ieee_invalid_op 0
		.amdhsa_exception_fp_denorm_src 0
		.amdhsa_exception_fp_ieee_div_zero 0
		.amdhsa_exception_fp_ieee_overflow 0
		.amdhsa_exception_fp_ieee_underflow 0
		.amdhsa_exception_fp_ieee_inexact 0
		.amdhsa_exception_int_div_zero 0
	.end_amdhsa_kernel
	.section	.text._ZN7rocprim17ROCPRIM_400000_NS6detail17trampoline_kernelINS0_14default_configENS1_25partition_config_selectorILNS1_17partition_subalgoE8EsNS0_10empty_typeEbEEZZNS1_14partition_implILS5_8ELb0ES3_jN6thrust23THRUST_200600_302600_NS6detail15normal_iteratorINSA_10device_ptrIsEEEEPS6_PKS6_NS0_5tupleIJSF_S6_EEENSJ_IJSG_SG_EEENS0_18inequality_wrapperI22is_equal_div_10_uniqueIsEEEPmJS6_EEE10hipError_tPvRmT3_T4_T5_T6_T7_T9_mT8_P12ihipStream_tbDpT10_ENKUlT_T0_E_clISt17integral_constantIbLb1EES1A_EEDaS15_S16_EUlS15_E_NS1_11comp_targetILNS1_3genE3ELNS1_11target_archE908ELNS1_3gpuE7ELNS1_3repE0EEENS1_30default_config_static_selectorELNS0_4arch9wavefront6targetE1EEEvT1_,"axG",@progbits,_ZN7rocprim17ROCPRIM_400000_NS6detail17trampoline_kernelINS0_14default_configENS1_25partition_config_selectorILNS1_17partition_subalgoE8EsNS0_10empty_typeEbEEZZNS1_14partition_implILS5_8ELb0ES3_jN6thrust23THRUST_200600_302600_NS6detail15normal_iteratorINSA_10device_ptrIsEEEEPS6_PKS6_NS0_5tupleIJSF_S6_EEENSJ_IJSG_SG_EEENS0_18inequality_wrapperI22is_equal_div_10_uniqueIsEEEPmJS6_EEE10hipError_tPvRmT3_T4_T5_T6_T7_T9_mT8_P12ihipStream_tbDpT10_ENKUlT_T0_E_clISt17integral_constantIbLb1EES1A_EEDaS15_S16_EUlS15_E_NS1_11comp_targetILNS1_3genE3ELNS1_11target_archE908ELNS1_3gpuE7ELNS1_3repE0EEENS1_30default_config_static_selectorELNS0_4arch9wavefront6targetE1EEEvT1_,comdat
.Lfunc_end512:
	.size	_ZN7rocprim17ROCPRIM_400000_NS6detail17trampoline_kernelINS0_14default_configENS1_25partition_config_selectorILNS1_17partition_subalgoE8EsNS0_10empty_typeEbEEZZNS1_14partition_implILS5_8ELb0ES3_jN6thrust23THRUST_200600_302600_NS6detail15normal_iteratorINSA_10device_ptrIsEEEEPS6_PKS6_NS0_5tupleIJSF_S6_EEENSJ_IJSG_SG_EEENS0_18inequality_wrapperI22is_equal_div_10_uniqueIsEEEPmJS6_EEE10hipError_tPvRmT3_T4_T5_T6_T7_T9_mT8_P12ihipStream_tbDpT10_ENKUlT_T0_E_clISt17integral_constantIbLb1EES1A_EEDaS15_S16_EUlS15_E_NS1_11comp_targetILNS1_3genE3ELNS1_11target_archE908ELNS1_3gpuE7ELNS1_3repE0EEENS1_30default_config_static_selectorELNS0_4arch9wavefront6targetE1EEEvT1_, .Lfunc_end512-_ZN7rocprim17ROCPRIM_400000_NS6detail17trampoline_kernelINS0_14default_configENS1_25partition_config_selectorILNS1_17partition_subalgoE8EsNS0_10empty_typeEbEEZZNS1_14partition_implILS5_8ELb0ES3_jN6thrust23THRUST_200600_302600_NS6detail15normal_iteratorINSA_10device_ptrIsEEEEPS6_PKS6_NS0_5tupleIJSF_S6_EEENSJ_IJSG_SG_EEENS0_18inequality_wrapperI22is_equal_div_10_uniqueIsEEEPmJS6_EEE10hipError_tPvRmT3_T4_T5_T6_T7_T9_mT8_P12ihipStream_tbDpT10_ENKUlT_T0_E_clISt17integral_constantIbLb1EES1A_EEDaS15_S16_EUlS15_E_NS1_11comp_targetILNS1_3genE3ELNS1_11target_archE908ELNS1_3gpuE7ELNS1_3repE0EEENS1_30default_config_static_selectorELNS0_4arch9wavefront6targetE1EEEvT1_
                                        ; -- End function
	.set _ZN7rocprim17ROCPRIM_400000_NS6detail17trampoline_kernelINS0_14default_configENS1_25partition_config_selectorILNS1_17partition_subalgoE8EsNS0_10empty_typeEbEEZZNS1_14partition_implILS5_8ELb0ES3_jN6thrust23THRUST_200600_302600_NS6detail15normal_iteratorINSA_10device_ptrIsEEEEPS6_PKS6_NS0_5tupleIJSF_S6_EEENSJ_IJSG_SG_EEENS0_18inequality_wrapperI22is_equal_div_10_uniqueIsEEEPmJS6_EEE10hipError_tPvRmT3_T4_T5_T6_T7_T9_mT8_P12ihipStream_tbDpT10_ENKUlT_T0_E_clISt17integral_constantIbLb1EES1A_EEDaS15_S16_EUlS15_E_NS1_11comp_targetILNS1_3genE3ELNS1_11target_archE908ELNS1_3gpuE7ELNS1_3repE0EEENS1_30default_config_static_selectorELNS0_4arch9wavefront6targetE1EEEvT1_.num_vgpr, 0
	.set _ZN7rocprim17ROCPRIM_400000_NS6detail17trampoline_kernelINS0_14default_configENS1_25partition_config_selectorILNS1_17partition_subalgoE8EsNS0_10empty_typeEbEEZZNS1_14partition_implILS5_8ELb0ES3_jN6thrust23THRUST_200600_302600_NS6detail15normal_iteratorINSA_10device_ptrIsEEEEPS6_PKS6_NS0_5tupleIJSF_S6_EEENSJ_IJSG_SG_EEENS0_18inequality_wrapperI22is_equal_div_10_uniqueIsEEEPmJS6_EEE10hipError_tPvRmT3_T4_T5_T6_T7_T9_mT8_P12ihipStream_tbDpT10_ENKUlT_T0_E_clISt17integral_constantIbLb1EES1A_EEDaS15_S16_EUlS15_E_NS1_11comp_targetILNS1_3genE3ELNS1_11target_archE908ELNS1_3gpuE7ELNS1_3repE0EEENS1_30default_config_static_selectorELNS0_4arch9wavefront6targetE1EEEvT1_.num_agpr, 0
	.set _ZN7rocprim17ROCPRIM_400000_NS6detail17trampoline_kernelINS0_14default_configENS1_25partition_config_selectorILNS1_17partition_subalgoE8EsNS0_10empty_typeEbEEZZNS1_14partition_implILS5_8ELb0ES3_jN6thrust23THRUST_200600_302600_NS6detail15normal_iteratorINSA_10device_ptrIsEEEEPS6_PKS6_NS0_5tupleIJSF_S6_EEENSJ_IJSG_SG_EEENS0_18inequality_wrapperI22is_equal_div_10_uniqueIsEEEPmJS6_EEE10hipError_tPvRmT3_T4_T5_T6_T7_T9_mT8_P12ihipStream_tbDpT10_ENKUlT_T0_E_clISt17integral_constantIbLb1EES1A_EEDaS15_S16_EUlS15_E_NS1_11comp_targetILNS1_3genE3ELNS1_11target_archE908ELNS1_3gpuE7ELNS1_3repE0EEENS1_30default_config_static_selectorELNS0_4arch9wavefront6targetE1EEEvT1_.numbered_sgpr, 0
	.set _ZN7rocprim17ROCPRIM_400000_NS6detail17trampoline_kernelINS0_14default_configENS1_25partition_config_selectorILNS1_17partition_subalgoE8EsNS0_10empty_typeEbEEZZNS1_14partition_implILS5_8ELb0ES3_jN6thrust23THRUST_200600_302600_NS6detail15normal_iteratorINSA_10device_ptrIsEEEEPS6_PKS6_NS0_5tupleIJSF_S6_EEENSJ_IJSG_SG_EEENS0_18inequality_wrapperI22is_equal_div_10_uniqueIsEEEPmJS6_EEE10hipError_tPvRmT3_T4_T5_T6_T7_T9_mT8_P12ihipStream_tbDpT10_ENKUlT_T0_E_clISt17integral_constantIbLb1EES1A_EEDaS15_S16_EUlS15_E_NS1_11comp_targetILNS1_3genE3ELNS1_11target_archE908ELNS1_3gpuE7ELNS1_3repE0EEENS1_30default_config_static_selectorELNS0_4arch9wavefront6targetE1EEEvT1_.num_named_barrier, 0
	.set _ZN7rocprim17ROCPRIM_400000_NS6detail17trampoline_kernelINS0_14default_configENS1_25partition_config_selectorILNS1_17partition_subalgoE8EsNS0_10empty_typeEbEEZZNS1_14partition_implILS5_8ELb0ES3_jN6thrust23THRUST_200600_302600_NS6detail15normal_iteratorINSA_10device_ptrIsEEEEPS6_PKS6_NS0_5tupleIJSF_S6_EEENSJ_IJSG_SG_EEENS0_18inequality_wrapperI22is_equal_div_10_uniqueIsEEEPmJS6_EEE10hipError_tPvRmT3_T4_T5_T6_T7_T9_mT8_P12ihipStream_tbDpT10_ENKUlT_T0_E_clISt17integral_constantIbLb1EES1A_EEDaS15_S16_EUlS15_E_NS1_11comp_targetILNS1_3genE3ELNS1_11target_archE908ELNS1_3gpuE7ELNS1_3repE0EEENS1_30default_config_static_selectorELNS0_4arch9wavefront6targetE1EEEvT1_.private_seg_size, 0
	.set _ZN7rocprim17ROCPRIM_400000_NS6detail17trampoline_kernelINS0_14default_configENS1_25partition_config_selectorILNS1_17partition_subalgoE8EsNS0_10empty_typeEbEEZZNS1_14partition_implILS5_8ELb0ES3_jN6thrust23THRUST_200600_302600_NS6detail15normal_iteratorINSA_10device_ptrIsEEEEPS6_PKS6_NS0_5tupleIJSF_S6_EEENSJ_IJSG_SG_EEENS0_18inequality_wrapperI22is_equal_div_10_uniqueIsEEEPmJS6_EEE10hipError_tPvRmT3_T4_T5_T6_T7_T9_mT8_P12ihipStream_tbDpT10_ENKUlT_T0_E_clISt17integral_constantIbLb1EES1A_EEDaS15_S16_EUlS15_E_NS1_11comp_targetILNS1_3genE3ELNS1_11target_archE908ELNS1_3gpuE7ELNS1_3repE0EEENS1_30default_config_static_selectorELNS0_4arch9wavefront6targetE1EEEvT1_.uses_vcc, 0
	.set _ZN7rocprim17ROCPRIM_400000_NS6detail17trampoline_kernelINS0_14default_configENS1_25partition_config_selectorILNS1_17partition_subalgoE8EsNS0_10empty_typeEbEEZZNS1_14partition_implILS5_8ELb0ES3_jN6thrust23THRUST_200600_302600_NS6detail15normal_iteratorINSA_10device_ptrIsEEEEPS6_PKS6_NS0_5tupleIJSF_S6_EEENSJ_IJSG_SG_EEENS0_18inequality_wrapperI22is_equal_div_10_uniqueIsEEEPmJS6_EEE10hipError_tPvRmT3_T4_T5_T6_T7_T9_mT8_P12ihipStream_tbDpT10_ENKUlT_T0_E_clISt17integral_constantIbLb1EES1A_EEDaS15_S16_EUlS15_E_NS1_11comp_targetILNS1_3genE3ELNS1_11target_archE908ELNS1_3gpuE7ELNS1_3repE0EEENS1_30default_config_static_selectorELNS0_4arch9wavefront6targetE1EEEvT1_.uses_flat_scratch, 0
	.set _ZN7rocprim17ROCPRIM_400000_NS6detail17trampoline_kernelINS0_14default_configENS1_25partition_config_selectorILNS1_17partition_subalgoE8EsNS0_10empty_typeEbEEZZNS1_14partition_implILS5_8ELb0ES3_jN6thrust23THRUST_200600_302600_NS6detail15normal_iteratorINSA_10device_ptrIsEEEEPS6_PKS6_NS0_5tupleIJSF_S6_EEENSJ_IJSG_SG_EEENS0_18inequality_wrapperI22is_equal_div_10_uniqueIsEEEPmJS6_EEE10hipError_tPvRmT3_T4_T5_T6_T7_T9_mT8_P12ihipStream_tbDpT10_ENKUlT_T0_E_clISt17integral_constantIbLb1EES1A_EEDaS15_S16_EUlS15_E_NS1_11comp_targetILNS1_3genE3ELNS1_11target_archE908ELNS1_3gpuE7ELNS1_3repE0EEENS1_30default_config_static_selectorELNS0_4arch9wavefront6targetE1EEEvT1_.has_dyn_sized_stack, 0
	.set _ZN7rocprim17ROCPRIM_400000_NS6detail17trampoline_kernelINS0_14default_configENS1_25partition_config_selectorILNS1_17partition_subalgoE8EsNS0_10empty_typeEbEEZZNS1_14partition_implILS5_8ELb0ES3_jN6thrust23THRUST_200600_302600_NS6detail15normal_iteratorINSA_10device_ptrIsEEEEPS6_PKS6_NS0_5tupleIJSF_S6_EEENSJ_IJSG_SG_EEENS0_18inequality_wrapperI22is_equal_div_10_uniqueIsEEEPmJS6_EEE10hipError_tPvRmT3_T4_T5_T6_T7_T9_mT8_P12ihipStream_tbDpT10_ENKUlT_T0_E_clISt17integral_constantIbLb1EES1A_EEDaS15_S16_EUlS15_E_NS1_11comp_targetILNS1_3genE3ELNS1_11target_archE908ELNS1_3gpuE7ELNS1_3repE0EEENS1_30default_config_static_selectorELNS0_4arch9wavefront6targetE1EEEvT1_.has_recursion, 0
	.set _ZN7rocprim17ROCPRIM_400000_NS6detail17trampoline_kernelINS0_14default_configENS1_25partition_config_selectorILNS1_17partition_subalgoE8EsNS0_10empty_typeEbEEZZNS1_14partition_implILS5_8ELb0ES3_jN6thrust23THRUST_200600_302600_NS6detail15normal_iteratorINSA_10device_ptrIsEEEEPS6_PKS6_NS0_5tupleIJSF_S6_EEENSJ_IJSG_SG_EEENS0_18inequality_wrapperI22is_equal_div_10_uniqueIsEEEPmJS6_EEE10hipError_tPvRmT3_T4_T5_T6_T7_T9_mT8_P12ihipStream_tbDpT10_ENKUlT_T0_E_clISt17integral_constantIbLb1EES1A_EEDaS15_S16_EUlS15_E_NS1_11comp_targetILNS1_3genE3ELNS1_11target_archE908ELNS1_3gpuE7ELNS1_3repE0EEENS1_30default_config_static_selectorELNS0_4arch9wavefront6targetE1EEEvT1_.has_indirect_call, 0
	.section	.AMDGPU.csdata,"",@progbits
; Kernel info:
; codeLenInByte = 0
; TotalNumSgprs: 4
; NumVgprs: 0
; ScratchSize: 0
; MemoryBound: 0
; FloatMode: 240
; IeeeMode: 1
; LDSByteSize: 0 bytes/workgroup (compile time only)
; SGPRBlocks: 0
; VGPRBlocks: 0
; NumSGPRsForWavesPerEU: 4
; NumVGPRsForWavesPerEU: 1
; Occupancy: 10
; WaveLimiterHint : 0
; COMPUTE_PGM_RSRC2:SCRATCH_EN: 0
; COMPUTE_PGM_RSRC2:USER_SGPR: 6
; COMPUTE_PGM_RSRC2:TRAP_HANDLER: 0
; COMPUTE_PGM_RSRC2:TGID_X_EN: 1
; COMPUTE_PGM_RSRC2:TGID_Y_EN: 0
; COMPUTE_PGM_RSRC2:TGID_Z_EN: 0
; COMPUTE_PGM_RSRC2:TIDIG_COMP_CNT: 0
	.section	.text._ZN7rocprim17ROCPRIM_400000_NS6detail17trampoline_kernelINS0_14default_configENS1_25partition_config_selectorILNS1_17partition_subalgoE8EsNS0_10empty_typeEbEEZZNS1_14partition_implILS5_8ELb0ES3_jN6thrust23THRUST_200600_302600_NS6detail15normal_iteratorINSA_10device_ptrIsEEEEPS6_PKS6_NS0_5tupleIJSF_S6_EEENSJ_IJSG_SG_EEENS0_18inequality_wrapperI22is_equal_div_10_uniqueIsEEEPmJS6_EEE10hipError_tPvRmT3_T4_T5_T6_T7_T9_mT8_P12ihipStream_tbDpT10_ENKUlT_T0_E_clISt17integral_constantIbLb1EES1A_EEDaS15_S16_EUlS15_E_NS1_11comp_targetILNS1_3genE2ELNS1_11target_archE906ELNS1_3gpuE6ELNS1_3repE0EEENS1_30default_config_static_selectorELNS0_4arch9wavefront6targetE1EEEvT1_,"axG",@progbits,_ZN7rocprim17ROCPRIM_400000_NS6detail17trampoline_kernelINS0_14default_configENS1_25partition_config_selectorILNS1_17partition_subalgoE8EsNS0_10empty_typeEbEEZZNS1_14partition_implILS5_8ELb0ES3_jN6thrust23THRUST_200600_302600_NS6detail15normal_iteratorINSA_10device_ptrIsEEEEPS6_PKS6_NS0_5tupleIJSF_S6_EEENSJ_IJSG_SG_EEENS0_18inequality_wrapperI22is_equal_div_10_uniqueIsEEEPmJS6_EEE10hipError_tPvRmT3_T4_T5_T6_T7_T9_mT8_P12ihipStream_tbDpT10_ENKUlT_T0_E_clISt17integral_constantIbLb1EES1A_EEDaS15_S16_EUlS15_E_NS1_11comp_targetILNS1_3genE2ELNS1_11target_archE906ELNS1_3gpuE6ELNS1_3repE0EEENS1_30default_config_static_selectorELNS0_4arch9wavefront6targetE1EEEvT1_,comdat
	.protected	_ZN7rocprim17ROCPRIM_400000_NS6detail17trampoline_kernelINS0_14default_configENS1_25partition_config_selectorILNS1_17partition_subalgoE8EsNS0_10empty_typeEbEEZZNS1_14partition_implILS5_8ELb0ES3_jN6thrust23THRUST_200600_302600_NS6detail15normal_iteratorINSA_10device_ptrIsEEEEPS6_PKS6_NS0_5tupleIJSF_S6_EEENSJ_IJSG_SG_EEENS0_18inequality_wrapperI22is_equal_div_10_uniqueIsEEEPmJS6_EEE10hipError_tPvRmT3_T4_T5_T6_T7_T9_mT8_P12ihipStream_tbDpT10_ENKUlT_T0_E_clISt17integral_constantIbLb1EES1A_EEDaS15_S16_EUlS15_E_NS1_11comp_targetILNS1_3genE2ELNS1_11target_archE906ELNS1_3gpuE6ELNS1_3repE0EEENS1_30default_config_static_selectorELNS0_4arch9wavefront6targetE1EEEvT1_ ; -- Begin function _ZN7rocprim17ROCPRIM_400000_NS6detail17trampoline_kernelINS0_14default_configENS1_25partition_config_selectorILNS1_17partition_subalgoE8EsNS0_10empty_typeEbEEZZNS1_14partition_implILS5_8ELb0ES3_jN6thrust23THRUST_200600_302600_NS6detail15normal_iteratorINSA_10device_ptrIsEEEEPS6_PKS6_NS0_5tupleIJSF_S6_EEENSJ_IJSG_SG_EEENS0_18inequality_wrapperI22is_equal_div_10_uniqueIsEEEPmJS6_EEE10hipError_tPvRmT3_T4_T5_T6_T7_T9_mT8_P12ihipStream_tbDpT10_ENKUlT_T0_E_clISt17integral_constantIbLb1EES1A_EEDaS15_S16_EUlS15_E_NS1_11comp_targetILNS1_3genE2ELNS1_11target_archE906ELNS1_3gpuE6ELNS1_3repE0EEENS1_30default_config_static_selectorELNS0_4arch9wavefront6targetE1EEEvT1_
	.globl	_ZN7rocprim17ROCPRIM_400000_NS6detail17trampoline_kernelINS0_14default_configENS1_25partition_config_selectorILNS1_17partition_subalgoE8EsNS0_10empty_typeEbEEZZNS1_14partition_implILS5_8ELb0ES3_jN6thrust23THRUST_200600_302600_NS6detail15normal_iteratorINSA_10device_ptrIsEEEEPS6_PKS6_NS0_5tupleIJSF_S6_EEENSJ_IJSG_SG_EEENS0_18inequality_wrapperI22is_equal_div_10_uniqueIsEEEPmJS6_EEE10hipError_tPvRmT3_T4_T5_T6_T7_T9_mT8_P12ihipStream_tbDpT10_ENKUlT_T0_E_clISt17integral_constantIbLb1EES1A_EEDaS15_S16_EUlS15_E_NS1_11comp_targetILNS1_3genE2ELNS1_11target_archE906ELNS1_3gpuE6ELNS1_3repE0EEENS1_30default_config_static_selectorELNS0_4arch9wavefront6targetE1EEEvT1_
	.p2align	8
	.type	_ZN7rocprim17ROCPRIM_400000_NS6detail17trampoline_kernelINS0_14default_configENS1_25partition_config_selectorILNS1_17partition_subalgoE8EsNS0_10empty_typeEbEEZZNS1_14partition_implILS5_8ELb0ES3_jN6thrust23THRUST_200600_302600_NS6detail15normal_iteratorINSA_10device_ptrIsEEEEPS6_PKS6_NS0_5tupleIJSF_S6_EEENSJ_IJSG_SG_EEENS0_18inequality_wrapperI22is_equal_div_10_uniqueIsEEEPmJS6_EEE10hipError_tPvRmT3_T4_T5_T6_T7_T9_mT8_P12ihipStream_tbDpT10_ENKUlT_T0_E_clISt17integral_constantIbLb1EES1A_EEDaS15_S16_EUlS15_E_NS1_11comp_targetILNS1_3genE2ELNS1_11target_archE906ELNS1_3gpuE6ELNS1_3repE0EEENS1_30default_config_static_selectorELNS0_4arch9wavefront6targetE1EEEvT1_,@function
_ZN7rocprim17ROCPRIM_400000_NS6detail17trampoline_kernelINS0_14default_configENS1_25partition_config_selectorILNS1_17partition_subalgoE8EsNS0_10empty_typeEbEEZZNS1_14partition_implILS5_8ELb0ES3_jN6thrust23THRUST_200600_302600_NS6detail15normal_iteratorINSA_10device_ptrIsEEEEPS6_PKS6_NS0_5tupleIJSF_S6_EEENSJ_IJSG_SG_EEENS0_18inequality_wrapperI22is_equal_div_10_uniqueIsEEEPmJS6_EEE10hipError_tPvRmT3_T4_T5_T6_T7_T9_mT8_P12ihipStream_tbDpT10_ENKUlT_T0_E_clISt17integral_constantIbLb1EES1A_EEDaS15_S16_EUlS15_E_NS1_11comp_targetILNS1_3genE2ELNS1_11target_archE906ELNS1_3gpuE6ELNS1_3repE0EEENS1_30default_config_static_selectorELNS0_4arch9wavefront6targetE1EEEvT1_: ; @_ZN7rocprim17ROCPRIM_400000_NS6detail17trampoline_kernelINS0_14default_configENS1_25partition_config_selectorILNS1_17partition_subalgoE8EsNS0_10empty_typeEbEEZZNS1_14partition_implILS5_8ELb0ES3_jN6thrust23THRUST_200600_302600_NS6detail15normal_iteratorINSA_10device_ptrIsEEEEPS6_PKS6_NS0_5tupleIJSF_S6_EEENSJ_IJSG_SG_EEENS0_18inequality_wrapperI22is_equal_div_10_uniqueIsEEEPmJS6_EEE10hipError_tPvRmT3_T4_T5_T6_T7_T9_mT8_P12ihipStream_tbDpT10_ENKUlT_T0_E_clISt17integral_constantIbLb1EES1A_EEDaS15_S16_EUlS15_E_NS1_11comp_targetILNS1_3genE2ELNS1_11target_archE906ELNS1_3gpuE6ELNS1_3repE0EEENS1_30default_config_static_selectorELNS0_4arch9wavefront6targetE1EEEvT1_
; %bb.0:
	s_endpgm
	.section	.rodata,"a",@progbits
	.p2align	6, 0x0
	.amdhsa_kernel _ZN7rocprim17ROCPRIM_400000_NS6detail17trampoline_kernelINS0_14default_configENS1_25partition_config_selectorILNS1_17partition_subalgoE8EsNS0_10empty_typeEbEEZZNS1_14partition_implILS5_8ELb0ES3_jN6thrust23THRUST_200600_302600_NS6detail15normal_iteratorINSA_10device_ptrIsEEEEPS6_PKS6_NS0_5tupleIJSF_S6_EEENSJ_IJSG_SG_EEENS0_18inequality_wrapperI22is_equal_div_10_uniqueIsEEEPmJS6_EEE10hipError_tPvRmT3_T4_T5_T6_T7_T9_mT8_P12ihipStream_tbDpT10_ENKUlT_T0_E_clISt17integral_constantIbLb1EES1A_EEDaS15_S16_EUlS15_E_NS1_11comp_targetILNS1_3genE2ELNS1_11target_archE906ELNS1_3gpuE6ELNS1_3repE0EEENS1_30default_config_static_selectorELNS0_4arch9wavefront6targetE1EEEvT1_
		.amdhsa_group_segment_fixed_size 0
		.amdhsa_private_segment_fixed_size 0
		.amdhsa_kernarg_size 128
		.amdhsa_user_sgpr_count 6
		.amdhsa_user_sgpr_private_segment_buffer 1
		.amdhsa_user_sgpr_dispatch_ptr 0
		.amdhsa_user_sgpr_queue_ptr 0
		.amdhsa_user_sgpr_kernarg_segment_ptr 1
		.amdhsa_user_sgpr_dispatch_id 0
		.amdhsa_user_sgpr_flat_scratch_init 0
		.amdhsa_user_sgpr_private_segment_size 0
		.amdhsa_uses_dynamic_stack 0
		.amdhsa_system_sgpr_private_segment_wavefront_offset 0
		.amdhsa_system_sgpr_workgroup_id_x 1
		.amdhsa_system_sgpr_workgroup_id_y 0
		.amdhsa_system_sgpr_workgroup_id_z 0
		.amdhsa_system_sgpr_workgroup_info 0
		.amdhsa_system_vgpr_workitem_id 0
		.amdhsa_next_free_vgpr 1
		.amdhsa_next_free_sgpr 0
		.amdhsa_reserve_vcc 0
		.amdhsa_reserve_flat_scratch 0
		.amdhsa_float_round_mode_32 0
		.amdhsa_float_round_mode_16_64 0
		.amdhsa_float_denorm_mode_32 3
		.amdhsa_float_denorm_mode_16_64 3
		.amdhsa_dx10_clamp 1
		.amdhsa_ieee_mode 1
		.amdhsa_fp16_overflow 0
		.amdhsa_exception_fp_ieee_invalid_op 0
		.amdhsa_exception_fp_denorm_src 0
		.amdhsa_exception_fp_ieee_div_zero 0
		.amdhsa_exception_fp_ieee_overflow 0
		.amdhsa_exception_fp_ieee_underflow 0
		.amdhsa_exception_fp_ieee_inexact 0
		.amdhsa_exception_int_div_zero 0
	.end_amdhsa_kernel
	.section	.text._ZN7rocprim17ROCPRIM_400000_NS6detail17trampoline_kernelINS0_14default_configENS1_25partition_config_selectorILNS1_17partition_subalgoE8EsNS0_10empty_typeEbEEZZNS1_14partition_implILS5_8ELb0ES3_jN6thrust23THRUST_200600_302600_NS6detail15normal_iteratorINSA_10device_ptrIsEEEEPS6_PKS6_NS0_5tupleIJSF_S6_EEENSJ_IJSG_SG_EEENS0_18inequality_wrapperI22is_equal_div_10_uniqueIsEEEPmJS6_EEE10hipError_tPvRmT3_T4_T5_T6_T7_T9_mT8_P12ihipStream_tbDpT10_ENKUlT_T0_E_clISt17integral_constantIbLb1EES1A_EEDaS15_S16_EUlS15_E_NS1_11comp_targetILNS1_3genE2ELNS1_11target_archE906ELNS1_3gpuE6ELNS1_3repE0EEENS1_30default_config_static_selectorELNS0_4arch9wavefront6targetE1EEEvT1_,"axG",@progbits,_ZN7rocprim17ROCPRIM_400000_NS6detail17trampoline_kernelINS0_14default_configENS1_25partition_config_selectorILNS1_17partition_subalgoE8EsNS0_10empty_typeEbEEZZNS1_14partition_implILS5_8ELb0ES3_jN6thrust23THRUST_200600_302600_NS6detail15normal_iteratorINSA_10device_ptrIsEEEEPS6_PKS6_NS0_5tupleIJSF_S6_EEENSJ_IJSG_SG_EEENS0_18inequality_wrapperI22is_equal_div_10_uniqueIsEEEPmJS6_EEE10hipError_tPvRmT3_T4_T5_T6_T7_T9_mT8_P12ihipStream_tbDpT10_ENKUlT_T0_E_clISt17integral_constantIbLb1EES1A_EEDaS15_S16_EUlS15_E_NS1_11comp_targetILNS1_3genE2ELNS1_11target_archE906ELNS1_3gpuE6ELNS1_3repE0EEENS1_30default_config_static_selectorELNS0_4arch9wavefront6targetE1EEEvT1_,comdat
.Lfunc_end513:
	.size	_ZN7rocprim17ROCPRIM_400000_NS6detail17trampoline_kernelINS0_14default_configENS1_25partition_config_selectorILNS1_17partition_subalgoE8EsNS0_10empty_typeEbEEZZNS1_14partition_implILS5_8ELb0ES3_jN6thrust23THRUST_200600_302600_NS6detail15normal_iteratorINSA_10device_ptrIsEEEEPS6_PKS6_NS0_5tupleIJSF_S6_EEENSJ_IJSG_SG_EEENS0_18inequality_wrapperI22is_equal_div_10_uniqueIsEEEPmJS6_EEE10hipError_tPvRmT3_T4_T5_T6_T7_T9_mT8_P12ihipStream_tbDpT10_ENKUlT_T0_E_clISt17integral_constantIbLb1EES1A_EEDaS15_S16_EUlS15_E_NS1_11comp_targetILNS1_3genE2ELNS1_11target_archE906ELNS1_3gpuE6ELNS1_3repE0EEENS1_30default_config_static_selectorELNS0_4arch9wavefront6targetE1EEEvT1_, .Lfunc_end513-_ZN7rocprim17ROCPRIM_400000_NS6detail17trampoline_kernelINS0_14default_configENS1_25partition_config_selectorILNS1_17partition_subalgoE8EsNS0_10empty_typeEbEEZZNS1_14partition_implILS5_8ELb0ES3_jN6thrust23THRUST_200600_302600_NS6detail15normal_iteratorINSA_10device_ptrIsEEEEPS6_PKS6_NS0_5tupleIJSF_S6_EEENSJ_IJSG_SG_EEENS0_18inequality_wrapperI22is_equal_div_10_uniqueIsEEEPmJS6_EEE10hipError_tPvRmT3_T4_T5_T6_T7_T9_mT8_P12ihipStream_tbDpT10_ENKUlT_T0_E_clISt17integral_constantIbLb1EES1A_EEDaS15_S16_EUlS15_E_NS1_11comp_targetILNS1_3genE2ELNS1_11target_archE906ELNS1_3gpuE6ELNS1_3repE0EEENS1_30default_config_static_selectorELNS0_4arch9wavefront6targetE1EEEvT1_
                                        ; -- End function
	.set _ZN7rocprim17ROCPRIM_400000_NS6detail17trampoline_kernelINS0_14default_configENS1_25partition_config_selectorILNS1_17partition_subalgoE8EsNS0_10empty_typeEbEEZZNS1_14partition_implILS5_8ELb0ES3_jN6thrust23THRUST_200600_302600_NS6detail15normal_iteratorINSA_10device_ptrIsEEEEPS6_PKS6_NS0_5tupleIJSF_S6_EEENSJ_IJSG_SG_EEENS0_18inequality_wrapperI22is_equal_div_10_uniqueIsEEEPmJS6_EEE10hipError_tPvRmT3_T4_T5_T6_T7_T9_mT8_P12ihipStream_tbDpT10_ENKUlT_T0_E_clISt17integral_constantIbLb1EES1A_EEDaS15_S16_EUlS15_E_NS1_11comp_targetILNS1_3genE2ELNS1_11target_archE906ELNS1_3gpuE6ELNS1_3repE0EEENS1_30default_config_static_selectorELNS0_4arch9wavefront6targetE1EEEvT1_.num_vgpr, 0
	.set _ZN7rocprim17ROCPRIM_400000_NS6detail17trampoline_kernelINS0_14default_configENS1_25partition_config_selectorILNS1_17partition_subalgoE8EsNS0_10empty_typeEbEEZZNS1_14partition_implILS5_8ELb0ES3_jN6thrust23THRUST_200600_302600_NS6detail15normal_iteratorINSA_10device_ptrIsEEEEPS6_PKS6_NS0_5tupleIJSF_S6_EEENSJ_IJSG_SG_EEENS0_18inequality_wrapperI22is_equal_div_10_uniqueIsEEEPmJS6_EEE10hipError_tPvRmT3_T4_T5_T6_T7_T9_mT8_P12ihipStream_tbDpT10_ENKUlT_T0_E_clISt17integral_constantIbLb1EES1A_EEDaS15_S16_EUlS15_E_NS1_11comp_targetILNS1_3genE2ELNS1_11target_archE906ELNS1_3gpuE6ELNS1_3repE0EEENS1_30default_config_static_selectorELNS0_4arch9wavefront6targetE1EEEvT1_.num_agpr, 0
	.set _ZN7rocprim17ROCPRIM_400000_NS6detail17trampoline_kernelINS0_14default_configENS1_25partition_config_selectorILNS1_17partition_subalgoE8EsNS0_10empty_typeEbEEZZNS1_14partition_implILS5_8ELb0ES3_jN6thrust23THRUST_200600_302600_NS6detail15normal_iteratorINSA_10device_ptrIsEEEEPS6_PKS6_NS0_5tupleIJSF_S6_EEENSJ_IJSG_SG_EEENS0_18inequality_wrapperI22is_equal_div_10_uniqueIsEEEPmJS6_EEE10hipError_tPvRmT3_T4_T5_T6_T7_T9_mT8_P12ihipStream_tbDpT10_ENKUlT_T0_E_clISt17integral_constantIbLb1EES1A_EEDaS15_S16_EUlS15_E_NS1_11comp_targetILNS1_3genE2ELNS1_11target_archE906ELNS1_3gpuE6ELNS1_3repE0EEENS1_30default_config_static_selectorELNS0_4arch9wavefront6targetE1EEEvT1_.numbered_sgpr, 0
	.set _ZN7rocprim17ROCPRIM_400000_NS6detail17trampoline_kernelINS0_14default_configENS1_25partition_config_selectorILNS1_17partition_subalgoE8EsNS0_10empty_typeEbEEZZNS1_14partition_implILS5_8ELb0ES3_jN6thrust23THRUST_200600_302600_NS6detail15normal_iteratorINSA_10device_ptrIsEEEEPS6_PKS6_NS0_5tupleIJSF_S6_EEENSJ_IJSG_SG_EEENS0_18inequality_wrapperI22is_equal_div_10_uniqueIsEEEPmJS6_EEE10hipError_tPvRmT3_T4_T5_T6_T7_T9_mT8_P12ihipStream_tbDpT10_ENKUlT_T0_E_clISt17integral_constantIbLb1EES1A_EEDaS15_S16_EUlS15_E_NS1_11comp_targetILNS1_3genE2ELNS1_11target_archE906ELNS1_3gpuE6ELNS1_3repE0EEENS1_30default_config_static_selectorELNS0_4arch9wavefront6targetE1EEEvT1_.num_named_barrier, 0
	.set _ZN7rocprim17ROCPRIM_400000_NS6detail17trampoline_kernelINS0_14default_configENS1_25partition_config_selectorILNS1_17partition_subalgoE8EsNS0_10empty_typeEbEEZZNS1_14partition_implILS5_8ELb0ES3_jN6thrust23THRUST_200600_302600_NS6detail15normal_iteratorINSA_10device_ptrIsEEEEPS6_PKS6_NS0_5tupleIJSF_S6_EEENSJ_IJSG_SG_EEENS0_18inequality_wrapperI22is_equal_div_10_uniqueIsEEEPmJS6_EEE10hipError_tPvRmT3_T4_T5_T6_T7_T9_mT8_P12ihipStream_tbDpT10_ENKUlT_T0_E_clISt17integral_constantIbLb1EES1A_EEDaS15_S16_EUlS15_E_NS1_11comp_targetILNS1_3genE2ELNS1_11target_archE906ELNS1_3gpuE6ELNS1_3repE0EEENS1_30default_config_static_selectorELNS0_4arch9wavefront6targetE1EEEvT1_.private_seg_size, 0
	.set _ZN7rocprim17ROCPRIM_400000_NS6detail17trampoline_kernelINS0_14default_configENS1_25partition_config_selectorILNS1_17partition_subalgoE8EsNS0_10empty_typeEbEEZZNS1_14partition_implILS5_8ELb0ES3_jN6thrust23THRUST_200600_302600_NS6detail15normal_iteratorINSA_10device_ptrIsEEEEPS6_PKS6_NS0_5tupleIJSF_S6_EEENSJ_IJSG_SG_EEENS0_18inequality_wrapperI22is_equal_div_10_uniqueIsEEEPmJS6_EEE10hipError_tPvRmT3_T4_T5_T6_T7_T9_mT8_P12ihipStream_tbDpT10_ENKUlT_T0_E_clISt17integral_constantIbLb1EES1A_EEDaS15_S16_EUlS15_E_NS1_11comp_targetILNS1_3genE2ELNS1_11target_archE906ELNS1_3gpuE6ELNS1_3repE0EEENS1_30default_config_static_selectorELNS0_4arch9wavefront6targetE1EEEvT1_.uses_vcc, 0
	.set _ZN7rocprim17ROCPRIM_400000_NS6detail17trampoline_kernelINS0_14default_configENS1_25partition_config_selectorILNS1_17partition_subalgoE8EsNS0_10empty_typeEbEEZZNS1_14partition_implILS5_8ELb0ES3_jN6thrust23THRUST_200600_302600_NS6detail15normal_iteratorINSA_10device_ptrIsEEEEPS6_PKS6_NS0_5tupleIJSF_S6_EEENSJ_IJSG_SG_EEENS0_18inequality_wrapperI22is_equal_div_10_uniqueIsEEEPmJS6_EEE10hipError_tPvRmT3_T4_T5_T6_T7_T9_mT8_P12ihipStream_tbDpT10_ENKUlT_T0_E_clISt17integral_constantIbLb1EES1A_EEDaS15_S16_EUlS15_E_NS1_11comp_targetILNS1_3genE2ELNS1_11target_archE906ELNS1_3gpuE6ELNS1_3repE0EEENS1_30default_config_static_selectorELNS0_4arch9wavefront6targetE1EEEvT1_.uses_flat_scratch, 0
	.set _ZN7rocprim17ROCPRIM_400000_NS6detail17trampoline_kernelINS0_14default_configENS1_25partition_config_selectorILNS1_17partition_subalgoE8EsNS0_10empty_typeEbEEZZNS1_14partition_implILS5_8ELb0ES3_jN6thrust23THRUST_200600_302600_NS6detail15normal_iteratorINSA_10device_ptrIsEEEEPS6_PKS6_NS0_5tupleIJSF_S6_EEENSJ_IJSG_SG_EEENS0_18inequality_wrapperI22is_equal_div_10_uniqueIsEEEPmJS6_EEE10hipError_tPvRmT3_T4_T5_T6_T7_T9_mT8_P12ihipStream_tbDpT10_ENKUlT_T0_E_clISt17integral_constantIbLb1EES1A_EEDaS15_S16_EUlS15_E_NS1_11comp_targetILNS1_3genE2ELNS1_11target_archE906ELNS1_3gpuE6ELNS1_3repE0EEENS1_30default_config_static_selectorELNS0_4arch9wavefront6targetE1EEEvT1_.has_dyn_sized_stack, 0
	.set _ZN7rocprim17ROCPRIM_400000_NS6detail17trampoline_kernelINS0_14default_configENS1_25partition_config_selectorILNS1_17partition_subalgoE8EsNS0_10empty_typeEbEEZZNS1_14partition_implILS5_8ELb0ES3_jN6thrust23THRUST_200600_302600_NS6detail15normal_iteratorINSA_10device_ptrIsEEEEPS6_PKS6_NS0_5tupleIJSF_S6_EEENSJ_IJSG_SG_EEENS0_18inequality_wrapperI22is_equal_div_10_uniqueIsEEEPmJS6_EEE10hipError_tPvRmT3_T4_T5_T6_T7_T9_mT8_P12ihipStream_tbDpT10_ENKUlT_T0_E_clISt17integral_constantIbLb1EES1A_EEDaS15_S16_EUlS15_E_NS1_11comp_targetILNS1_3genE2ELNS1_11target_archE906ELNS1_3gpuE6ELNS1_3repE0EEENS1_30default_config_static_selectorELNS0_4arch9wavefront6targetE1EEEvT1_.has_recursion, 0
	.set _ZN7rocprim17ROCPRIM_400000_NS6detail17trampoline_kernelINS0_14default_configENS1_25partition_config_selectorILNS1_17partition_subalgoE8EsNS0_10empty_typeEbEEZZNS1_14partition_implILS5_8ELb0ES3_jN6thrust23THRUST_200600_302600_NS6detail15normal_iteratorINSA_10device_ptrIsEEEEPS6_PKS6_NS0_5tupleIJSF_S6_EEENSJ_IJSG_SG_EEENS0_18inequality_wrapperI22is_equal_div_10_uniqueIsEEEPmJS6_EEE10hipError_tPvRmT3_T4_T5_T6_T7_T9_mT8_P12ihipStream_tbDpT10_ENKUlT_T0_E_clISt17integral_constantIbLb1EES1A_EEDaS15_S16_EUlS15_E_NS1_11comp_targetILNS1_3genE2ELNS1_11target_archE906ELNS1_3gpuE6ELNS1_3repE0EEENS1_30default_config_static_selectorELNS0_4arch9wavefront6targetE1EEEvT1_.has_indirect_call, 0
	.section	.AMDGPU.csdata,"",@progbits
; Kernel info:
; codeLenInByte = 4
; TotalNumSgprs: 4
; NumVgprs: 0
; ScratchSize: 0
; MemoryBound: 0
; FloatMode: 240
; IeeeMode: 1
; LDSByteSize: 0 bytes/workgroup (compile time only)
; SGPRBlocks: 0
; VGPRBlocks: 0
; NumSGPRsForWavesPerEU: 4
; NumVGPRsForWavesPerEU: 1
; Occupancy: 10
; WaveLimiterHint : 0
; COMPUTE_PGM_RSRC2:SCRATCH_EN: 0
; COMPUTE_PGM_RSRC2:USER_SGPR: 6
; COMPUTE_PGM_RSRC2:TRAP_HANDLER: 0
; COMPUTE_PGM_RSRC2:TGID_X_EN: 1
; COMPUTE_PGM_RSRC2:TGID_Y_EN: 0
; COMPUTE_PGM_RSRC2:TGID_Z_EN: 0
; COMPUTE_PGM_RSRC2:TIDIG_COMP_CNT: 0
	.section	.text._ZN7rocprim17ROCPRIM_400000_NS6detail17trampoline_kernelINS0_14default_configENS1_25partition_config_selectorILNS1_17partition_subalgoE8EsNS0_10empty_typeEbEEZZNS1_14partition_implILS5_8ELb0ES3_jN6thrust23THRUST_200600_302600_NS6detail15normal_iteratorINSA_10device_ptrIsEEEEPS6_PKS6_NS0_5tupleIJSF_S6_EEENSJ_IJSG_SG_EEENS0_18inequality_wrapperI22is_equal_div_10_uniqueIsEEEPmJS6_EEE10hipError_tPvRmT3_T4_T5_T6_T7_T9_mT8_P12ihipStream_tbDpT10_ENKUlT_T0_E_clISt17integral_constantIbLb1EES1A_EEDaS15_S16_EUlS15_E_NS1_11comp_targetILNS1_3genE10ELNS1_11target_archE1200ELNS1_3gpuE4ELNS1_3repE0EEENS1_30default_config_static_selectorELNS0_4arch9wavefront6targetE1EEEvT1_,"axG",@progbits,_ZN7rocprim17ROCPRIM_400000_NS6detail17trampoline_kernelINS0_14default_configENS1_25partition_config_selectorILNS1_17partition_subalgoE8EsNS0_10empty_typeEbEEZZNS1_14partition_implILS5_8ELb0ES3_jN6thrust23THRUST_200600_302600_NS6detail15normal_iteratorINSA_10device_ptrIsEEEEPS6_PKS6_NS0_5tupleIJSF_S6_EEENSJ_IJSG_SG_EEENS0_18inequality_wrapperI22is_equal_div_10_uniqueIsEEEPmJS6_EEE10hipError_tPvRmT3_T4_T5_T6_T7_T9_mT8_P12ihipStream_tbDpT10_ENKUlT_T0_E_clISt17integral_constantIbLb1EES1A_EEDaS15_S16_EUlS15_E_NS1_11comp_targetILNS1_3genE10ELNS1_11target_archE1200ELNS1_3gpuE4ELNS1_3repE0EEENS1_30default_config_static_selectorELNS0_4arch9wavefront6targetE1EEEvT1_,comdat
	.protected	_ZN7rocprim17ROCPRIM_400000_NS6detail17trampoline_kernelINS0_14default_configENS1_25partition_config_selectorILNS1_17partition_subalgoE8EsNS0_10empty_typeEbEEZZNS1_14partition_implILS5_8ELb0ES3_jN6thrust23THRUST_200600_302600_NS6detail15normal_iteratorINSA_10device_ptrIsEEEEPS6_PKS6_NS0_5tupleIJSF_S6_EEENSJ_IJSG_SG_EEENS0_18inequality_wrapperI22is_equal_div_10_uniqueIsEEEPmJS6_EEE10hipError_tPvRmT3_T4_T5_T6_T7_T9_mT8_P12ihipStream_tbDpT10_ENKUlT_T0_E_clISt17integral_constantIbLb1EES1A_EEDaS15_S16_EUlS15_E_NS1_11comp_targetILNS1_3genE10ELNS1_11target_archE1200ELNS1_3gpuE4ELNS1_3repE0EEENS1_30default_config_static_selectorELNS0_4arch9wavefront6targetE1EEEvT1_ ; -- Begin function _ZN7rocprim17ROCPRIM_400000_NS6detail17trampoline_kernelINS0_14default_configENS1_25partition_config_selectorILNS1_17partition_subalgoE8EsNS0_10empty_typeEbEEZZNS1_14partition_implILS5_8ELb0ES3_jN6thrust23THRUST_200600_302600_NS6detail15normal_iteratorINSA_10device_ptrIsEEEEPS6_PKS6_NS0_5tupleIJSF_S6_EEENSJ_IJSG_SG_EEENS0_18inequality_wrapperI22is_equal_div_10_uniqueIsEEEPmJS6_EEE10hipError_tPvRmT3_T4_T5_T6_T7_T9_mT8_P12ihipStream_tbDpT10_ENKUlT_T0_E_clISt17integral_constantIbLb1EES1A_EEDaS15_S16_EUlS15_E_NS1_11comp_targetILNS1_3genE10ELNS1_11target_archE1200ELNS1_3gpuE4ELNS1_3repE0EEENS1_30default_config_static_selectorELNS0_4arch9wavefront6targetE1EEEvT1_
	.globl	_ZN7rocprim17ROCPRIM_400000_NS6detail17trampoline_kernelINS0_14default_configENS1_25partition_config_selectorILNS1_17partition_subalgoE8EsNS0_10empty_typeEbEEZZNS1_14partition_implILS5_8ELb0ES3_jN6thrust23THRUST_200600_302600_NS6detail15normal_iteratorINSA_10device_ptrIsEEEEPS6_PKS6_NS0_5tupleIJSF_S6_EEENSJ_IJSG_SG_EEENS0_18inequality_wrapperI22is_equal_div_10_uniqueIsEEEPmJS6_EEE10hipError_tPvRmT3_T4_T5_T6_T7_T9_mT8_P12ihipStream_tbDpT10_ENKUlT_T0_E_clISt17integral_constantIbLb1EES1A_EEDaS15_S16_EUlS15_E_NS1_11comp_targetILNS1_3genE10ELNS1_11target_archE1200ELNS1_3gpuE4ELNS1_3repE0EEENS1_30default_config_static_selectorELNS0_4arch9wavefront6targetE1EEEvT1_
	.p2align	8
	.type	_ZN7rocprim17ROCPRIM_400000_NS6detail17trampoline_kernelINS0_14default_configENS1_25partition_config_selectorILNS1_17partition_subalgoE8EsNS0_10empty_typeEbEEZZNS1_14partition_implILS5_8ELb0ES3_jN6thrust23THRUST_200600_302600_NS6detail15normal_iteratorINSA_10device_ptrIsEEEEPS6_PKS6_NS0_5tupleIJSF_S6_EEENSJ_IJSG_SG_EEENS0_18inequality_wrapperI22is_equal_div_10_uniqueIsEEEPmJS6_EEE10hipError_tPvRmT3_T4_T5_T6_T7_T9_mT8_P12ihipStream_tbDpT10_ENKUlT_T0_E_clISt17integral_constantIbLb1EES1A_EEDaS15_S16_EUlS15_E_NS1_11comp_targetILNS1_3genE10ELNS1_11target_archE1200ELNS1_3gpuE4ELNS1_3repE0EEENS1_30default_config_static_selectorELNS0_4arch9wavefront6targetE1EEEvT1_,@function
_ZN7rocprim17ROCPRIM_400000_NS6detail17trampoline_kernelINS0_14default_configENS1_25partition_config_selectorILNS1_17partition_subalgoE8EsNS0_10empty_typeEbEEZZNS1_14partition_implILS5_8ELb0ES3_jN6thrust23THRUST_200600_302600_NS6detail15normal_iteratorINSA_10device_ptrIsEEEEPS6_PKS6_NS0_5tupleIJSF_S6_EEENSJ_IJSG_SG_EEENS0_18inequality_wrapperI22is_equal_div_10_uniqueIsEEEPmJS6_EEE10hipError_tPvRmT3_T4_T5_T6_T7_T9_mT8_P12ihipStream_tbDpT10_ENKUlT_T0_E_clISt17integral_constantIbLb1EES1A_EEDaS15_S16_EUlS15_E_NS1_11comp_targetILNS1_3genE10ELNS1_11target_archE1200ELNS1_3gpuE4ELNS1_3repE0EEENS1_30default_config_static_selectorELNS0_4arch9wavefront6targetE1EEEvT1_: ; @_ZN7rocprim17ROCPRIM_400000_NS6detail17trampoline_kernelINS0_14default_configENS1_25partition_config_selectorILNS1_17partition_subalgoE8EsNS0_10empty_typeEbEEZZNS1_14partition_implILS5_8ELb0ES3_jN6thrust23THRUST_200600_302600_NS6detail15normal_iteratorINSA_10device_ptrIsEEEEPS6_PKS6_NS0_5tupleIJSF_S6_EEENSJ_IJSG_SG_EEENS0_18inequality_wrapperI22is_equal_div_10_uniqueIsEEEPmJS6_EEE10hipError_tPvRmT3_T4_T5_T6_T7_T9_mT8_P12ihipStream_tbDpT10_ENKUlT_T0_E_clISt17integral_constantIbLb1EES1A_EEDaS15_S16_EUlS15_E_NS1_11comp_targetILNS1_3genE10ELNS1_11target_archE1200ELNS1_3gpuE4ELNS1_3repE0EEENS1_30default_config_static_selectorELNS0_4arch9wavefront6targetE1EEEvT1_
; %bb.0:
	.section	.rodata,"a",@progbits
	.p2align	6, 0x0
	.amdhsa_kernel _ZN7rocprim17ROCPRIM_400000_NS6detail17trampoline_kernelINS0_14default_configENS1_25partition_config_selectorILNS1_17partition_subalgoE8EsNS0_10empty_typeEbEEZZNS1_14partition_implILS5_8ELb0ES3_jN6thrust23THRUST_200600_302600_NS6detail15normal_iteratorINSA_10device_ptrIsEEEEPS6_PKS6_NS0_5tupleIJSF_S6_EEENSJ_IJSG_SG_EEENS0_18inequality_wrapperI22is_equal_div_10_uniqueIsEEEPmJS6_EEE10hipError_tPvRmT3_T4_T5_T6_T7_T9_mT8_P12ihipStream_tbDpT10_ENKUlT_T0_E_clISt17integral_constantIbLb1EES1A_EEDaS15_S16_EUlS15_E_NS1_11comp_targetILNS1_3genE10ELNS1_11target_archE1200ELNS1_3gpuE4ELNS1_3repE0EEENS1_30default_config_static_selectorELNS0_4arch9wavefront6targetE1EEEvT1_
		.amdhsa_group_segment_fixed_size 0
		.amdhsa_private_segment_fixed_size 0
		.amdhsa_kernarg_size 128
		.amdhsa_user_sgpr_count 6
		.amdhsa_user_sgpr_private_segment_buffer 1
		.amdhsa_user_sgpr_dispatch_ptr 0
		.amdhsa_user_sgpr_queue_ptr 0
		.amdhsa_user_sgpr_kernarg_segment_ptr 1
		.amdhsa_user_sgpr_dispatch_id 0
		.amdhsa_user_sgpr_flat_scratch_init 0
		.amdhsa_user_sgpr_private_segment_size 0
		.amdhsa_uses_dynamic_stack 0
		.amdhsa_system_sgpr_private_segment_wavefront_offset 0
		.amdhsa_system_sgpr_workgroup_id_x 1
		.amdhsa_system_sgpr_workgroup_id_y 0
		.amdhsa_system_sgpr_workgroup_id_z 0
		.amdhsa_system_sgpr_workgroup_info 0
		.amdhsa_system_vgpr_workitem_id 0
		.amdhsa_next_free_vgpr 1
		.amdhsa_next_free_sgpr 0
		.amdhsa_reserve_vcc 0
		.amdhsa_reserve_flat_scratch 0
		.amdhsa_float_round_mode_32 0
		.amdhsa_float_round_mode_16_64 0
		.amdhsa_float_denorm_mode_32 3
		.amdhsa_float_denorm_mode_16_64 3
		.amdhsa_dx10_clamp 1
		.amdhsa_ieee_mode 1
		.amdhsa_fp16_overflow 0
		.amdhsa_exception_fp_ieee_invalid_op 0
		.amdhsa_exception_fp_denorm_src 0
		.amdhsa_exception_fp_ieee_div_zero 0
		.amdhsa_exception_fp_ieee_overflow 0
		.amdhsa_exception_fp_ieee_underflow 0
		.amdhsa_exception_fp_ieee_inexact 0
		.amdhsa_exception_int_div_zero 0
	.end_amdhsa_kernel
	.section	.text._ZN7rocprim17ROCPRIM_400000_NS6detail17trampoline_kernelINS0_14default_configENS1_25partition_config_selectorILNS1_17partition_subalgoE8EsNS0_10empty_typeEbEEZZNS1_14partition_implILS5_8ELb0ES3_jN6thrust23THRUST_200600_302600_NS6detail15normal_iteratorINSA_10device_ptrIsEEEEPS6_PKS6_NS0_5tupleIJSF_S6_EEENSJ_IJSG_SG_EEENS0_18inequality_wrapperI22is_equal_div_10_uniqueIsEEEPmJS6_EEE10hipError_tPvRmT3_T4_T5_T6_T7_T9_mT8_P12ihipStream_tbDpT10_ENKUlT_T0_E_clISt17integral_constantIbLb1EES1A_EEDaS15_S16_EUlS15_E_NS1_11comp_targetILNS1_3genE10ELNS1_11target_archE1200ELNS1_3gpuE4ELNS1_3repE0EEENS1_30default_config_static_selectorELNS0_4arch9wavefront6targetE1EEEvT1_,"axG",@progbits,_ZN7rocprim17ROCPRIM_400000_NS6detail17trampoline_kernelINS0_14default_configENS1_25partition_config_selectorILNS1_17partition_subalgoE8EsNS0_10empty_typeEbEEZZNS1_14partition_implILS5_8ELb0ES3_jN6thrust23THRUST_200600_302600_NS6detail15normal_iteratorINSA_10device_ptrIsEEEEPS6_PKS6_NS0_5tupleIJSF_S6_EEENSJ_IJSG_SG_EEENS0_18inequality_wrapperI22is_equal_div_10_uniqueIsEEEPmJS6_EEE10hipError_tPvRmT3_T4_T5_T6_T7_T9_mT8_P12ihipStream_tbDpT10_ENKUlT_T0_E_clISt17integral_constantIbLb1EES1A_EEDaS15_S16_EUlS15_E_NS1_11comp_targetILNS1_3genE10ELNS1_11target_archE1200ELNS1_3gpuE4ELNS1_3repE0EEENS1_30default_config_static_selectorELNS0_4arch9wavefront6targetE1EEEvT1_,comdat
.Lfunc_end514:
	.size	_ZN7rocprim17ROCPRIM_400000_NS6detail17trampoline_kernelINS0_14default_configENS1_25partition_config_selectorILNS1_17partition_subalgoE8EsNS0_10empty_typeEbEEZZNS1_14partition_implILS5_8ELb0ES3_jN6thrust23THRUST_200600_302600_NS6detail15normal_iteratorINSA_10device_ptrIsEEEEPS6_PKS6_NS0_5tupleIJSF_S6_EEENSJ_IJSG_SG_EEENS0_18inequality_wrapperI22is_equal_div_10_uniqueIsEEEPmJS6_EEE10hipError_tPvRmT3_T4_T5_T6_T7_T9_mT8_P12ihipStream_tbDpT10_ENKUlT_T0_E_clISt17integral_constantIbLb1EES1A_EEDaS15_S16_EUlS15_E_NS1_11comp_targetILNS1_3genE10ELNS1_11target_archE1200ELNS1_3gpuE4ELNS1_3repE0EEENS1_30default_config_static_selectorELNS0_4arch9wavefront6targetE1EEEvT1_, .Lfunc_end514-_ZN7rocprim17ROCPRIM_400000_NS6detail17trampoline_kernelINS0_14default_configENS1_25partition_config_selectorILNS1_17partition_subalgoE8EsNS0_10empty_typeEbEEZZNS1_14partition_implILS5_8ELb0ES3_jN6thrust23THRUST_200600_302600_NS6detail15normal_iteratorINSA_10device_ptrIsEEEEPS6_PKS6_NS0_5tupleIJSF_S6_EEENSJ_IJSG_SG_EEENS0_18inequality_wrapperI22is_equal_div_10_uniqueIsEEEPmJS6_EEE10hipError_tPvRmT3_T4_T5_T6_T7_T9_mT8_P12ihipStream_tbDpT10_ENKUlT_T0_E_clISt17integral_constantIbLb1EES1A_EEDaS15_S16_EUlS15_E_NS1_11comp_targetILNS1_3genE10ELNS1_11target_archE1200ELNS1_3gpuE4ELNS1_3repE0EEENS1_30default_config_static_selectorELNS0_4arch9wavefront6targetE1EEEvT1_
                                        ; -- End function
	.set _ZN7rocprim17ROCPRIM_400000_NS6detail17trampoline_kernelINS0_14default_configENS1_25partition_config_selectorILNS1_17partition_subalgoE8EsNS0_10empty_typeEbEEZZNS1_14partition_implILS5_8ELb0ES3_jN6thrust23THRUST_200600_302600_NS6detail15normal_iteratorINSA_10device_ptrIsEEEEPS6_PKS6_NS0_5tupleIJSF_S6_EEENSJ_IJSG_SG_EEENS0_18inequality_wrapperI22is_equal_div_10_uniqueIsEEEPmJS6_EEE10hipError_tPvRmT3_T4_T5_T6_T7_T9_mT8_P12ihipStream_tbDpT10_ENKUlT_T0_E_clISt17integral_constantIbLb1EES1A_EEDaS15_S16_EUlS15_E_NS1_11comp_targetILNS1_3genE10ELNS1_11target_archE1200ELNS1_3gpuE4ELNS1_3repE0EEENS1_30default_config_static_selectorELNS0_4arch9wavefront6targetE1EEEvT1_.num_vgpr, 0
	.set _ZN7rocprim17ROCPRIM_400000_NS6detail17trampoline_kernelINS0_14default_configENS1_25partition_config_selectorILNS1_17partition_subalgoE8EsNS0_10empty_typeEbEEZZNS1_14partition_implILS5_8ELb0ES3_jN6thrust23THRUST_200600_302600_NS6detail15normal_iteratorINSA_10device_ptrIsEEEEPS6_PKS6_NS0_5tupleIJSF_S6_EEENSJ_IJSG_SG_EEENS0_18inequality_wrapperI22is_equal_div_10_uniqueIsEEEPmJS6_EEE10hipError_tPvRmT3_T4_T5_T6_T7_T9_mT8_P12ihipStream_tbDpT10_ENKUlT_T0_E_clISt17integral_constantIbLb1EES1A_EEDaS15_S16_EUlS15_E_NS1_11comp_targetILNS1_3genE10ELNS1_11target_archE1200ELNS1_3gpuE4ELNS1_3repE0EEENS1_30default_config_static_selectorELNS0_4arch9wavefront6targetE1EEEvT1_.num_agpr, 0
	.set _ZN7rocprim17ROCPRIM_400000_NS6detail17trampoline_kernelINS0_14default_configENS1_25partition_config_selectorILNS1_17partition_subalgoE8EsNS0_10empty_typeEbEEZZNS1_14partition_implILS5_8ELb0ES3_jN6thrust23THRUST_200600_302600_NS6detail15normal_iteratorINSA_10device_ptrIsEEEEPS6_PKS6_NS0_5tupleIJSF_S6_EEENSJ_IJSG_SG_EEENS0_18inequality_wrapperI22is_equal_div_10_uniqueIsEEEPmJS6_EEE10hipError_tPvRmT3_T4_T5_T6_T7_T9_mT8_P12ihipStream_tbDpT10_ENKUlT_T0_E_clISt17integral_constantIbLb1EES1A_EEDaS15_S16_EUlS15_E_NS1_11comp_targetILNS1_3genE10ELNS1_11target_archE1200ELNS1_3gpuE4ELNS1_3repE0EEENS1_30default_config_static_selectorELNS0_4arch9wavefront6targetE1EEEvT1_.numbered_sgpr, 0
	.set _ZN7rocprim17ROCPRIM_400000_NS6detail17trampoline_kernelINS0_14default_configENS1_25partition_config_selectorILNS1_17partition_subalgoE8EsNS0_10empty_typeEbEEZZNS1_14partition_implILS5_8ELb0ES3_jN6thrust23THRUST_200600_302600_NS6detail15normal_iteratorINSA_10device_ptrIsEEEEPS6_PKS6_NS0_5tupleIJSF_S6_EEENSJ_IJSG_SG_EEENS0_18inequality_wrapperI22is_equal_div_10_uniqueIsEEEPmJS6_EEE10hipError_tPvRmT3_T4_T5_T6_T7_T9_mT8_P12ihipStream_tbDpT10_ENKUlT_T0_E_clISt17integral_constantIbLb1EES1A_EEDaS15_S16_EUlS15_E_NS1_11comp_targetILNS1_3genE10ELNS1_11target_archE1200ELNS1_3gpuE4ELNS1_3repE0EEENS1_30default_config_static_selectorELNS0_4arch9wavefront6targetE1EEEvT1_.num_named_barrier, 0
	.set _ZN7rocprim17ROCPRIM_400000_NS6detail17trampoline_kernelINS0_14default_configENS1_25partition_config_selectorILNS1_17partition_subalgoE8EsNS0_10empty_typeEbEEZZNS1_14partition_implILS5_8ELb0ES3_jN6thrust23THRUST_200600_302600_NS6detail15normal_iteratorINSA_10device_ptrIsEEEEPS6_PKS6_NS0_5tupleIJSF_S6_EEENSJ_IJSG_SG_EEENS0_18inequality_wrapperI22is_equal_div_10_uniqueIsEEEPmJS6_EEE10hipError_tPvRmT3_T4_T5_T6_T7_T9_mT8_P12ihipStream_tbDpT10_ENKUlT_T0_E_clISt17integral_constantIbLb1EES1A_EEDaS15_S16_EUlS15_E_NS1_11comp_targetILNS1_3genE10ELNS1_11target_archE1200ELNS1_3gpuE4ELNS1_3repE0EEENS1_30default_config_static_selectorELNS0_4arch9wavefront6targetE1EEEvT1_.private_seg_size, 0
	.set _ZN7rocprim17ROCPRIM_400000_NS6detail17trampoline_kernelINS0_14default_configENS1_25partition_config_selectorILNS1_17partition_subalgoE8EsNS0_10empty_typeEbEEZZNS1_14partition_implILS5_8ELb0ES3_jN6thrust23THRUST_200600_302600_NS6detail15normal_iteratorINSA_10device_ptrIsEEEEPS6_PKS6_NS0_5tupleIJSF_S6_EEENSJ_IJSG_SG_EEENS0_18inequality_wrapperI22is_equal_div_10_uniqueIsEEEPmJS6_EEE10hipError_tPvRmT3_T4_T5_T6_T7_T9_mT8_P12ihipStream_tbDpT10_ENKUlT_T0_E_clISt17integral_constantIbLb1EES1A_EEDaS15_S16_EUlS15_E_NS1_11comp_targetILNS1_3genE10ELNS1_11target_archE1200ELNS1_3gpuE4ELNS1_3repE0EEENS1_30default_config_static_selectorELNS0_4arch9wavefront6targetE1EEEvT1_.uses_vcc, 0
	.set _ZN7rocprim17ROCPRIM_400000_NS6detail17trampoline_kernelINS0_14default_configENS1_25partition_config_selectorILNS1_17partition_subalgoE8EsNS0_10empty_typeEbEEZZNS1_14partition_implILS5_8ELb0ES3_jN6thrust23THRUST_200600_302600_NS6detail15normal_iteratorINSA_10device_ptrIsEEEEPS6_PKS6_NS0_5tupleIJSF_S6_EEENSJ_IJSG_SG_EEENS0_18inequality_wrapperI22is_equal_div_10_uniqueIsEEEPmJS6_EEE10hipError_tPvRmT3_T4_T5_T6_T7_T9_mT8_P12ihipStream_tbDpT10_ENKUlT_T0_E_clISt17integral_constantIbLb1EES1A_EEDaS15_S16_EUlS15_E_NS1_11comp_targetILNS1_3genE10ELNS1_11target_archE1200ELNS1_3gpuE4ELNS1_3repE0EEENS1_30default_config_static_selectorELNS0_4arch9wavefront6targetE1EEEvT1_.uses_flat_scratch, 0
	.set _ZN7rocprim17ROCPRIM_400000_NS6detail17trampoline_kernelINS0_14default_configENS1_25partition_config_selectorILNS1_17partition_subalgoE8EsNS0_10empty_typeEbEEZZNS1_14partition_implILS5_8ELb0ES3_jN6thrust23THRUST_200600_302600_NS6detail15normal_iteratorINSA_10device_ptrIsEEEEPS6_PKS6_NS0_5tupleIJSF_S6_EEENSJ_IJSG_SG_EEENS0_18inequality_wrapperI22is_equal_div_10_uniqueIsEEEPmJS6_EEE10hipError_tPvRmT3_T4_T5_T6_T7_T9_mT8_P12ihipStream_tbDpT10_ENKUlT_T0_E_clISt17integral_constantIbLb1EES1A_EEDaS15_S16_EUlS15_E_NS1_11comp_targetILNS1_3genE10ELNS1_11target_archE1200ELNS1_3gpuE4ELNS1_3repE0EEENS1_30default_config_static_selectorELNS0_4arch9wavefront6targetE1EEEvT1_.has_dyn_sized_stack, 0
	.set _ZN7rocprim17ROCPRIM_400000_NS6detail17trampoline_kernelINS0_14default_configENS1_25partition_config_selectorILNS1_17partition_subalgoE8EsNS0_10empty_typeEbEEZZNS1_14partition_implILS5_8ELb0ES3_jN6thrust23THRUST_200600_302600_NS6detail15normal_iteratorINSA_10device_ptrIsEEEEPS6_PKS6_NS0_5tupleIJSF_S6_EEENSJ_IJSG_SG_EEENS0_18inequality_wrapperI22is_equal_div_10_uniqueIsEEEPmJS6_EEE10hipError_tPvRmT3_T4_T5_T6_T7_T9_mT8_P12ihipStream_tbDpT10_ENKUlT_T0_E_clISt17integral_constantIbLb1EES1A_EEDaS15_S16_EUlS15_E_NS1_11comp_targetILNS1_3genE10ELNS1_11target_archE1200ELNS1_3gpuE4ELNS1_3repE0EEENS1_30default_config_static_selectorELNS0_4arch9wavefront6targetE1EEEvT1_.has_recursion, 0
	.set _ZN7rocprim17ROCPRIM_400000_NS6detail17trampoline_kernelINS0_14default_configENS1_25partition_config_selectorILNS1_17partition_subalgoE8EsNS0_10empty_typeEbEEZZNS1_14partition_implILS5_8ELb0ES3_jN6thrust23THRUST_200600_302600_NS6detail15normal_iteratorINSA_10device_ptrIsEEEEPS6_PKS6_NS0_5tupleIJSF_S6_EEENSJ_IJSG_SG_EEENS0_18inequality_wrapperI22is_equal_div_10_uniqueIsEEEPmJS6_EEE10hipError_tPvRmT3_T4_T5_T6_T7_T9_mT8_P12ihipStream_tbDpT10_ENKUlT_T0_E_clISt17integral_constantIbLb1EES1A_EEDaS15_S16_EUlS15_E_NS1_11comp_targetILNS1_3genE10ELNS1_11target_archE1200ELNS1_3gpuE4ELNS1_3repE0EEENS1_30default_config_static_selectorELNS0_4arch9wavefront6targetE1EEEvT1_.has_indirect_call, 0
	.section	.AMDGPU.csdata,"",@progbits
; Kernel info:
; codeLenInByte = 0
; TotalNumSgprs: 4
; NumVgprs: 0
; ScratchSize: 0
; MemoryBound: 0
; FloatMode: 240
; IeeeMode: 1
; LDSByteSize: 0 bytes/workgroup (compile time only)
; SGPRBlocks: 0
; VGPRBlocks: 0
; NumSGPRsForWavesPerEU: 4
; NumVGPRsForWavesPerEU: 1
; Occupancy: 10
; WaveLimiterHint : 0
; COMPUTE_PGM_RSRC2:SCRATCH_EN: 0
; COMPUTE_PGM_RSRC2:USER_SGPR: 6
; COMPUTE_PGM_RSRC2:TRAP_HANDLER: 0
; COMPUTE_PGM_RSRC2:TGID_X_EN: 1
; COMPUTE_PGM_RSRC2:TGID_Y_EN: 0
; COMPUTE_PGM_RSRC2:TGID_Z_EN: 0
; COMPUTE_PGM_RSRC2:TIDIG_COMP_CNT: 0
	.section	.text._ZN7rocprim17ROCPRIM_400000_NS6detail17trampoline_kernelINS0_14default_configENS1_25partition_config_selectorILNS1_17partition_subalgoE8EsNS0_10empty_typeEbEEZZNS1_14partition_implILS5_8ELb0ES3_jN6thrust23THRUST_200600_302600_NS6detail15normal_iteratorINSA_10device_ptrIsEEEEPS6_PKS6_NS0_5tupleIJSF_S6_EEENSJ_IJSG_SG_EEENS0_18inequality_wrapperI22is_equal_div_10_uniqueIsEEEPmJS6_EEE10hipError_tPvRmT3_T4_T5_T6_T7_T9_mT8_P12ihipStream_tbDpT10_ENKUlT_T0_E_clISt17integral_constantIbLb1EES1A_EEDaS15_S16_EUlS15_E_NS1_11comp_targetILNS1_3genE9ELNS1_11target_archE1100ELNS1_3gpuE3ELNS1_3repE0EEENS1_30default_config_static_selectorELNS0_4arch9wavefront6targetE1EEEvT1_,"axG",@progbits,_ZN7rocprim17ROCPRIM_400000_NS6detail17trampoline_kernelINS0_14default_configENS1_25partition_config_selectorILNS1_17partition_subalgoE8EsNS0_10empty_typeEbEEZZNS1_14partition_implILS5_8ELb0ES3_jN6thrust23THRUST_200600_302600_NS6detail15normal_iteratorINSA_10device_ptrIsEEEEPS6_PKS6_NS0_5tupleIJSF_S6_EEENSJ_IJSG_SG_EEENS0_18inequality_wrapperI22is_equal_div_10_uniqueIsEEEPmJS6_EEE10hipError_tPvRmT3_T4_T5_T6_T7_T9_mT8_P12ihipStream_tbDpT10_ENKUlT_T0_E_clISt17integral_constantIbLb1EES1A_EEDaS15_S16_EUlS15_E_NS1_11comp_targetILNS1_3genE9ELNS1_11target_archE1100ELNS1_3gpuE3ELNS1_3repE0EEENS1_30default_config_static_selectorELNS0_4arch9wavefront6targetE1EEEvT1_,comdat
	.protected	_ZN7rocprim17ROCPRIM_400000_NS6detail17trampoline_kernelINS0_14default_configENS1_25partition_config_selectorILNS1_17partition_subalgoE8EsNS0_10empty_typeEbEEZZNS1_14partition_implILS5_8ELb0ES3_jN6thrust23THRUST_200600_302600_NS6detail15normal_iteratorINSA_10device_ptrIsEEEEPS6_PKS6_NS0_5tupleIJSF_S6_EEENSJ_IJSG_SG_EEENS0_18inequality_wrapperI22is_equal_div_10_uniqueIsEEEPmJS6_EEE10hipError_tPvRmT3_T4_T5_T6_T7_T9_mT8_P12ihipStream_tbDpT10_ENKUlT_T0_E_clISt17integral_constantIbLb1EES1A_EEDaS15_S16_EUlS15_E_NS1_11comp_targetILNS1_3genE9ELNS1_11target_archE1100ELNS1_3gpuE3ELNS1_3repE0EEENS1_30default_config_static_selectorELNS0_4arch9wavefront6targetE1EEEvT1_ ; -- Begin function _ZN7rocprim17ROCPRIM_400000_NS6detail17trampoline_kernelINS0_14default_configENS1_25partition_config_selectorILNS1_17partition_subalgoE8EsNS0_10empty_typeEbEEZZNS1_14partition_implILS5_8ELb0ES3_jN6thrust23THRUST_200600_302600_NS6detail15normal_iteratorINSA_10device_ptrIsEEEEPS6_PKS6_NS0_5tupleIJSF_S6_EEENSJ_IJSG_SG_EEENS0_18inequality_wrapperI22is_equal_div_10_uniqueIsEEEPmJS6_EEE10hipError_tPvRmT3_T4_T5_T6_T7_T9_mT8_P12ihipStream_tbDpT10_ENKUlT_T0_E_clISt17integral_constantIbLb1EES1A_EEDaS15_S16_EUlS15_E_NS1_11comp_targetILNS1_3genE9ELNS1_11target_archE1100ELNS1_3gpuE3ELNS1_3repE0EEENS1_30default_config_static_selectorELNS0_4arch9wavefront6targetE1EEEvT1_
	.globl	_ZN7rocprim17ROCPRIM_400000_NS6detail17trampoline_kernelINS0_14default_configENS1_25partition_config_selectorILNS1_17partition_subalgoE8EsNS0_10empty_typeEbEEZZNS1_14partition_implILS5_8ELb0ES3_jN6thrust23THRUST_200600_302600_NS6detail15normal_iteratorINSA_10device_ptrIsEEEEPS6_PKS6_NS0_5tupleIJSF_S6_EEENSJ_IJSG_SG_EEENS0_18inequality_wrapperI22is_equal_div_10_uniqueIsEEEPmJS6_EEE10hipError_tPvRmT3_T4_T5_T6_T7_T9_mT8_P12ihipStream_tbDpT10_ENKUlT_T0_E_clISt17integral_constantIbLb1EES1A_EEDaS15_S16_EUlS15_E_NS1_11comp_targetILNS1_3genE9ELNS1_11target_archE1100ELNS1_3gpuE3ELNS1_3repE0EEENS1_30default_config_static_selectorELNS0_4arch9wavefront6targetE1EEEvT1_
	.p2align	8
	.type	_ZN7rocprim17ROCPRIM_400000_NS6detail17trampoline_kernelINS0_14default_configENS1_25partition_config_selectorILNS1_17partition_subalgoE8EsNS0_10empty_typeEbEEZZNS1_14partition_implILS5_8ELb0ES3_jN6thrust23THRUST_200600_302600_NS6detail15normal_iteratorINSA_10device_ptrIsEEEEPS6_PKS6_NS0_5tupleIJSF_S6_EEENSJ_IJSG_SG_EEENS0_18inequality_wrapperI22is_equal_div_10_uniqueIsEEEPmJS6_EEE10hipError_tPvRmT3_T4_T5_T6_T7_T9_mT8_P12ihipStream_tbDpT10_ENKUlT_T0_E_clISt17integral_constantIbLb1EES1A_EEDaS15_S16_EUlS15_E_NS1_11comp_targetILNS1_3genE9ELNS1_11target_archE1100ELNS1_3gpuE3ELNS1_3repE0EEENS1_30default_config_static_selectorELNS0_4arch9wavefront6targetE1EEEvT1_,@function
_ZN7rocprim17ROCPRIM_400000_NS6detail17trampoline_kernelINS0_14default_configENS1_25partition_config_selectorILNS1_17partition_subalgoE8EsNS0_10empty_typeEbEEZZNS1_14partition_implILS5_8ELb0ES3_jN6thrust23THRUST_200600_302600_NS6detail15normal_iteratorINSA_10device_ptrIsEEEEPS6_PKS6_NS0_5tupleIJSF_S6_EEENSJ_IJSG_SG_EEENS0_18inequality_wrapperI22is_equal_div_10_uniqueIsEEEPmJS6_EEE10hipError_tPvRmT3_T4_T5_T6_T7_T9_mT8_P12ihipStream_tbDpT10_ENKUlT_T0_E_clISt17integral_constantIbLb1EES1A_EEDaS15_S16_EUlS15_E_NS1_11comp_targetILNS1_3genE9ELNS1_11target_archE1100ELNS1_3gpuE3ELNS1_3repE0EEENS1_30default_config_static_selectorELNS0_4arch9wavefront6targetE1EEEvT1_: ; @_ZN7rocprim17ROCPRIM_400000_NS6detail17trampoline_kernelINS0_14default_configENS1_25partition_config_selectorILNS1_17partition_subalgoE8EsNS0_10empty_typeEbEEZZNS1_14partition_implILS5_8ELb0ES3_jN6thrust23THRUST_200600_302600_NS6detail15normal_iteratorINSA_10device_ptrIsEEEEPS6_PKS6_NS0_5tupleIJSF_S6_EEENSJ_IJSG_SG_EEENS0_18inequality_wrapperI22is_equal_div_10_uniqueIsEEEPmJS6_EEE10hipError_tPvRmT3_T4_T5_T6_T7_T9_mT8_P12ihipStream_tbDpT10_ENKUlT_T0_E_clISt17integral_constantIbLb1EES1A_EEDaS15_S16_EUlS15_E_NS1_11comp_targetILNS1_3genE9ELNS1_11target_archE1100ELNS1_3gpuE3ELNS1_3repE0EEENS1_30default_config_static_selectorELNS0_4arch9wavefront6targetE1EEEvT1_
; %bb.0:
	.section	.rodata,"a",@progbits
	.p2align	6, 0x0
	.amdhsa_kernel _ZN7rocprim17ROCPRIM_400000_NS6detail17trampoline_kernelINS0_14default_configENS1_25partition_config_selectorILNS1_17partition_subalgoE8EsNS0_10empty_typeEbEEZZNS1_14partition_implILS5_8ELb0ES3_jN6thrust23THRUST_200600_302600_NS6detail15normal_iteratorINSA_10device_ptrIsEEEEPS6_PKS6_NS0_5tupleIJSF_S6_EEENSJ_IJSG_SG_EEENS0_18inequality_wrapperI22is_equal_div_10_uniqueIsEEEPmJS6_EEE10hipError_tPvRmT3_T4_T5_T6_T7_T9_mT8_P12ihipStream_tbDpT10_ENKUlT_T0_E_clISt17integral_constantIbLb1EES1A_EEDaS15_S16_EUlS15_E_NS1_11comp_targetILNS1_3genE9ELNS1_11target_archE1100ELNS1_3gpuE3ELNS1_3repE0EEENS1_30default_config_static_selectorELNS0_4arch9wavefront6targetE1EEEvT1_
		.amdhsa_group_segment_fixed_size 0
		.amdhsa_private_segment_fixed_size 0
		.amdhsa_kernarg_size 128
		.amdhsa_user_sgpr_count 6
		.amdhsa_user_sgpr_private_segment_buffer 1
		.amdhsa_user_sgpr_dispatch_ptr 0
		.amdhsa_user_sgpr_queue_ptr 0
		.amdhsa_user_sgpr_kernarg_segment_ptr 1
		.amdhsa_user_sgpr_dispatch_id 0
		.amdhsa_user_sgpr_flat_scratch_init 0
		.amdhsa_user_sgpr_private_segment_size 0
		.amdhsa_uses_dynamic_stack 0
		.amdhsa_system_sgpr_private_segment_wavefront_offset 0
		.amdhsa_system_sgpr_workgroup_id_x 1
		.amdhsa_system_sgpr_workgroup_id_y 0
		.amdhsa_system_sgpr_workgroup_id_z 0
		.amdhsa_system_sgpr_workgroup_info 0
		.amdhsa_system_vgpr_workitem_id 0
		.amdhsa_next_free_vgpr 1
		.amdhsa_next_free_sgpr 0
		.amdhsa_reserve_vcc 0
		.amdhsa_reserve_flat_scratch 0
		.amdhsa_float_round_mode_32 0
		.amdhsa_float_round_mode_16_64 0
		.amdhsa_float_denorm_mode_32 3
		.amdhsa_float_denorm_mode_16_64 3
		.amdhsa_dx10_clamp 1
		.amdhsa_ieee_mode 1
		.amdhsa_fp16_overflow 0
		.amdhsa_exception_fp_ieee_invalid_op 0
		.amdhsa_exception_fp_denorm_src 0
		.amdhsa_exception_fp_ieee_div_zero 0
		.amdhsa_exception_fp_ieee_overflow 0
		.amdhsa_exception_fp_ieee_underflow 0
		.amdhsa_exception_fp_ieee_inexact 0
		.amdhsa_exception_int_div_zero 0
	.end_amdhsa_kernel
	.section	.text._ZN7rocprim17ROCPRIM_400000_NS6detail17trampoline_kernelINS0_14default_configENS1_25partition_config_selectorILNS1_17partition_subalgoE8EsNS0_10empty_typeEbEEZZNS1_14partition_implILS5_8ELb0ES3_jN6thrust23THRUST_200600_302600_NS6detail15normal_iteratorINSA_10device_ptrIsEEEEPS6_PKS6_NS0_5tupleIJSF_S6_EEENSJ_IJSG_SG_EEENS0_18inequality_wrapperI22is_equal_div_10_uniqueIsEEEPmJS6_EEE10hipError_tPvRmT3_T4_T5_T6_T7_T9_mT8_P12ihipStream_tbDpT10_ENKUlT_T0_E_clISt17integral_constantIbLb1EES1A_EEDaS15_S16_EUlS15_E_NS1_11comp_targetILNS1_3genE9ELNS1_11target_archE1100ELNS1_3gpuE3ELNS1_3repE0EEENS1_30default_config_static_selectorELNS0_4arch9wavefront6targetE1EEEvT1_,"axG",@progbits,_ZN7rocprim17ROCPRIM_400000_NS6detail17trampoline_kernelINS0_14default_configENS1_25partition_config_selectorILNS1_17partition_subalgoE8EsNS0_10empty_typeEbEEZZNS1_14partition_implILS5_8ELb0ES3_jN6thrust23THRUST_200600_302600_NS6detail15normal_iteratorINSA_10device_ptrIsEEEEPS6_PKS6_NS0_5tupleIJSF_S6_EEENSJ_IJSG_SG_EEENS0_18inequality_wrapperI22is_equal_div_10_uniqueIsEEEPmJS6_EEE10hipError_tPvRmT3_T4_T5_T6_T7_T9_mT8_P12ihipStream_tbDpT10_ENKUlT_T0_E_clISt17integral_constantIbLb1EES1A_EEDaS15_S16_EUlS15_E_NS1_11comp_targetILNS1_3genE9ELNS1_11target_archE1100ELNS1_3gpuE3ELNS1_3repE0EEENS1_30default_config_static_selectorELNS0_4arch9wavefront6targetE1EEEvT1_,comdat
.Lfunc_end515:
	.size	_ZN7rocprim17ROCPRIM_400000_NS6detail17trampoline_kernelINS0_14default_configENS1_25partition_config_selectorILNS1_17partition_subalgoE8EsNS0_10empty_typeEbEEZZNS1_14partition_implILS5_8ELb0ES3_jN6thrust23THRUST_200600_302600_NS6detail15normal_iteratorINSA_10device_ptrIsEEEEPS6_PKS6_NS0_5tupleIJSF_S6_EEENSJ_IJSG_SG_EEENS0_18inequality_wrapperI22is_equal_div_10_uniqueIsEEEPmJS6_EEE10hipError_tPvRmT3_T4_T5_T6_T7_T9_mT8_P12ihipStream_tbDpT10_ENKUlT_T0_E_clISt17integral_constantIbLb1EES1A_EEDaS15_S16_EUlS15_E_NS1_11comp_targetILNS1_3genE9ELNS1_11target_archE1100ELNS1_3gpuE3ELNS1_3repE0EEENS1_30default_config_static_selectorELNS0_4arch9wavefront6targetE1EEEvT1_, .Lfunc_end515-_ZN7rocprim17ROCPRIM_400000_NS6detail17trampoline_kernelINS0_14default_configENS1_25partition_config_selectorILNS1_17partition_subalgoE8EsNS0_10empty_typeEbEEZZNS1_14partition_implILS5_8ELb0ES3_jN6thrust23THRUST_200600_302600_NS6detail15normal_iteratorINSA_10device_ptrIsEEEEPS6_PKS6_NS0_5tupleIJSF_S6_EEENSJ_IJSG_SG_EEENS0_18inequality_wrapperI22is_equal_div_10_uniqueIsEEEPmJS6_EEE10hipError_tPvRmT3_T4_T5_T6_T7_T9_mT8_P12ihipStream_tbDpT10_ENKUlT_T0_E_clISt17integral_constantIbLb1EES1A_EEDaS15_S16_EUlS15_E_NS1_11comp_targetILNS1_3genE9ELNS1_11target_archE1100ELNS1_3gpuE3ELNS1_3repE0EEENS1_30default_config_static_selectorELNS0_4arch9wavefront6targetE1EEEvT1_
                                        ; -- End function
	.set _ZN7rocprim17ROCPRIM_400000_NS6detail17trampoline_kernelINS0_14default_configENS1_25partition_config_selectorILNS1_17partition_subalgoE8EsNS0_10empty_typeEbEEZZNS1_14partition_implILS5_8ELb0ES3_jN6thrust23THRUST_200600_302600_NS6detail15normal_iteratorINSA_10device_ptrIsEEEEPS6_PKS6_NS0_5tupleIJSF_S6_EEENSJ_IJSG_SG_EEENS0_18inequality_wrapperI22is_equal_div_10_uniqueIsEEEPmJS6_EEE10hipError_tPvRmT3_T4_T5_T6_T7_T9_mT8_P12ihipStream_tbDpT10_ENKUlT_T0_E_clISt17integral_constantIbLb1EES1A_EEDaS15_S16_EUlS15_E_NS1_11comp_targetILNS1_3genE9ELNS1_11target_archE1100ELNS1_3gpuE3ELNS1_3repE0EEENS1_30default_config_static_selectorELNS0_4arch9wavefront6targetE1EEEvT1_.num_vgpr, 0
	.set _ZN7rocprim17ROCPRIM_400000_NS6detail17trampoline_kernelINS0_14default_configENS1_25partition_config_selectorILNS1_17partition_subalgoE8EsNS0_10empty_typeEbEEZZNS1_14partition_implILS5_8ELb0ES3_jN6thrust23THRUST_200600_302600_NS6detail15normal_iteratorINSA_10device_ptrIsEEEEPS6_PKS6_NS0_5tupleIJSF_S6_EEENSJ_IJSG_SG_EEENS0_18inequality_wrapperI22is_equal_div_10_uniqueIsEEEPmJS6_EEE10hipError_tPvRmT3_T4_T5_T6_T7_T9_mT8_P12ihipStream_tbDpT10_ENKUlT_T0_E_clISt17integral_constantIbLb1EES1A_EEDaS15_S16_EUlS15_E_NS1_11comp_targetILNS1_3genE9ELNS1_11target_archE1100ELNS1_3gpuE3ELNS1_3repE0EEENS1_30default_config_static_selectorELNS0_4arch9wavefront6targetE1EEEvT1_.num_agpr, 0
	.set _ZN7rocprim17ROCPRIM_400000_NS6detail17trampoline_kernelINS0_14default_configENS1_25partition_config_selectorILNS1_17partition_subalgoE8EsNS0_10empty_typeEbEEZZNS1_14partition_implILS5_8ELb0ES3_jN6thrust23THRUST_200600_302600_NS6detail15normal_iteratorINSA_10device_ptrIsEEEEPS6_PKS6_NS0_5tupleIJSF_S6_EEENSJ_IJSG_SG_EEENS0_18inequality_wrapperI22is_equal_div_10_uniqueIsEEEPmJS6_EEE10hipError_tPvRmT3_T4_T5_T6_T7_T9_mT8_P12ihipStream_tbDpT10_ENKUlT_T0_E_clISt17integral_constantIbLb1EES1A_EEDaS15_S16_EUlS15_E_NS1_11comp_targetILNS1_3genE9ELNS1_11target_archE1100ELNS1_3gpuE3ELNS1_3repE0EEENS1_30default_config_static_selectorELNS0_4arch9wavefront6targetE1EEEvT1_.numbered_sgpr, 0
	.set _ZN7rocprim17ROCPRIM_400000_NS6detail17trampoline_kernelINS0_14default_configENS1_25partition_config_selectorILNS1_17partition_subalgoE8EsNS0_10empty_typeEbEEZZNS1_14partition_implILS5_8ELb0ES3_jN6thrust23THRUST_200600_302600_NS6detail15normal_iteratorINSA_10device_ptrIsEEEEPS6_PKS6_NS0_5tupleIJSF_S6_EEENSJ_IJSG_SG_EEENS0_18inequality_wrapperI22is_equal_div_10_uniqueIsEEEPmJS6_EEE10hipError_tPvRmT3_T4_T5_T6_T7_T9_mT8_P12ihipStream_tbDpT10_ENKUlT_T0_E_clISt17integral_constantIbLb1EES1A_EEDaS15_S16_EUlS15_E_NS1_11comp_targetILNS1_3genE9ELNS1_11target_archE1100ELNS1_3gpuE3ELNS1_3repE0EEENS1_30default_config_static_selectorELNS0_4arch9wavefront6targetE1EEEvT1_.num_named_barrier, 0
	.set _ZN7rocprim17ROCPRIM_400000_NS6detail17trampoline_kernelINS0_14default_configENS1_25partition_config_selectorILNS1_17partition_subalgoE8EsNS0_10empty_typeEbEEZZNS1_14partition_implILS5_8ELb0ES3_jN6thrust23THRUST_200600_302600_NS6detail15normal_iteratorINSA_10device_ptrIsEEEEPS6_PKS6_NS0_5tupleIJSF_S6_EEENSJ_IJSG_SG_EEENS0_18inequality_wrapperI22is_equal_div_10_uniqueIsEEEPmJS6_EEE10hipError_tPvRmT3_T4_T5_T6_T7_T9_mT8_P12ihipStream_tbDpT10_ENKUlT_T0_E_clISt17integral_constantIbLb1EES1A_EEDaS15_S16_EUlS15_E_NS1_11comp_targetILNS1_3genE9ELNS1_11target_archE1100ELNS1_3gpuE3ELNS1_3repE0EEENS1_30default_config_static_selectorELNS0_4arch9wavefront6targetE1EEEvT1_.private_seg_size, 0
	.set _ZN7rocprim17ROCPRIM_400000_NS6detail17trampoline_kernelINS0_14default_configENS1_25partition_config_selectorILNS1_17partition_subalgoE8EsNS0_10empty_typeEbEEZZNS1_14partition_implILS5_8ELb0ES3_jN6thrust23THRUST_200600_302600_NS6detail15normal_iteratorINSA_10device_ptrIsEEEEPS6_PKS6_NS0_5tupleIJSF_S6_EEENSJ_IJSG_SG_EEENS0_18inequality_wrapperI22is_equal_div_10_uniqueIsEEEPmJS6_EEE10hipError_tPvRmT3_T4_T5_T6_T7_T9_mT8_P12ihipStream_tbDpT10_ENKUlT_T0_E_clISt17integral_constantIbLb1EES1A_EEDaS15_S16_EUlS15_E_NS1_11comp_targetILNS1_3genE9ELNS1_11target_archE1100ELNS1_3gpuE3ELNS1_3repE0EEENS1_30default_config_static_selectorELNS0_4arch9wavefront6targetE1EEEvT1_.uses_vcc, 0
	.set _ZN7rocprim17ROCPRIM_400000_NS6detail17trampoline_kernelINS0_14default_configENS1_25partition_config_selectorILNS1_17partition_subalgoE8EsNS0_10empty_typeEbEEZZNS1_14partition_implILS5_8ELb0ES3_jN6thrust23THRUST_200600_302600_NS6detail15normal_iteratorINSA_10device_ptrIsEEEEPS6_PKS6_NS0_5tupleIJSF_S6_EEENSJ_IJSG_SG_EEENS0_18inequality_wrapperI22is_equal_div_10_uniqueIsEEEPmJS6_EEE10hipError_tPvRmT3_T4_T5_T6_T7_T9_mT8_P12ihipStream_tbDpT10_ENKUlT_T0_E_clISt17integral_constantIbLb1EES1A_EEDaS15_S16_EUlS15_E_NS1_11comp_targetILNS1_3genE9ELNS1_11target_archE1100ELNS1_3gpuE3ELNS1_3repE0EEENS1_30default_config_static_selectorELNS0_4arch9wavefront6targetE1EEEvT1_.uses_flat_scratch, 0
	.set _ZN7rocprim17ROCPRIM_400000_NS6detail17trampoline_kernelINS0_14default_configENS1_25partition_config_selectorILNS1_17partition_subalgoE8EsNS0_10empty_typeEbEEZZNS1_14partition_implILS5_8ELb0ES3_jN6thrust23THRUST_200600_302600_NS6detail15normal_iteratorINSA_10device_ptrIsEEEEPS6_PKS6_NS0_5tupleIJSF_S6_EEENSJ_IJSG_SG_EEENS0_18inequality_wrapperI22is_equal_div_10_uniqueIsEEEPmJS6_EEE10hipError_tPvRmT3_T4_T5_T6_T7_T9_mT8_P12ihipStream_tbDpT10_ENKUlT_T0_E_clISt17integral_constantIbLb1EES1A_EEDaS15_S16_EUlS15_E_NS1_11comp_targetILNS1_3genE9ELNS1_11target_archE1100ELNS1_3gpuE3ELNS1_3repE0EEENS1_30default_config_static_selectorELNS0_4arch9wavefront6targetE1EEEvT1_.has_dyn_sized_stack, 0
	.set _ZN7rocprim17ROCPRIM_400000_NS6detail17trampoline_kernelINS0_14default_configENS1_25partition_config_selectorILNS1_17partition_subalgoE8EsNS0_10empty_typeEbEEZZNS1_14partition_implILS5_8ELb0ES3_jN6thrust23THRUST_200600_302600_NS6detail15normal_iteratorINSA_10device_ptrIsEEEEPS6_PKS6_NS0_5tupleIJSF_S6_EEENSJ_IJSG_SG_EEENS0_18inequality_wrapperI22is_equal_div_10_uniqueIsEEEPmJS6_EEE10hipError_tPvRmT3_T4_T5_T6_T7_T9_mT8_P12ihipStream_tbDpT10_ENKUlT_T0_E_clISt17integral_constantIbLb1EES1A_EEDaS15_S16_EUlS15_E_NS1_11comp_targetILNS1_3genE9ELNS1_11target_archE1100ELNS1_3gpuE3ELNS1_3repE0EEENS1_30default_config_static_selectorELNS0_4arch9wavefront6targetE1EEEvT1_.has_recursion, 0
	.set _ZN7rocprim17ROCPRIM_400000_NS6detail17trampoline_kernelINS0_14default_configENS1_25partition_config_selectorILNS1_17partition_subalgoE8EsNS0_10empty_typeEbEEZZNS1_14partition_implILS5_8ELb0ES3_jN6thrust23THRUST_200600_302600_NS6detail15normal_iteratorINSA_10device_ptrIsEEEEPS6_PKS6_NS0_5tupleIJSF_S6_EEENSJ_IJSG_SG_EEENS0_18inequality_wrapperI22is_equal_div_10_uniqueIsEEEPmJS6_EEE10hipError_tPvRmT3_T4_T5_T6_T7_T9_mT8_P12ihipStream_tbDpT10_ENKUlT_T0_E_clISt17integral_constantIbLb1EES1A_EEDaS15_S16_EUlS15_E_NS1_11comp_targetILNS1_3genE9ELNS1_11target_archE1100ELNS1_3gpuE3ELNS1_3repE0EEENS1_30default_config_static_selectorELNS0_4arch9wavefront6targetE1EEEvT1_.has_indirect_call, 0
	.section	.AMDGPU.csdata,"",@progbits
; Kernel info:
; codeLenInByte = 0
; TotalNumSgprs: 4
; NumVgprs: 0
; ScratchSize: 0
; MemoryBound: 0
; FloatMode: 240
; IeeeMode: 1
; LDSByteSize: 0 bytes/workgroup (compile time only)
; SGPRBlocks: 0
; VGPRBlocks: 0
; NumSGPRsForWavesPerEU: 4
; NumVGPRsForWavesPerEU: 1
; Occupancy: 10
; WaveLimiterHint : 0
; COMPUTE_PGM_RSRC2:SCRATCH_EN: 0
; COMPUTE_PGM_RSRC2:USER_SGPR: 6
; COMPUTE_PGM_RSRC2:TRAP_HANDLER: 0
; COMPUTE_PGM_RSRC2:TGID_X_EN: 1
; COMPUTE_PGM_RSRC2:TGID_Y_EN: 0
; COMPUTE_PGM_RSRC2:TGID_Z_EN: 0
; COMPUTE_PGM_RSRC2:TIDIG_COMP_CNT: 0
	.section	.text._ZN7rocprim17ROCPRIM_400000_NS6detail17trampoline_kernelINS0_14default_configENS1_25partition_config_selectorILNS1_17partition_subalgoE8EsNS0_10empty_typeEbEEZZNS1_14partition_implILS5_8ELb0ES3_jN6thrust23THRUST_200600_302600_NS6detail15normal_iteratorINSA_10device_ptrIsEEEEPS6_PKS6_NS0_5tupleIJSF_S6_EEENSJ_IJSG_SG_EEENS0_18inequality_wrapperI22is_equal_div_10_uniqueIsEEEPmJS6_EEE10hipError_tPvRmT3_T4_T5_T6_T7_T9_mT8_P12ihipStream_tbDpT10_ENKUlT_T0_E_clISt17integral_constantIbLb1EES1A_EEDaS15_S16_EUlS15_E_NS1_11comp_targetILNS1_3genE8ELNS1_11target_archE1030ELNS1_3gpuE2ELNS1_3repE0EEENS1_30default_config_static_selectorELNS0_4arch9wavefront6targetE1EEEvT1_,"axG",@progbits,_ZN7rocprim17ROCPRIM_400000_NS6detail17trampoline_kernelINS0_14default_configENS1_25partition_config_selectorILNS1_17partition_subalgoE8EsNS0_10empty_typeEbEEZZNS1_14partition_implILS5_8ELb0ES3_jN6thrust23THRUST_200600_302600_NS6detail15normal_iteratorINSA_10device_ptrIsEEEEPS6_PKS6_NS0_5tupleIJSF_S6_EEENSJ_IJSG_SG_EEENS0_18inequality_wrapperI22is_equal_div_10_uniqueIsEEEPmJS6_EEE10hipError_tPvRmT3_T4_T5_T6_T7_T9_mT8_P12ihipStream_tbDpT10_ENKUlT_T0_E_clISt17integral_constantIbLb1EES1A_EEDaS15_S16_EUlS15_E_NS1_11comp_targetILNS1_3genE8ELNS1_11target_archE1030ELNS1_3gpuE2ELNS1_3repE0EEENS1_30default_config_static_selectorELNS0_4arch9wavefront6targetE1EEEvT1_,comdat
	.protected	_ZN7rocprim17ROCPRIM_400000_NS6detail17trampoline_kernelINS0_14default_configENS1_25partition_config_selectorILNS1_17partition_subalgoE8EsNS0_10empty_typeEbEEZZNS1_14partition_implILS5_8ELb0ES3_jN6thrust23THRUST_200600_302600_NS6detail15normal_iteratorINSA_10device_ptrIsEEEEPS6_PKS6_NS0_5tupleIJSF_S6_EEENSJ_IJSG_SG_EEENS0_18inequality_wrapperI22is_equal_div_10_uniqueIsEEEPmJS6_EEE10hipError_tPvRmT3_T4_T5_T6_T7_T9_mT8_P12ihipStream_tbDpT10_ENKUlT_T0_E_clISt17integral_constantIbLb1EES1A_EEDaS15_S16_EUlS15_E_NS1_11comp_targetILNS1_3genE8ELNS1_11target_archE1030ELNS1_3gpuE2ELNS1_3repE0EEENS1_30default_config_static_selectorELNS0_4arch9wavefront6targetE1EEEvT1_ ; -- Begin function _ZN7rocprim17ROCPRIM_400000_NS6detail17trampoline_kernelINS0_14default_configENS1_25partition_config_selectorILNS1_17partition_subalgoE8EsNS0_10empty_typeEbEEZZNS1_14partition_implILS5_8ELb0ES3_jN6thrust23THRUST_200600_302600_NS6detail15normal_iteratorINSA_10device_ptrIsEEEEPS6_PKS6_NS0_5tupleIJSF_S6_EEENSJ_IJSG_SG_EEENS0_18inequality_wrapperI22is_equal_div_10_uniqueIsEEEPmJS6_EEE10hipError_tPvRmT3_T4_T5_T6_T7_T9_mT8_P12ihipStream_tbDpT10_ENKUlT_T0_E_clISt17integral_constantIbLb1EES1A_EEDaS15_S16_EUlS15_E_NS1_11comp_targetILNS1_3genE8ELNS1_11target_archE1030ELNS1_3gpuE2ELNS1_3repE0EEENS1_30default_config_static_selectorELNS0_4arch9wavefront6targetE1EEEvT1_
	.globl	_ZN7rocprim17ROCPRIM_400000_NS6detail17trampoline_kernelINS0_14default_configENS1_25partition_config_selectorILNS1_17partition_subalgoE8EsNS0_10empty_typeEbEEZZNS1_14partition_implILS5_8ELb0ES3_jN6thrust23THRUST_200600_302600_NS6detail15normal_iteratorINSA_10device_ptrIsEEEEPS6_PKS6_NS0_5tupleIJSF_S6_EEENSJ_IJSG_SG_EEENS0_18inequality_wrapperI22is_equal_div_10_uniqueIsEEEPmJS6_EEE10hipError_tPvRmT3_T4_T5_T6_T7_T9_mT8_P12ihipStream_tbDpT10_ENKUlT_T0_E_clISt17integral_constantIbLb1EES1A_EEDaS15_S16_EUlS15_E_NS1_11comp_targetILNS1_3genE8ELNS1_11target_archE1030ELNS1_3gpuE2ELNS1_3repE0EEENS1_30default_config_static_selectorELNS0_4arch9wavefront6targetE1EEEvT1_
	.p2align	8
	.type	_ZN7rocprim17ROCPRIM_400000_NS6detail17trampoline_kernelINS0_14default_configENS1_25partition_config_selectorILNS1_17partition_subalgoE8EsNS0_10empty_typeEbEEZZNS1_14partition_implILS5_8ELb0ES3_jN6thrust23THRUST_200600_302600_NS6detail15normal_iteratorINSA_10device_ptrIsEEEEPS6_PKS6_NS0_5tupleIJSF_S6_EEENSJ_IJSG_SG_EEENS0_18inequality_wrapperI22is_equal_div_10_uniqueIsEEEPmJS6_EEE10hipError_tPvRmT3_T4_T5_T6_T7_T9_mT8_P12ihipStream_tbDpT10_ENKUlT_T0_E_clISt17integral_constantIbLb1EES1A_EEDaS15_S16_EUlS15_E_NS1_11comp_targetILNS1_3genE8ELNS1_11target_archE1030ELNS1_3gpuE2ELNS1_3repE0EEENS1_30default_config_static_selectorELNS0_4arch9wavefront6targetE1EEEvT1_,@function
_ZN7rocprim17ROCPRIM_400000_NS6detail17trampoline_kernelINS0_14default_configENS1_25partition_config_selectorILNS1_17partition_subalgoE8EsNS0_10empty_typeEbEEZZNS1_14partition_implILS5_8ELb0ES3_jN6thrust23THRUST_200600_302600_NS6detail15normal_iteratorINSA_10device_ptrIsEEEEPS6_PKS6_NS0_5tupleIJSF_S6_EEENSJ_IJSG_SG_EEENS0_18inequality_wrapperI22is_equal_div_10_uniqueIsEEEPmJS6_EEE10hipError_tPvRmT3_T4_T5_T6_T7_T9_mT8_P12ihipStream_tbDpT10_ENKUlT_T0_E_clISt17integral_constantIbLb1EES1A_EEDaS15_S16_EUlS15_E_NS1_11comp_targetILNS1_3genE8ELNS1_11target_archE1030ELNS1_3gpuE2ELNS1_3repE0EEENS1_30default_config_static_selectorELNS0_4arch9wavefront6targetE1EEEvT1_: ; @_ZN7rocprim17ROCPRIM_400000_NS6detail17trampoline_kernelINS0_14default_configENS1_25partition_config_selectorILNS1_17partition_subalgoE8EsNS0_10empty_typeEbEEZZNS1_14partition_implILS5_8ELb0ES3_jN6thrust23THRUST_200600_302600_NS6detail15normal_iteratorINSA_10device_ptrIsEEEEPS6_PKS6_NS0_5tupleIJSF_S6_EEENSJ_IJSG_SG_EEENS0_18inequality_wrapperI22is_equal_div_10_uniqueIsEEEPmJS6_EEE10hipError_tPvRmT3_T4_T5_T6_T7_T9_mT8_P12ihipStream_tbDpT10_ENKUlT_T0_E_clISt17integral_constantIbLb1EES1A_EEDaS15_S16_EUlS15_E_NS1_11comp_targetILNS1_3genE8ELNS1_11target_archE1030ELNS1_3gpuE2ELNS1_3repE0EEENS1_30default_config_static_selectorELNS0_4arch9wavefront6targetE1EEEvT1_
; %bb.0:
	.section	.rodata,"a",@progbits
	.p2align	6, 0x0
	.amdhsa_kernel _ZN7rocprim17ROCPRIM_400000_NS6detail17trampoline_kernelINS0_14default_configENS1_25partition_config_selectorILNS1_17partition_subalgoE8EsNS0_10empty_typeEbEEZZNS1_14partition_implILS5_8ELb0ES3_jN6thrust23THRUST_200600_302600_NS6detail15normal_iteratorINSA_10device_ptrIsEEEEPS6_PKS6_NS0_5tupleIJSF_S6_EEENSJ_IJSG_SG_EEENS0_18inequality_wrapperI22is_equal_div_10_uniqueIsEEEPmJS6_EEE10hipError_tPvRmT3_T4_T5_T6_T7_T9_mT8_P12ihipStream_tbDpT10_ENKUlT_T0_E_clISt17integral_constantIbLb1EES1A_EEDaS15_S16_EUlS15_E_NS1_11comp_targetILNS1_3genE8ELNS1_11target_archE1030ELNS1_3gpuE2ELNS1_3repE0EEENS1_30default_config_static_selectorELNS0_4arch9wavefront6targetE1EEEvT1_
		.amdhsa_group_segment_fixed_size 0
		.amdhsa_private_segment_fixed_size 0
		.amdhsa_kernarg_size 128
		.amdhsa_user_sgpr_count 6
		.amdhsa_user_sgpr_private_segment_buffer 1
		.amdhsa_user_sgpr_dispatch_ptr 0
		.amdhsa_user_sgpr_queue_ptr 0
		.amdhsa_user_sgpr_kernarg_segment_ptr 1
		.amdhsa_user_sgpr_dispatch_id 0
		.amdhsa_user_sgpr_flat_scratch_init 0
		.amdhsa_user_sgpr_private_segment_size 0
		.amdhsa_uses_dynamic_stack 0
		.amdhsa_system_sgpr_private_segment_wavefront_offset 0
		.amdhsa_system_sgpr_workgroup_id_x 1
		.amdhsa_system_sgpr_workgroup_id_y 0
		.amdhsa_system_sgpr_workgroup_id_z 0
		.amdhsa_system_sgpr_workgroup_info 0
		.amdhsa_system_vgpr_workitem_id 0
		.amdhsa_next_free_vgpr 1
		.amdhsa_next_free_sgpr 0
		.amdhsa_reserve_vcc 0
		.amdhsa_reserve_flat_scratch 0
		.amdhsa_float_round_mode_32 0
		.amdhsa_float_round_mode_16_64 0
		.amdhsa_float_denorm_mode_32 3
		.amdhsa_float_denorm_mode_16_64 3
		.amdhsa_dx10_clamp 1
		.amdhsa_ieee_mode 1
		.amdhsa_fp16_overflow 0
		.amdhsa_exception_fp_ieee_invalid_op 0
		.amdhsa_exception_fp_denorm_src 0
		.amdhsa_exception_fp_ieee_div_zero 0
		.amdhsa_exception_fp_ieee_overflow 0
		.amdhsa_exception_fp_ieee_underflow 0
		.amdhsa_exception_fp_ieee_inexact 0
		.amdhsa_exception_int_div_zero 0
	.end_amdhsa_kernel
	.section	.text._ZN7rocprim17ROCPRIM_400000_NS6detail17trampoline_kernelINS0_14default_configENS1_25partition_config_selectorILNS1_17partition_subalgoE8EsNS0_10empty_typeEbEEZZNS1_14partition_implILS5_8ELb0ES3_jN6thrust23THRUST_200600_302600_NS6detail15normal_iteratorINSA_10device_ptrIsEEEEPS6_PKS6_NS0_5tupleIJSF_S6_EEENSJ_IJSG_SG_EEENS0_18inequality_wrapperI22is_equal_div_10_uniqueIsEEEPmJS6_EEE10hipError_tPvRmT3_T4_T5_T6_T7_T9_mT8_P12ihipStream_tbDpT10_ENKUlT_T0_E_clISt17integral_constantIbLb1EES1A_EEDaS15_S16_EUlS15_E_NS1_11comp_targetILNS1_3genE8ELNS1_11target_archE1030ELNS1_3gpuE2ELNS1_3repE0EEENS1_30default_config_static_selectorELNS0_4arch9wavefront6targetE1EEEvT1_,"axG",@progbits,_ZN7rocprim17ROCPRIM_400000_NS6detail17trampoline_kernelINS0_14default_configENS1_25partition_config_selectorILNS1_17partition_subalgoE8EsNS0_10empty_typeEbEEZZNS1_14partition_implILS5_8ELb0ES3_jN6thrust23THRUST_200600_302600_NS6detail15normal_iteratorINSA_10device_ptrIsEEEEPS6_PKS6_NS0_5tupleIJSF_S6_EEENSJ_IJSG_SG_EEENS0_18inequality_wrapperI22is_equal_div_10_uniqueIsEEEPmJS6_EEE10hipError_tPvRmT3_T4_T5_T6_T7_T9_mT8_P12ihipStream_tbDpT10_ENKUlT_T0_E_clISt17integral_constantIbLb1EES1A_EEDaS15_S16_EUlS15_E_NS1_11comp_targetILNS1_3genE8ELNS1_11target_archE1030ELNS1_3gpuE2ELNS1_3repE0EEENS1_30default_config_static_selectorELNS0_4arch9wavefront6targetE1EEEvT1_,comdat
.Lfunc_end516:
	.size	_ZN7rocprim17ROCPRIM_400000_NS6detail17trampoline_kernelINS0_14default_configENS1_25partition_config_selectorILNS1_17partition_subalgoE8EsNS0_10empty_typeEbEEZZNS1_14partition_implILS5_8ELb0ES3_jN6thrust23THRUST_200600_302600_NS6detail15normal_iteratorINSA_10device_ptrIsEEEEPS6_PKS6_NS0_5tupleIJSF_S6_EEENSJ_IJSG_SG_EEENS0_18inequality_wrapperI22is_equal_div_10_uniqueIsEEEPmJS6_EEE10hipError_tPvRmT3_T4_T5_T6_T7_T9_mT8_P12ihipStream_tbDpT10_ENKUlT_T0_E_clISt17integral_constantIbLb1EES1A_EEDaS15_S16_EUlS15_E_NS1_11comp_targetILNS1_3genE8ELNS1_11target_archE1030ELNS1_3gpuE2ELNS1_3repE0EEENS1_30default_config_static_selectorELNS0_4arch9wavefront6targetE1EEEvT1_, .Lfunc_end516-_ZN7rocprim17ROCPRIM_400000_NS6detail17trampoline_kernelINS0_14default_configENS1_25partition_config_selectorILNS1_17partition_subalgoE8EsNS0_10empty_typeEbEEZZNS1_14partition_implILS5_8ELb0ES3_jN6thrust23THRUST_200600_302600_NS6detail15normal_iteratorINSA_10device_ptrIsEEEEPS6_PKS6_NS0_5tupleIJSF_S6_EEENSJ_IJSG_SG_EEENS0_18inequality_wrapperI22is_equal_div_10_uniqueIsEEEPmJS6_EEE10hipError_tPvRmT3_T4_T5_T6_T7_T9_mT8_P12ihipStream_tbDpT10_ENKUlT_T0_E_clISt17integral_constantIbLb1EES1A_EEDaS15_S16_EUlS15_E_NS1_11comp_targetILNS1_3genE8ELNS1_11target_archE1030ELNS1_3gpuE2ELNS1_3repE0EEENS1_30default_config_static_selectorELNS0_4arch9wavefront6targetE1EEEvT1_
                                        ; -- End function
	.set _ZN7rocprim17ROCPRIM_400000_NS6detail17trampoline_kernelINS0_14default_configENS1_25partition_config_selectorILNS1_17partition_subalgoE8EsNS0_10empty_typeEbEEZZNS1_14partition_implILS5_8ELb0ES3_jN6thrust23THRUST_200600_302600_NS6detail15normal_iteratorINSA_10device_ptrIsEEEEPS6_PKS6_NS0_5tupleIJSF_S6_EEENSJ_IJSG_SG_EEENS0_18inequality_wrapperI22is_equal_div_10_uniqueIsEEEPmJS6_EEE10hipError_tPvRmT3_T4_T5_T6_T7_T9_mT8_P12ihipStream_tbDpT10_ENKUlT_T0_E_clISt17integral_constantIbLb1EES1A_EEDaS15_S16_EUlS15_E_NS1_11comp_targetILNS1_3genE8ELNS1_11target_archE1030ELNS1_3gpuE2ELNS1_3repE0EEENS1_30default_config_static_selectorELNS0_4arch9wavefront6targetE1EEEvT1_.num_vgpr, 0
	.set _ZN7rocprim17ROCPRIM_400000_NS6detail17trampoline_kernelINS0_14default_configENS1_25partition_config_selectorILNS1_17partition_subalgoE8EsNS0_10empty_typeEbEEZZNS1_14partition_implILS5_8ELb0ES3_jN6thrust23THRUST_200600_302600_NS6detail15normal_iteratorINSA_10device_ptrIsEEEEPS6_PKS6_NS0_5tupleIJSF_S6_EEENSJ_IJSG_SG_EEENS0_18inequality_wrapperI22is_equal_div_10_uniqueIsEEEPmJS6_EEE10hipError_tPvRmT3_T4_T5_T6_T7_T9_mT8_P12ihipStream_tbDpT10_ENKUlT_T0_E_clISt17integral_constantIbLb1EES1A_EEDaS15_S16_EUlS15_E_NS1_11comp_targetILNS1_3genE8ELNS1_11target_archE1030ELNS1_3gpuE2ELNS1_3repE0EEENS1_30default_config_static_selectorELNS0_4arch9wavefront6targetE1EEEvT1_.num_agpr, 0
	.set _ZN7rocprim17ROCPRIM_400000_NS6detail17trampoline_kernelINS0_14default_configENS1_25partition_config_selectorILNS1_17partition_subalgoE8EsNS0_10empty_typeEbEEZZNS1_14partition_implILS5_8ELb0ES3_jN6thrust23THRUST_200600_302600_NS6detail15normal_iteratorINSA_10device_ptrIsEEEEPS6_PKS6_NS0_5tupleIJSF_S6_EEENSJ_IJSG_SG_EEENS0_18inequality_wrapperI22is_equal_div_10_uniqueIsEEEPmJS6_EEE10hipError_tPvRmT3_T4_T5_T6_T7_T9_mT8_P12ihipStream_tbDpT10_ENKUlT_T0_E_clISt17integral_constantIbLb1EES1A_EEDaS15_S16_EUlS15_E_NS1_11comp_targetILNS1_3genE8ELNS1_11target_archE1030ELNS1_3gpuE2ELNS1_3repE0EEENS1_30default_config_static_selectorELNS0_4arch9wavefront6targetE1EEEvT1_.numbered_sgpr, 0
	.set _ZN7rocprim17ROCPRIM_400000_NS6detail17trampoline_kernelINS0_14default_configENS1_25partition_config_selectorILNS1_17partition_subalgoE8EsNS0_10empty_typeEbEEZZNS1_14partition_implILS5_8ELb0ES3_jN6thrust23THRUST_200600_302600_NS6detail15normal_iteratorINSA_10device_ptrIsEEEEPS6_PKS6_NS0_5tupleIJSF_S6_EEENSJ_IJSG_SG_EEENS0_18inequality_wrapperI22is_equal_div_10_uniqueIsEEEPmJS6_EEE10hipError_tPvRmT3_T4_T5_T6_T7_T9_mT8_P12ihipStream_tbDpT10_ENKUlT_T0_E_clISt17integral_constantIbLb1EES1A_EEDaS15_S16_EUlS15_E_NS1_11comp_targetILNS1_3genE8ELNS1_11target_archE1030ELNS1_3gpuE2ELNS1_3repE0EEENS1_30default_config_static_selectorELNS0_4arch9wavefront6targetE1EEEvT1_.num_named_barrier, 0
	.set _ZN7rocprim17ROCPRIM_400000_NS6detail17trampoline_kernelINS0_14default_configENS1_25partition_config_selectorILNS1_17partition_subalgoE8EsNS0_10empty_typeEbEEZZNS1_14partition_implILS5_8ELb0ES3_jN6thrust23THRUST_200600_302600_NS6detail15normal_iteratorINSA_10device_ptrIsEEEEPS6_PKS6_NS0_5tupleIJSF_S6_EEENSJ_IJSG_SG_EEENS0_18inequality_wrapperI22is_equal_div_10_uniqueIsEEEPmJS6_EEE10hipError_tPvRmT3_T4_T5_T6_T7_T9_mT8_P12ihipStream_tbDpT10_ENKUlT_T0_E_clISt17integral_constantIbLb1EES1A_EEDaS15_S16_EUlS15_E_NS1_11comp_targetILNS1_3genE8ELNS1_11target_archE1030ELNS1_3gpuE2ELNS1_3repE0EEENS1_30default_config_static_selectorELNS0_4arch9wavefront6targetE1EEEvT1_.private_seg_size, 0
	.set _ZN7rocprim17ROCPRIM_400000_NS6detail17trampoline_kernelINS0_14default_configENS1_25partition_config_selectorILNS1_17partition_subalgoE8EsNS0_10empty_typeEbEEZZNS1_14partition_implILS5_8ELb0ES3_jN6thrust23THRUST_200600_302600_NS6detail15normal_iteratorINSA_10device_ptrIsEEEEPS6_PKS6_NS0_5tupleIJSF_S6_EEENSJ_IJSG_SG_EEENS0_18inequality_wrapperI22is_equal_div_10_uniqueIsEEEPmJS6_EEE10hipError_tPvRmT3_T4_T5_T6_T7_T9_mT8_P12ihipStream_tbDpT10_ENKUlT_T0_E_clISt17integral_constantIbLb1EES1A_EEDaS15_S16_EUlS15_E_NS1_11comp_targetILNS1_3genE8ELNS1_11target_archE1030ELNS1_3gpuE2ELNS1_3repE0EEENS1_30default_config_static_selectorELNS0_4arch9wavefront6targetE1EEEvT1_.uses_vcc, 0
	.set _ZN7rocprim17ROCPRIM_400000_NS6detail17trampoline_kernelINS0_14default_configENS1_25partition_config_selectorILNS1_17partition_subalgoE8EsNS0_10empty_typeEbEEZZNS1_14partition_implILS5_8ELb0ES3_jN6thrust23THRUST_200600_302600_NS6detail15normal_iteratorINSA_10device_ptrIsEEEEPS6_PKS6_NS0_5tupleIJSF_S6_EEENSJ_IJSG_SG_EEENS0_18inequality_wrapperI22is_equal_div_10_uniqueIsEEEPmJS6_EEE10hipError_tPvRmT3_T4_T5_T6_T7_T9_mT8_P12ihipStream_tbDpT10_ENKUlT_T0_E_clISt17integral_constantIbLb1EES1A_EEDaS15_S16_EUlS15_E_NS1_11comp_targetILNS1_3genE8ELNS1_11target_archE1030ELNS1_3gpuE2ELNS1_3repE0EEENS1_30default_config_static_selectorELNS0_4arch9wavefront6targetE1EEEvT1_.uses_flat_scratch, 0
	.set _ZN7rocprim17ROCPRIM_400000_NS6detail17trampoline_kernelINS0_14default_configENS1_25partition_config_selectorILNS1_17partition_subalgoE8EsNS0_10empty_typeEbEEZZNS1_14partition_implILS5_8ELb0ES3_jN6thrust23THRUST_200600_302600_NS6detail15normal_iteratorINSA_10device_ptrIsEEEEPS6_PKS6_NS0_5tupleIJSF_S6_EEENSJ_IJSG_SG_EEENS0_18inequality_wrapperI22is_equal_div_10_uniqueIsEEEPmJS6_EEE10hipError_tPvRmT3_T4_T5_T6_T7_T9_mT8_P12ihipStream_tbDpT10_ENKUlT_T0_E_clISt17integral_constantIbLb1EES1A_EEDaS15_S16_EUlS15_E_NS1_11comp_targetILNS1_3genE8ELNS1_11target_archE1030ELNS1_3gpuE2ELNS1_3repE0EEENS1_30default_config_static_selectorELNS0_4arch9wavefront6targetE1EEEvT1_.has_dyn_sized_stack, 0
	.set _ZN7rocprim17ROCPRIM_400000_NS6detail17trampoline_kernelINS0_14default_configENS1_25partition_config_selectorILNS1_17partition_subalgoE8EsNS0_10empty_typeEbEEZZNS1_14partition_implILS5_8ELb0ES3_jN6thrust23THRUST_200600_302600_NS6detail15normal_iteratorINSA_10device_ptrIsEEEEPS6_PKS6_NS0_5tupleIJSF_S6_EEENSJ_IJSG_SG_EEENS0_18inequality_wrapperI22is_equal_div_10_uniqueIsEEEPmJS6_EEE10hipError_tPvRmT3_T4_T5_T6_T7_T9_mT8_P12ihipStream_tbDpT10_ENKUlT_T0_E_clISt17integral_constantIbLb1EES1A_EEDaS15_S16_EUlS15_E_NS1_11comp_targetILNS1_3genE8ELNS1_11target_archE1030ELNS1_3gpuE2ELNS1_3repE0EEENS1_30default_config_static_selectorELNS0_4arch9wavefront6targetE1EEEvT1_.has_recursion, 0
	.set _ZN7rocprim17ROCPRIM_400000_NS6detail17trampoline_kernelINS0_14default_configENS1_25partition_config_selectorILNS1_17partition_subalgoE8EsNS0_10empty_typeEbEEZZNS1_14partition_implILS5_8ELb0ES3_jN6thrust23THRUST_200600_302600_NS6detail15normal_iteratorINSA_10device_ptrIsEEEEPS6_PKS6_NS0_5tupleIJSF_S6_EEENSJ_IJSG_SG_EEENS0_18inequality_wrapperI22is_equal_div_10_uniqueIsEEEPmJS6_EEE10hipError_tPvRmT3_T4_T5_T6_T7_T9_mT8_P12ihipStream_tbDpT10_ENKUlT_T0_E_clISt17integral_constantIbLb1EES1A_EEDaS15_S16_EUlS15_E_NS1_11comp_targetILNS1_3genE8ELNS1_11target_archE1030ELNS1_3gpuE2ELNS1_3repE0EEENS1_30default_config_static_selectorELNS0_4arch9wavefront6targetE1EEEvT1_.has_indirect_call, 0
	.section	.AMDGPU.csdata,"",@progbits
; Kernel info:
; codeLenInByte = 0
; TotalNumSgprs: 4
; NumVgprs: 0
; ScratchSize: 0
; MemoryBound: 0
; FloatMode: 240
; IeeeMode: 1
; LDSByteSize: 0 bytes/workgroup (compile time only)
; SGPRBlocks: 0
; VGPRBlocks: 0
; NumSGPRsForWavesPerEU: 4
; NumVGPRsForWavesPerEU: 1
; Occupancy: 10
; WaveLimiterHint : 0
; COMPUTE_PGM_RSRC2:SCRATCH_EN: 0
; COMPUTE_PGM_RSRC2:USER_SGPR: 6
; COMPUTE_PGM_RSRC2:TRAP_HANDLER: 0
; COMPUTE_PGM_RSRC2:TGID_X_EN: 1
; COMPUTE_PGM_RSRC2:TGID_Y_EN: 0
; COMPUTE_PGM_RSRC2:TGID_Z_EN: 0
; COMPUTE_PGM_RSRC2:TIDIG_COMP_CNT: 0
	.section	.text._ZN7rocprim17ROCPRIM_400000_NS6detail17trampoline_kernelINS0_14default_configENS1_25partition_config_selectorILNS1_17partition_subalgoE8EsNS0_10empty_typeEbEEZZNS1_14partition_implILS5_8ELb0ES3_jN6thrust23THRUST_200600_302600_NS6detail15normal_iteratorINSA_10device_ptrIsEEEEPS6_PKS6_NS0_5tupleIJSF_S6_EEENSJ_IJSG_SG_EEENS0_18inequality_wrapperI22is_equal_div_10_uniqueIsEEEPmJS6_EEE10hipError_tPvRmT3_T4_T5_T6_T7_T9_mT8_P12ihipStream_tbDpT10_ENKUlT_T0_E_clISt17integral_constantIbLb1EES19_IbLb0EEEEDaS15_S16_EUlS15_E_NS1_11comp_targetILNS1_3genE0ELNS1_11target_archE4294967295ELNS1_3gpuE0ELNS1_3repE0EEENS1_30default_config_static_selectorELNS0_4arch9wavefront6targetE1EEEvT1_,"axG",@progbits,_ZN7rocprim17ROCPRIM_400000_NS6detail17trampoline_kernelINS0_14default_configENS1_25partition_config_selectorILNS1_17partition_subalgoE8EsNS0_10empty_typeEbEEZZNS1_14partition_implILS5_8ELb0ES3_jN6thrust23THRUST_200600_302600_NS6detail15normal_iteratorINSA_10device_ptrIsEEEEPS6_PKS6_NS0_5tupleIJSF_S6_EEENSJ_IJSG_SG_EEENS0_18inequality_wrapperI22is_equal_div_10_uniqueIsEEEPmJS6_EEE10hipError_tPvRmT3_T4_T5_T6_T7_T9_mT8_P12ihipStream_tbDpT10_ENKUlT_T0_E_clISt17integral_constantIbLb1EES19_IbLb0EEEEDaS15_S16_EUlS15_E_NS1_11comp_targetILNS1_3genE0ELNS1_11target_archE4294967295ELNS1_3gpuE0ELNS1_3repE0EEENS1_30default_config_static_selectorELNS0_4arch9wavefront6targetE1EEEvT1_,comdat
	.protected	_ZN7rocprim17ROCPRIM_400000_NS6detail17trampoline_kernelINS0_14default_configENS1_25partition_config_selectorILNS1_17partition_subalgoE8EsNS0_10empty_typeEbEEZZNS1_14partition_implILS5_8ELb0ES3_jN6thrust23THRUST_200600_302600_NS6detail15normal_iteratorINSA_10device_ptrIsEEEEPS6_PKS6_NS0_5tupleIJSF_S6_EEENSJ_IJSG_SG_EEENS0_18inequality_wrapperI22is_equal_div_10_uniqueIsEEEPmJS6_EEE10hipError_tPvRmT3_T4_T5_T6_T7_T9_mT8_P12ihipStream_tbDpT10_ENKUlT_T0_E_clISt17integral_constantIbLb1EES19_IbLb0EEEEDaS15_S16_EUlS15_E_NS1_11comp_targetILNS1_3genE0ELNS1_11target_archE4294967295ELNS1_3gpuE0ELNS1_3repE0EEENS1_30default_config_static_selectorELNS0_4arch9wavefront6targetE1EEEvT1_ ; -- Begin function _ZN7rocprim17ROCPRIM_400000_NS6detail17trampoline_kernelINS0_14default_configENS1_25partition_config_selectorILNS1_17partition_subalgoE8EsNS0_10empty_typeEbEEZZNS1_14partition_implILS5_8ELb0ES3_jN6thrust23THRUST_200600_302600_NS6detail15normal_iteratorINSA_10device_ptrIsEEEEPS6_PKS6_NS0_5tupleIJSF_S6_EEENSJ_IJSG_SG_EEENS0_18inequality_wrapperI22is_equal_div_10_uniqueIsEEEPmJS6_EEE10hipError_tPvRmT3_T4_T5_T6_T7_T9_mT8_P12ihipStream_tbDpT10_ENKUlT_T0_E_clISt17integral_constantIbLb1EES19_IbLb0EEEEDaS15_S16_EUlS15_E_NS1_11comp_targetILNS1_3genE0ELNS1_11target_archE4294967295ELNS1_3gpuE0ELNS1_3repE0EEENS1_30default_config_static_selectorELNS0_4arch9wavefront6targetE1EEEvT1_
	.globl	_ZN7rocprim17ROCPRIM_400000_NS6detail17trampoline_kernelINS0_14default_configENS1_25partition_config_selectorILNS1_17partition_subalgoE8EsNS0_10empty_typeEbEEZZNS1_14partition_implILS5_8ELb0ES3_jN6thrust23THRUST_200600_302600_NS6detail15normal_iteratorINSA_10device_ptrIsEEEEPS6_PKS6_NS0_5tupleIJSF_S6_EEENSJ_IJSG_SG_EEENS0_18inequality_wrapperI22is_equal_div_10_uniqueIsEEEPmJS6_EEE10hipError_tPvRmT3_T4_T5_T6_T7_T9_mT8_P12ihipStream_tbDpT10_ENKUlT_T0_E_clISt17integral_constantIbLb1EES19_IbLb0EEEEDaS15_S16_EUlS15_E_NS1_11comp_targetILNS1_3genE0ELNS1_11target_archE4294967295ELNS1_3gpuE0ELNS1_3repE0EEENS1_30default_config_static_selectorELNS0_4arch9wavefront6targetE1EEEvT1_
	.p2align	8
	.type	_ZN7rocprim17ROCPRIM_400000_NS6detail17trampoline_kernelINS0_14default_configENS1_25partition_config_selectorILNS1_17partition_subalgoE8EsNS0_10empty_typeEbEEZZNS1_14partition_implILS5_8ELb0ES3_jN6thrust23THRUST_200600_302600_NS6detail15normal_iteratorINSA_10device_ptrIsEEEEPS6_PKS6_NS0_5tupleIJSF_S6_EEENSJ_IJSG_SG_EEENS0_18inequality_wrapperI22is_equal_div_10_uniqueIsEEEPmJS6_EEE10hipError_tPvRmT3_T4_T5_T6_T7_T9_mT8_P12ihipStream_tbDpT10_ENKUlT_T0_E_clISt17integral_constantIbLb1EES19_IbLb0EEEEDaS15_S16_EUlS15_E_NS1_11comp_targetILNS1_3genE0ELNS1_11target_archE4294967295ELNS1_3gpuE0ELNS1_3repE0EEENS1_30default_config_static_selectorELNS0_4arch9wavefront6targetE1EEEvT1_,@function
_ZN7rocprim17ROCPRIM_400000_NS6detail17trampoline_kernelINS0_14default_configENS1_25partition_config_selectorILNS1_17partition_subalgoE8EsNS0_10empty_typeEbEEZZNS1_14partition_implILS5_8ELb0ES3_jN6thrust23THRUST_200600_302600_NS6detail15normal_iteratorINSA_10device_ptrIsEEEEPS6_PKS6_NS0_5tupleIJSF_S6_EEENSJ_IJSG_SG_EEENS0_18inequality_wrapperI22is_equal_div_10_uniqueIsEEEPmJS6_EEE10hipError_tPvRmT3_T4_T5_T6_T7_T9_mT8_P12ihipStream_tbDpT10_ENKUlT_T0_E_clISt17integral_constantIbLb1EES19_IbLb0EEEEDaS15_S16_EUlS15_E_NS1_11comp_targetILNS1_3genE0ELNS1_11target_archE4294967295ELNS1_3gpuE0ELNS1_3repE0EEENS1_30default_config_static_selectorELNS0_4arch9wavefront6targetE1EEEvT1_: ; @_ZN7rocprim17ROCPRIM_400000_NS6detail17trampoline_kernelINS0_14default_configENS1_25partition_config_selectorILNS1_17partition_subalgoE8EsNS0_10empty_typeEbEEZZNS1_14partition_implILS5_8ELb0ES3_jN6thrust23THRUST_200600_302600_NS6detail15normal_iteratorINSA_10device_ptrIsEEEEPS6_PKS6_NS0_5tupleIJSF_S6_EEENSJ_IJSG_SG_EEENS0_18inequality_wrapperI22is_equal_div_10_uniqueIsEEEPmJS6_EEE10hipError_tPvRmT3_T4_T5_T6_T7_T9_mT8_P12ihipStream_tbDpT10_ENKUlT_T0_E_clISt17integral_constantIbLb1EES19_IbLb0EEEEDaS15_S16_EUlS15_E_NS1_11comp_targetILNS1_3genE0ELNS1_11target_archE4294967295ELNS1_3gpuE0ELNS1_3repE0EEENS1_30default_config_static_selectorELNS0_4arch9wavefront6targetE1EEEvT1_
; %bb.0:
	.section	.rodata,"a",@progbits
	.p2align	6, 0x0
	.amdhsa_kernel _ZN7rocprim17ROCPRIM_400000_NS6detail17trampoline_kernelINS0_14default_configENS1_25partition_config_selectorILNS1_17partition_subalgoE8EsNS0_10empty_typeEbEEZZNS1_14partition_implILS5_8ELb0ES3_jN6thrust23THRUST_200600_302600_NS6detail15normal_iteratorINSA_10device_ptrIsEEEEPS6_PKS6_NS0_5tupleIJSF_S6_EEENSJ_IJSG_SG_EEENS0_18inequality_wrapperI22is_equal_div_10_uniqueIsEEEPmJS6_EEE10hipError_tPvRmT3_T4_T5_T6_T7_T9_mT8_P12ihipStream_tbDpT10_ENKUlT_T0_E_clISt17integral_constantIbLb1EES19_IbLb0EEEEDaS15_S16_EUlS15_E_NS1_11comp_targetILNS1_3genE0ELNS1_11target_archE4294967295ELNS1_3gpuE0ELNS1_3repE0EEENS1_30default_config_static_selectorELNS0_4arch9wavefront6targetE1EEEvT1_
		.amdhsa_group_segment_fixed_size 0
		.amdhsa_private_segment_fixed_size 0
		.amdhsa_kernarg_size 112
		.amdhsa_user_sgpr_count 6
		.amdhsa_user_sgpr_private_segment_buffer 1
		.amdhsa_user_sgpr_dispatch_ptr 0
		.amdhsa_user_sgpr_queue_ptr 0
		.amdhsa_user_sgpr_kernarg_segment_ptr 1
		.amdhsa_user_sgpr_dispatch_id 0
		.amdhsa_user_sgpr_flat_scratch_init 0
		.amdhsa_user_sgpr_private_segment_size 0
		.amdhsa_uses_dynamic_stack 0
		.amdhsa_system_sgpr_private_segment_wavefront_offset 0
		.amdhsa_system_sgpr_workgroup_id_x 1
		.amdhsa_system_sgpr_workgroup_id_y 0
		.amdhsa_system_sgpr_workgroup_id_z 0
		.amdhsa_system_sgpr_workgroup_info 0
		.amdhsa_system_vgpr_workitem_id 0
		.amdhsa_next_free_vgpr 1
		.amdhsa_next_free_sgpr 0
		.amdhsa_reserve_vcc 0
		.amdhsa_reserve_flat_scratch 0
		.amdhsa_float_round_mode_32 0
		.amdhsa_float_round_mode_16_64 0
		.amdhsa_float_denorm_mode_32 3
		.amdhsa_float_denorm_mode_16_64 3
		.amdhsa_dx10_clamp 1
		.amdhsa_ieee_mode 1
		.amdhsa_fp16_overflow 0
		.amdhsa_exception_fp_ieee_invalid_op 0
		.amdhsa_exception_fp_denorm_src 0
		.amdhsa_exception_fp_ieee_div_zero 0
		.amdhsa_exception_fp_ieee_overflow 0
		.amdhsa_exception_fp_ieee_underflow 0
		.amdhsa_exception_fp_ieee_inexact 0
		.amdhsa_exception_int_div_zero 0
	.end_amdhsa_kernel
	.section	.text._ZN7rocprim17ROCPRIM_400000_NS6detail17trampoline_kernelINS0_14default_configENS1_25partition_config_selectorILNS1_17partition_subalgoE8EsNS0_10empty_typeEbEEZZNS1_14partition_implILS5_8ELb0ES3_jN6thrust23THRUST_200600_302600_NS6detail15normal_iteratorINSA_10device_ptrIsEEEEPS6_PKS6_NS0_5tupleIJSF_S6_EEENSJ_IJSG_SG_EEENS0_18inequality_wrapperI22is_equal_div_10_uniqueIsEEEPmJS6_EEE10hipError_tPvRmT3_T4_T5_T6_T7_T9_mT8_P12ihipStream_tbDpT10_ENKUlT_T0_E_clISt17integral_constantIbLb1EES19_IbLb0EEEEDaS15_S16_EUlS15_E_NS1_11comp_targetILNS1_3genE0ELNS1_11target_archE4294967295ELNS1_3gpuE0ELNS1_3repE0EEENS1_30default_config_static_selectorELNS0_4arch9wavefront6targetE1EEEvT1_,"axG",@progbits,_ZN7rocprim17ROCPRIM_400000_NS6detail17trampoline_kernelINS0_14default_configENS1_25partition_config_selectorILNS1_17partition_subalgoE8EsNS0_10empty_typeEbEEZZNS1_14partition_implILS5_8ELb0ES3_jN6thrust23THRUST_200600_302600_NS6detail15normal_iteratorINSA_10device_ptrIsEEEEPS6_PKS6_NS0_5tupleIJSF_S6_EEENSJ_IJSG_SG_EEENS0_18inequality_wrapperI22is_equal_div_10_uniqueIsEEEPmJS6_EEE10hipError_tPvRmT3_T4_T5_T6_T7_T9_mT8_P12ihipStream_tbDpT10_ENKUlT_T0_E_clISt17integral_constantIbLb1EES19_IbLb0EEEEDaS15_S16_EUlS15_E_NS1_11comp_targetILNS1_3genE0ELNS1_11target_archE4294967295ELNS1_3gpuE0ELNS1_3repE0EEENS1_30default_config_static_selectorELNS0_4arch9wavefront6targetE1EEEvT1_,comdat
.Lfunc_end517:
	.size	_ZN7rocprim17ROCPRIM_400000_NS6detail17trampoline_kernelINS0_14default_configENS1_25partition_config_selectorILNS1_17partition_subalgoE8EsNS0_10empty_typeEbEEZZNS1_14partition_implILS5_8ELb0ES3_jN6thrust23THRUST_200600_302600_NS6detail15normal_iteratorINSA_10device_ptrIsEEEEPS6_PKS6_NS0_5tupleIJSF_S6_EEENSJ_IJSG_SG_EEENS0_18inequality_wrapperI22is_equal_div_10_uniqueIsEEEPmJS6_EEE10hipError_tPvRmT3_T4_T5_T6_T7_T9_mT8_P12ihipStream_tbDpT10_ENKUlT_T0_E_clISt17integral_constantIbLb1EES19_IbLb0EEEEDaS15_S16_EUlS15_E_NS1_11comp_targetILNS1_3genE0ELNS1_11target_archE4294967295ELNS1_3gpuE0ELNS1_3repE0EEENS1_30default_config_static_selectorELNS0_4arch9wavefront6targetE1EEEvT1_, .Lfunc_end517-_ZN7rocprim17ROCPRIM_400000_NS6detail17trampoline_kernelINS0_14default_configENS1_25partition_config_selectorILNS1_17partition_subalgoE8EsNS0_10empty_typeEbEEZZNS1_14partition_implILS5_8ELb0ES3_jN6thrust23THRUST_200600_302600_NS6detail15normal_iteratorINSA_10device_ptrIsEEEEPS6_PKS6_NS0_5tupleIJSF_S6_EEENSJ_IJSG_SG_EEENS0_18inequality_wrapperI22is_equal_div_10_uniqueIsEEEPmJS6_EEE10hipError_tPvRmT3_T4_T5_T6_T7_T9_mT8_P12ihipStream_tbDpT10_ENKUlT_T0_E_clISt17integral_constantIbLb1EES19_IbLb0EEEEDaS15_S16_EUlS15_E_NS1_11comp_targetILNS1_3genE0ELNS1_11target_archE4294967295ELNS1_3gpuE0ELNS1_3repE0EEENS1_30default_config_static_selectorELNS0_4arch9wavefront6targetE1EEEvT1_
                                        ; -- End function
	.set _ZN7rocprim17ROCPRIM_400000_NS6detail17trampoline_kernelINS0_14default_configENS1_25partition_config_selectorILNS1_17partition_subalgoE8EsNS0_10empty_typeEbEEZZNS1_14partition_implILS5_8ELb0ES3_jN6thrust23THRUST_200600_302600_NS6detail15normal_iteratorINSA_10device_ptrIsEEEEPS6_PKS6_NS0_5tupleIJSF_S6_EEENSJ_IJSG_SG_EEENS0_18inequality_wrapperI22is_equal_div_10_uniqueIsEEEPmJS6_EEE10hipError_tPvRmT3_T4_T5_T6_T7_T9_mT8_P12ihipStream_tbDpT10_ENKUlT_T0_E_clISt17integral_constantIbLb1EES19_IbLb0EEEEDaS15_S16_EUlS15_E_NS1_11comp_targetILNS1_3genE0ELNS1_11target_archE4294967295ELNS1_3gpuE0ELNS1_3repE0EEENS1_30default_config_static_selectorELNS0_4arch9wavefront6targetE1EEEvT1_.num_vgpr, 0
	.set _ZN7rocprim17ROCPRIM_400000_NS6detail17trampoline_kernelINS0_14default_configENS1_25partition_config_selectorILNS1_17partition_subalgoE8EsNS0_10empty_typeEbEEZZNS1_14partition_implILS5_8ELb0ES3_jN6thrust23THRUST_200600_302600_NS6detail15normal_iteratorINSA_10device_ptrIsEEEEPS6_PKS6_NS0_5tupleIJSF_S6_EEENSJ_IJSG_SG_EEENS0_18inequality_wrapperI22is_equal_div_10_uniqueIsEEEPmJS6_EEE10hipError_tPvRmT3_T4_T5_T6_T7_T9_mT8_P12ihipStream_tbDpT10_ENKUlT_T0_E_clISt17integral_constantIbLb1EES19_IbLb0EEEEDaS15_S16_EUlS15_E_NS1_11comp_targetILNS1_3genE0ELNS1_11target_archE4294967295ELNS1_3gpuE0ELNS1_3repE0EEENS1_30default_config_static_selectorELNS0_4arch9wavefront6targetE1EEEvT1_.num_agpr, 0
	.set _ZN7rocprim17ROCPRIM_400000_NS6detail17trampoline_kernelINS0_14default_configENS1_25partition_config_selectorILNS1_17partition_subalgoE8EsNS0_10empty_typeEbEEZZNS1_14partition_implILS5_8ELb0ES3_jN6thrust23THRUST_200600_302600_NS6detail15normal_iteratorINSA_10device_ptrIsEEEEPS6_PKS6_NS0_5tupleIJSF_S6_EEENSJ_IJSG_SG_EEENS0_18inequality_wrapperI22is_equal_div_10_uniqueIsEEEPmJS6_EEE10hipError_tPvRmT3_T4_T5_T6_T7_T9_mT8_P12ihipStream_tbDpT10_ENKUlT_T0_E_clISt17integral_constantIbLb1EES19_IbLb0EEEEDaS15_S16_EUlS15_E_NS1_11comp_targetILNS1_3genE0ELNS1_11target_archE4294967295ELNS1_3gpuE0ELNS1_3repE0EEENS1_30default_config_static_selectorELNS0_4arch9wavefront6targetE1EEEvT1_.numbered_sgpr, 0
	.set _ZN7rocprim17ROCPRIM_400000_NS6detail17trampoline_kernelINS0_14default_configENS1_25partition_config_selectorILNS1_17partition_subalgoE8EsNS0_10empty_typeEbEEZZNS1_14partition_implILS5_8ELb0ES3_jN6thrust23THRUST_200600_302600_NS6detail15normal_iteratorINSA_10device_ptrIsEEEEPS6_PKS6_NS0_5tupleIJSF_S6_EEENSJ_IJSG_SG_EEENS0_18inequality_wrapperI22is_equal_div_10_uniqueIsEEEPmJS6_EEE10hipError_tPvRmT3_T4_T5_T6_T7_T9_mT8_P12ihipStream_tbDpT10_ENKUlT_T0_E_clISt17integral_constantIbLb1EES19_IbLb0EEEEDaS15_S16_EUlS15_E_NS1_11comp_targetILNS1_3genE0ELNS1_11target_archE4294967295ELNS1_3gpuE0ELNS1_3repE0EEENS1_30default_config_static_selectorELNS0_4arch9wavefront6targetE1EEEvT1_.num_named_barrier, 0
	.set _ZN7rocprim17ROCPRIM_400000_NS6detail17trampoline_kernelINS0_14default_configENS1_25partition_config_selectorILNS1_17partition_subalgoE8EsNS0_10empty_typeEbEEZZNS1_14partition_implILS5_8ELb0ES3_jN6thrust23THRUST_200600_302600_NS6detail15normal_iteratorINSA_10device_ptrIsEEEEPS6_PKS6_NS0_5tupleIJSF_S6_EEENSJ_IJSG_SG_EEENS0_18inequality_wrapperI22is_equal_div_10_uniqueIsEEEPmJS6_EEE10hipError_tPvRmT3_T4_T5_T6_T7_T9_mT8_P12ihipStream_tbDpT10_ENKUlT_T0_E_clISt17integral_constantIbLb1EES19_IbLb0EEEEDaS15_S16_EUlS15_E_NS1_11comp_targetILNS1_3genE0ELNS1_11target_archE4294967295ELNS1_3gpuE0ELNS1_3repE0EEENS1_30default_config_static_selectorELNS0_4arch9wavefront6targetE1EEEvT1_.private_seg_size, 0
	.set _ZN7rocprim17ROCPRIM_400000_NS6detail17trampoline_kernelINS0_14default_configENS1_25partition_config_selectorILNS1_17partition_subalgoE8EsNS0_10empty_typeEbEEZZNS1_14partition_implILS5_8ELb0ES3_jN6thrust23THRUST_200600_302600_NS6detail15normal_iteratorINSA_10device_ptrIsEEEEPS6_PKS6_NS0_5tupleIJSF_S6_EEENSJ_IJSG_SG_EEENS0_18inequality_wrapperI22is_equal_div_10_uniqueIsEEEPmJS6_EEE10hipError_tPvRmT3_T4_T5_T6_T7_T9_mT8_P12ihipStream_tbDpT10_ENKUlT_T0_E_clISt17integral_constantIbLb1EES19_IbLb0EEEEDaS15_S16_EUlS15_E_NS1_11comp_targetILNS1_3genE0ELNS1_11target_archE4294967295ELNS1_3gpuE0ELNS1_3repE0EEENS1_30default_config_static_selectorELNS0_4arch9wavefront6targetE1EEEvT1_.uses_vcc, 0
	.set _ZN7rocprim17ROCPRIM_400000_NS6detail17trampoline_kernelINS0_14default_configENS1_25partition_config_selectorILNS1_17partition_subalgoE8EsNS0_10empty_typeEbEEZZNS1_14partition_implILS5_8ELb0ES3_jN6thrust23THRUST_200600_302600_NS6detail15normal_iteratorINSA_10device_ptrIsEEEEPS6_PKS6_NS0_5tupleIJSF_S6_EEENSJ_IJSG_SG_EEENS0_18inequality_wrapperI22is_equal_div_10_uniqueIsEEEPmJS6_EEE10hipError_tPvRmT3_T4_T5_T6_T7_T9_mT8_P12ihipStream_tbDpT10_ENKUlT_T0_E_clISt17integral_constantIbLb1EES19_IbLb0EEEEDaS15_S16_EUlS15_E_NS1_11comp_targetILNS1_3genE0ELNS1_11target_archE4294967295ELNS1_3gpuE0ELNS1_3repE0EEENS1_30default_config_static_selectorELNS0_4arch9wavefront6targetE1EEEvT1_.uses_flat_scratch, 0
	.set _ZN7rocprim17ROCPRIM_400000_NS6detail17trampoline_kernelINS0_14default_configENS1_25partition_config_selectorILNS1_17partition_subalgoE8EsNS0_10empty_typeEbEEZZNS1_14partition_implILS5_8ELb0ES3_jN6thrust23THRUST_200600_302600_NS6detail15normal_iteratorINSA_10device_ptrIsEEEEPS6_PKS6_NS0_5tupleIJSF_S6_EEENSJ_IJSG_SG_EEENS0_18inequality_wrapperI22is_equal_div_10_uniqueIsEEEPmJS6_EEE10hipError_tPvRmT3_T4_T5_T6_T7_T9_mT8_P12ihipStream_tbDpT10_ENKUlT_T0_E_clISt17integral_constantIbLb1EES19_IbLb0EEEEDaS15_S16_EUlS15_E_NS1_11comp_targetILNS1_3genE0ELNS1_11target_archE4294967295ELNS1_3gpuE0ELNS1_3repE0EEENS1_30default_config_static_selectorELNS0_4arch9wavefront6targetE1EEEvT1_.has_dyn_sized_stack, 0
	.set _ZN7rocprim17ROCPRIM_400000_NS6detail17trampoline_kernelINS0_14default_configENS1_25partition_config_selectorILNS1_17partition_subalgoE8EsNS0_10empty_typeEbEEZZNS1_14partition_implILS5_8ELb0ES3_jN6thrust23THRUST_200600_302600_NS6detail15normal_iteratorINSA_10device_ptrIsEEEEPS6_PKS6_NS0_5tupleIJSF_S6_EEENSJ_IJSG_SG_EEENS0_18inequality_wrapperI22is_equal_div_10_uniqueIsEEEPmJS6_EEE10hipError_tPvRmT3_T4_T5_T6_T7_T9_mT8_P12ihipStream_tbDpT10_ENKUlT_T0_E_clISt17integral_constantIbLb1EES19_IbLb0EEEEDaS15_S16_EUlS15_E_NS1_11comp_targetILNS1_3genE0ELNS1_11target_archE4294967295ELNS1_3gpuE0ELNS1_3repE0EEENS1_30default_config_static_selectorELNS0_4arch9wavefront6targetE1EEEvT1_.has_recursion, 0
	.set _ZN7rocprim17ROCPRIM_400000_NS6detail17trampoline_kernelINS0_14default_configENS1_25partition_config_selectorILNS1_17partition_subalgoE8EsNS0_10empty_typeEbEEZZNS1_14partition_implILS5_8ELb0ES3_jN6thrust23THRUST_200600_302600_NS6detail15normal_iteratorINSA_10device_ptrIsEEEEPS6_PKS6_NS0_5tupleIJSF_S6_EEENSJ_IJSG_SG_EEENS0_18inequality_wrapperI22is_equal_div_10_uniqueIsEEEPmJS6_EEE10hipError_tPvRmT3_T4_T5_T6_T7_T9_mT8_P12ihipStream_tbDpT10_ENKUlT_T0_E_clISt17integral_constantIbLb1EES19_IbLb0EEEEDaS15_S16_EUlS15_E_NS1_11comp_targetILNS1_3genE0ELNS1_11target_archE4294967295ELNS1_3gpuE0ELNS1_3repE0EEENS1_30default_config_static_selectorELNS0_4arch9wavefront6targetE1EEEvT1_.has_indirect_call, 0
	.section	.AMDGPU.csdata,"",@progbits
; Kernel info:
; codeLenInByte = 0
; TotalNumSgprs: 4
; NumVgprs: 0
; ScratchSize: 0
; MemoryBound: 0
; FloatMode: 240
; IeeeMode: 1
; LDSByteSize: 0 bytes/workgroup (compile time only)
; SGPRBlocks: 0
; VGPRBlocks: 0
; NumSGPRsForWavesPerEU: 4
; NumVGPRsForWavesPerEU: 1
; Occupancy: 10
; WaveLimiterHint : 0
; COMPUTE_PGM_RSRC2:SCRATCH_EN: 0
; COMPUTE_PGM_RSRC2:USER_SGPR: 6
; COMPUTE_PGM_RSRC2:TRAP_HANDLER: 0
; COMPUTE_PGM_RSRC2:TGID_X_EN: 1
; COMPUTE_PGM_RSRC2:TGID_Y_EN: 0
; COMPUTE_PGM_RSRC2:TGID_Z_EN: 0
; COMPUTE_PGM_RSRC2:TIDIG_COMP_CNT: 0
	.section	.text._ZN7rocprim17ROCPRIM_400000_NS6detail17trampoline_kernelINS0_14default_configENS1_25partition_config_selectorILNS1_17partition_subalgoE8EsNS0_10empty_typeEbEEZZNS1_14partition_implILS5_8ELb0ES3_jN6thrust23THRUST_200600_302600_NS6detail15normal_iteratorINSA_10device_ptrIsEEEEPS6_PKS6_NS0_5tupleIJSF_S6_EEENSJ_IJSG_SG_EEENS0_18inequality_wrapperI22is_equal_div_10_uniqueIsEEEPmJS6_EEE10hipError_tPvRmT3_T4_T5_T6_T7_T9_mT8_P12ihipStream_tbDpT10_ENKUlT_T0_E_clISt17integral_constantIbLb1EES19_IbLb0EEEEDaS15_S16_EUlS15_E_NS1_11comp_targetILNS1_3genE5ELNS1_11target_archE942ELNS1_3gpuE9ELNS1_3repE0EEENS1_30default_config_static_selectorELNS0_4arch9wavefront6targetE1EEEvT1_,"axG",@progbits,_ZN7rocprim17ROCPRIM_400000_NS6detail17trampoline_kernelINS0_14default_configENS1_25partition_config_selectorILNS1_17partition_subalgoE8EsNS0_10empty_typeEbEEZZNS1_14partition_implILS5_8ELb0ES3_jN6thrust23THRUST_200600_302600_NS6detail15normal_iteratorINSA_10device_ptrIsEEEEPS6_PKS6_NS0_5tupleIJSF_S6_EEENSJ_IJSG_SG_EEENS0_18inequality_wrapperI22is_equal_div_10_uniqueIsEEEPmJS6_EEE10hipError_tPvRmT3_T4_T5_T6_T7_T9_mT8_P12ihipStream_tbDpT10_ENKUlT_T0_E_clISt17integral_constantIbLb1EES19_IbLb0EEEEDaS15_S16_EUlS15_E_NS1_11comp_targetILNS1_3genE5ELNS1_11target_archE942ELNS1_3gpuE9ELNS1_3repE0EEENS1_30default_config_static_selectorELNS0_4arch9wavefront6targetE1EEEvT1_,comdat
	.protected	_ZN7rocprim17ROCPRIM_400000_NS6detail17trampoline_kernelINS0_14default_configENS1_25partition_config_selectorILNS1_17partition_subalgoE8EsNS0_10empty_typeEbEEZZNS1_14partition_implILS5_8ELb0ES3_jN6thrust23THRUST_200600_302600_NS6detail15normal_iteratorINSA_10device_ptrIsEEEEPS6_PKS6_NS0_5tupleIJSF_S6_EEENSJ_IJSG_SG_EEENS0_18inequality_wrapperI22is_equal_div_10_uniqueIsEEEPmJS6_EEE10hipError_tPvRmT3_T4_T5_T6_T7_T9_mT8_P12ihipStream_tbDpT10_ENKUlT_T0_E_clISt17integral_constantIbLb1EES19_IbLb0EEEEDaS15_S16_EUlS15_E_NS1_11comp_targetILNS1_3genE5ELNS1_11target_archE942ELNS1_3gpuE9ELNS1_3repE0EEENS1_30default_config_static_selectorELNS0_4arch9wavefront6targetE1EEEvT1_ ; -- Begin function _ZN7rocprim17ROCPRIM_400000_NS6detail17trampoline_kernelINS0_14default_configENS1_25partition_config_selectorILNS1_17partition_subalgoE8EsNS0_10empty_typeEbEEZZNS1_14partition_implILS5_8ELb0ES3_jN6thrust23THRUST_200600_302600_NS6detail15normal_iteratorINSA_10device_ptrIsEEEEPS6_PKS6_NS0_5tupleIJSF_S6_EEENSJ_IJSG_SG_EEENS0_18inequality_wrapperI22is_equal_div_10_uniqueIsEEEPmJS6_EEE10hipError_tPvRmT3_T4_T5_T6_T7_T9_mT8_P12ihipStream_tbDpT10_ENKUlT_T0_E_clISt17integral_constantIbLb1EES19_IbLb0EEEEDaS15_S16_EUlS15_E_NS1_11comp_targetILNS1_3genE5ELNS1_11target_archE942ELNS1_3gpuE9ELNS1_3repE0EEENS1_30default_config_static_selectorELNS0_4arch9wavefront6targetE1EEEvT1_
	.globl	_ZN7rocprim17ROCPRIM_400000_NS6detail17trampoline_kernelINS0_14default_configENS1_25partition_config_selectorILNS1_17partition_subalgoE8EsNS0_10empty_typeEbEEZZNS1_14partition_implILS5_8ELb0ES3_jN6thrust23THRUST_200600_302600_NS6detail15normal_iteratorINSA_10device_ptrIsEEEEPS6_PKS6_NS0_5tupleIJSF_S6_EEENSJ_IJSG_SG_EEENS0_18inequality_wrapperI22is_equal_div_10_uniqueIsEEEPmJS6_EEE10hipError_tPvRmT3_T4_T5_T6_T7_T9_mT8_P12ihipStream_tbDpT10_ENKUlT_T0_E_clISt17integral_constantIbLb1EES19_IbLb0EEEEDaS15_S16_EUlS15_E_NS1_11comp_targetILNS1_3genE5ELNS1_11target_archE942ELNS1_3gpuE9ELNS1_3repE0EEENS1_30default_config_static_selectorELNS0_4arch9wavefront6targetE1EEEvT1_
	.p2align	8
	.type	_ZN7rocprim17ROCPRIM_400000_NS6detail17trampoline_kernelINS0_14default_configENS1_25partition_config_selectorILNS1_17partition_subalgoE8EsNS0_10empty_typeEbEEZZNS1_14partition_implILS5_8ELb0ES3_jN6thrust23THRUST_200600_302600_NS6detail15normal_iteratorINSA_10device_ptrIsEEEEPS6_PKS6_NS0_5tupleIJSF_S6_EEENSJ_IJSG_SG_EEENS0_18inequality_wrapperI22is_equal_div_10_uniqueIsEEEPmJS6_EEE10hipError_tPvRmT3_T4_T5_T6_T7_T9_mT8_P12ihipStream_tbDpT10_ENKUlT_T0_E_clISt17integral_constantIbLb1EES19_IbLb0EEEEDaS15_S16_EUlS15_E_NS1_11comp_targetILNS1_3genE5ELNS1_11target_archE942ELNS1_3gpuE9ELNS1_3repE0EEENS1_30default_config_static_selectorELNS0_4arch9wavefront6targetE1EEEvT1_,@function
_ZN7rocprim17ROCPRIM_400000_NS6detail17trampoline_kernelINS0_14default_configENS1_25partition_config_selectorILNS1_17partition_subalgoE8EsNS0_10empty_typeEbEEZZNS1_14partition_implILS5_8ELb0ES3_jN6thrust23THRUST_200600_302600_NS6detail15normal_iteratorINSA_10device_ptrIsEEEEPS6_PKS6_NS0_5tupleIJSF_S6_EEENSJ_IJSG_SG_EEENS0_18inequality_wrapperI22is_equal_div_10_uniqueIsEEEPmJS6_EEE10hipError_tPvRmT3_T4_T5_T6_T7_T9_mT8_P12ihipStream_tbDpT10_ENKUlT_T0_E_clISt17integral_constantIbLb1EES19_IbLb0EEEEDaS15_S16_EUlS15_E_NS1_11comp_targetILNS1_3genE5ELNS1_11target_archE942ELNS1_3gpuE9ELNS1_3repE0EEENS1_30default_config_static_selectorELNS0_4arch9wavefront6targetE1EEEvT1_: ; @_ZN7rocprim17ROCPRIM_400000_NS6detail17trampoline_kernelINS0_14default_configENS1_25partition_config_selectorILNS1_17partition_subalgoE8EsNS0_10empty_typeEbEEZZNS1_14partition_implILS5_8ELb0ES3_jN6thrust23THRUST_200600_302600_NS6detail15normal_iteratorINSA_10device_ptrIsEEEEPS6_PKS6_NS0_5tupleIJSF_S6_EEENSJ_IJSG_SG_EEENS0_18inequality_wrapperI22is_equal_div_10_uniqueIsEEEPmJS6_EEE10hipError_tPvRmT3_T4_T5_T6_T7_T9_mT8_P12ihipStream_tbDpT10_ENKUlT_T0_E_clISt17integral_constantIbLb1EES19_IbLb0EEEEDaS15_S16_EUlS15_E_NS1_11comp_targetILNS1_3genE5ELNS1_11target_archE942ELNS1_3gpuE9ELNS1_3repE0EEENS1_30default_config_static_selectorELNS0_4arch9wavefront6targetE1EEEvT1_
; %bb.0:
	.section	.rodata,"a",@progbits
	.p2align	6, 0x0
	.amdhsa_kernel _ZN7rocprim17ROCPRIM_400000_NS6detail17trampoline_kernelINS0_14default_configENS1_25partition_config_selectorILNS1_17partition_subalgoE8EsNS0_10empty_typeEbEEZZNS1_14partition_implILS5_8ELb0ES3_jN6thrust23THRUST_200600_302600_NS6detail15normal_iteratorINSA_10device_ptrIsEEEEPS6_PKS6_NS0_5tupleIJSF_S6_EEENSJ_IJSG_SG_EEENS0_18inequality_wrapperI22is_equal_div_10_uniqueIsEEEPmJS6_EEE10hipError_tPvRmT3_T4_T5_T6_T7_T9_mT8_P12ihipStream_tbDpT10_ENKUlT_T0_E_clISt17integral_constantIbLb1EES19_IbLb0EEEEDaS15_S16_EUlS15_E_NS1_11comp_targetILNS1_3genE5ELNS1_11target_archE942ELNS1_3gpuE9ELNS1_3repE0EEENS1_30default_config_static_selectorELNS0_4arch9wavefront6targetE1EEEvT1_
		.amdhsa_group_segment_fixed_size 0
		.amdhsa_private_segment_fixed_size 0
		.amdhsa_kernarg_size 112
		.amdhsa_user_sgpr_count 6
		.amdhsa_user_sgpr_private_segment_buffer 1
		.amdhsa_user_sgpr_dispatch_ptr 0
		.amdhsa_user_sgpr_queue_ptr 0
		.amdhsa_user_sgpr_kernarg_segment_ptr 1
		.amdhsa_user_sgpr_dispatch_id 0
		.amdhsa_user_sgpr_flat_scratch_init 0
		.amdhsa_user_sgpr_private_segment_size 0
		.amdhsa_uses_dynamic_stack 0
		.amdhsa_system_sgpr_private_segment_wavefront_offset 0
		.amdhsa_system_sgpr_workgroup_id_x 1
		.amdhsa_system_sgpr_workgroup_id_y 0
		.amdhsa_system_sgpr_workgroup_id_z 0
		.amdhsa_system_sgpr_workgroup_info 0
		.amdhsa_system_vgpr_workitem_id 0
		.amdhsa_next_free_vgpr 1
		.amdhsa_next_free_sgpr 0
		.amdhsa_reserve_vcc 0
		.amdhsa_reserve_flat_scratch 0
		.amdhsa_float_round_mode_32 0
		.amdhsa_float_round_mode_16_64 0
		.amdhsa_float_denorm_mode_32 3
		.amdhsa_float_denorm_mode_16_64 3
		.amdhsa_dx10_clamp 1
		.amdhsa_ieee_mode 1
		.amdhsa_fp16_overflow 0
		.amdhsa_exception_fp_ieee_invalid_op 0
		.amdhsa_exception_fp_denorm_src 0
		.amdhsa_exception_fp_ieee_div_zero 0
		.amdhsa_exception_fp_ieee_overflow 0
		.amdhsa_exception_fp_ieee_underflow 0
		.amdhsa_exception_fp_ieee_inexact 0
		.amdhsa_exception_int_div_zero 0
	.end_amdhsa_kernel
	.section	.text._ZN7rocprim17ROCPRIM_400000_NS6detail17trampoline_kernelINS0_14default_configENS1_25partition_config_selectorILNS1_17partition_subalgoE8EsNS0_10empty_typeEbEEZZNS1_14partition_implILS5_8ELb0ES3_jN6thrust23THRUST_200600_302600_NS6detail15normal_iteratorINSA_10device_ptrIsEEEEPS6_PKS6_NS0_5tupleIJSF_S6_EEENSJ_IJSG_SG_EEENS0_18inequality_wrapperI22is_equal_div_10_uniqueIsEEEPmJS6_EEE10hipError_tPvRmT3_T4_T5_T6_T7_T9_mT8_P12ihipStream_tbDpT10_ENKUlT_T0_E_clISt17integral_constantIbLb1EES19_IbLb0EEEEDaS15_S16_EUlS15_E_NS1_11comp_targetILNS1_3genE5ELNS1_11target_archE942ELNS1_3gpuE9ELNS1_3repE0EEENS1_30default_config_static_selectorELNS0_4arch9wavefront6targetE1EEEvT1_,"axG",@progbits,_ZN7rocprim17ROCPRIM_400000_NS6detail17trampoline_kernelINS0_14default_configENS1_25partition_config_selectorILNS1_17partition_subalgoE8EsNS0_10empty_typeEbEEZZNS1_14partition_implILS5_8ELb0ES3_jN6thrust23THRUST_200600_302600_NS6detail15normal_iteratorINSA_10device_ptrIsEEEEPS6_PKS6_NS0_5tupleIJSF_S6_EEENSJ_IJSG_SG_EEENS0_18inequality_wrapperI22is_equal_div_10_uniqueIsEEEPmJS6_EEE10hipError_tPvRmT3_T4_T5_T6_T7_T9_mT8_P12ihipStream_tbDpT10_ENKUlT_T0_E_clISt17integral_constantIbLb1EES19_IbLb0EEEEDaS15_S16_EUlS15_E_NS1_11comp_targetILNS1_3genE5ELNS1_11target_archE942ELNS1_3gpuE9ELNS1_3repE0EEENS1_30default_config_static_selectorELNS0_4arch9wavefront6targetE1EEEvT1_,comdat
.Lfunc_end518:
	.size	_ZN7rocprim17ROCPRIM_400000_NS6detail17trampoline_kernelINS0_14default_configENS1_25partition_config_selectorILNS1_17partition_subalgoE8EsNS0_10empty_typeEbEEZZNS1_14partition_implILS5_8ELb0ES3_jN6thrust23THRUST_200600_302600_NS6detail15normal_iteratorINSA_10device_ptrIsEEEEPS6_PKS6_NS0_5tupleIJSF_S6_EEENSJ_IJSG_SG_EEENS0_18inequality_wrapperI22is_equal_div_10_uniqueIsEEEPmJS6_EEE10hipError_tPvRmT3_T4_T5_T6_T7_T9_mT8_P12ihipStream_tbDpT10_ENKUlT_T0_E_clISt17integral_constantIbLb1EES19_IbLb0EEEEDaS15_S16_EUlS15_E_NS1_11comp_targetILNS1_3genE5ELNS1_11target_archE942ELNS1_3gpuE9ELNS1_3repE0EEENS1_30default_config_static_selectorELNS0_4arch9wavefront6targetE1EEEvT1_, .Lfunc_end518-_ZN7rocprim17ROCPRIM_400000_NS6detail17trampoline_kernelINS0_14default_configENS1_25partition_config_selectorILNS1_17partition_subalgoE8EsNS0_10empty_typeEbEEZZNS1_14partition_implILS5_8ELb0ES3_jN6thrust23THRUST_200600_302600_NS6detail15normal_iteratorINSA_10device_ptrIsEEEEPS6_PKS6_NS0_5tupleIJSF_S6_EEENSJ_IJSG_SG_EEENS0_18inequality_wrapperI22is_equal_div_10_uniqueIsEEEPmJS6_EEE10hipError_tPvRmT3_T4_T5_T6_T7_T9_mT8_P12ihipStream_tbDpT10_ENKUlT_T0_E_clISt17integral_constantIbLb1EES19_IbLb0EEEEDaS15_S16_EUlS15_E_NS1_11comp_targetILNS1_3genE5ELNS1_11target_archE942ELNS1_3gpuE9ELNS1_3repE0EEENS1_30default_config_static_selectorELNS0_4arch9wavefront6targetE1EEEvT1_
                                        ; -- End function
	.set _ZN7rocprim17ROCPRIM_400000_NS6detail17trampoline_kernelINS0_14default_configENS1_25partition_config_selectorILNS1_17partition_subalgoE8EsNS0_10empty_typeEbEEZZNS1_14partition_implILS5_8ELb0ES3_jN6thrust23THRUST_200600_302600_NS6detail15normal_iteratorINSA_10device_ptrIsEEEEPS6_PKS6_NS0_5tupleIJSF_S6_EEENSJ_IJSG_SG_EEENS0_18inequality_wrapperI22is_equal_div_10_uniqueIsEEEPmJS6_EEE10hipError_tPvRmT3_T4_T5_T6_T7_T9_mT8_P12ihipStream_tbDpT10_ENKUlT_T0_E_clISt17integral_constantIbLb1EES19_IbLb0EEEEDaS15_S16_EUlS15_E_NS1_11comp_targetILNS1_3genE5ELNS1_11target_archE942ELNS1_3gpuE9ELNS1_3repE0EEENS1_30default_config_static_selectorELNS0_4arch9wavefront6targetE1EEEvT1_.num_vgpr, 0
	.set _ZN7rocprim17ROCPRIM_400000_NS6detail17trampoline_kernelINS0_14default_configENS1_25partition_config_selectorILNS1_17partition_subalgoE8EsNS0_10empty_typeEbEEZZNS1_14partition_implILS5_8ELb0ES3_jN6thrust23THRUST_200600_302600_NS6detail15normal_iteratorINSA_10device_ptrIsEEEEPS6_PKS6_NS0_5tupleIJSF_S6_EEENSJ_IJSG_SG_EEENS0_18inequality_wrapperI22is_equal_div_10_uniqueIsEEEPmJS6_EEE10hipError_tPvRmT3_T4_T5_T6_T7_T9_mT8_P12ihipStream_tbDpT10_ENKUlT_T0_E_clISt17integral_constantIbLb1EES19_IbLb0EEEEDaS15_S16_EUlS15_E_NS1_11comp_targetILNS1_3genE5ELNS1_11target_archE942ELNS1_3gpuE9ELNS1_3repE0EEENS1_30default_config_static_selectorELNS0_4arch9wavefront6targetE1EEEvT1_.num_agpr, 0
	.set _ZN7rocprim17ROCPRIM_400000_NS6detail17trampoline_kernelINS0_14default_configENS1_25partition_config_selectorILNS1_17partition_subalgoE8EsNS0_10empty_typeEbEEZZNS1_14partition_implILS5_8ELb0ES3_jN6thrust23THRUST_200600_302600_NS6detail15normal_iteratorINSA_10device_ptrIsEEEEPS6_PKS6_NS0_5tupleIJSF_S6_EEENSJ_IJSG_SG_EEENS0_18inequality_wrapperI22is_equal_div_10_uniqueIsEEEPmJS6_EEE10hipError_tPvRmT3_T4_T5_T6_T7_T9_mT8_P12ihipStream_tbDpT10_ENKUlT_T0_E_clISt17integral_constantIbLb1EES19_IbLb0EEEEDaS15_S16_EUlS15_E_NS1_11comp_targetILNS1_3genE5ELNS1_11target_archE942ELNS1_3gpuE9ELNS1_3repE0EEENS1_30default_config_static_selectorELNS0_4arch9wavefront6targetE1EEEvT1_.numbered_sgpr, 0
	.set _ZN7rocprim17ROCPRIM_400000_NS6detail17trampoline_kernelINS0_14default_configENS1_25partition_config_selectorILNS1_17partition_subalgoE8EsNS0_10empty_typeEbEEZZNS1_14partition_implILS5_8ELb0ES3_jN6thrust23THRUST_200600_302600_NS6detail15normal_iteratorINSA_10device_ptrIsEEEEPS6_PKS6_NS0_5tupleIJSF_S6_EEENSJ_IJSG_SG_EEENS0_18inequality_wrapperI22is_equal_div_10_uniqueIsEEEPmJS6_EEE10hipError_tPvRmT3_T4_T5_T6_T7_T9_mT8_P12ihipStream_tbDpT10_ENKUlT_T0_E_clISt17integral_constantIbLb1EES19_IbLb0EEEEDaS15_S16_EUlS15_E_NS1_11comp_targetILNS1_3genE5ELNS1_11target_archE942ELNS1_3gpuE9ELNS1_3repE0EEENS1_30default_config_static_selectorELNS0_4arch9wavefront6targetE1EEEvT1_.num_named_barrier, 0
	.set _ZN7rocprim17ROCPRIM_400000_NS6detail17trampoline_kernelINS0_14default_configENS1_25partition_config_selectorILNS1_17partition_subalgoE8EsNS0_10empty_typeEbEEZZNS1_14partition_implILS5_8ELb0ES3_jN6thrust23THRUST_200600_302600_NS6detail15normal_iteratorINSA_10device_ptrIsEEEEPS6_PKS6_NS0_5tupleIJSF_S6_EEENSJ_IJSG_SG_EEENS0_18inequality_wrapperI22is_equal_div_10_uniqueIsEEEPmJS6_EEE10hipError_tPvRmT3_T4_T5_T6_T7_T9_mT8_P12ihipStream_tbDpT10_ENKUlT_T0_E_clISt17integral_constantIbLb1EES19_IbLb0EEEEDaS15_S16_EUlS15_E_NS1_11comp_targetILNS1_3genE5ELNS1_11target_archE942ELNS1_3gpuE9ELNS1_3repE0EEENS1_30default_config_static_selectorELNS0_4arch9wavefront6targetE1EEEvT1_.private_seg_size, 0
	.set _ZN7rocprim17ROCPRIM_400000_NS6detail17trampoline_kernelINS0_14default_configENS1_25partition_config_selectorILNS1_17partition_subalgoE8EsNS0_10empty_typeEbEEZZNS1_14partition_implILS5_8ELb0ES3_jN6thrust23THRUST_200600_302600_NS6detail15normal_iteratorINSA_10device_ptrIsEEEEPS6_PKS6_NS0_5tupleIJSF_S6_EEENSJ_IJSG_SG_EEENS0_18inequality_wrapperI22is_equal_div_10_uniqueIsEEEPmJS6_EEE10hipError_tPvRmT3_T4_T5_T6_T7_T9_mT8_P12ihipStream_tbDpT10_ENKUlT_T0_E_clISt17integral_constantIbLb1EES19_IbLb0EEEEDaS15_S16_EUlS15_E_NS1_11comp_targetILNS1_3genE5ELNS1_11target_archE942ELNS1_3gpuE9ELNS1_3repE0EEENS1_30default_config_static_selectorELNS0_4arch9wavefront6targetE1EEEvT1_.uses_vcc, 0
	.set _ZN7rocprim17ROCPRIM_400000_NS6detail17trampoline_kernelINS0_14default_configENS1_25partition_config_selectorILNS1_17partition_subalgoE8EsNS0_10empty_typeEbEEZZNS1_14partition_implILS5_8ELb0ES3_jN6thrust23THRUST_200600_302600_NS6detail15normal_iteratorINSA_10device_ptrIsEEEEPS6_PKS6_NS0_5tupleIJSF_S6_EEENSJ_IJSG_SG_EEENS0_18inequality_wrapperI22is_equal_div_10_uniqueIsEEEPmJS6_EEE10hipError_tPvRmT3_T4_T5_T6_T7_T9_mT8_P12ihipStream_tbDpT10_ENKUlT_T0_E_clISt17integral_constantIbLb1EES19_IbLb0EEEEDaS15_S16_EUlS15_E_NS1_11comp_targetILNS1_3genE5ELNS1_11target_archE942ELNS1_3gpuE9ELNS1_3repE0EEENS1_30default_config_static_selectorELNS0_4arch9wavefront6targetE1EEEvT1_.uses_flat_scratch, 0
	.set _ZN7rocprim17ROCPRIM_400000_NS6detail17trampoline_kernelINS0_14default_configENS1_25partition_config_selectorILNS1_17partition_subalgoE8EsNS0_10empty_typeEbEEZZNS1_14partition_implILS5_8ELb0ES3_jN6thrust23THRUST_200600_302600_NS6detail15normal_iteratorINSA_10device_ptrIsEEEEPS6_PKS6_NS0_5tupleIJSF_S6_EEENSJ_IJSG_SG_EEENS0_18inequality_wrapperI22is_equal_div_10_uniqueIsEEEPmJS6_EEE10hipError_tPvRmT3_T4_T5_T6_T7_T9_mT8_P12ihipStream_tbDpT10_ENKUlT_T0_E_clISt17integral_constantIbLb1EES19_IbLb0EEEEDaS15_S16_EUlS15_E_NS1_11comp_targetILNS1_3genE5ELNS1_11target_archE942ELNS1_3gpuE9ELNS1_3repE0EEENS1_30default_config_static_selectorELNS0_4arch9wavefront6targetE1EEEvT1_.has_dyn_sized_stack, 0
	.set _ZN7rocprim17ROCPRIM_400000_NS6detail17trampoline_kernelINS0_14default_configENS1_25partition_config_selectorILNS1_17partition_subalgoE8EsNS0_10empty_typeEbEEZZNS1_14partition_implILS5_8ELb0ES3_jN6thrust23THRUST_200600_302600_NS6detail15normal_iteratorINSA_10device_ptrIsEEEEPS6_PKS6_NS0_5tupleIJSF_S6_EEENSJ_IJSG_SG_EEENS0_18inequality_wrapperI22is_equal_div_10_uniqueIsEEEPmJS6_EEE10hipError_tPvRmT3_T4_T5_T6_T7_T9_mT8_P12ihipStream_tbDpT10_ENKUlT_T0_E_clISt17integral_constantIbLb1EES19_IbLb0EEEEDaS15_S16_EUlS15_E_NS1_11comp_targetILNS1_3genE5ELNS1_11target_archE942ELNS1_3gpuE9ELNS1_3repE0EEENS1_30default_config_static_selectorELNS0_4arch9wavefront6targetE1EEEvT1_.has_recursion, 0
	.set _ZN7rocprim17ROCPRIM_400000_NS6detail17trampoline_kernelINS0_14default_configENS1_25partition_config_selectorILNS1_17partition_subalgoE8EsNS0_10empty_typeEbEEZZNS1_14partition_implILS5_8ELb0ES3_jN6thrust23THRUST_200600_302600_NS6detail15normal_iteratorINSA_10device_ptrIsEEEEPS6_PKS6_NS0_5tupleIJSF_S6_EEENSJ_IJSG_SG_EEENS0_18inequality_wrapperI22is_equal_div_10_uniqueIsEEEPmJS6_EEE10hipError_tPvRmT3_T4_T5_T6_T7_T9_mT8_P12ihipStream_tbDpT10_ENKUlT_T0_E_clISt17integral_constantIbLb1EES19_IbLb0EEEEDaS15_S16_EUlS15_E_NS1_11comp_targetILNS1_3genE5ELNS1_11target_archE942ELNS1_3gpuE9ELNS1_3repE0EEENS1_30default_config_static_selectorELNS0_4arch9wavefront6targetE1EEEvT1_.has_indirect_call, 0
	.section	.AMDGPU.csdata,"",@progbits
; Kernel info:
; codeLenInByte = 0
; TotalNumSgprs: 4
; NumVgprs: 0
; ScratchSize: 0
; MemoryBound: 0
; FloatMode: 240
; IeeeMode: 1
; LDSByteSize: 0 bytes/workgroup (compile time only)
; SGPRBlocks: 0
; VGPRBlocks: 0
; NumSGPRsForWavesPerEU: 4
; NumVGPRsForWavesPerEU: 1
; Occupancy: 10
; WaveLimiterHint : 0
; COMPUTE_PGM_RSRC2:SCRATCH_EN: 0
; COMPUTE_PGM_RSRC2:USER_SGPR: 6
; COMPUTE_PGM_RSRC2:TRAP_HANDLER: 0
; COMPUTE_PGM_RSRC2:TGID_X_EN: 1
; COMPUTE_PGM_RSRC2:TGID_Y_EN: 0
; COMPUTE_PGM_RSRC2:TGID_Z_EN: 0
; COMPUTE_PGM_RSRC2:TIDIG_COMP_CNT: 0
	.section	.text._ZN7rocprim17ROCPRIM_400000_NS6detail17trampoline_kernelINS0_14default_configENS1_25partition_config_selectorILNS1_17partition_subalgoE8EsNS0_10empty_typeEbEEZZNS1_14partition_implILS5_8ELb0ES3_jN6thrust23THRUST_200600_302600_NS6detail15normal_iteratorINSA_10device_ptrIsEEEEPS6_PKS6_NS0_5tupleIJSF_S6_EEENSJ_IJSG_SG_EEENS0_18inequality_wrapperI22is_equal_div_10_uniqueIsEEEPmJS6_EEE10hipError_tPvRmT3_T4_T5_T6_T7_T9_mT8_P12ihipStream_tbDpT10_ENKUlT_T0_E_clISt17integral_constantIbLb1EES19_IbLb0EEEEDaS15_S16_EUlS15_E_NS1_11comp_targetILNS1_3genE4ELNS1_11target_archE910ELNS1_3gpuE8ELNS1_3repE0EEENS1_30default_config_static_selectorELNS0_4arch9wavefront6targetE1EEEvT1_,"axG",@progbits,_ZN7rocprim17ROCPRIM_400000_NS6detail17trampoline_kernelINS0_14default_configENS1_25partition_config_selectorILNS1_17partition_subalgoE8EsNS0_10empty_typeEbEEZZNS1_14partition_implILS5_8ELb0ES3_jN6thrust23THRUST_200600_302600_NS6detail15normal_iteratorINSA_10device_ptrIsEEEEPS6_PKS6_NS0_5tupleIJSF_S6_EEENSJ_IJSG_SG_EEENS0_18inequality_wrapperI22is_equal_div_10_uniqueIsEEEPmJS6_EEE10hipError_tPvRmT3_T4_T5_T6_T7_T9_mT8_P12ihipStream_tbDpT10_ENKUlT_T0_E_clISt17integral_constantIbLb1EES19_IbLb0EEEEDaS15_S16_EUlS15_E_NS1_11comp_targetILNS1_3genE4ELNS1_11target_archE910ELNS1_3gpuE8ELNS1_3repE0EEENS1_30default_config_static_selectorELNS0_4arch9wavefront6targetE1EEEvT1_,comdat
	.protected	_ZN7rocprim17ROCPRIM_400000_NS6detail17trampoline_kernelINS0_14default_configENS1_25partition_config_selectorILNS1_17partition_subalgoE8EsNS0_10empty_typeEbEEZZNS1_14partition_implILS5_8ELb0ES3_jN6thrust23THRUST_200600_302600_NS6detail15normal_iteratorINSA_10device_ptrIsEEEEPS6_PKS6_NS0_5tupleIJSF_S6_EEENSJ_IJSG_SG_EEENS0_18inequality_wrapperI22is_equal_div_10_uniqueIsEEEPmJS6_EEE10hipError_tPvRmT3_T4_T5_T6_T7_T9_mT8_P12ihipStream_tbDpT10_ENKUlT_T0_E_clISt17integral_constantIbLb1EES19_IbLb0EEEEDaS15_S16_EUlS15_E_NS1_11comp_targetILNS1_3genE4ELNS1_11target_archE910ELNS1_3gpuE8ELNS1_3repE0EEENS1_30default_config_static_selectorELNS0_4arch9wavefront6targetE1EEEvT1_ ; -- Begin function _ZN7rocprim17ROCPRIM_400000_NS6detail17trampoline_kernelINS0_14default_configENS1_25partition_config_selectorILNS1_17partition_subalgoE8EsNS0_10empty_typeEbEEZZNS1_14partition_implILS5_8ELb0ES3_jN6thrust23THRUST_200600_302600_NS6detail15normal_iteratorINSA_10device_ptrIsEEEEPS6_PKS6_NS0_5tupleIJSF_S6_EEENSJ_IJSG_SG_EEENS0_18inequality_wrapperI22is_equal_div_10_uniqueIsEEEPmJS6_EEE10hipError_tPvRmT3_T4_T5_T6_T7_T9_mT8_P12ihipStream_tbDpT10_ENKUlT_T0_E_clISt17integral_constantIbLb1EES19_IbLb0EEEEDaS15_S16_EUlS15_E_NS1_11comp_targetILNS1_3genE4ELNS1_11target_archE910ELNS1_3gpuE8ELNS1_3repE0EEENS1_30default_config_static_selectorELNS0_4arch9wavefront6targetE1EEEvT1_
	.globl	_ZN7rocprim17ROCPRIM_400000_NS6detail17trampoline_kernelINS0_14default_configENS1_25partition_config_selectorILNS1_17partition_subalgoE8EsNS0_10empty_typeEbEEZZNS1_14partition_implILS5_8ELb0ES3_jN6thrust23THRUST_200600_302600_NS6detail15normal_iteratorINSA_10device_ptrIsEEEEPS6_PKS6_NS0_5tupleIJSF_S6_EEENSJ_IJSG_SG_EEENS0_18inequality_wrapperI22is_equal_div_10_uniqueIsEEEPmJS6_EEE10hipError_tPvRmT3_T4_T5_T6_T7_T9_mT8_P12ihipStream_tbDpT10_ENKUlT_T0_E_clISt17integral_constantIbLb1EES19_IbLb0EEEEDaS15_S16_EUlS15_E_NS1_11comp_targetILNS1_3genE4ELNS1_11target_archE910ELNS1_3gpuE8ELNS1_3repE0EEENS1_30default_config_static_selectorELNS0_4arch9wavefront6targetE1EEEvT1_
	.p2align	8
	.type	_ZN7rocprim17ROCPRIM_400000_NS6detail17trampoline_kernelINS0_14default_configENS1_25partition_config_selectorILNS1_17partition_subalgoE8EsNS0_10empty_typeEbEEZZNS1_14partition_implILS5_8ELb0ES3_jN6thrust23THRUST_200600_302600_NS6detail15normal_iteratorINSA_10device_ptrIsEEEEPS6_PKS6_NS0_5tupleIJSF_S6_EEENSJ_IJSG_SG_EEENS0_18inequality_wrapperI22is_equal_div_10_uniqueIsEEEPmJS6_EEE10hipError_tPvRmT3_T4_T5_T6_T7_T9_mT8_P12ihipStream_tbDpT10_ENKUlT_T0_E_clISt17integral_constantIbLb1EES19_IbLb0EEEEDaS15_S16_EUlS15_E_NS1_11comp_targetILNS1_3genE4ELNS1_11target_archE910ELNS1_3gpuE8ELNS1_3repE0EEENS1_30default_config_static_selectorELNS0_4arch9wavefront6targetE1EEEvT1_,@function
_ZN7rocprim17ROCPRIM_400000_NS6detail17trampoline_kernelINS0_14default_configENS1_25partition_config_selectorILNS1_17partition_subalgoE8EsNS0_10empty_typeEbEEZZNS1_14partition_implILS5_8ELb0ES3_jN6thrust23THRUST_200600_302600_NS6detail15normal_iteratorINSA_10device_ptrIsEEEEPS6_PKS6_NS0_5tupleIJSF_S6_EEENSJ_IJSG_SG_EEENS0_18inequality_wrapperI22is_equal_div_10_uniqueIsEEEPmJS6_EEE10hipError_tPvRmT3_T4_T5_T6_T7_T9_mT8_P12ihipStream_tbDpT10_ENKUlT_T0_E_clISt17integral_constantIbLb1EES19_IbLb0EEEEDaS15_S16_EUlS15_E_NS1_11comp_targetILNS1_3genE4ELNS1_11target_archE910ELNS1_3gpuE8ELNS1_3repE0EEENS1_30default_config_static_selectorELNS0_4arch9wavefront6targetE1EEEvT1_: ; @_ZN7rocprim17ROCPRIM_400000_NS6detail17trampoline_kernelINS0_14default_configENS1_25partition_config_selectorILNS1_17partition_subalgoE8EsNS0_10empty_typeEbEEZZNS1_14partition_implILS5_8ELb0ES3_jN6thrust23THRUST_200600_302600_NS6detail15normal_iteratorINSA_10device_ptrIsEEEEPS6_PKS6_NS0_5tupleIJSF_S6_EEENSJ_IJSG_SG_EEENS0_18inequality_wrapperI22is_equal_div_10_uniqueIsEEEPmJS6_EEE10hipError_tPvRmT3_T4_T5_T6_T7_T9_mT8_P12ihipStream_tbDpT10_ENKUlT_T0_E_clISt17integral_constantIbLb1EES19_IbLb0EEEEDaS15_S16_EUlS15_E_NS1_11comp_targetILNS1_3genE4ELNS1_11target_archE910ELNS1_3gpuE8ELNS1_3repE0EEENS1_30default_config_static_selectorELNS0_4arch9wavefront6targetE1EEEvT1_
; %bb.0:
	.section	.rodata,"a",@progbits
	.p2align	6, 0x0
	.amdhsa_kernel _ZN7rocprim17ROCPRIM_400000_NS6detail17trampoline_kernelINS0_14default_configENS1_25partition_config_selectorILNS1_17partition_subalgoE8EsNS0_10empty_typeEbEEZZNS1_14partition_implILS5_8ELb0ES3_jN6thrust23THRUST_200600_302600_NS6detail15normal_iteratorINSA_10device_ptrIsEEEEPS6_PKS6_NS0_5tupleIJSF_S6_EEENSJ_IJSG_SG_EEENS0_18inequality_wrapperI22is_equal_div_10_uniqueIsEEEPmJS6_EEE10hipError_tPvRmT3_T4_T5_T6_T7_T9_mT8_P12ihipStream_tbDpT10_ENKUlT_T0_E_clISt17integral_constantIbLb1EES19_IbLb0EEEEDaS15_S16_EUlS15_E_NS1_11comp_targetILNS1_3genE4ELNS1_11target_archE910ELNS1_3gpuE8ELNS1_3repE0EEENS1_30default_config_static_selectorELNS0_4arch9wavefront6targetE1EEEvT1_
		.amdhsa_group_segment_fixed_size 0
		.amdhsa_private_segment_fixed_size 0
		.amdhsa_kernarg_size 112
		.amdhsa_user_sgpr_count 6
		.amdhsa_user_sgpr_private_segment_buffer 1
		.amdhsa_user_sgpr_dispatch_ptr 0
		.amdhsa_user_sgpr_queue_ptr 0
		.amdhsa_user_sgpr_kernarg_segment_ptr 1
		.amdhsa_user_sgpr_dispatch_id 0
		.amdhsa_user_sgpr_flat_scratch_init 0
		.amdhsa_user_sgpr_private_segment_size 0
		.amdhsa_uses_dynamic_stack 0
		.amdhsa_system_sgpr_private_segment_wavefront_offset 0
		.amdhsa_system_sgpr_workgroup_id_x 1
		.amdhsa_system_sgpr_workgroup_id_y 0
		.amdhsa_system_sgpr_workgroup_id_z 0
		.amdhsa_system_sgpr_workgroup_info 0
		.amdhsa_system_vgpr_workitem_id 0
		.amdhsa_next_free_vgpr 1
		.amdhsa_next_free_sgpr 0
		.amdhsa_reserve_vcc 0
		.amdhsa_reserve_flat_scratch 0
		.amdhsa_float_round_mode_32 0
		.amdhsa_float_round_mode_16_64 0
		.amdhsa_float_denorm_mode_32 3
		.amdhsa_float_denorm_mode_16_64 3
		.amdhsa_dx10_clamp 1
		.amdhsa_ieee_mode 1
		.amdhsa_fp16_overflow 0
		.amdhsa_exception_fp_ieee_invalid_op 0
		.amdhsa_exception_fp_denorm_src 0
		.amdhsa_exception_fp_ieee_div_zero 0
		.amdhsa_exception_fp_ieee_overflow 0
		.amdhsa_exception_fp_ieee_underflow 0
		.amdhsa_exception_fp_ieee_inexact 0
		.amdhsa_exception_int_div_zero 0
	.end_amdhsa_kernel
	.section	.text._ZN7rocprim17ROCPRIM_400000_NS6detail17trampoline_kernelINS0_14default_configENS1_25partition_config_selectorILNS1_17partition_subalgoE8EsNS0_10empty_typeEbEEZZNS1_14partition_implILS5_8ELb0ES3_jN6thrust23THRUST_200600_302600_NS6detail15normal_iteratorINSA_10device_ptrIsEEEEPS6_PKS6_NS0_5tupleIJSF_S6_EEENSJ_IJSG_SG_EEENS0_18inequality_wrapperI22is_equal_div_10_uniqueIsEEEPmJS6_EEE10hipError_tPvRmT3_T4_T5_T6_T7_T9_mT8_P12ihipStream_tbDpT10_ENKUlT_T0_E_clISt17integral_constantIbLb1EES19_IbLb0EEEEDaS15_S16_EUlS15_E_NS1_11comp_targetILNS1_3genE4ELNS1_11target_archE910ELNS1_3gpuE8ELNS1_3repE0EEENS1_30default_config_static_selectorELNS0_4arch9wavefront6targetE1EEEvT1_,"axG",@progbits,_ZN7rocprim17ROCPRIM_400000_NS6detail17trampoline_kernelINS0_14default_configENS1_25partition_config_selectorILNS1_17partition_subalgoE8EsNS0_10empty_typeEbEEZZNS1_14partition_implILS5_8ELb0ES3_jN6thrust23THRUST_200600_302600_NS6detail15normal_iteratorINSA_10device_ptrIsEEEEPS6_PKS6_NS0_5tupleIJSF_S6_EEENSJ_IJSG_SG_EEENS0_18inequality_wrapperI22is_equal_div_10_uniqueIsEEEPmJS6_EEE10hipError_tPvRmT3_T4_T5_T6_T7_T9_mT8_P12ihipStream_tbDpT10_ENKUlT_T0_E_clISt17integral_constantIbLb1EES19_IbLb0EEEEDaS15_S16_EUlS15_E_NS1_11comp_targetILNS1_3genE4ELNS1_11target_archE910ELNS1_3gpuE8ELNS1_3repE0EEENS1_30default_config_static_selectorELNS0_4arch9wavefront6targetE1EEEvT1_,comdat
.Lfunc_end519:
	.size	_ZN7rocprim17ROCPRIM_400000_NS6detail17trampoline_kernelINS0_14default_configENS1_25partition_config_selectorILNS1_17partition_subalgoE8EsNS0_10empty_typeEbEEZZNS1_14partition_implILS5_8ELb0ES3_jN6thrust23THRUST_200600_302600_NS6detail15normal_iteratorINSA_10device_ptrIsEEEEPS6_PKS6_NS0_5tupleIJSF_S6_EEENSJ_IJSG_SG_EEENS0_18inequality_wrapperI22is_equal_div_10_uniqueIsEEEPmJS6_EEE10hipError_tPvRmT3_T4_T5_T6_T7_T9_mT8_P12ihipStream_tbDpT10_ENKUlT_T0_E_clISt17integral_constantIbLb1EES19_IbLb0EEEEDaS15_S16_EUlS15_E_NS1_11comp_targetILNS1_3genE4ELNS1_11target_archE910ELNS1_3gpuE8ELNS1_3repE0EEENS1_30default_config_static_selectorELNS0_4arch9wavefront6targetE1EEEvT1_, .Lfunc_end519-_ZN7rocprim17ROCPRIM_400000_NS6detail17trampoline_kernelINS0_14default_configENS1_25partition_config_selectorILNS1_17partition_subalgoE8EsNS0_10empty_typeEbEEZZNS1_14partition_implILS5_8ELb0ES3_jN6thrust23THRUST_200600_302600_NS6detail15normal_iteratorINSA_10device_ptrIsEEEEPS6_PKS6_NS0_5tupleIJSF_S6_EEENSJ_IJSG_SG_EEENS0_18inequality_wrapperI22is_equal_div_10_uniqueIsEEEPmJS6_EEE10hipError_tPvRmT3_T4_T5_T6_T7_T9_mT8_P12ihipStream_tbDpT10_ENKUlT_T0_E_clISt17integral_constantIbLb1EES19_IbLb0EEEEDaS15_S16_EUlS15_E_NS1_11comp_targetILNS1_3genE4ELNS1_11target_archE910ELNS1_3gpuE8ELNS1_3repE0EEENS1_30default_config_static_selectorELNS0_4arch9wavefront6targetE1EEEvT1_
                                        ; -- End function
	.set _ZN7rocprim17ROCPRIM_400000_NS6detail17trampoline_kernelINS0_14default_configENS1_25partition_config_selectorILNS1_17partition_subalgoE8EsNS0_10empty_typeEbEEZZNS1_14partition_implILS5_8ELb0ES3_jN6thrust23THRUST_200600_302600_NS6detail15normal_iteratorINSA_10device_ptrIsEEEEPS6_PKS6_NS0_5tupleIJSF_S6_EEENSJ_IJSG_SG_EEENS0_18inequality_wrapperI22is_equal_div_10_uniqueIsEEEPmJS6_EEE10hipError_tPvRmT3_T4_T5_T6_T7_T9_mT8_P12ihipStream_tbDpT10_ENKUlT_T0_E_clISt17integral_constantIbLb1EES19_IbLb0EEEEDaS15_S16_EUlS15_E_NS1_11comp_targetILNS1_3genE4ELNS1_11target_archE910ELNS1_3gpuE8ELNS1_3repE0EEENS1_30default_config_static_selectorELNS0_4arch9wavefront6targetE1EEEvT1_.num_vgpr, 0
	.set _ZN7rocprim17ROCPRIM_400000_NS6detail17trampoline_kernelINS0_14default_configENS1_25partition_config_selectorILNS1_17partition_subalgoE8EsNS0_10empty_typeEbEEZZNS1_14partition_implILS5_8ELb0ES3_jN6thrust23THRUST_200600_302600_NS6detail15normal_iteratorINSA_10device_ptrIsEEEEPS6_PKS6_NS0_5tupleIJSF_S6_EEENSJ_IJSG_SG_EEENS0_18inequality_wrapperI22is_equal_div_10_uniqueIsEEEPmJS6_EEE10hipError_tPvRmT3_T4_T5_T6_T7_T9_mT8_P12ihipStream_tbDpT10_ENKUlT_T0_E_clISt17integral_constantIbLb1EES19_IbLb0EEEEDaS15_S16_EUlS15_E_NS1_11comp_targetILNS1_3genE4ELNS1_11target_archE910ELNS1_3gpuE8ELNS1_3repE0EEENS1_30default_config_static_selectorELNS0_4arch9wavefront6targetE1EEEvT1_.num_agpr, 0
	.set _ZN7rocprim17ROCPRIM_400000_NS6detail17trampoline_kernelINS0_14default_configENS1_25partition_config_selectorILNS1_17partition_subalgoE8EsNS0_10empty_typeEbEEZZNS1_14partition_implILS5_8ELb0ES3_jN6thrust23THRUST_200600_302600_NS6detail15normal_iteratorINSA_10device_ptrIsEEEEPS6_PKS6_NS0_5tupleIJSF_S6_EEENSJ_IJSG_SG_EEENS0_18inequality_wrapperI22is_equal_div_10_uniqueIsEEEPmJS6_EEE10hipError_tPvRmT3_T4_T5_T6_T7_T9_mT8_P12ihipStream_tbDpT10_ENKUlT_T0_E_clISt17integral_constantIbLb1EES19_IbLb0EEEEDaS15_S16_EUlS15_E_NS1_11comp_targetILNS1_3genE4ELNS1_11target_archE910ELNS1_3gpuE8ELNS1_3repE0EEENS1_30default_config_static_selectorELNS0_4arch9wavefront6targetE1EEEvT1_.numbered_sgpr, 0
	.set _ZN7rocprim17ROCPRIM_400000_NS6detail17trampoline_kernelINS0_14default_configENS1_25partition_config_selectorILNS1_17partition_subalgoE8EsNS0_10empty_typeEbEEZZNS1_14partition_implILS5_8ELb0ES3_jN6thrust23THRUST_200600_302600_NS6detail15normal_iteratorINSA_10device_ptrIsEEEEPS6_PKS6_NS0_5tupleIJSF_S6_EEENSJ_IJSG_SG_EEENS0_18inequality_wrapperI22is_equal_div_10_uniqueIsEEEPmJS6_EEE10hipError_tPvRmT3_T4_T5_T6_T7_T9_mT8_P12ihipStream_tbDpT10_ENKUlT_T0_E_clISt17integral_constantIbLb1EES19_IbLb0EEEEDaS15_S16_EUlS15_E_NS1_11comp_targetILNS1_3genE4ELNS1_11target_archE910ELNS1_3gpuE8ELNS1_3repE0EEENS1_30default_config_static_selectorELNS0_4arch9wavefront6targetE1EEEvT1_.num_named_barrier, 0
	.set _ZN7rocprim17ROCPRIM_400000_NS6detail17trampoline_kernelINS0_14default_configENS1_25partition_config_selectorILNS1_17partition_subalgoE8EsNS0_10empty_typeEbEEZZNS1_14partition_implILS5_8ELb0ES3_jN6thrust23THRUST_200600_302600_NS6detail15normal_iteratorINSA_10device_ptrIsEEEEPS6_PKS6_NS0_5tupleIJSF_S6_EEENSJ_IJSG_SG_EEENS0_18inequality_wrapperI22is_equal_div_10_uniqueIsEEEPmJS6_EEE10hipError_tPvRmT3_T4_T5_T6_T7_T9_mT8_P12ihipStream_tbDpT10_ENKUlT_T0_E_clISt17integral_constantIbLb1EES19_IbLb0EEEEDaS15_S16_EUlS15_E_NS1_11comp_targetILNS1_3genE4ELNS1_11target_archE910ELNS1_3gpuE8ELNS1_3repE0EEENS1_30default_config_static_selectorELNS0_4arch9wavefront6targetE1EEEvT1_.private_seg_size, 0
	.set _ZN7rocprim17ROCPRIM_400000_NS6detail17trampoline_kernelINS0_14default_configENS1_25partition_config_selectorILNS1_17partition_subalgoE8EsNS0_10empty_typeEbEEZZNS1_14partition_implILS5_8ELb0ES3_jN6thrust23THRUST_200600_302600_NS6detail15normal_iteratorINSA_10device_ptrIsEEEEPS6_PKS6_NS0_5tupleIJSF_S6_EEENSJ_IJSG_SG_EEENS0_18inequality_wrapperI22is_equal_div_10_uniqueIsEEEPmJS6_EEE10hipError_tPvRmT3_T4_T5_T6_T7_T9_mT8_P12ihipStream_tbDpT10_ENKUlT_T0_E_clISt17integral_constantIbLb1EES19_IbLb0EEEEDaS15_S16_EUlS15_E_NS1_11comp_targetILNS1_3genE4ELNS1_11target_archE910ELNS1_3gpuE8ELNS1_3repE0EEENS1_30default_config_static_selectorELNS0_4arch9wavefront6targetE1EEEvT1_.uses_vcc, 0
	.set _ZN7rocprim17ROCPRIM_400000_NS6detail17trampoline_kernelINS0_14default_configENS1_25partition_config_selectorILNS1_17partition_subalgoE8EsNS0_10empty_typeEbEEZZNS1_14partition_implILS5_8ELb0ES3_jN6thrust23THRUST_200600_302600_NS6detail15normal_iteratorINSA_10device_ptrIsEEEEPS6_PKS6_NS0_5tupleIJSF_S6_EEENSJ_IJSG_SG_EEENS0_18inequality_wrapperI22is_equal_div_10_uniqueIsEEEPmJS6_EEE10hipError_tPvRmT3_T4_T5_T6_T7_T9_mT8_P12ihipStream_tbDpT10_ENKUlT_T0_E_clISt17integral_constantIbLb1EES19_IbLb0EEEEDaS15_S16_EUlS15_E_NS1_11comp_targetILNS1_3genE4ELNS1_11target_archE910ELNS1_3gpuE8ELNS1_3repE0EEENS1_30default_config_static_selectorELNS0_4arch9wavefront6targetE1EEEvT1_.uses_flat_scratch, 0
	.set _ZN7rocprim17ROCPRIM_400000_NS6detail17trampoline_kernelINS0_14default_configENS1_25partition_config_selectorILNS1_17partition_subalgoE8EsNS0_10empty_typeEbEEZZNS1_14partition_implILS5_8ELb0ES3_jN6thrust23THRUST_200600_302600_NS6detail15normal_iteratorINSA_10device_ptrIsEEEEPS6_PKS6_NS0_5tupleIJSF_S6_EEENSJ_IJSG_SG_EEENS0_18inequality_wrapperI22is_equal_div_10_uniqueIsEEEPmJS6_EEE10hipError_tPvRmT3_T4_T5_T6_T7_T9_mT8_P12ihipStream_tbDpT10_ENKUlT_T0_E_clISt17integral_constantIbLb1EES19_IbLb0EEEEDaS15_S16_EUlS15_E_NS1_11comp_targetILNS1_3genE4ELNS1_11target_archE910ELNS1_3gpuE8ELNS1_3repE0EEENS1_30default_config_static_selectorELNS0_4arch9wavefront6targetE1EEEvT1_.has_dyn_sized_stack, 0
	.set _ZN7rocprim17ROCPRIM_400000_NS6detail17trampoline_kernelINS0_14default_configENS1_25partition_config_selectorILNS1_17partition_subalgoE8EsNS0_10empty_typeEbEEZZNS1_14partition_implILS5_8ELb0ES3_jN6thrust23THRUST_200600_302600_NS6detail15normal_iteratorINSA_10device_ptrIsEEEEPS6_PKS6_NS0_5tupleIJSF_S6_EEENSJ_IJSG_SG_EEENS0_18inequality_wrapperI22is_equal_div_10_uniqueIsEEEPmJS6_EEE10hipError_tPvRmT3_T4_T5_T6_T7_T9_mT8_P12ihipStream_tbDpT10_ENKUlT_T0_E_clISt17integral_constantIbLb1EES19_IbLb0EEEEDaS15_S16_EUlS15_E_NS1_11comp_targetILNS1_3genE4ELNS1_11target_archE910ELNS1_3gpuE8ELNS1_3repE0EEENS1_30default_config_static_selectorELNS0_4arch9wavefront6targetE1EEEvT1_.has_recursion, 0
	.set _ZN7rocprim17ROCPRIM_400000_NS6detail17trampoline_kernelINS0_14default_configENS1_25partition_config_selectorILNS1_17partition_subalgoE8EsNS0_10empty_typeEbEEZZNS1_14partition_implILS5_8ELb0ES3_jN6thrust23THRUST_200600_302600_NS6detail15normal_iteratorINSA_10device_ptrIsEEEEPS6_PKS6_NS0_5tupleIJSF_S6_EEENSJ_IJSG_SG_EEENS0_18inequality_wrapperI22is_equal_div_10_uniqueIsEEEPmJS6_EEE10hipError_tPvRmT3_T4_T5_T6_T7_T9_mT8_P12ihipStream_tbDpT10_ENKUlT_T0_E_clISt17integral_constantIbLb1EES19_IbLb0EEEEDaS15_S16_EUlS15_E_NS1_11comp_targetILNS1_3genE4ELNS1_11target_archE910ELNS1_3gpuE8ELNS1_3repE0EEENS1_30default_config_static_selectorELNS0_4arch9wavefront6targetE1EEEvT1_.has_indirect_call, 0
	.section	.AMDGPU.csdata,"",@progbits
; Kernel info:
; codeLenInByte = 0
; TotalNumSgprs: 4
; NumVgprs: 0
; ScratchSize: 0
; MemoryBound: 0
; FloatMode: 240
; IeeeMode: 1
; LDSByteSize: 0 bytes/workgroup (compile time only)
; SGPRBlocks: 0
; VGPRBlocks: 0
; NumSGPRsForWavesPerEU: 4
; NumVGPRsForWavesPerEU: 1
; Occupancy: 10
; WaveLimiterHint : 0
; COMPUTE_PGM_RSRC2:SCRATCH_EN: 0
; COMPUTE_PGM_RSRC2:USER_SGPR: 6
; COMPUTE_PGM_RSRC2:TRAP_HANDLER: 0
; COMPUTE_PGM_RSRC2:TGID_X_EN: 1
; COMPUTE_PGM_RSRC2:TGID_Y_EN: 0
; COMPUTE_PGM_RSRC2:TGID_Z_EN: 0
; COMPUTE_PGM_RSRC2:TIDIG_COMP_CNT: 0
	.section	.text._ZN7rocprim17ROCPRIM_400000_NS6detail17trampoline_kernelINS0_14default_configENS1_25partition_config_selectorILNS1_17partition_subalgoE8EsNS0_10empty_typeEbEEZZNS1_14partition_implILS5_8ELb0ES3_jN6thrust23THRUST_200600_302600_NS6detail15normal_iteratorINSA_10device_ptrIsEEEEPS6_PKS6_NS0_5tupleIJSF_S6_EEENSJ_IJSG_SG_EEENS0_18inequality_wrapperI22is_equal_div_10_uniqueIsEEEPmJS6_EEE10hipError_tPvRmT3_T4_T5_T6_T7_T9_mT8_P12ihipStream_tbDpT10_ENKUlT_T0_E_clISt17integral_constantIbLb1EES19_IbLb0EEEEDaS15_S16_EUlS15_E_NS1_11comp_targetILNS1_3genE3ELNS1_11target_archE908ELNS1_3gpuE7ELNS1_3repE0EEENS1_30default_config_static_selectorELNS0_4arch9wavefront6targetE1EEEvT1_,"axG",@progbits,_ZN7rocprim17ROCPRIM_400000_NS6detail17trampoline_kernelINS0_14default_configENS1_25partition_config_selectorILNS1_17partition_subalgoE8EsNS0_10empty_typeEbEEZZNS1_14partition_implILS5_8ELb0ES3_jN6thrust23THRUST_200600_302600_NS6detail15normal_iteratorINSA_10device_ptrIsEEEEPS6_PKS6_NS0_5tupleIJSF_S6_EEENSJ_IJSG_SG_EEENS0_18inequality_wrapperI22is_equal_div_10_uniqueIsEEEPmJS6_EEE10hipError_tPvRmT3_T4_T5_T6_T7_T9_mT8_P12ihipStream_tbDpT10_ENKUlT_T0_E_clISt17integral_constantIbLb1EES19_IbLb0EEEEDaS15_S16_EUlS15_E_NS1_11comp_targetILNS1_3genE3ELNS1_11target_archE908ELNS1_3gpuE7ELNS1_3repE0EEENS1_30default_config_static_selectorELNS0_4arch9wavefront6targetE1EEEvT1_,comdat
	.protected	_ZN7rocprim17ROCPRIM_400000_NS6detail17trampoline_kernelINS0_14default_configENS1_25partition_config_selectorILNS1_17partition_subalgoE8EsNS0_10empty_typeEbEEZZNS1_14partition_implILS5_8ELb0ES3_jN6thrust23THRUST_200600_302600_NS6detail15normal_iteratorINSA_10device_ptrIsEEEEPS6_PKS6_NS0_5tupleIJSF_S6_EEENSJ_IJSG_SG_EEENS0_18inequality_wrapperI22is_equal_div_10_uniqueIsEEEPmJS6_EEE10hipError_tPvRmT3_T4_T5_T6_T7_T9_mT8_P12ihipStream_tbDpT10_ENKUlT_T0_E_clISt17integral_constantIbLb1EES19_IbLb0EEEEDaS15_S16_EUlS15_E_NS1_11comp_targetILNS1_3genE3ELNS1_11target_archE908ELNS1_3gpuE7ELNS1_3repE0EEENS1_30default_config_static_selectorELNS0_4arch9wavefront6targetE1EEEvT1_ ; -- Begin function _ZN7rocprim17ROCPRIM_400000_NS6detail17trampoline_kernelINS0_14default_configENS1_25partition_config_selectorILNS1_17partition_subalgoE8EsNS0_10empty_typeEbEEZZNS1_14partition_implILS5_8ELb0ES3_jN6thrust23THRUST_200600_302600_NS6detail15normal_iteratorINSA_10device_ptrIsEEEEPS6_PKS6_NS0_5tupleIJSF_S6_EEENSJ_IJSG_SG_EEENS0_18inequality_wrapperI22is_equal_div_10_uniqueIsEEEPmJS6_EEE10hipError_tPvRmT3_T4_T5_T6_T7_T9_mT8_P12ihipStream_tbDpT10_ENKUlT_T0_E_clISt17integral_constantIbLb1EES19_IbLb0EEEEDaS15_S16_EUlS15_E_NS1_11comp_targetILNS1_3genE3ELNS1_11target_archE908ELNS1_3gpuE7ELNS1_3repE0EEENS1_30default_config_static_selectorELNS0_4arch9wavefront6targetE1EEEvT1_
	.globl	_ZN7rocprim17ROCPRIM_400000_NS6detail17trampoline_kernelINS0_14default_configENS1_25partition_config_selectorILNS1_17partition_subalgoE8EsNS0_10empty_typeEbEEZZNS1_14partition_implILS5_8ELb0ES3_jN6thrust23THRUST_200600_302600_NS6detail15normal_iteratorINSA_10device_ptrIsEEEEPS6_PKS6_NS0_5tupleIJSF_S6_EEENSJ_IJSG_SG_EEENS0_18inequality_wrapperI22is_equal_div_10_uniqueIsEEEPmJS6_EEE10hipError_tPvRmT3_T4_T5_T6_T7_T9_mT8_P12ihipStream_tbDpT10_ENKUlT_T0_E_clISt17integral_constantIbLb1EES19_IbLb0EEEEDaS15_S16_EUlS15_E_NS1_11comp_targetILNS1_3genE3ELNS1_11target_archE908ELNS1_3gpuE7ELNS1_3repE0EEENS1_30default_config_static_selectorELNS0_4arch9wavefront6targetE1EEEvT1_
	.p2align	8
	.type	_ZN7rocprim17ROCPRIM_400000_NS6detail17trampoline_kernelINS0_14default_configENS1_25partition_config_selectorILNS1_17partition_subalgoE8EsNS0_10empty_typeEbEEZZNS1_14partition_implILS5_8ELb0ES3_jN6thrust23THRUST_200600_302600_NS6detail15normal_iteratorINSA_10device_ptrIsEEEEPS6_PKS6_NS0_5tupleIJSF_S6_EEENSJ_IJSG_SG_EEENS0_18inequality_wrapperI22is_equal_div_10_uniqueIsEEEPmJS6_EEE10hipError_tPvRmT3_T4_T5_T6_T7_T9_mT8_P12ihipStream_tbDpT10_ENKUlT_T0_E_clISt17integral_constantIbLb1EES19_IbLb0EEEEDaS15_S16_EUlS15_E_NS1_11comp_targetILNS1_3genE3ELNS1_11target_archE908ELNS1_3gpuE7ELNS1_3repE0EEENS1_30default_config_static_selectorELNS0_4arch9wavefront6targetE1EEEvT1_,@function
_ZN7rocprim17ROCPRIM_400000_NS6detail17trampoline_kernelINS0_14default_configENS1_25partition_config_selectorILNS1_17partition_subalgoE8EsNS0_10empty_typeEbEEZZNS1_14partition_implILS5_8ELb0ES3_jN6thrust23THRUST_200600_302600_NS6detail15normal_iteratorINSA_10device_ptrIsEEEEPS6_PKS6_NS0_5tupleIJSF_S6_EEENSJ_IJSG_SG_EEENS0_18inequality_wrapperI22is_equal_div_10_uniqueIsEEEPmJS6_EEE10hipError_tPvRmT3_T4_T5_T6_T7_T9_mT8_P12ihipStream_tbDpT10_ENKUlT_T0_E_clISt17integral_constantIbLb1EES19_IbLb0EEEEDaS15_S16_EUlS15_E_NS1_11comp_targetILNS1_3genE3ELNS1_11target_archE908ELNS1_3gpuE7ELNS1_3repE0EEENS1_30default_config_static_selectorELNS0_4arch9wavefront6targetE1EEEvT1_: ; @_ZN7rocprim17ROCPRIM_400000_NS6detail17trampoline_kernelINS0_14default_configENS1_25partition_config_selectorILNS1_17partition_subalgoE8EsNS0_10empty_typeEbEEZZNS1_14partition_implILS5_8ELb0ES3_jN6thrust23THRUST_200600_302600_NS6detail15normal_iteratorINSA_10device_ptrIsEEEEPS6_PKS6_NS0_5tupleIJSF_S6_EEENSJ_IJSG_SG_EEENS0_18inequality_wrapperI22is_equal_div_10_uniqueIsEEEPmJS6_EEE10hipError_tPvRmT3_T4_T5_T6_T7_T9_mT8_P12ihipStream_tbDpT10_ENKUlT_T0_E_clISt17integral_constantIbLb1EES19_IbLb0EEEEDaS15_S16_EUlS15_E_NS1_11comp_targetILNS1_3genE3ELNS1_11target_archE908ELNS1_3gpuE7ELNS1_3repE0EEENS1_30default_config_static_selectorELNS0_4arch9wavefront6targetE1EEEvT1_
; %bb.0:
	.section	.rodata,"a",@progbits
	.p2align	6, 0x0
	.amdhsa_kernel _ZN7rocprim17ROCPRIM_400000_NS6detail17trampoline_kernelINS0_14default_configENS1_25partition_config_selectorILNS1_17partition_subalgoE8EsNS0_10empty_typeEbEEZZNS1_14partition_implILS5_8ELb0ES3_jN6thrust23THRUST_200600_302600_NS6detail15normal_iteratorINSA_10device_ptrIsEEEEPS6_PKS6_NS0_5tupleIJSF_S6_EEENSJ_IJSG_SG_EEENS0_18inequality_wrapperI22is_equal_div_10_uniqueIsEEEPmJS6_EEE10hipError_tPvRmT3_T4_T5_T6_T7_T9_mT8_P12ihipStream_tbDpT10_ENKUlT_T0_E_clISt17integral_constantIbLb1EES19_IbLb0EEEEDaS15_S16_EUlS15_E_NS1_11comp_targetILNS1_3genE3ELNS1_11target_archE908ELNS1_3gpuE7ELNS1_3repE0EEENS1_30default_config_static_selectorELNS0_4arch9wavefront6targetE1EEEvT1_
		.amdhsa_group_segment_fixed_size 0
		.amdhsa_private_segment_fixed_size 0
		.amdhsa_kernarg_size 112
		.amdhsa_user_sgpr_count 6
		.amdhsa_user_sgpr_private_segment_buffer 1
		.amdhsa_user_sgpr_dispatch_ptr 0
		.amdhsa_user_sgpr_queue_ptr 0
		.amdhsa_user_sgpr_kernarg_segment_ptr 1
		.amdhsa_user_sgpr_dispatch_id 0
		.amdhsa_user_sgpr_flat_scratch_init 0
		.amdhsa_user_sgpr_private_segment_size 0
		.amdhsa_uses_dynamic_stack 0
		.amdhsa_system_sgpr_private_segment_wavefront_offset 0
		.amdhsa_system_sgpr_workgroup_id_x 1
		.amdhsa_system_sgpr_workgroup_id_y 0
		.amdhsa_system_sgpr_workgroup_id_z 0
		.amdhsa_system_sgpr_workgroup_info 0
		.amdhsa_system_vgpr_workitem_id 0
		.amdhsa_next_free_vgpr 1
		.amdhsa_next_free_sgpr 0
		.amdhsa_reserve_vcc 0
		.amdhsa_reserve_flat_scratch 0
		.amdhsa_float_round_mode_32 0
		.amdhsa_float_round_mode_16_64 0
		.amdhsa_float_denorm_mode_32 3
		.amdhsa_float_denorm_mode_16_64 3
		.amdhsa_dx10_clamp 1
		.amdhsa_ieee_mode 1
		.amdhsa_fp16_overflow 0
		.amdhsa_exception_fp_ieee_invalid_op 0
		.amdhsa_exception_fp_denorm_src 0
		.amdhsa_exception_fp_ieee_div_zero 0
		.amdhsa_exception_fp_ieee_overflow 0
		.amdhsa_exception_fp_ieee_underflow 0
		.amdhsa_exception_fp_ieee_inexact 0
		.amdhsa_exception_int_div_zero 0
	.end_amdhsa_kernel
	.section	.text._ZN7rocprim17ROCPRIM_400000_NS6detail17trampoline_kernelINS0_14default_configENS1_25partition_config_selectorILNS1_17partition_subalgoE8EsNS0_10empty_typeEbEEZZNS1_14partition_implILS5_8ELb0ES3_jN6thrust23THRUST_200600_302600_NS6detail15normal_iteratorINSA_10device_ptrIsEEEEPS6_PKS6_NS0_5tupleIJSF_S6_EEENSJ_IJSG_SG_EEENS0_18inequality_wrapperI22is_equal_div_10_uniqueIsEEEPmJS6_EEE10hipError_tPvRmT3_T4_T5_T6_T7_T9_mT8_P12ihipStream_tbDpT10_ENKUlT_T0_E_clISt17integral_constantIbLb1EES19_IbLb0EEEEDaS15_S16_EUlS15_E_NS1_11comp_targetILNS1_3genE3ELNS1_11target_archE908ELNS1_3gpuE7ELNS1_3repE0EEENS1_30default_config_static_selectorELNS0_4arch9wavefront6targetE1EEEvT1_,"axG",@progbits,_ZN7rocprim17ROCPRIM_400000_NS6detail17trampoline_kernelINS0_14default_configENS1_25partition_config_selectorILNS1_17partition_subalgoE8EsNS0_10empty_typeEbEEZZNS1_14partition_implILS5_8ELb0ES3_jN6thrust23THRUST_200600_302600_NS6detail15normal_iteratorINSA_10device_ptrIsEEEEPS6_PKS6_NS0_5tupleIJSF_S6_EEENSJ_IJSG_SG_EEENS0_18inequality_wrapperI22is_equal_div_10_uniqueIsEEEPmJS6_EEE10hipError_tPvRmT3_T4_T5_T6_T7_T9_mT8_P12ihipStream_tbDpT10_ENKUlT_T0_E_clISt17integral_constantIbLb1EES19_IbLb0EEEEDaS15_S16_EUlS15_E_NS1_11comp_targetILNS1_3genE3ELNS1_11target_archE908ELNS1_3gpuE7ELNS1_3repE0EEENS1_30default_config_static_selectorELNS0_4arch9wavefront6targetE1EEEvT1_,comdat
.Lfunc_end520:
	.size	_ZN7rocprim17ROCPRIM_400000_NS6detail17trampoline_kernelINS0_14default_configENS1_25partition_config_selectorILNS1_17partition_subalgoE8EsNS0_10empty_typeEbEEZZNS1_14partition_implILS5_8ELb0ES3_jN6thrust23THRUST_200600_302600_NS6detail15normal_iteratorINSA_10device_ptrIsEEEEPS6_PKS6_NS0_5tupleIJSF_S6_EEENSJ_IJSG_SG_EEENS0_18inequality_wrapperI22is_equal_div_10_uniqueIsEEEPmJS6_EEE10hipError_tPvRmT3_T4_T5_T6_T7_T9_mT8_P12ihipStream_tbDpT10_ENKUlT_T0_E_clISt17integral_constantIbLb1EES19_IbLb0EEEEDaS15_S16_EUlS15_E_NS1_11comp_targetILNS1_3genE3ELNS1_11target_archE908ELNS1_3gpuE7ELNS1_3repE0EEENS1_30default_config_static_selectorELNS0_4arch9wavefront6targetE1EEEvT1_, .Lfunc_end520-_ZN7rocprim17ROCPRIM_400000_NS6detail17trampoline_kernelINS0_14default_configENS1_25partition_config_selectorILNS1_17partition_subalgoE8EsNS0_10empty_typeEbEEZZNS1_14partition_implILS5_8ELb0ES3_jN6thrust23THRUST_200600_302600_NS6detail15normal_iteratorINSA_10device_ptrIsEEEEPS6_PKS6_NS0_5tupleIJSF_S6_EEENSJ_IJSG_SG_EEENS0_18inequality_wrapperI22is_equal_div_10_uniqueIsEEEPmJS6_EEE10hipError_tPvRmT3_T4_T5_T6_T7_T9_mT8_P12ihipStream_tbDpT10_ENKUlT_T0_E_clISt17integral_constantIbLb1EES19_IbLb0EEEEDaS15_S16_EUlS15_E_NS1_11comp_targetILNS1_3genE3ELNS1_11target_archE908ELNS1_3gpuE7ELNS1_3repE0EEENS1_30default_config_static_selectorELNS0_4arch9wavefront6targetE1EEEvT1_
                                        ; -- End function
	.set _ZN7rocprim17ROCPRIM_400000_NS6detail17trampoline_kernelINS0_14default_configENS1_25partition_config_selectorILNS1_17partition_subalgoE8EsNS0_10empty_typeEbEEZZNS1_14partition_implILS5_8ELb0ES3_jN6thrust23THRUST_200600_302600_NS6detail15normal_iteratorINSA_10device_ptrIsEEEEPS6_PKS6_NS0_5tupleIJSF_S6_EEENSJ_IJSG_SG_EEENS0_18inequality_wrapperI22is_equal_div_10_uniqueIsEEEPmJS6_EEE10hipError_tPvRmT3_T4_T5_T6_T7_T9_mT8_P12ihipStream_tbDpT10_ENKUlT_T0_E_clISt17integral_constantIbLb1EES19_IbLb0EEEEDaS15_S16_EUlS15_E_NS1_11comp_targetILNS1_3genE3ELNS1_11target_archE908ELNS1_3gpuE7ELNS1_3repE0EEENS1_30default_config_static_selectorELNS0_4arch9wavefront6targetE1EEEvT1_.num_vgpr, 0
	.set _ZN7rocprim17ROCPRIM_400000_NS6detail17trampoline_kernelINS0_14default_configENS1_25partition_config_selectorILNS1_17partition_subalgoE8EsNS0_10empty_typeEbEEZZNS1_14partition_implILS5_8ELb0ES3_jN6thrust23THRUST_200600_302600_NS6detail15normal_iteratorINSA_10device_ptrIsEEEEPS6_PKS6_NS0_5tupleIJSF_S6_EEENSJ_IJSG_SG_EEENS0_18inequality_wrapperI22is_equal_div_10_uniqueIsEEEPmJS6_EEE10hipError_tPvRmT3_T4_T5_T6_T7_T9_mT8_P12ihipStream_tbDpT10_ENKUlT_T0_E_clISt17integral_constantIbLb1EES19_IbLb0EEEEDaS15_S16_EUlS15_E_NS1_11comp_targetILNS1_3genE3ELNS1_11target_archE908ELNS1_3gpuE7ELNS1_3repE0EEENS1_30default_config_static_selectorELNS0_4arch9wavefront6targetE1EEEvT1_.num_agpr, 0
	.set _ZN7rocprim17ROCPRIM_400000_NS6detail17trampoline_kernelINS0_14default_configENS1_25partition_config_selectorILNS1_17partition_subalgoE8EsNS0_10empty_typeEbEEZZNS1_14partition_implILS5_8ELb0ES3_jN6thrust23THRUST_200600_302600_NS6detail15normal_iteratorINSA_10device_ptrIsEEEEPS6_PKS6_NS0_5tupleIJSF_S6_EEENSJ_IJSG_SG_EEENS0_18inequality_wrapperI22is_equal_div_10_uniqueIsEEEPmJS6_EEE10hipError_tPvRmT3_T4_T5_T6_T7_T9_mT8_P12ihipStream_tbDpT10_ENKUlT_T0_E_clISt17integral_constantIbLb1EES19_IbLb0EEEEDaS15_S16_EUlS15_E_NS1_11comp_targetILNS1_3genE3ELNS1_11target_archE908ELNS1_3gpuE7ELNS1_3repE0EEENS1_30default_config_static_selectorELNS0_4arch9wavefront6targetE1EEEvT1_.numbered_sgpr, 0
	.set _ZN7rocprim17ROCPRIM_400000_NS6detail17trampoline_kernelINS0_14default_configENS1_25partition_config_selectorILNS1_17partition_subalgoE8EsNS0_10empty_typeEbEEZZNS1_14partition_implILS5_8ELb0ES3_jN6thrust23THRUST_200600_302600_NS6detail15normal_iteratorINSA_10device_ptrIsEEEEPS6_PKS6_NS0_5tupleIJSF_S6_EEENSJ_IJSG_SG_EEENS0_18inequality_wrapperI22is_equal_div_10_uniqueIsEEEPmJS6_EEE10hipError_tPvRmT3_T4_T5_T6_T7_T9_mT8_P12ihipStream_tbDpT10_ENKUlT_T0_E_clISt17integral_constantIbLb1EES19_IbLb0EEEEDaS15_S16_EUlS15_E_NS1_11comp_targetILNS1_3genE3ELNS1_11target_archE908ELNS1_3gpuE7ELNS1_3repE0EEENS1_30default_config_static_selectorELNS0_4arch9wavefront6targetE1EEEvT1_.num_named_barrier, 0
	.set _ZN7rocprim17ROCPRIM_400000_NS6detail17trampoline_kernelINS0_14default_configENS1_25partition_config_selectorILNS1_17partition_subalgoE8EsNS0_10empty_typeEbEEZZNS1_14partition_implILS5_8ELb0ES3_jN6thrust23THRUST_200600_302600_NS6detail15normal_iteratorINSA_10device_ptrIsEEEEPS6_PKS6_NS0_5tupleIJSF_S6_EEENSJ_IJSG_SG_EEENS0_18inequality_wrapperI22is_equal_div_10_uniqueIsEEEPmJS6_EEE10hipError_tPvRmT3_T4_T5_T6_T7_T9_mT8_P12ihipStream_tbDpT10_ENKUlT_T0_E_clISt17integral_constantIbLb1EES19_IbLb0EEEEDaS15_S16_EUlS15_E_NS1_11comp_targetILNS1_3genE3ELNS1_11target_archE908ELNS1_3gpuE7ELNS1_3repE0EEENS1_30default_config_static_selectorELNS0_4arch9wavefront6targetE1EEEvT1_.private_seg_size, 0
	.set _ZN7rocprim17ROCPRIM_400000_NS6detail17trampoline_kernelINS0_14default_configENS1_25partition_config_selectorILNS1_17partition_subalgoE8EsNS0_10empty_typeEbEEZZNS1_14partition_implILS5_8ELb0ES3_jN6thrust23THRUST_200600_302600_NS6detail15normal_iteratorINSA_10device_ptrIsEEEEPS6_PKS6_NS0_5tupleIJSF_S6_EEENSJ_IJSG_SG_EEENS0_18inequality_wrapperI22is_equal_div_10_uniqueIsEEEPmJS6_EEE10hipError_tPvRmT3_T4_T5_T6_T7_T9_mT8_P12ihipStream_tbDpT10_ENKUlT_T0_E_clISt17integral_constantIbLb1EES19_IbLb0EEEEDaS15_S16_EUlS15_E_NS1_11comp_targetILNS1_3genE3ELNS1_11target_archE908ELNS1_3gpuE7ELNS1_3repE0EEENS1_30default_config_static_selectorELNS0_4arch9wavefront6targetE1EEEvT1_.uses_vcc, 0
	.set _ZN7rocprim17ROCPRIM_400000_NS6detail17trampoline_kernelINS0_14default_configENS1_25partition_config_selectorILNS1_17partition_subalgoE8EsNS0_10empty_typeEbEEZZNS1_14partition_implILS5_8ELb0ES3_jN6thrust23THRUST_200600_302600_NS6detail15normal_iteratorINSA_10device_ptrIsEEEEPS6_PKS6_NS0_5tupleIJSF_S6_EEENSJ_IJSG_SG_EEENS0_18inequality_wrapperI22is_equal_div_10_uniqueIsEEEPmJS6_EEE10hipError_tPvRmT3_T4_T5_T6_T7_T9_mT8_P12ihipStream_tbDpT10_ENKUlT_T0_E_clISt17integral_constantIbLb1EES19_IbLb0EEEEDaS15_S16_EUlS15_E_NS1_11comp_targetILNS1_3genE3ELNS1_11target_archE908ELNS1_3gpuE7ELNS1_3repE0EEENS1_30default_config_static_selectorELNS0_4arch9wavefront6targetE1EEEvT1_.uses_flat_scratch, 0
	.set _ZN7rocprim17ROCPRIM_400000_NS6detail17trampoline_kernelINS0_14default_configENS1_25partition_config_selectorILNS1_17partition_subalgoE8EsNS0_10empty_typeEbEEZZNS1_14partition_implILS5_8ELb0ES3_jN6thrust23THRUST_200600_302600_NS6detail15normal_iteratorINSA_10device_ptrIsEEEEPS6_PKS6_NS0_5tupleIJSF_S6_EEENSJ_IJSG_SG_EEENS0_18inequality_wrapperI22is_equal_div_10_uniqueIsEEEPmJS6_EEE10hipError_tPvRmT3_T4_T5_T6_T7_T9_mT8_P12ihipStream_tbDpT10_ENKUlT_T0_E_clISt17integral_constantIbLb1EES19_IbLb0EEEEDaS15_S16_EUlS15_E_NS1_11comp_targetILNS1_3genE3ELNS1_11target_archE908ELNS1_3gpuE7ELNS1_3repE0EEENS1_30default_config_static_selectorELNS0_4arch9wavefront6targetE1EEEvT1_.has_dyn_sized_stack, 0
	.set _ZN7rocprim17ROCPRIM_400000_NS6detail17trampoline_kernelINS0_14default_configENS1_25partition_config_selectorILNS1_17partition_subalgoE8EsNS0_10empty_typeEbEEZZNS1_14partition_implILS5_8ELb0ES3_jN6thrust23THRUST_200600_302600_NS6detail15normal_iteratorINSA_10device_ptrIsEEEEPS6_PKS6_NS0_5tupleIJSF_S6_EEENSJ_IJSG_SG_EEENS0_18inequality_wrapperI22is_equal_div_10_uniqueIsEEEPmJS6_EEE10hipError_tPvRmT3_T4_T5_T6_T7_T9_mT8_P12ihipStream_tbDpT10_ENKUlT_T0_E_clISt17integral_constantIbLb1EES19_IbLb0EEEEDaS15_S16_EUlS15_E_NS1_11comp_targetILNS1_3genE3ELNS1_11target_archE908ELNS1_3gpuE7ELNS1_3repE0EEENS1_30default_config_static_selectorELNS0_4arch9wavefront6targetE1EEEvT1_.has_recursion, 0
	.set _ZN7rocprim17ROCPRIM_400000_NS6detail17trampoline_kernelINS0_14default_configENS1_25partition_config_selectorILNS1_17partition_subalgoE8EsNS0_10empty_typeEbEEZZNS1_14partition_implILS5_8ELb0ES3_jN6thrust23THRUST_200600_302600_NS6detail15normal_iteratorINSA_10device_ptrIsEEEEPS6_PKS6_NS0_5tupleIJSF_S6_EEENSJ_IJSG_SG_EEENS0_18inequality_wrapperI22is_equal_div_10_uniqueIsEEEPmJS6_EEE10hipError_tPvRmT3_T4_T5_T6_T7_T9_mT8_P12ihipStream_tbDpT10_ENKUlT_T0_E_clISt17integral_constantIbLb1EES19_IbLb0EEEEDaS15_S16_EUlS15_E_NS1_11comp_targetILNS1_3genE3ELNS1_11target_archE908ELNS1_3gpuE7ELNS1_3repE0EEENS1_30default_config_static_selectorELNS0_4arch9wavefront6targetE1EEEvT1_.has_indirect_call, 0
	.section	.AMDGPU.csdata,"",@progbits
; Kernel info:
; codeLenInByte = 0
; TotalNumSgprs: 4
; NumVgprs: 0
; ScratchSize: 0
; MemoryBound: 0
; FloatMode: 240
; IeeeMode: 1
; LDSByteSize: 0 bytes/workgroup (compile time only)
; SGPRBlocks: 0
; VGPRBlocks: 0
; NumSGPRsForWavesPerEU: 4
; NumVGPRsForWavesPerEU: 1
; Occupancy: 10
; WaveLimiterHint : 0
; COMPUTE_PGM_RSRC2:SCRATCH_EN: 0
; COMPUTE_PGM_RSRC2:USER_SGPR: 6
; COMPUTE_PGM_RSRC2:TRAP_HANDLER: 0
; COMPUTE_PGM_RSRC2:TGID_X_EN: 1
; COMPUTE_PGM_RSRC2:TGID_Y_EN: 0
; COMPUTE_PGM_RSRC2:TGID_Z_EN: 0
; COMPUTE_PGM_RSRC2:TIDIG_COMP_CNT: 0
	.section	.text._ZN7rocprim17ROCPRIM_400000_NS6detail17trampoline_kernelINS0_14default_configENS1_25partition_config_selectorILNS1_17partition_subalgoE8EsNS0_10empty_typeEbEEZZNS1_14partition_implILS5_8ELb0ES3_jN6thrust23THRUST_200600_302600_NS6detail15normal_iteratorINSA_10device_ptrIsEEEEPS6_PKS6_NS0_5tupleIJSF_S6_EEENSJ_IJSG_SG_EEENS0_18inequality_wrapperI22is_equal_div_10_uniqueIsEEEPmJS6_EEE10hipError_tPvRmT3_T4_T5_T6_T7_T9_mT8_P12ihipStream_tbDpT10_ENKUlT_T0_E_clISt17integral_constantIbLb1EES19_IbLb0EEEEDaS15_S16_EUlS15_E_NS1_11comp_targetILNS1_3genE2ELNS1_11target_archE906ELNS1_3gpuE6ELNS1_3repE0EEENS1_30default_config_static_selectorELNS0_4arch9wavefront6targetE1EEEvT1_,"axG",@progbits,_ZN7rocprim17ROCPRIM_400000_NS6detail17trampoline_kernelINS0_14default_configENS1_25partition_config_selectorILNS1_17partition_subalgoE8EsNS0_10empty_typeEbEEZZNS1_14partition_implILS5_8ELb0ES3_jN6thrust23THRUST_200600_302600_NS6detail15normal_iteratorINSA_10device_ptrIsEEEEPS6_PKS6_NS0_5tupleIJSF_S6_EEENSJ_IJSG_SG_EEENS0_18inequality_wrapperI22is_equal_div_10_uniqueIsEEEPmJS6_EEE10hipError_tPvRmT3_T4_T5_T6_T7_T9_mT8_P12ihipStream_tbDpT10_ENKUlT_T0_E_clISt17integral_constantIbLb1EES19_IbLb0EEEEDaS15_S16_EUlS15_E_NS1_11comp_targetILNS1_3genE2ELNS1_11target_archE906ELNS1_3gpuE6ELNS1_3repE0EEENS1_30default_config_static_selectorELNS0_4arch9wavefront6targetE1EEEvT1_,comdat
	.protected	_ZN7rocprim17ROCPRIM_400000_NS6detail17trampoline_kernelINS0_14default_configENS1_25partition_config_selectorILNS1_17partition_subalgoE8EsNS0_10empty_typeEbEEZZNS1_14partition_implILS5_8ELb0ES3_jN6thrust23THRUST_200600_302600_NS6detail15normal_iteratorINSA_10device_ptrIsEEEEPS6_PKS6_NS0_5tupleIJSF_S6_EEENSJ_IJSG_SG_EEENS0_18inequality_wrapperI22is_equal_div_10_uniqueIsEEEPmJS6_EEE10hipError_tPvRmT3_T4_T5_T6_T7_T9_mT8_P12ihipStream_tbDpT10_ENKUlT_T0_E_clISt17integral_constantIbLb1EES19_IbLb0EEEEDaS15_S16_EUlS15_E_NS1_11comp_targetILNS1_3genE2ELNS1_11target_archE906ELNS1_3gpuE6ELNS1_3repE0EEENS1_30default_config_static_selectorELNS0_4arch9wavefront6targetE1EEEvT1_ ; -- Begin function _ZN7rocprim17ROCPRIM_400000_NS6detail17trampoline_kernelINS0_14default_configENS1_25partition_config_selectorILNS1_17partition_subalgoE8EsNS0_10empty_typeEbEEZZNS1_14partition_implILS5_8ELb0ES3_jN6thrust23THRUST_200600_302600_NS6detail15normal_iteratorINSA_10device_ptrIsEEEEPS6_PKS6_NS0_5tupleIJSF_S6_EEENSJ_IJSG_SG_EEENS0_18inequality_wrapperI22is_equal_div_10_uniqueIsEEEPmJS6_EEE10hipError_tPvRmT3_T4_T5_T6_T7_T9_mT8_P12ihipStream_tbDpT10_ENKUlT_T0_E_clISt17integral_constantIbLb1EES19_IbLb0EEEEDaS15_S16_EUlS15_E_NS1_11comp_targetILNS1_3genE2ELNS1_11target_archE906ELNS1_3gpuE6ELNS1_3repE0EEENS1_30default_config_static_selectorELNS0_4arch9wavefront6targetE1EEEvT1_
	.globl	_ZN7rocprim17ROCPRIM_400000_NS6detail17trampoline_kernelINS0_14default_configENS1_25partition_config_selectorILNS1_17partition_subalgoE8EsNS0_10empty_typeEbEEZZNS1_14partition_implILS5_8ELb0ES3_jN6thrust23THRUST_200600_302600_NS6detail15normal_iteratorINSA_10device_ptrIsEEEEPS6_PKS6_NS0_5tupleIJSF_S6_EEENSJ_IJSG_SG_EEENS0_18inequality_wrapperI22is_equal_div_10_uniqueIsEEEPmJS6_EEE10hipError_tPvRmT3_T4_T5_T6_T7_T9_mT8_P12ihipStream_tbDpT10_ENKUlT_T0_E_clISt17integral_constantIbLb1EES19_IbLb0EEEEDaS15_S16_EUlS15_E_NS1_11comp_targetILNS1_3genE2ELNS1_11target_archE906ELNS1_3gpuE6ELNS1_3repE0EEENS1_30default_config_static_selectorELNS0_4arch9wavefront6targetE1EEEvT1_
	.p2align	8
	.type	_ZN7rocprim17ROCPRIM_400000_NS6detail17trampoline_kernelINS0_14default_configENS1_25partition_config_selectorILNS1_17partition_subalgoE8EsNS0_10empty_typeEbEEZZNS1_14partition_implILS5_8ELb0ES3_jN6thrust23THRUST_200600_302600_NS6detail15normal_iteratorINSA_10device_ptrIsEEEEPS6_PKS6_NS0_5tupleIJSF_S6_EEENSJ_IJSG_SG_EEENS0_18inequality_wrapperI22is_equal_div_10_uniqueIsEEEPmJS6_EEE10hipError_tPvRmT3_T4_T5_T6_T7_T9_mT8_P12ihipStream_tbDpT10_ENKUlT_T0_E_clISt17integral_constantIbLb1EES19_IbLb0EEEEDaS15_S16_EUlS15_E_NS1_11comp_targetILNS1_3genE2ELNS1_11target_archE906ELNS1_3gpuE6ELNS1_3repE0EEENS1_30default_config_static_selectorELNS0_4arch9wavefront6targetE1EEEvT1_,@function
_ZN7rocprim17ROCPRIM_400000_NS6detail17trampoline_kernelINS0_14default_configENS1_25partition_config_selectorILNS1_17partition_subalgoE8EsNS0_10empty_typeEbEEZZNS1_14partition_implILS5_8ELb0ES3_jN6thrust23THRUST_200600_302600_NS6detail15normal_iteratorINSA_10device_ptrIsEEEEPS6_PKS6_NS0_5tupleIJSF_S6_EEENSJ_IJSG_SG_EEENS0_18inequality_wrapperI22is_equal_div_10_uniqueIsEEEPmJS6_EEE10hipError_tPvRmT3_T4_T5_T6_T7_T9_mT8_P12ihipStream_tbDpT10_ENKUlT_T0_E_clISt17integral_constantIbLb1EES19_IbLb0EEEEDaS15_S16_EUlS15_E_NS1_11comp_targetILNS1_3genE2ELNS1_11target_archE906ELNS1_3gpuE6ELNS1_3repE0EEENS1_30default_config_static_selectorELNS0_4arch9wavefront6targetE1EEEvT1_: ; @_ZN7rocprim17ROCPRIM_400000_NS6detail17trampoline_kernelINS0_14default_configENS1_25partition_config_selectorILNS1_17partition_subalgoE8EsNS0_10empty_typeEbEEZZNS1_14partition_implILS5_8ELb0ES3_jN6thrust23THRUST_200600_302600_NS6detail15normal_iteratorINSA_10device_ptrIsEEEEPS6_PKS6_NS0_5tupleIJSF_S6_EEENSJ_IJSG_SG_EEENS0_18inequality_wrapperI22is_equal_div_10_uniqueIsEEEPmJS6_EEE10hipError_tPvRmT3_T4_T5_T6_T7_T9_mT8_P12ihipStream_tbDpT10_ENKUlT_T0_E_clISt17integral_constantIbLb1EES19_IbLb0EEEEDaS15_S16_EUlS15_E_NS1_11comp_targetILNS1_3genE2ELNS1_11target_archE906ELNS1_3gpuE6ELNS1_3repE0EEENS1_30default_config_static_selectorELNS0_4arch9wavefront6targetE1EEEvT1_
; %bb.0:
	s_endpgm
	.section	.rodata,"a",@progbits
	.p2align	6, 0x0
	.amdhsa_kernel _ZN7rocprim17ROCPRIM_400000_NS6detail17trampoline_kernelINS0_14default_configENS1_25partition_config_selectorILNS1_17partition_subalgoE8EsNS0_10empty_typeEbEEZZNS1_14partition_implILS5_8ELb0ES3_jN6thrust23THRUST_200600_302600_NS6detail15normal_iteratorINSA_10device_ptrIsEEEEPS6_PKS6_NS0_5tupleIJSF_S6_EEENSJ_IJSG_SG_EEENS0_18inequality_wrapperI22is_equal_div_10_uniqueIsEEEPmJS6_EEE10hipError_tPvRmT3_T4_T5_T6_T7_T9_mT8_P12ihipStream_tbDpT10_ENKUlT_T0_E_clISt17integral_constantIbLb1EES19_IbLb0EEEEDaS15_S16_EUlS15_E_NS1_11comp_targetILNS1_3genE2ELNS1_11target_archE906ELNS1_3gpuE6ELNS1_3repE0EEENS1_30default_config_static_selectorELNS0_4arch9wavefront6targetE1EEEvT1_
		.amdhsa_group_segment_fixed_size 0
		.amdhsa_private_segment_fixed_size 0
		.amdhsa_kernarg_size 112
		.amdhsa_user_sgpr_count 6
		.amdhsa_user_sgpr_private_segment_buffer 1
		.amdhsa_user_sgpr_dispatch_ptr 0
		.amdhsa_user_sgpr_queue_ptr 0
		.amdhsa_user_sgpr_kernarg_segment_ptr 1
		.amdhsa_user_sgpr_dispatch_id 0
		.amdhsa_user_sgpr_flat_scratch_init 0
		.amdhsa_user_sgpr_private_segment_size 0
		.amdhsa_uses_dynamic_stack 0
		.amdhsa_system_sgpr_private_segment_wavefront_offset 0
		.amdhsa_system_sgpr_workgroup_id_x 1
		.amdhsa_system_sgpr_workgroup_id_y 0
		.amdhsa_system_sgpr_workgroup_id_z 0
		.amdhsa_system_sgpr_workgroup_info 0
		.amdhsa_system_vgpr_workitem_id 0
		.amdhsa_next_free_vgpr 1
		.amdhsa_next_free_sgpr 0
		.amdhsa_reserve_vcc 0
		.amdhsa_reserve_flat_scratch 0
		.amdhsa_float_round_mode_32 0
		.amdhsa_float_round_mode_16_64 0
		.amdhsa_float_denorm_mode_32 3
		.amdhsa_float_denorm_mode_16_64 3
		.amdhsa_dx10_clamp 1
		.amdhsa_ieee_mode 1
		.amdhsa_fp16_overflow 0
		.amdhsa_exception_fp_ieee_invalid_op 0
		.amdhsa_exception_fp_denorm_src 0
		.amdhsa_exception_fp_ieee_div_zero 0
		.amdhsa_exception_fp_ieee_overflow 0
		.amdhsa_exception_fp_ieee_underflow 0
		.amdhsa_exception_fp_ieee_inexact 0
		.amdhsa_exception_int_div_zero 0
	.end_amdhsa_kernel
	.section	.text._ZN7rocprim17ROCPRIM_400000_NS6detail17trampoline_kernelINS0_14default_configENS1_25partition_config_selectorILNS1_17partition_subalgoE8EsNS0_10empty_typeEbEEZZNS1_14partition_implILS5_8ELb0ES3_jN6thrust23THRUST_200600_302600_NS6detail15normal_iteratorINSA_10device_ptrIsEEEEPS6_PKS6_NS0_5tupleIJSF_S6_EEENSJ_IJSG_SG_EEENS0_18inequality_wrapperI22is_equal_div_10_uniqueIsEEEPmJS6_EEE10hipError_tPvRmT3_T4_T5_T6_T7_T9_mT8_P12ihipStream_tbDpT10_ENKUlT_T0_E_clISt17integral_constantIbLb1EES19_IbLb0EEEEDaS15_S16_EUlS15_E_NS1_11comp_targetILNS1_3genE2ELNS1_11target_archE906ELNS1_3gpuE6ELNS1_3repE0EEENS1_30default_config_static_selectorELNS0_4arch9wavefront6targetE1EEEvT1_,"axG",@progbits,_ZN7rocprim17ROCPRIM_400000_NS6detail17trampoline_kernelINS0_14default_configENS1_25partition_config_selectorILNS1_17partition_subalgoE8EsNS0_10empty_typeEbEEZZNS1_14partition_implILS5_8ELb0ES3_jN6thrust23THRUST_200600_302600_NS6detail15normal_iteratorINSA_10device_ptrIsEEEEPS6_PKS6_NS0_5tupleIJSF_S6_EEENSJ_IJSG_SG_EEENS0_18inequality_wrapperI22is_equal_div_10_uniqueIsEEEPmJS6_EEE10hipError_tPvRmT3_T4_T5_T6_T7_T9_mT8_P12ihipStream_tbDpT10_ENKUlT_T0_E_clISt17integral_constantIbLb1EES19_IbLb0EEEEDaS15_S16_EUlS15_E_NS1_11comp_targetILNS1_3genE2ELNS1_11target_archE906ELNS1_3gpuE6ELNS1_3repE0EEENS1_30default_config_static_selectorELNS0_4arch9wavefront6targetE1EEEvT1_,comdat
.Lfunc_end521:
	.size	_ZN7rocprim17ROCPRIM_400000_NS6detail17trampoline_kernelINS0_14default_configENS1_25partition_config_selectorILNS1_17partition_subalgoE8EsNS0_10empty_typeEbEEZZNS1_14partition_implILS5_8ELb0ES3_jN6thrust23THRUST_200600_302600_NS6detail15normal_iteratorINSA_10device_ptrIsEEEEPS6_PKS6_NS0_5tupleIJSF_S6_EEENSJ_IJSG_SG_EEENS0_18inequality_wrapperI22is_equal_div_10_uniqueIsEEEPmJS6_EEE10hipError_tPvRmT3_T4_T5_T6_T7_T9_mT8_P12ihipStream_tbDpT10_ENKUlT_T0_E_clISt17integral_constantIbLb1EES19_IbLb0EEEEDaS15_S16_EUlS15_E_NS1_11comp_targetILNS1_3genE2ELNS1_11target_archE906ELNS1_3gpuE6ELNS1_3repE0EEENS1_30default_config_static_selectorELNS0_4arch9wavefront6targetE1EEEvT1_, .Lfunc_end521-_ZN7rocprim17ROCPRIM_400000_NS6detail17trampoline_kernelINS0_14default_configENS1_25partition_config_selectorILNS1_17partition_subalgoE8EsNS0_10empty_typeEbEEZZNS1_14partition_implILS5_8ELb0ES3_jN6thrust23THRUST_200600_302600_NS6detail15normal_iteratorINSA_10device_ptrIsEEEEPS6_PKS6_NS0_5tupleIJSF_S6_EEENSJ_IJSG_SG_EEENS0_18inequality_wrapperI22is_equal_div_10_uniqueIsEEEPmJS6_EEE10hipError_tPvRmT3_T4_T5_T6_T7_T9_mT8_P12ihipStream_tbDpT10_ENKUlT_T0_E_clISt17integral_constantIbLb1EES19_IbLb0EEEEDaS15_S16_EUlS15_E_NS1_11comp_targetILNS1_3genE2ELNS1_11target_archE906ELNS1_3gpuE6ELNS1_3repE0EEENS1_30default_config_static_selectorELNS0_4arch9wavefront6targetE1EEEvT1_
                                        ; -- End function
	.set _ZN7rocprim17ROCPRIM_400000_NS6detail17trampoline_kernelINS0_14default_configENS1_25partition_config_selectorILNS1_17partition_subalgoE8EsNS0_10empty_typeEbEEZZNS1_14partition_implILS5_8ELb0ES3_jN6thrust23THRUST_200600_302600_NS6detail15normal_iteratorINSA_10device_ptrIsEEEEPS6_PKS6_NS0_5tupleIJSF_S6_EEENSJ_IJSG_SG_EEENS0_18inequality_wrapperI22is_equal_div_10_uniqueIsEEEPmJS6_EEE10hipError_tPvRmT3_T4_T5_T6_T7_T9_mT8_P12ihipStream_tbDpT10_ENKUlT_T0_E_clISt17integral_constantIbLb1EES19_IbLb0EEEEDaS15_S16_EUlS15_E_NS1_11comp_targetILNS1_3genE2ELNS1_11target_archE906ELNS1_3gpuE6ELNS1_3repE0EEENS1_30default_config_static_selectorELNS0_4arch9wavefront6targetE1EEEvT1_.num_vgpr, 0
	.set _ZN7rocprim17ROCPRIM_400000_NS6detail17trampoline_kernelINS0_14default_configENS1_25partition_config_selectorILNS1_17partition_subalgoE8EsNS0_10empty_typeEbEEZZNS1_14partition_implILS5_8ELb0ES3_jN6thrust23THRUST_200600_302600_NS6detail15normal_iteratorINSA_10device_ptrIsEEEEPS6_PKS6_NS0_5tupleIJSF_S6_EEENSJ_IJSG_SG_EEENS0_18inequality_wrapperI22is_equal_div_10_uniqueIsEEEPmJS6_EEE10hipError_tPvRmT3_T4_T5_T6_T7_T9_mT8_P12ihipStream_tbDpT10_ENKUlT_T0_E_clISt17integral_constantIbLb1EES19_IbLb0EEEEDaS15_S16_EUlS15_E_NS1_11comp_targetILNS1_3genE2ELNS1_11target_archE906ELNS1_3gpuE6ELNS1_3repE0EEENS1_30default_config_static_selectorELNS0_4arch9wavefront6targetE1EEEvT1_.num_agpr, 0
	.set _ZN7rocprim17ROCPRIM_400000_NS6detail17trampoline_kernelINS0_14default_configENS1_25partition_config_selectorILNS1_17partition_subalgoE8EsNS0_10empty_typeEbEEZZNS1_14partition_implILS5_8ELb0ES3_jN6thrust23THRUST_200600_302600_NS6detail15normal_iteratorINSA_10device_ptrIsEEEEPS6_PKS6_NS0_5tupleIJSF_S6_EEENSJ_IJSG_SG_EEENS0_18inequality_wrapperI22is_equal_div_10_uniqueIsEEEPmJS6_EEE10hipError_tPvRmT3_T4_T5_T6_T7_T9_mT8_P12ihipStream_tbDpT10_ENKUlT_T0_E_clISt17integral_constantIbLb1EES19_IbLb0EEEEDaS15_S16_EUlS15_E_NS1_11comp_targetILNS1_3genE2ELNS1_11target_archE906ELNS1_3gpuE6ELNS1_3repE0EEENS1_30default_config_static_selectorELNS0_4arch9wavefront6targetE1EEEvT1_.numbered_sgpr, 0
	.set _ZN7rocprim17ROCPRIM_400000_NS6detail17trampoline_kernelINS0_14default_configENS1_25partition_config_selectorILNS1_17partition_subalgoE8EsNS0_10empty_typeEbEEZZNS1_14partition_implILS5_8ELb0ES3_jN6thrust23THRUST_200600_302600_NS6detail15normal_iteratorINSA_10device_ptrIsEEEEPS6_PKS6_NS0_5tupleIJSF_S6_EEENSJ_IJSG_SG_EEENS0_18inequality_wrapperI22is_equal_div_10_uniqueIsEEEPmJS6_EEE10hipError_tPvRmT3_T4_T5_T6_T7_T9_mT8_P12ihipStream_tbDpT10_ENKUlT_T0_E_clISt17integral_constantIbLb1EES19_IbLb0EEEEDaS15_S16_EUlS15_E_NS1_11comp_targetILNS1_3genE2ELNS1_11target_archE906ELNS1_3gpuE6ELNS1_3repE0EEENS1_30default_config_static_selectorELNS0_4arch9wavefront6targetE1EEEvT1_.num_named_barrier, 0
	.set _ZN7rocprim17ROCPRIM_400000_NS6detail17trampoline_kernelINS0_14default_configENS1_25partition_config_selectorILNS1_17partition_subalgoE8EsNS0_10empty_typeEbEEZZNS1_14partition_implILS5_8ELb0ES3_jN6thrust23THRUST_200600_302600_NS6detail15normal_iteratorINSA_10device_ptrIsEEEEPS6_PKS6_NS0_5tupleIJSF_S6_EEENSJ_IJSG_SG_EEENS0_18inequality_wrapperI22is_equal_div_10_uniqueIsEEEPmJS6_EEE10hipError_tPvRmT3_T4_T5_T6_T7_T9_mT8_P12ihipStream_tbDpT10_ENKUlT_T0_E_clISt17integral_constantIbLb1EES19_IbLb0EEEEDaS15_S16_EUlS15_E_NS1_11comp_targetILNS1_3genE2ELNS1_11target_archE906ELNS1_3gpuE6ELNS1_3repE0EEENS1_30default_config_static_selectorELNS0_4arch9wavefront6targetE1EEEvT1_.private_seg_size, 0
	.set _ZN7rocprim17ROCPRIM_400000_NS6detail17trampoline_kernelINS0_14default_configENS1_25partition_config_selectorILNS1_17partition_subalgoE8EsNS0_10empty_typeEbEEZZNS1_14partition_implILS5_8ELb0ES3_jN6thrust23THRUST_200600_302600_NS6detail15normal_iteratorINSA_10device_ptrIsEEEEPS6_PKS6_NS0_5tupleIJSF_S6_EEENSJ_IJSG_SG_EEENS0_18inequality_wrapperI22is_equal_div_10_uniqueIsEEEPmJS6_EEE10hipError_tPvRmT3_T4_T5_T6_T7_T9_mT8_P12ihipStream_tbDpT10_ENKUlT_T0_E_clISt17integral_constantIbLb1EES19_IbLb0EEEEDaS15_S16_EUlS15_E_NS1_11comp_targetILNS1_3genE2ELNS1_11target_archE906ELNS1_3gpuE6ELNS1_3repE0EEENS1_30default_config_static_selectorELNS0_4arch9wavefront6targetE1EEEvT1_.uses_vcc, 0
	.set _ZN7rocprim17ROCPRIM_400000_NS6detail17trampoline_kernelINS0_14default_configENS1_25partition_config_selectorILNS1_17partition_subalgoE8EsNS0_10empty_typeEbEEZZNS1_14partition_implILS5_8ELb0ES3_jN6thrust23THRUST_200600_302600_NS6detail15normal_iteratorINSA_10device_ptrIsEEEEPS6_PKS6_NS0_5tupleIJSF_S6_EEENSJ_IJSG_SG_EEENS0_18inequality_wrapperI22is_equal_div_10_uniqueIsEEEPmJS6_EEE10hipError_tPvRmT3_T4_T5_T6_T7_T9_mT8_P12ihipStream_tbDpT10_ENKUlT_T0_E_clISt17integral_constantIbLb1EES19_IbLb0EEEEDaS15_S16_EUlS15_E_NS1_11comp_targetILNS1_3genE2ELNS1_11target_archE906ELNS1_3gpuE6ELNS1_3repE0EEENS1_30default_config_static_selectorELNS0_4arch9wavefront6targetE1EEEvT1_.uses_flat_scratch, 0
	.set _ZN7rocprim17ROCPRIM_400000_NS6detail17trampoline_kernelINS0_14default_configENS1_25partition_config_selectorILNS1_17partition_subalgoE8EsNS0_10empty_typeEbEEZZNS1_14partition_implILS5_8ELb0ES3_jN6thrust23THRUST_200600_302600_NS6detail15normal_iteratorINSA_10device_ptrIsEEEEPS6_PKS6_NS0_5tupleIJSF_S6_EEENSJ_IJSG_SG_EEENS0_18inequality_wrapperI22is_equal_div_10_uniqueIsEEEPmJS6_EEE10hipError_tPvRmT3_T4_T5_T6_T7_T9_mT8_P12ihipStream_tbDpT10_ENKUlT_T0_E_clISt17integral_constantIbLb1EES19_IbLb0EEEEDaS15_S16_EUlS15_E_NS1_11comp_targetILNS1_3genE2ELNS1_11target_archE906ELNS1_3gpuE6ELNS1_3repE0EEENS1_30default_config_static_selectorELNS0_4arch9wavefront6targetE1EEEvT1_.has_dyn_sized_stack, 0
	.set _ZN7rocprim17ROCPRIM_400000_NS6detail17trampoline_kernelINS0_14default_configENS1_25partition_config_selectorILNS1_17partition_subalgoE8EsNS0_10empty_typeEbEEZZNS1_14partition_implILS5_8ELb0ES3_jN6thrust23THRUST_200600_302600_NS6detail15normal_iteratorINSA_10device_ptrIsEEEEPS6_PKS6_NS0_5tupleIJSF_S6_EEENSJ_IJSG_SG_EEENS0_18inequality_wrapperI22is_equal_div_10_uniqueIsEEEPmJS6_EEE10hipError_tPvRmT3_T4_T5_T6_T7_T9_mT8_P12ihipStream_tbDpT10_ENKUlT_T0_E_clISt17integral_constantIbLb1EES19_IbLb0EEEEDaS15_S16_EUlS15_E_NS1_11comp_targetILNS1_3genE2ELNS1_11target_archE906ELNS1_3gpuE6ELNS1_3repE0EEENS1_30default_config_static_selectorELNS0_4arch9wavefront6targetE1EEEvT1_.has_recursion, 0
	.set _ZN7rocprim17ROCPRIM_400000_NS6detail17trampoline_kernelINS0_14default_configENS1_25partition_config_selectorILNS1_17partition_subalgoE8EsNS0_10empty_typeEbEEZZNS1_14partition_implILS5_8ELb0ES3_jN6thrust23THRUST_200600_302600_NS6detail15normal_iteratorINSA_10device_ptrIsEEEEPS6_PKS6_NS0_5tupleIJSF_S6_EEENSJ_IJSG_SG_EEENS0_18inequality_wrapperI22is_equal_div_10_uniqueIsEEEPmJS6_EEE10hipError_tPvRmT3_T4_T5_T6_T7_T9_mT8_P12ihipStream_tbDpT10_ENKUlT_T0_E_clISt17integral_constantIbLb1EES19_IbLb0EEEEDaS15_S16_EUlS15_E_NS1_11comp_targetILNS1_3genE2ELNS1_11target_archE906ELNS1_3gpuE6ELNS1_3repE0EEENS1_30default_config_static_selectorELNS0_4arch9wavefront6targetE1EEEvT1_.has_indirect_call, 0
	.section	.AMDGPU.csdata,"",@progbits
; Kernel info:
; codeLenInByte = 4
; TotalNumSgprs: 4
; NumVgprs: 0
; ScratchSize: 0
; MemoryBound: 0
; FloatMode: 240
; IeeeMode: 1
; LDSByteSize: 0 bytes/workgroup (compile time only)
; SGPRBlocks: 0
; VGPRBlocks: 0
; NumSGPRsForWavesPerEU: 4
; NumVGPRsForWavesPerEU: 1
; Occupancy: 10
; WaveLimiterHint : 0
; COMPUTE_PGM_RSRC2:SCRATCH_EN: 0
; COMPUTE_PGM_RSRC2:USER_SGPR: 6
; COMPUTE_PGM_RSRC2:TRAP_HANDLER: 0
; COMPUTE_PGM_RSRC2:TGID_X_EN: 1
; COMPUTE_PGM_RSRC2:TGID_Y_EN: 0
; COMPUTE_PGM_RSRC2:TGID_Z_EN: 0
; COMPUTE_PGM_RSRC2:TIDIG_COMP_CNT: 0
	.section	.text._ZN7rocprim17ROCPRIM_400000_NS6detail17trampoline_kernelINS0_14default_configENS1_25partition_config_selectorILNS1_17partition_subalgoE8EsNS0_10empty_typeEbEEZZNS1_14partition_implILS5_8ELb0ES3_jN6thrust23THRUST_200600_302600_NS6detail15normal_iteratorINSA_10device_ptrIsEEEEPS6_PKS6_NS0_5tupleIJSF_S6_EEENSJ_IJSG_SG_EEENS0_18inequality_wrapperI22is_equal_div_10_uniqueIsEEEPmJS6_EEE10hipError_tPvRmT3_T4_T5_T6_T7_T9_mT8_P12ihipStream_tbDpT10_ENKUlT_T0_E_clISt17integral_constantIbLb1EES19_IbLb0EEEEDaS15_S16_EUlS15_E_NS1_11comp_targetILNS1_3genE10ELNS1_11target_archE1200ELNS1_3gpuE4ELNS1_3repE0EEENS1_30default_config_static_selectorELNS0_4arch9wavefront6targetE1EEEvT1_,"axG",@progbits,_ZN7rocprim17ROCPRIM_400000_NS6detail17trampoline_kernelINS0_14default_configENS1_25partition_config_selectorILNS1_17partition_subalgoE8EsNS0_10empty_typeEbEEZZNS1_14partition_implILS5_8ELb0ES3_jN6thrust23THRUST_200600_302600_NS6detail15normal_iteratorINSA_10device_ptrIsEEEEPS6_PKS6_NS0_5tupleIJSF_S6_EEENSJ_IJSG_SG_EEENS0_18inequality_wrapperI22is_equal_div_10_uniqueIsEEEPmJS6_EEE10hipError_tPvRmT3_T4_T5_T6_T7_T9_mT8_P12ihipStream_tbDpT10_ENKUlT_T0_E_clISt17integral_constantIbLb1EES19_IbLb0EEEEDaS15_S16_EUlS15_E_NS1_11comp_targetILNS1_3genE10ELNS1_11target_archE1200ELNS1_3gpuE4ELNS1_3repE0EEENS1_30default_config_static_selectorELNS0_4arch9wavefront6targetE1EEEvT1_,comdat
	.protected	_ZN7rocprim17ROCPRIM_400000_NS6detail17trampoline_kernelINS0_14default_configENS1_25partition_config_selectorILNS1_17partition_subalgoE8EsNS0_10empty_typeEbEEZZNS1_14partition_implILS5_8ELb0ES3_jN6thrust23THRUST_200600_302600_NS6detail15normal_iteratorINSA_10device_ptrIsEEEEPS6_PKS6_NS0_5tupleIJSF_S6_EEENSJ_IJSG_SG_EEENS0_18inequality_wrapperI22is_equal_div_10_uniqueIsEEEPmJS6_EEE10hipError_tPvRmT3_T4_T5_T6_T7_T9_mT8_P12ihipStream_tbDpT10_ENKUlT_T0_E_clISt17integral_constantIbLb1EES19_IbLb0EEEEDaS15_S16_EUlS15_E_NS1_11comp_targetILNS1_3genE10ELNS1_11target_archE1200ELNS1_3gpuE4ELNS1_3repE0EEENS1_30default_config_static_selectorELNS0_4arch9wavefront6targetE1EEEvT1_ ; -- Begin function _ZN7rocprim17ROCPRIM_400000_NS6detail17trampoline_kernelINS0_14default_configENS1_25partition_config_selectorILNS1_17partition_subalgoE8EsNS0_10empty_typeEbEEZZNS1_14partition_implILS5_8ELb0ES3_jN6thrust23THRUST_200600_302600_NS6detail15normal_iteratorINSA_10device_ptrIsEEEEPS6_PKS6_NS0_5tupleIJSF_S6_EEENSJ_IJSG_SG_EEENS0_18inequality_wrapperI22is_equal_div_10_uniqueIsEEEPmJS6_EEE10hipError_tPvRmT3_T4_T5_T6_T7_T9_mT8_P12ihipStream_tbDpT10_ENKUlT_T0_E_clISt17integral_constantIbLb1EES19_IbLb0EEEEDaS15_S16_EUlS15_E_NS1_11comp_targetILNS1_3genE10ELNS1_11target_archE1200ELNS1_3gpuE4ELNS1_3repE0EEENS1_30default_config_static_selectorELNS0_4arch9wavefront6targetE1EEEvT1_
	.globl	_ZN7rocprim17ROCPRIM_400000_NS6detail17trampoline_kernelINS0_14default_configENS1_25partition_config_selectorILNS1_17partition_subalgoE8EsNS0_10empty_typeEbEEZZNS1_14partition_implILS5_8ELb0ES3_jN6thrust23THRUST_200600_302600_NS6detail15normal_iteratorINSA_10device_ptrIsEEEEPS6_PKS6_NS0_5tupleIJSF_S6_EEENSJ_IJSG_SG_EEENS0_18inequality_wrapperI22is_equal_div_10_uniqueIsEEEPmJS6_EEE10hipError_tPvRmT3_T4_T5_T6_T7_T9_mT8_P12ihipStream_tbDpT10_ENKUlT_T0_E_clISt17integral_constantIbLb1EES19_IbLb0EEEEDaS15_S16_EUlS15_E_NS1_11comp_targetILNS1_3genE10ELNS1_11target_archE1200ELNS1_3gpuE4ELNS1_3repE0EEENS1_30default_config_static_selectorELNS0_4arch9wavefront6targetE1EEEvT1_
	.p2align	8
	.type	_ZN7rocprim17ROCPRIM_400000_NS6detail17trampoline_kernelINS0_14default_configENS1_25partition_config_selectorILNS1_17partition_subalgoE8EsNS0_10empty_typeEbEEZZNS1_14partition_implILS5_8ELb0ES3_jN6thrust23THRUST_200600_302600_NS6detail15normal_iteratorINSA_10device_ptrIsEEEEPS6_PKS6_NS0_5tupleIJSF_S6_EEENSJ_IJSG_SG_EEENS0_18inequality_wrapperI22is_equal_div_10_uniqueIsEEEPmJS6_EEE10hipError_tPvRmT3_T4_T5_T6_T7_T9_mT8_P12ihipStream_tbDpT10_ENKUlT_T0_E_clISt17integral_constantIbLb1EES19_IbLb0EEEEDaS15_S16_EUlS15_E_NS1_11comp_targetILNS1_3genE10ELNS1_11target_archE1200ELNS1_3gpuE4ELNS1_3repE0EEENS1_30default_config_static_selectorELNS0_4arch9wavefront6targetE1EEEvT1_,@function
_ZN7rocprim17ROCPRIM_400000_NS6detail17trampoline_kernelINS0_14default_configENS1_25partition_config_selectorILNS1_17partition_subalgoE8EsNS0_10empty_typeEbEEZZNS1_14partition_implILS5_8ELb0ES3_jN6thrust23THRUST_200600_302600_NS6detail15normal_iteratorINSA_10device_ptrIsEEEEPS6_PKS6_NS0_5tupleIJSF_S6_EEENSJ_IJSG_SG_EEENS0_18inequality_wrapperI22is_equal_div_10_uniqueIsEEEPmJS6_EEE10hipError_tPvRmT3_T4_T5_T6_T7_T9_mT8_P12ihipStream_tbDpT10_ENKUlT_T0_E_clISt17integral_constantIbLb1EES19_IbLb0EEEEDaS15_S16_EUlS15_E_NS1_11comp_targetILNS1_3genE10ELNS1_11target_archE1200ELNS1_3gpuE4ELNS1_3repE0EEENS1_30default_config_static_selectorELNS0_4arch9wavefront6targetE1EEEvT1_: ; @_ZN7rocprim17ROCPRIM_400000_NS6detail17trampoline_kernelINS0_14default_configENS1_25partition_config_selectorILNS1_17partition_subalgoE8EsNS0_10empty_typeEbEEZZNS1_14partition_implILS5_8ELb0ES3_jN6thrust23THRUST_200600_302600_NS6detail15normal_iteratorINSA_10device_ptrIsEEEEPS6_PKS6_NS0_5tupleIJSF_S6_EEENSJ_IJSG_SG_EEENS0_18inequality_wrapperI22is_equal_div_10_uniqueIsEEEPmJS6_EEE10hipError_tPvRmT3_T4_T5_T6_T7_T9_mT8_P12ihipStream_tbDpT10_ENKUlT_T0_E_clISt17integral_constantIbLb1EES19_IbLb0EEEEDaS15_S16_EUlS15_E_NS1_11comp_targetILNS1_3genE10ELNS1_11target_archE1200ELNS1_3gpuE4ELNS1_3repE0EEENS1_30default_config_static_selectorELNS0_4arch9wavefront6targetE1EEEvT1_
; %bb.0:
	.section	.rodata,"a",@progbits
	.p2align	6, 0x0
	.amdhsa_kernel _ZN7rocprim17ROCPRIM_400000_NS6detail17trampoline_kernelINS0_14default_configENS1_25partition_config_selectorILNS1_17partition_subalgoE8EsNS0_10empty_typeEbEEZZNS1_14partition_implILS5_8ELb0ES3_jN6thrust23THRUST_200600_302600_NS6detail15normal_iteratorINSA_10device_ptrIsEEEEPS6_PKS6_NS0_5tupleIJSF_S6_EEENSJ_IJSG_SG_EEENS0_18inequality_wrapperI22is_equal_div_10_uniqueIsEEEPmJS6_EEE10hipError_tPvRmT3_T4_T5_T6_T7_T9_mT8_P12ihipStream_tbDpT10_ENKUlT_T0_E_clISt17integral_constantIbLb1EES19_IbLb0EEEEDaS15_S16_EUlS15_E_NS1_11comp_targetILNS1_3genE10ELNS1_11target_archE1200ELNS1_3gpuE4ELNS1_3repE0EEENS1_30default_config_static_selectorELNS0_4arch9wavefront6targetE1EEEvT1_
		.amdhsa_group_segment_fixed_size 0
		.amdhsa_private_segment_fixed_size 0
		.amdhsa_kernarg_size 112
		.amdhsa_user_sgpr_count 6
		.amdhsa_user_sgpr_private_segment_buffer 1
		.amdhsa_user_sgpr_dispatch_ptr 0
		.amdhsa_user_sgpr_queue_ptr 0
		.amdhsa_user_sgpr_kernarg_segment_ptr 1
		.amdhsa_user_sgpr_dispatch_id 0
		.amdhsa_user_sgpr_flat_scratch_init 0
		.amdhsa_user_sgpr_private_segment_size 0
		.amdhsa_uses_dynamic_stack 0
		.amdhsa_system_sgpr_private_segment_wavefront_offset 0
		.amdhsa_system_sgpr_workgroup_id_x 1
		.amdhsa_system_sgpr_workgroup_id_y 0
		.amdhsa_system_sgpr_workgroup_id_z 0
		.amdhsa_system_sgpr_workgroup_info 0
		.amdhsa_system_vgpr_workitem_id 0
		.amdhsa_next_free_vgpr 1
		.amdhsa_next_free_sgpr 0
		.amdhsa_reserve_vcc 0
		.amdhsa_reserve_flat_scratch 0
		.amdhsa_float_round_mode_32 0
		.amdhsa_float_round_mode_16_64 0
		.amdhsa_float_denorm_mode_32 3
		.amdhsa_float_denorm_mode_16_64 3
		.amdhsa_dx10_clamp 1
		.amdhsa_ieee_mode 1
		.amdhsa_fp16_overflow 0
		.amdhsa_exception_fp_ieee_invalid_op 0
		.amdhsa_exception_fp_denorm_src 0
		.amdhsa_exception_fp_ieee_div_zero 0
		.amdhsa_exception_fp_ieee_overflow 0
		.amdhsa_exception_fp_ieee_underflow 0
		.amdhsa_exception_fp_ieee_inexact 0
		.amdhsa_exception_int_div_zero 0
	.end_amdhsa_kernel
	.section	.text._ZN7rocprim17ROCPRIM_400000_NS6detail17trampoline_kernelINS0_14default_configENS1_25partition_config_selectorILNS1_17partition_subalgoE8EsNS0_10empty_typeEbEEZZNS1_14partition_implILS5_8ELb0ES3_jN6thrust23THRUST_200600_302600_NS6detail15normal_iteratorINSA_10device_ptrIsEEEEPS6_PKS6_NS0_5tupleIJSF_S6_EEENSJ_IJSG_SG_EEENS0_18inequality_wrapperI22is_equal_div_10_uniqueIsEEEPmJS6_EEE10hipError_tPvRmT3_T4_T5_T6_T7_T9_mT8_P12ihipStream_tbDpT10_ENKUlT_T0_E_clISt17integral_constantIbLb1EES19_IbLb0EEEEDaS15_S16_EUlS15_E_NS1_11comp_targetILNS1_3genE10ELNS1_11target_archE1200ELNS1_3gpuE4ELNS1_3repE0EEENS1_30default_config_static_selectorELNS0_4arch9wavefront6targetE1EEEvT1_,"axG",@progbits,_ZN7rocprim17ROCPRIM_400000_NS6detail17trampoline_kernelINS0_14default_configENS1_25partition_config_selectorILNS1_17partition_subalgoE8EsNS0_10empty_typeEbEEZZNS1_14partition_implILS5_8ELb0ES3_jN6thrust23THRUST_200600_302600_NS6detail15normal_iteratorINSA_10device_ptrIsEEEEPS6_PKS6_NS0_5tupleIJSF_S6_EEENSJ_IJSG_SG_EEENS0_18inequality_wrapperI22is_equal_div_10_uniqueIsEEEPmJS6_EEE10hipError_tPvRmT3_T4_T5_T6_T7_T9_mT8_P12ihipStream_tbDpT10_ENKUlT_T0_E_clISt17integral_constantIbLb1EES19_IbLb0EEEEDaS15_S16_EUlS15_E_NS1_11comp_targetILNS1_3genE10ELNS1_11target_archE1200ELNS1_3gpuE4ELNS1_3repE0EEENS1_30default_config_static_selectorELNS0_4arch9wavefront6targetE1EEEvT1_,comdat
.Lfunc_end522:
	.size	_ZN7rocprim17ROCPRIM_400000_NS6detail17trampoline_kernelINS0_14default_configENS1_25partition_config_selectorILNS1_17partition_subalgoE8EsNS0_10empty_typeEbEEZZNS1_14partition_implILS5_8ELb0ES3_jN6thrust23THRUST_200600_302600_NS6detail15normal_iteratorINSA_10device_ptrIsEEEEPS6_PKS6_NS0_5tupleIJSF_S6_EEENSJ_IJSG_SG_EEENS0_18inequality_wrapperI22is_equal_div_10_uniqueIsEEEPmJS6_EEE10hipError_tPvRmT3_T4_T5_T6_T7_T9_mT8_P12ihipStream_tbDpT10_ENKUlT_T0_E_clISt17integral_constantIbLb1EES19_IbLb0EEEEDaS15_S16_EUlS15_E_NS1_11comp_targetILNS1_3genE10ELNS1_11target_archE1200ELNS1_3gpuE4ELNS1_3repE0EEENS1_30default_config_static_selectorELNS0_4arch9wavefront6targetE1EEEvT1_, .Lfunc_end522-_ZN7rocprim17ROCPRIM_400000_NS6detail17trampoline_kernelINS0_14default_configENS1_25partition_config_selectorILNS1_17partition_subalgoE8EsNS0_10empty_typeEbEEZZNS1_14partition_implILS5_8ELb0ES3_jN6thrust23THRUST_200600_302600_NS6detail15normal_iteratorINSA_10device_ptrIsEEEEPS6_PKS6_NS0_5tupleIJSF_S6_EEENSJ_IJSG_SG_EEENS0_18inequality_wrapperI22is_equal_div_10_uniqueIsEEEPmJS6_EEE10hipError_tPvRmT3_T4_T5_T6_T7_T9_mT8_P12ihipStream_tbDpT10_ENKUlT_T0_E_clISt17integral_constantIbLb1EES19_IbLb0EEEEDaS15_S16_EUlS15_E_NS1_11comp_targetILNS1_3genE10ELNS1_11target_archE1200ELNS1_3gpuE4ELNS1_3repE0EEENS1_30default_config_static_selectorELNS0_4arch9wavefront6targetE1EEEvT1_
                                        ; -- End function
	.set _ZN7rocprim17ROCPRIM_400000_NS6detail17trampoline_kernelINS0_14default_configENS1_25partition_config_selectorILNS1_17partition_subalgoE8EsNS0_10empty_typeEbEEZZNS1_14partition_implILS5_8ELb0ES3_jN6thrust23THRUST_200600_302600_NS6detail15normal_iteratorINSA_10device_ptrIsEEEEPS6_PKS6_NS0_5tupleIJSF_S6_EEENSJ_IJSG_SG_EEENS0_18inequality_wrapperI22is_equal_div_10_uniqueIsEEEPmJS6_EEE10hipError_tPvRmT3_T4_T5_T6_T7_T9_mT8_P12ihipStream_tbDpT10_ENKUlT_T0_E_clISt17integral_constantIbLb1EES19_IbLb0EEEEDaS15_S16_EUlS15_E_NS1_11comp_targetILNS1_3genE10ELNS1_11target_archE1200ELNS1_3gpuE4ELNS1_3repE0EEENS1_30default_config_static_selectorELNS0_4arch9wavefront6targetE1EEEvT1_.num_vgpr, 0
	.set _ZN7rocprim17ROCPRIM_400000_NS6detail17trampoline_kernelINS0_14default_configENS1_25partition_config_selectorILNS1_17partition_subalgoE8EsNS0_10empty_typeEbEEZZNS1_14partition_implILS5_8ELb0ES3_jN6thrust23THRUST_200600_302600_NS6detail15normal_iteratorINSA_10device_ptrIsEEEEPS6_PKS6_NS0_5tupleIJSF_S6_EEENSJ_IJSG_SG_EEENS0_18inequality_wrapperI22is_equal_div_10_uniqueIsEEEPmJS6_EEE10hipError_tPvRmT3_T4_T5_T6_T7_T9_mT8_P12ihipStream_tbDpT10_ENKUlT_T0_E_clISt17integral_constantIbLb1EES19_IbLb0EEEEDaS15_S16_EUlS15_E_NS1_11comp_targetILNS1_3genE10ELNS1_11target_archE1200ELNS1_3gpuE4ELNS1_3repE0EEENS1_30default_config_static_selectorELNS0_4arch9wavefront6targetE1EEEvT1_.num_agpr, 0
	.set _ZN7rocprim17ROCPRIM_400000_NS6detail17trampoline_kernelINS0_14default_configENS1_25partition_config_selectorILNS1_17partition_subalgoE8EsNS0_10empty_typeEbEEZZNS1_14partition_implILS5_8ELb0ES3_jN6thrust23THRUST_200600_302600_NS6detail15normal_iteratorINSA_10device_ptrIsEEEEPS6_PKS6_NS0_5tupleIJSF_S6_EEENSJ_IJSG_SG_EEENS0_18inequality_wrapperI22is_equal_div_10_uniqueIsEEEPmJS6_EEE10hipError_tPvRmT3_T4_T5_T6_T7_T9_mT8_P12ihipStream_tbDpT10_ENKUlT_T0_E_clISt17integral_constantIbLb1EES19_IbLb0EEEEDaS15_S16_EUlS15_E_NS1_11comp_targetILNS1_3genE10ELNS1_11target_archE1200ELNS1_3gpuE4ELNS1_3repE0EEENS1_30default_config_static_selectorELNS0_4arch9wavefront6targetE1EEEvT1_.numbered_sgpr, 0
	.set _ZN7rocprim17ROCPRIM_400000_NS6detail17trampoline_kernelINS0_14default_configENS1_25partition_config_selectorILNS1_17partition_subalgoE8EsNS0_10empty_typeEbEEZZNS1_14partition_implILS5_8ELb0ES3_jN6thrust23THRUST_200600_302600_NS6detail15normal_iteratorINSA_10device_ptrIsEEEEPS6_PKS6_NS0_5tupleIJSF_S6_EEENSJ_IJSG_SG_EEENS0_18inequality_wrapperI22is_equal_div_10_uniqueIsEEEPmJS6_EEE10hipError_tPvRmT3_T4_T5_T6_T7_T9_mT8_P12ihipStream_tbDpT10_ENKUlT_T0_E_clISt17integral_constantIbLb1EES19_IbLb0EEEEDaS15_S16_EUlS15_E_NS1_11comp_targetILNS1_3genE10ELNS1_11target_archE1200ELNS1_3gpuE4ELNS1_3repE0EEENS1_30default_config_static_selectorELNS0_4arch9wavefront6targetE1EEEvT1_.num_named_barrier, 0
	.set _ZN7rocprim17ROCPRIM_400000_NS6detail17trampoline_kernelINS0_14default_configENS1_25partition_config_selectorILNS1_17partition_subalgoE8EsNS0_10empty_typeEbEEZZNS1_14partition_implILS5_8ELb0ES3_jN6thrust23THRUST_200600_302600_NS6detail15normal_iteratorINSA_10device_ptrIsEEEEPS6_PKS6_NS0_5tupleIJSF_S6_EEENSJ_IJSG_SG_EEENS0_18inequality_wrapperI22is_equal_div_10_uniqueIsEEEPmJS6_EEE10hipError_tPvRmT3_T4_T5_T6_T7_T9_mT8_P12ihipStream_tbDpT10_ENKUlT_T0_E_clISt17integral_constantIbLb1EES19_IbLb0EEEEDaS15_S16_EUlS15_E_NS1_11comp_targetILNS1_3genE10ELNS1_11target_archE1200ELNS1_3gpuE4ELNS1_3repE0EEENS1_30default_config_static_selectorELNS0_4arch9wavefront6targetE1EEEvT1_.private_seg_size, 0
	.set _ZN7rocprim17ROCPRIM_400000_NS6detail17trampoline_kernelINS0_14default_configENS1_25partition_config_selectorILNS1_17partition_subalgoE8EsNS0_10empty_typeEbEEZZNS1_14partition_implILS5_8ELb0ES3_jN6thrust23THRUST_200600_302600_NS6detail15normal_iteratorINSA_10device_ptrIsEEEEPS6_PKS6_NS0_5tupleIJSF_S6_EEENSJ_IJSG_SG_EEENS0_18inequality_wrapperI22is_equal_div_10_uniqueIsEEEPmJS6_EEE10hipError_tPvRmT3_T4_T5_T6_T7_T9_mT8_P12ihipStream_tbDpT10_ENKUlT_T0_E_clISt17integral_constantIbLb1EES19_IbLb0EEEEDaS15_S16_EUlS15_E_NS1_11comp_targetILNS1_3genE10ELNS1_11target_archE1200ELNS1_3gpuE4ELNS1_3repE0EEENS1_30default_config_static_selectorELNS0_4arch9wavefront6targetE1EEEvT1_.uses_vcc, 0
	.set _ZN7rocprim17ROCPRIM_400000_NS6detail17trampoline_kernelINS0_14default_configENS1_25partition_config_selectorILNS1_17partition_subalgoE8EsNS0_10empty_typeEbEEZZNS1_14partition_implILS5_8ELb0ES3_jN6thrust23THRUST_200600_302600_NS6detail15normal_iteratorINSA_10device_ptrIsEEEEPS6_PKS6_NS0_5tupleIJSF_S6_EEENSJ_IJSG_SG_EEENS0_18inequality_wrapperI22is_equal_div_10_uniqueIsEEEPmJS6_EEE10hipError_tPvRmT3_T4_T5_T6_T7_T9_mT8_P12ihipStream_tbDpT10_ENKUlT_T0_E_clISt17integral_constantIbLb1EES19_IbLb0EEEEDaS15_S16_EUlS15_E_NS1_11comp_targetILNS1_3genE10ELNS1_11target_archE1200ELNS1_3gpuE4ELNS1_3repE0EEENS1_30default_config_static_selectorELNS0_4arch9wavefront6targetE1EEEvT1_.uses_flat_scratch, 0
	.set _ZN7rocprim17ROCPRIM_400000_NS6detail17trampoline_kernelINS0_14default_configENS1_25partition_config_selectorILNS1_17partition_subalgoE8EsNS0_10empty_typeEbEEZZNS1_14partition_implILS5_8ELb0ES3_jN6thrust23THRUST_200600_302600_NS6detail15normal_iteratorINSA_10device_ptrIsEEEEPS6_PKS6_NS0_5tupleIJSF_S6_EEENSJ_IJSG_SG_EEENS0_18inequality_wrapperI22is_equal_div_10_uniqueIsEEEPmJS6_EEE10hipError_tPvRmT3_T4_T5_T6_T7_T9_mT8_P12ihipStream_tbDpT10_ENKUlT_T0_E_clISt17integral_constantIbLb1EES19_IbLb0EEEEDaS15_S16_EUlS15_E_NS1_11comp_targetILNS1_3genE10ELNS1_11target_archE1200ELNS1_3gpuE4ELNS1_3repE0EEENS1_30default_config_static_selectorELNS0_4arch9wavefront6targetE1EEEvT1_.has_dyn_sized_stack, 0
	.set _ZN7rocprim17ROCPRIM_400000_NS6detail17trampoline_kernelINS0_14default_configENS1_25partition_config_selectorILNS1_17partition_subalgoE8EsNS0_10empty_typeEbEEZZNS1_14partition_implILS5_8ELb0ES3_jN6thrust23THRUST_200600_302600_NS6detail15normal_iteratorINSA_10device_ptrIsEEEEPS6_PKS6_NS0_5tupleIJSF_S6_EEENSJ_IJSG_SG_EEENS0_18inequality_wrapperI22is_equal_div_10_uniqueIsEEEPmJS6_EEE10hipError_tPvRmT3_T4_T5_T6_T7_T9_mT8_P12ihipStream_tbDpT10_ENKUlT_T0_E_clISt17integral_constantIbLb1EES19_IbLb0EEEEDaS15_S16_EUlS15_E_NS1_11comp_targetILNS1_3genE10ELNS1_11target_archE1200ELNS1_3gpuE4ELNS1_3repE0EEENS1_30default_config_static_selectorELNS0_4arch9wavefront6targetE1EEEvT1_.has_recursion, 0
	.set _ZN7rocprim17ROCPRIM_400000_NS6detail17trampoline_kernelINS0_14default_configENS1_25partition_config_selectorILNS1_17partition_subalgoE8EsNS0_10empty_typeEbEEZZNS1_14partition_implILS5_8ELb0ES3_jN6thrust23THRUST_200600_302600_NS6detail15normal_iteratorINSA_10device_ptrIsEEEEPS6_PKS6_NS0_5tupleIJSF_S6_EEENSJ_IJSG_SG_EEENS0_18inequality_wrapperI22is_equal_div_10_uniqueIsEEEPmJS6_EEE10hipError_tPvRmT3_T4_T5_T6_T7_T9_mT8_P12ihipStream_tbDpT10_ENKUlT_T0_E_clISt17integral_constantIbLb1EES19_IbLb0EEEEDaS15_S16_EUlS15_E_NS1_11comp_targetILNS1_3genE10ELNS1_11target_archE1200ELNS1_3gpuE4ELNS1_3repE0EEENS1_30default_config_static_selectorELNS0_4arch9wavefront6targetE1EEEvT1_.has_indirect_call, 0
	.section	.AMDGPU.csdata,"",@progbits
; Kernel info:
; codeLenInByte = 0
; TotalNumSgprs: 4
; NumVgprs: 0
; ScratchSize: 0
; MemoryBound: 0
; FloatMode: 240
; IeeeMode: 1
; LDSByteSize: 0 bytes/workgroup (compile time only)
; SGPRBlocks: 0
; VGPRBlocks: 0
; NumSGPRsForWavesPerEU: 4
; NumVGPRsForWavesPerEU: 1
; Occupancy: 10
; WaveLimiterHint : 0
; COMPUTE_PGM_RSRC2:SCRATCH_EN: 0
; COMPUTE_PGM_RSRC2:USER_SGPR: 6
; COMPUTE_PGM_RSRC2:TRAP_HANDLER: 0
; COMPUTE_PGM_RSRC2:TGID_X_EN: 1
; COMPUTE_PGM_RSRC2:TGID_Y_EN: 0
; COMPUTE_PGM_RSRC2:TGID_Z_EN: 0
; COMPUTE_PGM_RSRC2:TIDIG_COMP_CNT: 0
	.section	.text._ZN7rocprim17ROCPRIM_400000_NS6detail17trampoline_kernelINS0_14default_configENS1_25partition_config_selectorILNS1_17partition_subalgoE8EsNS0_10empty_typeEbEEZZNS1_14partition_implILS5_8ELb0ES3_jN6thrust23THRUST_200600_302600_NS6detail15normal_iteratorINSA_10device_ptrIsEEEEPS6_PKS6_NS0_5tupleIJSF_S6_EEENSJ_IJSG_SG_EEENS0_18inequality_wrapperI22is_equal_div_10_uniqueIsEEEPmJS6_EEE10hipError_tPvRmT3_T4_T5_T6_T7_T9_mT8_P12ihipStream_tbDpT10_ENKUlT_T0_E_clISt17integral_constantIbLb1EES19_IbLb0EEEEDaS15_S16_EUlS15_E_NS1_11comp_targetILNS1_3genE9ELNS1_11target_archE1100ELNS1_3gpuE3ELNS1_3repE0EEENS1_30default_config_static_selectorELNS0_4arch9wavefront6targetE1EEEvT1_,"axG",@progbits,_ZN7rocprim17ROCPRIM_400000_NS6detail17trampoline_kernelINS0_14default_configENS1_25partition_config_selectorILNS1_17partition_subalgoE8EsNS0_10empty_typeEbEEZZNS1_14partition_implILS5_8ELb0ES3_jN6thrust23THRUST_200600_302600_NS6detail15normal_iteratorINSA_10device_ptrIsEEEEPS6_PKS6_NS0_5tupleIJSF_S6_EEENSJ_IJSG_SG_EEENS0_18inequality_wrapperI22is_equal_div_10_uniqueIsEEEPmJS6_EEE10hipError_tPvRmT3_T4_T5_T6_T7_T9_mT8_P12ihipStream_tbDpT10_ENKUlT_T0_E_clISt17integral_constantIbLb1EES19_IbLb0EEEEDaS15_S16_EUlS15_E_NS1_11comp_targetILNS1_3genE9ELNS1_11target_archE1100ELNS1_3gpuE3ELNS1_3repE0EEENS1_30default_config_static_selectorELNS0_4arch9wavefront6targetE1EEEvT1_,comdat
	.protected	_ZN7rocprim17ROCPRIM_400000_NS6detail17trampoline_kernelINS0_14default_configENS1_25partition_config_selectorILNS1_17partition_subalgoE8EsNS0_10empty_typeEbEEZZNS1_14partition_implILS5_8ELb0ES3_jN6thrust23THRUST_200600_302600_NS6detail15normal_iteratorINSA_10device_ptrIsEEEEPS6_PKS6_NS0_5tupleIJSF_S6_EEENSJ_IJSG_SG_EEENS0_18inequality_wrapperI22is_equal_div_10_uniqueIsEEEPmJS6_EEE10hipError_tPvRmT3_T4_T5_T6_T7_T9_mT8_P12ihipStream_tbDpT10_ENKUlT_T0_E_clISt17integral_constantIbLb1EES19_IbLb0EEEEDaS15_S16_EUlS15_E_NS1_11comp_targetILNS1_3genE9ELNS1_11target_archE1100ELNS1_3gpuE3ELNS1_3repE0EEENS1_30default_config_static_selectorELNS0_4arch9wavefront6targetE1EEEvT1_ ; -- Begin function _ZN7rocprim17ROCPRIM_400000_NS6detail17trampoline_kernelINS0_14default_configENS1_25partition_config_selectorILNS1_17partition_subalgoE8EsNS0_10empty_typeEbEEZZNS1_14partition_implILS5_8ELb0ES3_jN6thrust23THRUST_200600_302600_NS6detail15normal_iteratorINSA_10device_ptrIsEEEEPS6_PKS6_NS0_5tupleIJSF_S6_EEENSJ_IJSG_SG_EEENS0_18inequality_wrapperI22is_equal_div_10_uniqueIsEEEPmJS6_EEE10hipError_tPvRmT3_T4_T5_T6_T7_T9_mT8_P12ihipStream_tbDpT10_ENKUlT_T0_E_clISt17integral_constantIbLb1EES19_IbLb0EEEEDaS15_S16_EUlS15_E_NS1_11comp_targetILNS1_3genE9ELNS1_11target_archE1100ELNS1_3gpuE3ELNS1_3repE0EEENS1_30default_config_static_selectorELNS0_4arch9wavefront6targetE1EEEvT1_
	.globl	_ZN7rocprim17ROCPRIM_400000_NS6detail17trampoline_kernelINS0_14default_configENS1_25partition_config_selectorILNS1_17partition_subalgoE8EsNS0_10empty_typeEbEEZZNS1_14partition_implILS5_8ELb0ES3_jN6thrust23THRUST_200600_302600_NS6detail15normal_iteratorINSA_10device_ptrIsEEEEPS6_PKS6_NS0_5tupleIJSF_S6_EEENSJ_IJSG_SG_EEENS0_18inequality_wrapperI22is_equal_div_10_uniqueIsEEEPmJS6_EEE10hipError_tPvRmT3_T4_T5_T6_T7_T9_mT8_P12ihipStream_tbDpT10_ENKUlT_T0_E_clISt17integral_constantIbLb1EES19_IbLb0EEEEDaS15_S16_EUlS15_E_NS1_11comp_targetILNS1_3genE9ELNS1_11target_archE1100ELNS1_3gpuE3ELNS1_3repE0EEENS1_30default_config_static_selectorELNS0_4arch9wavefront6targetE1EEEvT1_
	.p2align	8
	.type	_ZN7rocprim17ROCPRIM_400000_NS6detail17trampoline_kernelINS0_14default_configENS1_25partition_config_selectorILNS1_17partition_subalgoE8EsNS0_10empty_typeEbEEZZNS1_14partition_implILS5_8ELb0ES3_jN6thrust23THRUST_200600_302600_NS6detail15normal_iteratorINSA_10device_ptrIsEEEEPS6_PKS6_NS0_5tupleIJSF_S6_EEENSJ_IJSG_SG_EEENS0_18inequality_wrapperI22is_equal_div_10_uniqueIsEEEPmJS6_EEE10hipError_tPvRmT3_T4_T5_T6_T7_T9_mT8_P12ihipStream_tbDpT10_ENKUlT_T0_E_clISt17integral_constantIbLb1EES19_IbLb0EEEEDaS15_S16_EUlS15_E_NS1_11comp_targetILNS1_3genE9ELNS1_11target_archE1100ELNS1_3gpuE3ELNS1_3repE0EEENS1_30default_config_static_selectorELNS0_4arch9wavefront6targetE1EEEvT1_,@function
_ZN7rocprim17ROCPRIM_400000_NS6detail17trampoline_kernelINS0_14default_configENS1_25partition_config_selectorILNS1_17partition_subalgoE8EsNS0_10empty_typeEbEEZZNS1_14partition_implILS5_8ELb0ES3_jN6thrust23THRUST_200600_302600_NS6detail15normal_iteratorINSA_10device_ptrIsEEEEPS6_PKS6_NS0_5tupleIJSF_S6_EEENSJ_IJSG_SG_EEENS0_18inequality_wrapperI22is_equal_div_10_uniqueIsEEEPmJS6_EEE10hipError_tPvRmT3_T4_T5_T6_T7_T9_mT8_P12ihipStream_tbDpT10_ENKUlT_T0_E_clISt17integral_constantIbLb1EES19_IbLb0EEEEDaS15_S16_EUlS15_E_NS1_11comp_targetILNS1_3genE9ELNS1_11target_archE1100ELNS1_3gpuE3ELNS1_3repE0EEENS1_30default_config_static_selectorELNS0_4arch9wavefront6targetE1EEEvT1_: ; @_ZN7rocprim17ROCPRIM_400000_NS6detail17trampoline_kernelINS0_14default_configENS1_25partition_config_selectorILNS1_17partition_subalgoE8EsNS0_10empty_typeEbEEZZNS1_14partition_implILS5_8ELb0ES3_jN6thrust23THRUST_200600_302600_NS6detail15normal_iteratorINSA_10device_ptrIsEEEEPS6_PKS6_NS0_5tupleIJSF_S6_EEENSJ_IJSG_SG_EEENS0_18inequality_wrapperI22is_equal_div_10_uniqueIsEEEPmJS6_EEE10hipError_tPvRmT3_T4_T5_T6_T7_T9_mT8_P12ihipStream_tbDpT10_ENKUlT_T0_E_clISt17integral_constantIbLb1EES19_IbLb0EEEEDaS15_S16_EUlS15_E_NS1_11comp_targetILNS1_3genE9ELNS1_11target_archE1100ELNS1_3gpuE3ELNS1_3repE0EEENS1_30default_config_static_selectorELNS0_4arch9wavefront6targetE1EEEvT1_
; %bb.0:
	.section	.rodata,"a",@progbits
	.p2align	6, 0x0
	.amdhsa_kernel _ZN7rocprim17ROCPRIM_400000_NS6detail17trampoline_kernelINS0_14default_configENS1_25partition_config_selectorILNS1_17partition_subalgoE8EsNS0_10empty_typeEbEEZZNS1_14partition_implILS5_8ELb0ES3_jN6thrust23THRUST_200600_302600_NS6detail15normal_iteratorINSA_10device_ptrIsEEEEPS6_PKS6_NS0_5tupleIJSF_S6_EEENSJ_IJSG_SG_EEENS0_18inequality_wrapperI22is_equal_div_10_uniqueIsEEEPmJS6_EEE10hipError_tPvRmT3_T4_T5_T6_T7_T9_mT8_P12ihipStream_tbDpT10_ENKUlT_T0_E_clISt17integral_constantIbLb1EES19_IbLb0EEEEDaS15_S16_EUlS15_E_NS1_11comp_targetILNS1_3genE9ELNS1_11target_archE1100ELNS1_3gpuE3ELNS1_3repE0EEENS1_30default_config_static_selectorELNS0_4arch9wavefront6targetE1EEEvT1_
		.amdhsa_group_segment_fixed_size 0
		.amdhsa_private_segment_fixed_size 0
		.amdhsa_kernarg_size 112
		.amdhsa_user_sgpr_count 6
		.amdhsa_user_sgpr_private_segment_buffer 1
		.amdhsa_user_sgpr_dispatch_ptr 0
		.amdhsa_user_sgpr_queue_ptr 0
		.amdhsa_user_sgpr_kernarg_segment_ptr 1
		.amdhsa_user_sgpr_dispatch_id 0
		.amdhsa_user_sgpr_flat_scratch_init 0
		.amdhsa_user_sgpr_private_segment_size 0
		.amdhsa_uses_dynamic_stack 0
		.amdhsa_system_sgpr_private_segment_wavefront_offset 0
		.amdhsa_system_sgpr_workgroup_id_x 1
		.amdhsa_system_sgpr_workgroup_id_y 0
		.amdhsa_system_sgpr_workgroup_id_z 0
		.amdhsa_system_sgpr_workgroup_info 0
		.amdhsa_system_vgpr_workitem_id 0
		.amdhsa_next_free_vgpr 1
		.amdhsa_next_free_sgpr 0
		.amdhsa_reserve_vcc 0
		.amdhsa_reserve_flat_scratch 0
		.amdhsa_float_round_mode_32 0
		.amdhsa_float_round_mode_16_64 0
		.amdhsa_float_denorm_mode_32 3
		.amdhsa_float_denorm_mode_16_64 3
		.amdhsa_dx10_clamp 1
		.amdhsa_ieee_mode 1
		.amdhsa_fp16_overflow 0
		.amdhsa_exception_fp_ieee_invalid_op 0
		.amdhsa_exception_fp_denorm_src 0
		.amdhsa_exception_fp_ieee_div_zero 0
		.amdhsa_exception_fp_ieee_overflow 0
		.amdhsa_exception_fp_ieee_underflow 0
		.amdhsa_exception_fp_ieee_inexact 0
		.amdhsa_exception_int_div_zero 0
	.end_amdhsa_kernel
	.section	.text._ZN7rocprim17ROCPRIM_400000_NS6detail17trampoline_kernelINS0_14default_configENS1_25partition_config_selectorILNS1_17partition_subalgoE8EsNS0_10empty_typeEbEEZZNS1_14partition_implILS5_8ELb0ES3_jN6thrust23THRUST_200600_302600_NS6detail15normal_iteratorINSA_10device_ptrIsEEEEPS6_PKS6_NS0_5tupleIJSF_S6_EEENSJ_IJSG_SG_EEENS0_18inequality_wrapperI22is_equal_div_10_uniqueIsEEEPmJS6_EEE10hipError_tPvRmT3_T4_T5_T6_T7_T9_mT8_P12ihipStream_tbDpT10_ENKUlT_T0_E_clISt17integral_constantIbLb1EES19_IbLb0EEEEDaS15_S16_EUlS15_E_NS1_11comp_targetILNS1_3genE9ELNS1_11target_archE1100ELNS1_3gpuE3ELNS1_3repE0EEENS1_30default_config_static_selectorELNS0_4arch9wavefront6targetE1EEEvT1_,"axG",@progbits,_ZN7rocprim17ROCPRIM_400000_NS6detail17trampoline_kernelINS0_14default_configENS1_25partition_config_selectorILNS1_17partition_subalgoE8EsNS0_10empty_typeEbEEZZNS1_14partition_implILS5_8ELb0ES3_jN6thrust23THRUST_200600_302600_NS6detail15normal_iteratorINSA_10device_ptrIsEEEEPS6_PKS6_NS0_5tupleIJSF_S6_EEENSJ_IJSG_SG_EEENS0_18inequality_wrapperI22is_equal_div_10_uniqueIsEEEPmJS6_EEE10hipError_tPvRmT3_T4_T5_T6_T7_T9_mT8_P12ihipStream_tbDpT10_ENKUlT_T0_E_clISt17integral_constantIbLb1EES19_IbLb0EEEEDaS15_S16_EUlS15_E_NS1_11comp_targetILNS1_3genE9ELNS1_11target_archE1100ELNS1_3gpuE3ELNS1_3repE0EEENS1_30default_config_static_selectorELNS0_4arch9wavefront6targetE1EEEvT1_,comdat
.Lfunc_end523:
	.size	_ZN7rocprim17ROCPRIM_400000_NS6detail17trampoline_kernelINS0_14default_configENS1_25partition_config_selectorILNS1_17partition_subalgoE8EsNS0_10empty_typeEbEEZZNS1_14partition_implILS5_8ELb0ES3_jN6thrust23THRUST_200600_302600_NS6detail15normal_iteratorINSA_10device_ptrIsEEEEPS6_PKS6_NS0_5tupleIJSF_S6_EEENSJ_IJSG_SG_EEENS0_18inequality_wrapperI22is_equal_div_10_uniqueIsEEEPmJS6_EEE10hipError_tPvRmT3_T4_T5_T6_T7_T9_mT8_P12ihipStream_tbDpT10_ENKUlT_T0_E_clISt17integral_constantIbLb1EES19_IbLb0EEEEDaS15_S16_EUlS15_E_NS1_11comp_targetILNS1_3genE9ELNS1_11target_archE1100ELNS1_3gpuE3ELNS1_3repE0EEENS1_30default_config_static_selectorELNS0_4arch9wavefront6targetE1EEEvT1_, .Lfunc_end523-_ZN7rocprim17ROCPRIM_400000_NS6detail17trampoline_kernelINS0_14default_configENS1_25partition_config_selectorILNS1_17partition_subalgoE8EsNS0_10empty_typeEbEEZZNS1_14partition_implILS5_8ELb0ES3_jN6thrust23THRUST_200600_302600_NS6detail15normal_iteratorINSA_10device_ptrIsEEEEPS6_PKS6_NS0_5tupleIJSF_S6_EEENSJ_IJSG_SG_EEENS0_18inequality_wrapperI22is_equal_div_10_uniqueIsEEEPmJS6_EEE10hipError_tPvRmT3_T4_T5_T6_T7_T9_mT8_P12ihipStream_tbDpT10_ENKUlT_T0_E_clISt17integral_constantIbLb1EES19_IbLb0EEEEDaS15_S16_EUlS15_E_NS1_11comp_targetILNS1_3genE9ELNS1_11target_archE1100ELNS1_3gpuE3ELNS1_3repE0EEENS1_30default_config_static_selectorELNS0_4arch9wavefront6targetE1EEEvT1_
                                        ; -- End function
	.set _ZN7rocprim17ROCPRIM_400000_NS6detail17trampoline_kernelINS0_14default_configENS1_25partition_config_selectorILNS1_17partition_subalgoE8EsNS0_10empty_typeEbEEZZNS1_14partition_implILS5_8ELb0ES3_jN6thrust23THRUST_200600_302600_NS6detail15normal_iteratorINSA_10device_ptrIsEEEEPS6_PKS6_NS0_5tupleIJSF_S6_EEENSJ_IJSG_SG_EEENS0_18inequality_wrapperI22is_equal_div_10_uniqueIsEEEPmJS6_EEE10hipError_tPvRmT3_T4_T5_T6_T7_T9_mT8_P12ihipStream_tbDpT10_ENKUlT_T0_E_clISt17integral_constantIbLb1EES19_IbLb0EEEEDaS15_S16_EUlS15_E_NS1_11comp_targetILNS1_3genE9ELNS1_11target_archE1100ELNS1_3gpuE3ELNS1_3repE0EEENS1_30default_config_static_selectorELNS0_4arch9wavefront6targetE1EEEvT1_.num_vgpr, 0
	.set _ZN7rocprim17ROCPRIM_400000_NS6detail17trampoline_kernelINS0_14default_configENS1_25partition_config_selectorILNS1_17partition_subalgoE8EsNS0_10empty_typeEbEEZZNS1_14partition_implILS5_8ELb0ES3_jN6thrust23THRUST_200600_302600_NS6detail15normal_iteratorINSA_10device_ptrIsEEEEPS6_PKS6_NS0_5tupleIJSF_S6_EEENSJ_IJSG_SG_EEENS0_18inequality_wrapperI22is_equal_div_10_uniqueIsEEEPmJS6_EEE10hipError_tPvRmT3_T4_T5_T6_T7_T9_mT8_P12ihipStream_tbDpT10_ENKUlT_T0_E_clISt17integral_constantIbLb1EES19_IbLb0EEEEDaS15_S16_EUlS15_E_NS1_11comp_targetILNS1_3genE9ELNS1_11target_archE1100ELNS1_3gpuE3ELNS1_3repE0EEENS1_30default_config_static_selectorELNS0_4arch9wavefront6targetE1EEEvT1_.num_agpr, 0
	.set _ZN7rocprim17ROCPRIM_400000_NS6detail17trampoline_kernelINS0_14default_configENS1_25partition_config_selectorILNS1_17partition_subalgoE8EsNS0_10empty_typeEbEEZZNS1_14partition_implILS5_8ELb0ES3_jN6thrust23THRUST_200600_302600_NS6detail15normal_iteratorINSA_10device_ptrIsEEEEPS6_PKS6_NS0_5tupleIJSF_S6_EEENSJ_IJSG_SG_EEENS0_18inequality_wrapperI22is_equal_div_10_uniqueIsEEEPmJS6_EEE10hipError_tPvRmT3_T4_T5_T6_T7_T9_mT8_P12ihipStream_tbDpT10_ENKUlT_T0_E_clISt17integral_constantIbLb1EES19_IbLb0EEEEDaS15_S16_EUlS15_E_NS1_11comp_targetILNS1_3genE9ELNS1_11target_archE1100ELNS1_3gpuE3ELNS1_3repE0EEENS1_30default_config_static_selectorELNS0_4arch9wavefront6targetE1EEEvT1_.numbered_sgpr, 0
	.set _ZN7rocprim17ROCPRIM_400000_NS6detail17trampoline_kernelINS0_14default_configENS1_25partition_config_selectorILNS1_17partition_subalgoE8EsNS0_10empty_typeEbEEZZNS1_14partition_implILS5_8ELb0ES3_jN6thrust23THRUST_200600_302600_NS6detail15normal_iteratorINSA_10device_ptrIsEEEEPS6_PKS6_NS0_5tupleIJSF_S6_EEENSJ_IJSG_SG_EEENS0_18inequality_wrapperI22is_equal_div_10_uniqueIsEEEPmJS6_EEE10hipError_tPvRmT3_T4_T5_T6_T7_T9_mT8_P12ihipStream_tbDpT10_ENKUlT_T0_E_clISt17integral_constantIbLb1EES19_IbLb0EEEEDaS15_S16_EUlS15_E_NS1_11comp_targetILNS1_3genE9ELNS1_11target_archE1100ELNS1_3gpuE3ELNS1_3repE0EEENS1_30default_config_static_selectorELNS0_4arch9wavefront6targetE1EEEvT1_.num_named_barrier, 0
	.set _ZN7rocprim17ROCPRIM_400000_NS6detail17trampoline_kernelINS0_14default_configENS1_25partition_config_selectorILNS1_17partition_subalgoE8EsNS0_10empty_typeEbEEZZNS1_14partition_implILS5_8ELb0ES3_jN6thrust23THRUST_200600_302600_NS6detail15normal_iteratorINSA_10device_ptrIsEEEEPS6_PKS6_NS0_5tupleIJSF_S6_EEENSJ_IJSG_SG_EEENS0_18inequality_wrapperI22is_equal_div_10_uniqueIsEEEPmJS6_EEE10hipError_tPvRmT3_T4_T5_T6_T7_T9_mT8_P12ihipStream_tbDpT10_ENKUlT_T0_E_clISt17integral_constantIbLb1EES19_IbLb0EEEEDaS15_S16_EUlS15_E_NS1_11comp_targetILNS1_3genE9ELNS1_11target_archE1100ELNS1_3gpuE3ELNS1_3repE0EEENS1_30default_config_static_selectorELNS0_4arch9wavefront6targetE1EEEvT1_.private_seg_size, 0
	.set _ZN7rocprim17ROCPRIM_400000_NS6detail17trampoline_kernelINS0_14default_configENS1_25partition_config_selectorILNS1_17partition_subalgoE8EsNS0_10empty_typeEbEEZZNS1_14partition_implILS5_8ELb0ES3_jN6thrust23THRUST_200600_302600_NS6detail15normal_iteratorINSA_10device_ptrIsEEEEPS6_PKS6_NS0_5tupleIJSF_S6_EEENSJ_IJSG_SG_EEENS0_18inequality_wrapperI22is_equal_div_10_uniqueIsEEEPmJS6_EEE10hipError_tPvRmT3_T4_T5_T6_T7_T9_mT8_P12ihipStream_tbDpT10_ENKUlT_T0_E_clISt17integral_constantIbLb1EES19_IbLb0EEEEDaS15_S16_EUlS15_E_NS1_11comp_targetILNS1_3genE9ELNS1_11target_archE1100ELNS1_3gpuE3ELNS1_3repE0EEENS1_30default_config_static_selectorELNS0_4arch9wavefront6targetE1EEEvT1_.uses_vcc, 0
	.set _ZN7rocprim17ROCPRIM_400000_NS6detail17trampoline_kernelINS0_14default_configENS1_25partition_config_selectorILNS1_17partition_subalgoE8EsNS0_10empty_typeEbEEZZNS1_14partition_implILS5_8ELb0ES3_jN6thrust23THRUST_200600_302600_NS6detail15normal_iteratorINSA_10device_ptrIsEEEEPS6_PKS6_NS0_5tupleIJSF_S6_EEENSJ_IJSG_SG_EEENS0_18inequality_wrapperI22is_equal_div_10_uniqueIsEEEPmJS6_EEE10hipError_tPvRmT3_T4_T5_T6_T7_T9_mT8_P12ihipStream_tbDpT10_ENKUlT_T0_E_clISt17integral_constantIbLb1EES19_IbLb0EEEEDaS15_S16_EUlS15_E_NS1_11comp_targetILNS1_3genE9ELNS1_11target_archE1100ELNS1_3gpuE3ELNS1_3repE0EEENS1_30default_config_static_selectorELNS0_4arch9wavefront6targetE1EEEvT1_.uses_flat_scratch, 0
	.set _ZN7rocprim17ROCPRIM_400000_NS6detail17trampoline_kernelINS0_14default_configENS1_25partition_config_selectorILNS1_17partition_subalgoE8EsNS0_10empty_typeEbEEZZNS1_14partition_implILS5_8ELb0ES3_jN6thrust23THRUST_200600_302600_NS6detail15normal_iteratorINSA_10device_ptrIsEEEEPS6_PKS6_NS0_5tupleIJSF_S6_EEENSJ_IJSG_SG_EEENS0_18inequality_wrapperI22is_equal_div_10_uniqueIsEEEPmJS6_EEE10hipError_tPvRmT3_T4_T5_T6_T7_T9_mT8_P12ihipStream_tbDpT10_ENKUlT_T0_E_clISt17integral_constantIbLb1EES19_IbLb0EEEEDaS15_S16_EUlS15_E_NS1_11comp_targetILNS1_3genE9ELNS1_11target_archE1100ELNS1_3gpuE3ELNS1_3repE0EEENS1_30default_config_static_selectorELNS0_4arch9wavefront6targetE1EEEvT1_.has_dyn_sized_stack, 0
	.set _ZN7rocprim17ROCPRIM_400000_NS6detail17trampoline_kernelINS0_14default_configENS1_25partition_config_selectorILNS1_17partition_subalgoE8EsNS0_10empty_typeEbEEZZNS1_14partition_implILS5_8ELb0ES3_jN6thrust23THRUST_200600_302600_NS6detail15normal_iteratorINSA_10device_ptrIsEEEEPS6_PKS6_NS0_5tupleIJSF_S6_EEENSJ_IJSG_SG_EEENS0_18inequality_wrapperI22is_equal_div_10_uniqueIsEEEPmJS6_EEE10hipError_tPvRmT3_T4_T5_T6_T7_T9_mT8_P12ihipStream_tbDpT10_ENKUlT_T0_E_clISt17integral_constantIbLb1EES19_IbLb0EEEEDaS15_S16_EUlS15_E_NS1_11comp_targetILNS1_3genE9ELNS1_11target_archE1100ELNS1_3gpuE3ELNS1_3repE0EEENS1_30default_config_static_selectorELNS0_4arch9wavefront6targetE1EEEvT1_.has_recursion, 0
	.set _ZN7rocprim17ROCPRIM_400000_NS6detail17trampoline_kernelINS0_14default_configENS1_25partition_config_selectorILNS1_17partition_subalgoE8EsNS0_10empty_typeEbEEZZNS1_14partition_implILS5_8ELb0ES3_jN6thrust23THRUST_200600_302600_NS6detail15normal_iteratorINSA_10device_ptrIsEEEEPS6_PKS6_NS0_5tupleIJSF_S6_EEENSJ_IJSG_SG_EEENS0_18inequality_wrapperI22is_equal_div_10_uniqueIsEEEPmJS6_EEE10hipError_tPvRmT3_T4_T5_T6_T7_T9_mT8_P12ihipStream_tbDpT10_ENKUlT_T0_E_clISt17integral_constantIbLb1EES19_IbLb0EEEEDaS15_S16_EUlS15_E_NS1_11comp_targetILNS1_3genE9ELNS1_11target_archE1100ELNS1_3gpuE3ELNS1_3repE0EEENS1_30default_config_static_selectorELNS0_4arch9wavefront6targetE1EEEvT1_.has_indirect_call, 0
	.section	.AMDGPU.csdata,"",@progbits
; Kernel info:
; codeLenInByte = 0
; TotalNumSgprs: 4
; NumVgprs: 0
; ScratchSize: 0
; MemoryBound: 0
; FloatMode: 240
; IeeeMode: 1
; LDSByteSize: 0 bytes/workgroup (compile time only)
; SGPRBlocks: 0
; VGPRBlocks: 0
; NumSGPRsForWavesPerEU: 4
; NumVGPRsForWavesPerEU: 1
; Occupancy: 10
; WaveLimiterHint : 0
; COMPUTE_PGM_RSRC2:SCRATCH_EN: 0
; COMPUTE_PGM_RSRC2:USER_SGPR: 6
; COMPUTE_PGM_RSRC2:TRAP_HANDLER: 0
; COMPUTE_PGM_RSRC2:TGID_X_EN: 1
; COMPUTE_PGM_RSRC2:TGID_Y_EN: 0
; COMPUTE_PGM_RSRC2:TGID_Z_EN: 0
; COMPUTE_PGM_RSRC2:TIDIG_COMP_CNT: 0
	.section	.text._ZN7rocprim17ROCPRIM_400000_NS6detail17trampoline_kernelINS0_14default_configENS1_25partition_config_selectorILNS1_17partition_subalgoE8EsNS0_10empty_typeEbEEZZNS1_14partition_implILS5_8ELb0ES3_jN6thrust23THRUST_200600_302600_NS6detail15normal_iteratorINSA_10device_ptrIsEEEEPS6_PKS6_NS0_5tupleIJSF_S6_EEENSJ_IJSG_SG_EEENS0_18inequality_wrapperI22is_equal_div_10_uniqueIsEEEPmJS6_EEE10hipError_tPvRmT3_T4_T5_T6_T7_T9_mT8_P12ihipStream_tbDpT10_ENKUlT_T0_E_clISt17integral_constantIbLb1EES19_IbLb0EEEEDaS15_S16_EUlS15_E_NS1_11comp_targetILNS1_3genE8ELNS1_11target_archE1030ELNS1_3gpuE2ELNS1_3repE0EEENS1_30default_config_static_selectorELNS0_4arch9wavefront6targetE1EEEvT1_,"axG",@progbits,_ZN7rocprim17ROCPRIM_400000_NS6detail17trampoline_kernelINS0_14default_configENS1_25partition_config_selectorILNS1_17partition_subalgoE8EsNS0_10empty_typeEbEEZZNS1_14partition_implILS5_8ELb0ES3_jN6thrust23THRUST_200600_302600_NS6detail15normal_iteratorINSA_10device_ptrIsEEEEPS6_PKS6_NS0_5tupleIJSF_S6_EEENSJ_IJSG_SG_EEENS0_18inequality_wrapperI22is_equal_div_10_uniqueIsEEEPmJS6_EEE10hipError_tPvRmT3_T4_T5_T6_T7_T9_mT8_P12ihipStream_tbDpT10_ENKUlT_T0_E_clISt17integral_constantIbLb1EES19_IbLb0EEEEDaS15_S16_EUlS15_E_NS1_11comp_targetILNS1_3genE8ELNS1_11target_archE1030ELNS1_3gpuE2ELNS1_3repE0EEENS1_30default_config_static_selectorELNS0_4arch9wavefront6targetE1EEEvT1_,comdat
	.protected	_ZN7rocprim17ROCPRIM_400000_NS6detail17trampoline_kernelINS0_14default_configENS1_25partition_config_selectorILNS1_17partition_subalgoE8EsNS0_10empty_typeEbEEZZNS1_14partition_implILS5_8ELb0ES3_jN6thrust23THRUST_200600_302600_NS6detail15normal_iteratorINSA_10device_ptrIsEEEEPS6_PKS6_NS0_5tupleIJSF_S6_EEENSJ_IJSG_SG_EEENS0_18inequality_wrapperI22is_equal_div_10_uniqueIsEEEPmJS6_EEE10hipError_tPvRmT3_T4_T5_T6_T7_T9_mT8_P12ihipStream_tbDpT10_ENKUlT_T0_E_clISt17integral_constantIbLb1EES19_IbLb0EEEEDaS15_S16_EUlS15_E_NS1_11comp_targetILNS1_3genE8ELNS1_11target_archE1030ELNS1_3gpuE2ELNS1_3repE0EEENS1_30default_config_static_selectorELNS0_4arch9wavefront6targetE1EEEvT1_ ; -- Begin function _ZN7rocprim17ROCPRIM_400000_NS6detail17trampoline_kernelINS0_14default_configENS1_25partition_config_selectorILNS1_17partition_subalgoE8EsNS0_10empty_typeEbEEZZNS1_14partition_implILS5_8ELb0ES3_jN6thrust23THRUST_200600_302600_NS6detail15normal_iteratorINSA_10device_ptrIsEEEEPS6_PKS6_NS0_5tupleIJSF_S6_EEENSJ_IJSG_SG_EEENS0_18inequality_wrapperI22is_equal_div_10_uniqueIsEEEPmJS6_EEE10hipError_tPvRmT3_T4_T5_T6_T7_T9_mT8_P12ihipStream_tbDpT10_ENKUlT_T0_E_clISt17integral_constantIbLb1EES19_IbLb0EEEEDaS15_S16_EUlS15_E_NS1_11comp_targetILNS1_3genE8ELNS1_11target_archE1030ELNS1_3gpuE2ELNS1_3repE0EEENS1_30default_config_static_selectorELNS0_4arch9wavefront6targetE1EEEvT1_
	.globl	_ZN7rocprim17ROCPRIM_400000_NS6detail17trampoline_kernelINS0_14default_configENS1_25partition_config_selectorILNS1_17partition_subalgoE8EsNS0_10empty_typeEbEEZZNS1_14partition_implILS5_8ELb0ES3_jN6thrust23THRUST_200600_302600_NS6detail15normal_iteratorINSA_10device_ptrIsEEEEPS6_PKS6_NS0_5tupleIJSF_S6_EEENSJ_IJSG_SG_EEENS0_18inequality_wrapperI22is_equal_div_10_uniqueIsEEEPmJS6_EEE10hipError_tPvRmT3_T4_T5_T6_T7_T9_mT8_P12ihipStream_tbDpT10_ENKUlT_T0_E_clISt17integral_constantIbLb1EES19_IbLb0EEEEDaS15_S16_EUlS15_E_NS1_11comp_targetILNS1_3genE8ELNS1_11target_archE1030ELNS1_3gpuE2ELNS1_3repE0EEENS1_30default_config_static_selectorELNS0_4arch9wavefront6targetE1EEEvT1_
	.p2align	8
	.type	_ZN7rocprim17ROCPRIM_400000_NS6detail17trampoline_kernelINS0_14default_configENS1_25partition_config_selectorILNS1_17partition_subalgoE8EsNS0_10empty_typeEbEEZZNS1_14partition_implILS5_8ELb0ES3_jN6thrust23THRUST_200600_302600_NS6detail15normal_iteratorINSA_10device_ptrIsEEEEPS6_PKS6_NS0_5tupleIJSF_S6_EEENSJ_IJSG_SG_EEENS0_18inequality_wrapperI22is_equal_div_10_uniqueIsEEEPmJS6_EEE10hipError_tPvRmT3_T4_T5_T6_T7_T9_mT8_P12ihipStream_tbDpT10_ENKUlT_T0_E_clISt17integral_constantIbLb1EES19_IbLb0EEEEDaS15_S16_EUlS15_E_NS1_11comp_targetILNS1_3genE8ELNS1_11target_archE1030ELNS1_3gpuE2ELNS1_3repE0EEENS1_30default_config_static_selectorELNS0_4arch9wavefront6targetE1EEEvT1_,@function
_ZN7rocprim17ROCPRIM_400000_NS6detail17trampoline_kernelINS0_14default_configENS1_25partition_config_selectorILNS1_17partition_subalgoE8EsNS0_10empty_typeEbEEZZNS1_14partition_implILS5_8ELb0ES3_jN6thrust23THRUST_200600_302600_NS6detail15normal_iteratorINSA_10device_ptrIsEEEEPS6_PKS6_NS0_5tupleIJSF_S6_EEENSJ_IJSG_SG_EEENS0_18inequality_wrapperI22is_equal_div_10_uniqueIsEEEPmJS6_EEE10hipError_tPvRmT3_T4_T5_T6_T7_T9_mT8_P12ihipStream_tbDpT10_ENKUlT_T0_E_clISt17integral_constantIbLb1EES19_IbLb0EEEEDaS15_S16_EUlS15_E_NS1_11comp_targetILNS1_3genE8ELNS1_11target_archE1030ELNS1_3gpuE2ELNS1_3repE0EEENS1_30default_config_static_selectorELNS0_4arch9wavefront6targetE1EEEvT1_: ; @_ZN7rocprim17ROCPRIM_400000_NS6detail17trampoline_kernelINS0_14default_configENS1_25partition_config_selectorILNS1_17partition_subalgoE8EsNS0_10empty_typeEbEEZZNS1_14partition_implILS5_8ELb0ES3_jN6thrust23THRUST_200600_302600_NS6detail15normal_iteratorINSA_10device_ptrIsEEEEPS6_PKS6_NS0_5tupleIJSF_S6_EEENSJ_IJSG_SG_EEENS0_18inequality_wrapperI22is_equal_div_10_uniqueIsEEEPmJS6_EEE10hipError_tPvRmT3_T4_T5_T6_T7_T9_mT8_P12ihipStream_tbDpT10_ENKUlT_T0_E_clISt17integral_constantIbLb1EES19_IbLb0EEEEDaS15_S16_EUlS15_E_NS1_11comp_targetILNS1_3genE8ELNS1_11target_archE1030ELNS1_3gpuE2ELNS1_3repE0EEENS1_30default_config_static_selectorELNS0_4arch9wavefront6targetE1EEEvT1_
; %bb.0:
	.section	.rodata,"a",@progbits
	.p2align	6, 0x0
	.amdhsa_kernel _ZN7rocprim17ROCPRIM_400000_NS6detail17trampoline_kernelINS0_14default_configENS1_25partition_config_selectorILNS1_17partition_subalgoE8EsNS0_10empty_typeEbEEZZNS1_14partition_implILS5_8ELb0ES3_jN6thrust23THRUST_200600_302600_NS6detail15normal_iteratorINSA_10device_ptrIsEEEEPS6_PKS6_NS0_5tupleIJSF_S6_EEENSJ_IJSG_SG_EEENS0_18inequality_wrapperI22is_equal_div_10_uniqueIsEEEPmJS6_EEE10hipError_tPvRmT3_T4_T5_T6_T7_T9_mT8_P12ihipStream_tbDpT10_ENKUlT_T0_E_clISt17integral_constantIbLb1EES19_IbLb0EEEEDaS15_S16_EUlS15_E_NS1_11comp_targetILNS1_3genE8ELNS1_11target_archE1030ELNS1_3gpuE2ELNS1_3repE0EEENS1_30default_config_static_selectorELNS0_4arch9wavefront6targetE1EEEvT1_
		.amdhsa_group_segment_fixed_size 0
		.amdhsa_private_segment_fixed_size 0
		.amdhsa_kernarg_size 112
		.amdhsa_user_sgpr_count 6
		.amdhsa_user_sgpr_private_segment_buffer 1
		.amdhsa_user_sgpr_dispatch_ptr 0
		.amdhsa_user_sgpr_queue_ptr 0
		.amdhsa_user_sgpr_kernarg_segment_ptr 1
		.amdhsa_user_sgpr_dispatch_id 0
		.amdhsa_user_sgpr_flat_scratch_init 0
		.amdhsa_user_sgpr_private_segment_size 0
		.amdhsa_uses_dynamic_stack 0
		.amdhsa_system_sgpr_private_segment_wavefront_offset 0
		.amdhsa_system_sgpr_workgroup_id_x 1
		.amdhsa_system_sgpr_workgroup_id_y 0
		.amdhsa_system_sgpr_workgroup_id_z 0
		.amdhsa_system_sgpr_workgroup_info 0
		.amdhsa_system_vgpr_workitem_id 0
		.amdhsa_next_free_vgpr 1
		.amdhsa_next_free_sgpr 0
		.amdhsa_reserve_vcc 0
		.amdhsa_reserve_flat_scratch 0
		.amdhsa_float_round_mode_32 0
		.amdhsa_float_round_mode_16_64 0
		.amdhsa_float_denorm_mode_32 3
		.amdhsa_float_denorm_mode_16_64 3
		.amdhsa_dx10_clamp 1
		.amdhsa_ieee_mode 1
		.amdhsa_fp16_overflow 0
		.amdhsa_exception_fp_ieee_invalid_op 0
		.amdhsa_exception_fp_denorm_src 0
		.amdhsa_exception_fp_ieee_div_zero 0
		.amdhsa_exception_fp_ieee_overflow 0
		.amdhsa_exception_fp_ieee_underflow 0
		.amdhsa_exception_fp_ieee_inexact 0
		.amdhsa_exception_int_div_zero 0
	.end_amdhsa_kernel
	.section	.text._ZN7rocprim17ROCPRIM_400000_NS6detail17trampoline_kernelINS0_14default_configENS1_25partition_config_selectorILNS1_17partition_subalgoE8EsNS0_10empty_typeEbEEZZNS1_14partition_implILS5_8ELb0ES3_jN6thrust23THRUST_200600_302600_NS6detail15normal_iteratorINSA_10device_ptrIsEEEEPS6_PKS6_NS0_5tupleIJSF_S6_EEENSJ_IJSG_SG_EEENS0_18inequality_wrapperI22is_equal_div_10_uniqueIsEEEPmJS6_EEE10hipError_tPvRmT3_T4_T5_T6_T7_T9_mT8_P12ihipStream_tbDpT10_ENKUlT_T0_E_clISt17integral_constantIbLb1EES19_IbLb0EEEEDaS15_S16_EUlS15_E_NS1_11comp_targetILNS1_3genE8ELNS1_11target_archE1030ELNS1_3gpuE2ELNS1_3repE0EEENS1_30default_config_static_selectorELNS0_4arch9wavefront6targetE1EEEvT1_,"axG",@progbits,_ZN7rocprim17ROCPRIM_400000_NS6detail17trampoline_kernelINS0_14default_configENS1_25partition_config_selectorILNS1_17partition_subalgoE8EsNS0_10empty_typeEbEEZZNS1_14partition_implILS5_8ELb0ES3_jN6thrust23THRUST_200600_302600_NS6detail15normal_iteratorINSA_10device_ptrIsEEEEPS6_PKS6_NS0_5tupleIJSF_S6_EEENSJ_IJSG_SG_EEENS0_18inequality_wrapperI22is_equal_div_10_uniqueIsEEEPmJS6_EEE10hipError_tPvRmT3_T4_T5_T6_T7_T9_mT8_P12ihipStream_tbDpT10_ENKUlT_T0_E_clISt17integral_constantIbLb1EES19_IbLb0EEEEDaS15_S16_EUlS15_E_NS1_11comp_targetILNS1_3genE8ELNS1_11target_archE1030ELNS1_3gpuE2ELNS1_3repE0EEENS1_30default_config_static_selectorELNS0_4arch9wavefront6targetE1EEEvT1_,comdat
.Lfunc_end524:
	.size	_ZN7rocprim17ROCPRIM_400000_NS6detail17trampoline_kernelINS0_14default_configENS1_25partition_config_selectorILNS1_17partition_subalgoE8EsNS0_10empty_typeEbEEZZNS1_14partition_implILS5_8ELb0ES3_jN6thrust23THRUST_200600_302600_NS6detail15normal_iteratorINSA_10device_ptrIsEEEEPS6_PKS6_NS0_5tupleIJSF_S6_EEENSJ_IJSG_SG_EEENS0_18inequality_wrapperI22is_equal_div_10_uniqueIsEEEPmJS6_EEE10hipError_tPvRmT3_T4_T5_T6_T7_T9_mT8_P12ihipStream_tbDpT10_ENKUlT_T0_E_clISt17integral_constantIbLb1EES19_IbLb0EEEEDaS15_S16_EUlS15_E_NS1_11comp_targetILNS1_3genE8ELNS1_11target_archE1030ELNS1_3gpuE2ELNS1_3repE0EEENS1_30default_config_static_selectorELNS0_4arch9wavefront6targetE1EEEvT1_, .Lfunc_end524-_ZN7rocprim17ROCPRIM_400000_NS6detail17trampoline_kernelINS0_14default_configENS1_25partition_config_selectorILNS1_17partition_subalgoE8EsNS0_10empty_typeEbEEZZNS1_14partition_implILS5_8ELb0ES3_jN6thrust23THRUST_200600_302600_NS6detail15normal_iteratorINSA_10device_ptrIsEEEEPS6_PKS6_NS0_5tupleIJSF_S6_EEENSJ_IJSG_SG_EEENS0_18inequality_wrapperI22is_equal_div_10_uniqueIsEEEPmJS6_EEE10hipError_tPvRmT3_T4_T5_T6_T7_T9_mT8_P12ihipStream_tbDpT10_ENKUlT_T0_E_clISt17integral_constantIbLb1EES19_IbLb0EEEEDaS15_S16_EUlS15_E_NS1_11comp_targetILNS1_3genE8ELNS1_11target_archE1030ELNS1_3gpuE2ELNS1_3repE0EEENS1_30default_config_static_selectorELNS0_4arch9wavefront6targetE1EEEvT1_
                                        ; -- End function
	.set _ZN7rocprim17ROCPRIM_400000_NS6detail17trampoline_kernelINS0_14default_configENS1_25partition_config_selectorILNS1_17partition_subalgoE8EsNS0_10empty_typeEbEEZZNS1_14partition_implILS5_8ELb0ES3_jN6thrust23THRUST_200600_302600_NS6detail15normal_iteratorINSA_10device_ptrIsEEEEPS6_PKS6_NS0_5tupleIJSF_S6_EEENSJ_IJSG_SG_EEENS0_18inequality_wrapperI22is_equal_div_10_uniqueIsEEEPmJS6_EEE10hipError_tPvRmT3_T4_T5_T6_T7_T9_mT8_P12ihipStream_tbDpT10_ENKUlT_T0_E_clISt17integral_constantIbLb1EES19_IbLb0EEEEDaS15_S16_EUlS15_E_NS1_11comp_targetILNS1_3genE8ELNS1_11target_archE1030ELNS1_3gpuE2ELNS1_3repE0EEENS1_30default_config_static_selectorELNS0_4arch9wavefront6targetE1EEEvT1_.num_vgpr, 0
	.set _ZN7rocprim17ROCPRIM_400000_NS6detail17trampoline_kernelINS0_14default_configENS1_25partition_config_selectorILNS1_17partition_subalgoE8EsNS0_10empty_typeEbEEZZNS1_14partition_implILS5_8ELb0ES3_jN6thrust23THRUST_200600_302600_NS6detail15normal_iteratorINSA_10device_ptrIsEEEEPS6_PKS6_NS0_5tupleIJSF_S6_EEENSJ_IJSG_SG_EEENS0_18inequality_wrapperI22is_equal_div_10_uniqueIsEEEPmJS6_EEE10hipError_tPvRmT3_T4_T5_T6_T7_T9_mT8_P12ihipStream_tbDpT10_ENKUlT_T0_E_clISt17integral_constantIbLb1EES19_IbLb0EEEEDaS15_S16_EUlS15_E_NS1_11comp_targetILNS1_3genE8ELNS1_11target_archE1030ELNS1_3gpuE2ELNS1_3repE0EEENS1_30default_config_static_selectorELNS0_4arch9wavefront6targetE1EEEvT1_.num_agpr, 0
	.set _ZN7rocprim17ROCPRIM_400000_NS6detail17trampoline_kernelINS0_14default_configENS1_25partition_config_selectorILNS1_17partition_subalgoE8EsNS0_10empty_typeEbEEZZNS1_14partition_implILS5_8ELb0ES3_jN6thrust23THRUST_200600_302600_NS6detail15normal_iteratorINSA_10device_ptrIsEEEEPS6_PKS6_NS0_5tupleIJSF_S6_EEENSJ_IJSG_SG_EEENS0_18inequality_wrapperI22is_equal_div_10_uniqueIsEEEPmJS6_EEE10hipError_tPvRmT3_T4_T5_T6_T7_T9_mT8_P12ihipStream_tbDpT10_ENKUlT_T0_E_clISt17integral_constantIbLb1EES19_IbLb0EEEEDaS15_S16_EUlS15_E_NS1_11comp_targetILNS1_3genE8ELNS1_11target_archE1030ELNS1_3gpuE2ELNS1_3repE0EEENS1_30default_config_static_selectorELNS0_4arch9wavefront6targetE1EEEvT1_.numbered_sgpr, 0
	.set _ZN7rocprim17ROCPRIM_400000_NS6detail17trampoline_kernelINS0_14default_configENS1_25partition_config_selectorILNS1_17partition_subalgoE8EsNS0_10empty_typeEbEEZZNS1_14partition_implILS5_8ELb0ES3_jN6thrust23THRUST_200600_302600_NS6detail15normal_iteratorINSA_10device_ptrIsEEEEPS6_PKS6_NS0_5tupleIJSF_S6_EEENSJ_IJSG_SG_EEENS0_18inequality_wrapperI22is_equal_div_10_uniqueIsEEEPmJS6_EEE10hipError_tPvRmT3_T4_T5_T6_T7_T9_mT8_P12ihipStream_tbDpT10_ENKUlT_T0_E_clISt17integral_constantIbLb1EES19_IbLb0EEEEDaS15_S16_EUlS15_E_NS1_11comp_targetILNS1_3genE8ELNS1_11target_archE1030ELNS1_3gpuE2ELNS1_3repE0EEENS1_30default_config_static_selectorELNS0_4arch9wavefront6targetE1EEEvT1_.num_named_barrier, 0
	.set _ZN7rocprim17ROCPRIM_400000_NS6detail17trampoline_kernelINS0_14default_configENS1_25partition_config_selectorILNS1_17partition_subalgoE8EsNS0_10empty_typeEbEEZZNS1_14partition_implILS5_8ELb0ES3_jN6thrust23THRUST_200600_302600_NS6detail15normal_iteratorINSA_10device_ptrIsEEEEPS6_PKS6_NS0_5tupleIJSF_S6_EEENSJ_IJSG_SG_EEENS0_18inequality_wrapperI22is_equal_div_10_uniqueIsEEEPmJS6_EEE10hipError_tPvRmT3_T4_T5_T6_T7_T9_mT8_P12ihipStream_tbDpT10_ENKUlT_T0_E_clISt17integral_constantIbLb1EES19_IbLb0EEEEDaS15_S16_EUlS15_E_NS1_11comp_targetILNS1_3genE8ELNS1_11target_archE1030ELNS1_3gpuE2ELNS1_3repE0EEENS1_30default_config_static_selectorELNS0_4arch9wavefront6targetE1EEEvT1_.private_seg_size, 0
	.set _ZN7rocprim17ROCPRIM_400000_NS6detail17trampoline_kernelINS0_14default_configENS1_25partition_config_selectorILNS1_17partition_subalgoE8EsNS0_10empty_typeEbEEZZNS1_14partition_implILS5_8ELb0ES3_jN6thrust23THRUST_200600_302600_NS6detail15normal_iteratorINSA_10device_ptrIsEEEEPS6_PKS6_NS0_5tupleIJSF_S6_EEENSJ_IJSG_SG_EEENS0_18inequality_wrapperI22is_equal_div_10_uniqueIsEEEPmJS6_EEE10hipError_tPvRmT3_T4_T5_T6_T7_T9_mT8_P12ihipStream_tbDpT10_ENKUlT_T0_E_clISt17integral_constantIbLb1EES19_IbLb0EEEEDaS15_S16_EUlS15_E_NS1_11comp_targetILNS1_3genE8ELNS1_11target_archE1030ELNS1_3gpuE2ELNS1_3repE0EEENS1_30default_config_static_selectorELNS0_4arch9wavefront6targetE1EEEvT1_.uses_vcc, 0
	.set _ZN7rocprim17ROCPRIM_400000_NS6detail17trampoline_kernelINS0_14default_configENS1_25partition_config_selectorILNS1_17partition_subalgoE8EsNS0_10empty_typeEbEEZZNS1_14partition_implILS5_8ELb0ES3_jN6thrust23THRUST_200600_302600_NS6detail15normal_iteratorINSA_10device_ptrIsEEEEPS6_PKS6_NS0_5tupleIJSF_S6_EEENSJ_IJSG_SG_EEENS0_18inequality_wrapperI22is_equal_div_10_uniqueIsEEEPmJS6_EEE10hipError_tPvRmT3_T4_T5_T6_T7_T9_mT8_P12ihipStream_tbDpT10_ENKUlT_T0_E_clISt17integral_constantIbLb1EES19_IbLb0EEEEDaS15_S16_EUlS15_E_NS1_11comp_targetILNS1_3genE8ELNS1_11target_archE1030ELNS1_3gpuE2ELNS1_3repE0EEENS1_30default_config_static_selectorELNS0_4arch9wavefront6targetE1EEEvT1_.uses_flat_scratch, 0
	.set _ZN7rocprim17ROCPRIM_400000_NS6detail17trampoline_kernelINS0_14default_configENS1_25partition_config_selectorILNS1_17partition_subalgoE8EsNS0_10empty_typeEbEEZZNS1_14partition_implILS5_8ELb0ES3_jN6thrust23THRUST_200600_302600_NS6detail15normal_iteratorINSA_10device_ptrIsEEEEPS6_PKS6_NS0_5tupleIJSF_S6_EEENSJ_IJSG_SG_EEENS0_18inequality_wrapperI22is_equal_div_10_uniqueIsEEEPmJS6_EEE10hipError_tPvRmT3_T4_T5_T6_T7_T9_mT8_P12ihipStream_tbDpT10_ENKUlT_T0_E_clISt17integral_constantIbLb1EES19_IbLb0EEEEDaS15_S16_EUlS15_E_NS1_11comp_targetILNS1_3genE8ELNS1_11target_archE1030ELNS1_3gpuE2ELNS1_3repE0EEENS1_30default_config_static_selectorELNS0_4arch9wavefront6targetE1EEEvT1_.has_dyn_sized_stack, 0
	.set _ZN7rocprim17ROCPRIM_400000_NS6detail17trampoline_kernelINS0_14default_configENS1_25partition_config_selectorILNS1_17partition_subalgoE8EsNS0_10empty_typeEbEEZZNS1_14partition_implILS5_8ELb0ES3_jN6thrust23THRUST_200600_302600_NS6detail15normal_iteratorINSA_10device_ptrIsEEEEPS6_PKS6_NS0_5tupleIJSF_S6_EEENSJ_IJSG_SG_EEENS0_18inequality_wrapperI22is_equal_div_10_uniqueIsEEEPmJS6_EEE10hipError_tPvRmT3_T4_T5_T6_T7_T9_mT8_P12ihipStream_tbDpT10_ENKUlT_T0_E_clISt17integral_constantIbLb1EES19_IbLb0EEEEDaS15_S16_EUlS15_E_NS1_11comp_targetILNS1_3genE8ELNS1_11target_archE1030ELNS1_3gpuE2ELNS1_3repE0EEENS1_30default_config_static_selectorELNS0_4arch9wavefront6targetE1EEEvT1_.has_recursion, 0
	.set _ZN7rocprim17ROCPRIM_400000_NS6detail17trampoline_kernelINS0_14default_configENS1_25partition_config_selectorILNS1_17partition_subalgoE8EsNS0_10empty_typeEbEEZZNS1_14partition_implILS5_8ELb0ES3_jN6thrust23THRUST_200600_302600_NS6detail15normal_iteratorINSA_10device_ptrIsEEEEPS6_PKS6_NS0_5tupleIJSF_S6_EEENSJ_IJSG_SG_EEENS0_18inequality_wrapperI22is_equal_div_10_uniqueIsEEEPmJS6_EEE10hipError_tPvRmT3_T4_T5_T6_T7_T9_mT8_P12ihipStream_tbDpT10_ENKUlT_T0_E_clISt17integral_constantIbLb1EES19_IbLb0EEEEDaS15_S16_EUlS15_E_NS1_11comp_targetILNS1_3genE8ELNS1_11target_archE1030ELNS1_3gpuE2ELNS1_3repE0EEENS1_30default_config_static_selectorELNS0_4arch9wavefront6targetE1EEEvT1_.has_indirect_call, 0
	.section	.AMDGPU.csdata,"",@progbits
; Kernel info:
; codeLenInByte = 0
; TotalNumSgprs: 4
; NumVgprs: 0
; ScratchSize: 0
; MemoryBound: 0
; FloatMode: 240
; IeeeMode: 1
; LDSByteSize: 0 bytes/workgroup (compile time only)
; SGPRBlocks: 0
; VGPRBlocks: 0
; NumSGPRsForWavesPerEU: 4
; NumVGPRsForWavesPerEU: 1
; Occupancy: 10
; WaveLimiterHint : 0
; COMPUTE_PGM_RSRC2:SCRATCH_EN: 0
; COMPUTE_PGM_RSRC2:USER_SGPR: 6
; COMPUTE_PGM_RSRC2:TRAP_HANDLER: 0
; COMPUTE_PGM_RSRC2:TGID_X_EN: 1
; COMPUTE_PGM_RSRC2:TGID_Y_EN: 0
; COMPUTE_PGM_RSRC2:TGID_Z_EN: 0
; COMPUTE_PGM_RSRC2:TIDIG_COMP_CNT: 0
	.section	.text._ZN7rocprim17ROCPRIM_400000_NS6detail17trampoline_kernelINS0_14default_configENS1_25partition_config_selectorILNS1_17partition_subalgoE8EsNS0_10empty_typeEbEEZZNS1_14partition_implILS5_8ELb0ES3_jN6thrust23THRUST_200600_302600_NS6detail15normal_iteratorINSA_10device_ptrIsEEEEPS6_PKS6_NS0_5tupleIJSF_S6_EEENSJ_IJSG_SG_EEENS0_18inequality_wrapperI22is_equal_div_10_uniqueIsEEEPmJS6_EEE10hipError_tPvRmT3_T4_T5_T6_T7_T9_mT8_P12ihipStream_tbDpT10_ENKUlT_T0_E_clISt17integral_constantIbLb0EES19_IbLb1EEEEDaS15_S16_EUlS15_E_NS1_11comp_targetILNS1_3genE0ELNS1_11target_archE4294967295ELNS1_3gpuE0ELNS1_3repE0EEENS1_30default_config_static_selectorELNS0_4arch9wavefront6targetE1EEEvT1_,"axG",@progbits,_ZN7rocprim17ROCPRIM_400000_NS6detail17trampoline_kernelINS0_14default_configENS1_25partition_config_selectorILNS1_17partition_subalgoE8EsNS0_10empty_typeEbEEZZNS1_14partition_implILS5_8ELb0ES3_jN6thrust23THRUST_200600_302600_NS6detail15normal_iteratorINSA_10device_ptrIsEEEEPS6_PKS6_NS0_5tupleIJSF_S6_EEENSJ_IJSG_SG_EEENS0_18inequality_wrapperI22is_equal_div_10_uniqueIsEEEPmJS6_EEE10hipError_tPvRmT3_T4_T5_T6_T7_T9_mT8_P12ihipStream_tbDpT10_ENKUlT_T0_E_clISt17integral_constantIbLb0EES19_IbLb1EEEEDaS15_S16_EUlS15_E_NS1_11comp_targetILNS1_3genE0ELNS1_11target_archE4294967295ELNS1_3gpuE0ELNS1_3repE0EEENS1_30default_config_static_selectorELNS0_4arch9wavefront6targetE1EEEvT1_,comdat
	.protected	_ZN7rocprim17ROCPRIM_400000_NS6detail17trampoline_kernelINS0_14default_configENS1_25partition_config_selectorILNS1_17partition_subalgoE8EsNS0_10empty_typeEbEEZZNS1_14partition_implILS5_8ELb0ES3_jN6thrust23THRUST_200600_302600_NS6detail15normal_iteratorINSA_10device_ptrIsEEEEPS6_PKS6_NS0_5tupleIJSF_S6_EEENSJ_IJSG_SG_EEENS0_18inequality_wrapperI22is_equal_div_10_uniqueIsEEEPmJS6_EEE10hipError_tPvRmT3_T4_T5_T6_T7_T9_mT8_P12ihipStream_tbDpT10_ENKUlT_T0_E_clISt17integral_constantIbLb0EES19_IbLb1EEEEDaS15_S16_EUlS15_E_NS1_11comp_targetILNS1_3genE0ELNS1_11target_archE4294967295ELNS1_3gpuE0ELNS1_3repE0EEENS1_30default_config_static_selectorELNS0_4arch9wavefront6targetE1EEEvT1_ ; -- Begin function _ZN7rocprim17ROCPRIM_400000_NS6detail17trampoline_kernelINS0_14default_configENS1_25partition_config_selectorILNS1_17partition_subalgoE8EsNS0_10empty_typeEbEEZZNS1_14partition_implILS5_8ELb0ES3_jN6thrust23THRUST_200600_302600_NS6detail15normal_iteratorINSA_10device_ptrIsEEEEPS6_PKS6_NS0_5tupleIJSF_S6_EEENSJ_IJSG_SG_EEENS0_18inequality_wrapperI22is_equal_div_10_uniqueIsEEEPmJS6_EEE10hipError_tPvRmT3_T4_T5_T6_T7_T9_mT8_P12ihipStream_tbDpT10_ENKUlT_T0_E_clISt17integral_constantIbLb0EES19_IbLb1EEEEDaS15_S16_EUlS15_E_NS1_11comp_targetILNS1_3genE0ELNS1_11target_archE4294967295ELNS1_3gpuE0ELNS1_3repE0EEENS1_30default_config_static_selectorELNS0_4arch9wavefront6targetE1EEEvT1_
	.globl	_ZN7rocprim17ROCPRIM_400000_NS6detail17trampoline_kernelINS0_14default_configENS1_25partition_config_selectorILNS1_17partition_subalgoE8EsNS0_10empty_typeEbEEZZNS1_14partition_implILS5_8ELb0ES3_jN6thrust23THRUST_200600_302600_NS6detail15normal_iteratorINSA_10device_ptrIsEEEEPS6_PKS6_NS0_5tupleIJSF_S6_EEENSJ_IJSG_SG_EEENS0_18inequality_wrapperI22is_equal_div_10_uniqueIsEEEPmJS6_EEE10hipError_tPvRmT3_T4_T5_T6_T7_T9_mT8_P12ihipStream_tbDpT10_ENKUlT_T0_E_clISt17integral_constantIbLb0EES19_IbLb1EEEEDaS15_S16_EUlS15_E_NS1_11comp_targetILNS1_3genE0ELNS1_11target_archE4294967295ELNS1_3gpuE0ELNS1_3repE0EEENS1_30default_config_static_selectorELNS0_4arch9wavefront6targetE1EEEvT1_
	.p2align	8
	.type	_ZN7rocprim17ROCPRIM_400000_NS6detail17trampoline_kernelINS0_14default_configENS1_25partition_config_selectorILNS1_17partition_subalgoE8EsNS0_10empty_typeEbEEZZNS1_14partition_implILS5_8ELb0ES3_jN6thrust23THRUST_200600_302600_NS6detail15normal_iteratorINSA_10device_ptrIsEEEEPS6_PKS6_NS0_5tupleIJSF_S6_EEENSJ_IJSG_SG_EEENS0_18inequality_wrapperI22is_equal_div_10_uniqueIsEEEPmJS6_EEE10hipError_tPvRmT3_T4_T5_T6_T7_T9_mT8_P12ihipStream_tbDpT10_ENKUlT_T0_E_clISt17integral_constantIbLb0EES19_IbLb1EEEEDaS15_S16_EUlS15_E_NS1_11comp_targetILNS1_3genE0ELNS1_11target_archE4294967295ELNS1_3gpuE0ELNS1_3repE0EEENS1_30default_config_static_selectorELNS0_4arch9wavefront6targetE1EEEvT1_,@function
_ZN7rocprim17ROCPRIM_400000_NS6detail17trampoline_kernelINS0_14default_configENS1_25partition_config_selectorILNS1_17partition_subalgoE8EsNS0_10empty_typeEbEEZZNS1_14partition_implILS5_8ELb0ES3_jN6thrust23THRUST_200600_302600_NS6detail15normal_iteratorINSA_10device_ptrIsEEEEPS6_PKS6_NS0_5tupleIJSF_S6_EEENSJ_IJSG_SG_EEENS0_18inequality_wrapperI22is_equal_div_10_uniqueIsEEEPmJS6_EEE10hipError_tPvRmT3_T4_T5_T6_T7_T9_mT8_P12ihipStream_tbDpT10_ENKUlT_T0_E_clISt17integral_constantIbLb0EES19_IbLb1EEEEDaS15_S16_EUlS15_E_NS1_11comp_targetILNS1_3genE0ELNS1_11target_archE4294967295ELNS1_3gpuE0ELNS1_3repE0EEENS1_30default_config_static_selectorELNS0_4arch9wavefront6targetE1EEEvT1_: ; @_ZN7rocprim17ROCPRIM_400000_NS6detail17trampoline_kernelINS0_14default_configENS1_25partition_config_selectorILNS1_17partition_subalgoE8EsNS0_10empty_typeEbEEZZNS1_14partition_implILS5_8ELb0ES3_jN6thrust23THRUST_200600_302600_NS6detail15normal_iteratorINSA_10device_ptrIsEEEEPS6_PKS6_NS0_5tupleIJSF_S6_EEENSJ_IJSG_SG_EEENS0_18inequality_wrapperI22is_equal_div_10_uniqueIsEEEPmJS6_EEE10hipError_tPvRmT3_T4_T5_T6_T7_T9_mT8_P12ihipStream_tbDpT10_ENKUlT_T0_E_clISt17integral_constantIbLb0EES19_IbLb1EEEEDaS15_S16_EUlS15_E_NS1_11comp_targetILNS1_3genE0ELNS1_11target_archE4294967295ELNS1_3gpuE0ELNS1_3repE0EEENS1_30default_config_static_selectorELNS0_4arch9wavefront6targetE1EEEvT1_
; %bb.0:
	.section	.rodata,"a",@progbits
	.p2align	6, 0x0
	.amdhsa_kernel _ZN7rocprim17ROCPRIM_400000_NS6detail17trampoline_kernelINS0_14default_configENS1_25partition_config_selectorILNS1_17partition_subalgoE8EsNS0_10empty_typeEbEEZZNS1_14partition_implILS5_8ELb0ES3_jN6thrust23THRUST_200600_302600_NS6detail15normal_iteratorINSA_10device_ptrIsEEEEPS6_PKS6_NS0_5tupleIJSF_S6_EEENSJ_IJSG_SG_EEENS0_18inequality_wrapperI22is_equal_div_10_uniqueIsEEEPmJS6_EEE10hipError_tPvRmT3_T4_T5_T6_T7_T9_mT8_P12ihipStream_tbDpT10_ENKUlT_T0_E_clISt17integral_constantIbLb0EES19_IbLb1EEEEDaS15_S16_EUlS15_E_NS1_11comp_targetILNS1_3genE0ELNS1_11target_archE4294967295ELNS1_3gpuE0ELNS1_3repE0EEENS1_30default_config_static_selectorELNS0_4arch9wavefront6targetE1EEEvT1_
		.amdhsa_group_segment_fixed_size 0
		.amdhsa_private_segment_fixed_size 0
		.amdhsa_kernarg_size 128
		.amdhsa_user_sgpr_count 6
		.amdhsa_user_sgpr_private_segment_buffer 1
		.amdhsa_user_sgpr_dispatch_ptr 0
		.amdhsa_user_sgpr_queue_ptr 0
		.amdhsa_user_sgpr_kernarg_segment_ptr 1
		.amdhsa_user_sgpr_dispatch_id 0
		.amdhsa_user_sgpr_flat_scratch_init 0
		.amdhsa_user_sgpr_private_segment_size 0
		.amdhsa_uses_dynamic_stack 0
		.amdhsa_system_sgpr_private_segment_wavefront_offset 0
		.amdhsa_system_sgpr_workgroup_id_x 1
		.amdhsa_system_sgpr_workgroup_id_y 0
		.amdhsa_system_sgpr_workgroup_id_z 0
		.amdhsa_system_sgpr_workgroup_info 0
		.amdhsa_system_vgpr_workitem_id 0
		.amdhsa_next_free_vgpr 1
		.amdhsa_next_free_sgpr 0
		.amdhsa_reserve_vcc 0
		.amdhsa_reserve_flat_scratch 0
		.amdhsa_float_round_mode_32 0
		.amdhsa_float_round_mode_16_64 0
		.amdhsa_float_denorm_mode_32 3
		.amdhsa_float_denorm_mode_16_64 3
		.amdhsa_dx10_clamp 1
		.amdhsa_ieee_mode 1
		.amdhsa_fp16_overflow 0
		.amdhsa_exception_fp_ieee_invalid_op 0
		.amdhsa_exception_fp_denorm_src 0
		.amdhsa_exception_fp_ieee_div_zero 0
		.amdhsa_exception_fp_ieee_overflow 0
		.amdhsa_exception_fp_ieee_underflow 0
		.amdhsa_exception_fp_ieee_inexact 0
		.amdhsa_exception_int_div_zero 0
	.end_amdhsa_kernel
	.section	.text._ZN7rocprim17ROCPRIM_400000_NS6detail17trampoline_kernelINS0_14default_configENS1_25partition_config_selectorILNS1_17partition_subalgoE8EsNS0_10empty_typeEbEEZZNS1_14partition_implILS5_8ELb0ES3_jN6thrust23THRUST_200600_302600_NS6detail15normal_iteratorINSA_10device_ptrIsEEEEPS6_PKS6_NS0_5tupleIJSF_S6_EEENSJ_IJSG_SG_EEENS0_18inequality_wrapperI22is_equal_div_10_uniqueIsEEEPmJS6_EEE10hipError_tPvRmT3_T4_T5_T6_T7_T9_mT8_P12ihipStream_tbDpT10_ENKUlT_T0_E_clISt17integral_constantIbLb0EES19_IbLb1EEEEDaS15_S16_EUlS15_E_NS1_11comp_targetILNS1_3genE0ELNS1_11target_archE4294967295ELNS1_3gpuE0ELNS1_3repE0EEENS1_30default_config_static_selectorELNS0_4arch9wavefront6targetE1EEEvT1_,"axG",@progbits,_ZN7rocprim17ROCPRIM_400000_NS6detail17trampoline_kernelINS0_14default_configENS1_25partition_config_selectorILNS1_17partition_subalgoE8EsNS0_10empty_typeEbEEZZNS1_14partition_implILS5_8ELb0ES3_jN6thrust23THRUST_200600_302600_NS6detail15normal_iteratorINSA_10device_ptrIsEEEEPS6_PKS6_NS0_5tupleIJSF_S6_EEENSJ_IJSG_SG_EEENS0_18inequality_wrapperI22is_equal_div_10_uniqueIsEEEPmJS6_EEE10hipError_tPvRmT3_T4_T5_T6_T7_T9_mT8_P12ihipStream_tbDpT10_ENKUlT_T0_E_clISt17integral_constantIbLb0EES19_IbLb1EEEEDaS15_S16_EUlS15_E_NS1_11comp_targetILNS1_3genE0ELNS1_11target_archE4294967295ELNS1_3gpuE0ELNS1_3repE0EEENS1_30default_config_static_selectorELNS0_4arch9wavefront6targetE1EEEvT1_,comdat
.Lfunc_end525:
	.size	_ZN7rocprim17ROCPRIM_400000_NS6detail17trampoline_kernelINS0_14default_configENS1_25partition_config_selectorILNS1_17partition_subalgoE8EsNS0_10empty_typeEbEEZZNS1_14partition_implILS5_8ELb0ES3_jN6thrust23THRUST_200600_302600_NS6detail15normal_iteratorINSA_10device_ptrIsEEEEPS6_PKS6_NS0_5tupleIJSF_S6_EEENSJ_IJSG_SG_EEENS0_18inequality_wrapperI22is_equal_div_10_uniqueIsEEEPmJS6_EEE10hipError_tPvRmT3_T4_T5_T6_T7_T9_mT8_P12ihipStream_tbDpT10_ENKUlT_T0_E_clISt17integral_constantIbLb0EES19_IbLb1EEEEDaS15_S16_EUlS15_E_NS1_11comp_targetILNS1_3genE0ELNS1_11target_archE4294967295ELNS1_3gpuE0ELNS1_3repE0EEENS1_30default_config_static_selectorELNS0_4arch9wavefront6targetE1EEEvT1_, .Lfunc_end525-_ZN7rocprim17ROCPRIM_400000_NS6detail17trampoline_kernelINS0_14default_configENS1_25partition_config_selectorILNS1_17partition_subalgoE8EsNS0_10empty_typeEbEEZZNS1_14partition_implILS5_8ELb0ES3_jN6thrust23THRUST_200600_302600_NS6detail15normal_iteratorINSA_10device_ptrIsEEEEPS6_PKS6_NS0_5tupleIJSF_S6_EEENSJ_IJSG_SG_EEENS0_18inequality_wrapperI22is_equal_div_10_uniqueIsEEEPmJS6_EEE10hipError_tPvRmT3_T4_T5_T6_T7_T9_mT8_P12ihipStream_tbDpT10_ENKUlT_T0_E_clISt17integral_constantIbLb0EES19_IbLb1EEEEDaS15_S16_EUlS15_E_NS1_11comp_targetILNS1_3genE0ELNS1_11target_archE4294967295ELNS1_3gpuE0ELNS1_3repE0EEENS1_30default_config_static_selectorELNS0_4arch9wavefront6targetE1EEEvT1_
                                        ; -- End function
	.set _ZN7rocprim17ROCPRIM_400000_NS6detail17trampoline_kernelINS0_14default_configENS1_25partition_config_selectorILNS1_17partition_subalgoE8EsNS0_10empty_typeEbEEZZNS1_14partition_implILS5_8ELb0ES3_jN6thrust23THRUST_200600_302600_NS6detail15normal_iteratorINSA_10device_ptrIsEEEEPS6_PKS6_NS0_5tupleIJSF_S6_EEENSJ_IJSG_SG_EEENS0_18inequality_wrapperI22is_equal_div_10_uniqueIsEEEPmJS6_EEE10hipError_tPvRmT3_T4_T5_T6_T7_T9_mT8_P12ihipStream_tbDpT10_ENKUlT_T0_E_clISt17integral_constantIbLb0EES19_IbLb1EEEEDaS15_S16_EUlS15_E_NS1_11comp_targetILNS1_3genE0ELNS1_11target_archE4294967295ELNS1_3gpuE0ELNS1_3repE0EEENS1_30default_config_static_selectorELNS0_4arch9wavefront6targetE1EEEvT1_.num_vgpr, 0
	.set _ZN7rocprim17ROCPRIM_400000_NS6detail17trampoline_kernelINS0_14default_configENS1_25partition_config_selectorILNS1_17partition_subalgoE8EsNS0_10empty_typeEbEEZZNS1_14partition_implILS5_8ELb0ES3_jN6thrust23THRUST_200600_302600_NS6detail15normal_iteratorINSA_10device_ptrIsEEEEPS6_PKS6_NS0_5tupleIJSF_S6_EEENSJ_IJSG_SG_EEENS0_18inequality_wrapperI22is_equal_div_10_uniqueIsEEEPmJS6_EEE10hipError_tPvRmT3_T4_T5_T6_T7_T9_mT8_P12ihipStream_tbDpT10_ENKUlT_T0_E_clISt17integral_constantIbLb0EES19_IbLb1EEEEDaS15_S16_EUlS15_E_NS1_11comp_targetILNS1_3genE0ELNS1_11target_archE4294967295ELNS1_3gpuE0ELNS1_3repE0EEENS1_30default_config_static_selectorELNS0_4arch9wavefront6targetE1EEEvT1_.num_agpr, 0
	.set _ZN7rocprim17ROCPRIM_400000_NS6detail17trampoline_kernelINS0_14default_configENS1_25partition_config_selectorILNS1_17partition_subalgoE8EsNS0_10empty_typeEbEEZZNS1_14partition_implILS5_8ELb0ES3_jN6thrust23THRUST_200600_302600_NS6detail15normal_iteratorINSA_10device_ptrIsEEEEPS6_PKS6_NS0_5tupleIJSF_S6_EEENSJ_IJSG_SG_EEENS0_18inequality_wrapperI22is_equal_div_10_uniqueIsEEEPmJS6_EEE10hipError_tPvRmT3_T4_T5_T6_T7_T9_mT8_P12ihipStream_tbDpT10_ENKUlT_T0_E_clISt17integral_constantIbLb0EES19_IbLb1EEEEDaS15_S16_EUlS15_E_NS1_11comp_targetILNS1_3genE0ELNS1_11target_archE4294967295ELNS1_3gpuE0ELNS1_3repE0EEENS1_30default_config_static_selectorELNS0_4arch9wavefront6targetE1EEEvT1_.numbered_sgpr, 0
	.set _ZN7rocprim17ROCPRIM_400000_NS6detail17trampoline_kernelINS0_14default_configENS1_25partition_config_selectorILNS1_17partition_subalgoE8EsNS0_10empty_typeEbEEZZNS1_14partition_implILS5_8ELb0ES3_jN6thrust23THRUST_200600_302600_NS6detail15normal_iteratorINSA_10device_ptrIsEEEEPS6_PKS6_NS0_5tupleIJSF_S6_EEENSJ_IJSG_SG_EEENS0_18inequality_wrapperI22is_equal_div_10_uniqueIsEEEPmJS6_EEE10hipError_tPvRmT3_T4_T5_T6_T7_T9_mT8_P12ihipStream_tbDpT10_ENKUlT_T0_E_clISt17integral_constantIbLb0EES19_IbLb1EEEEDaS15_S16_EUlS15_E_NS1_11comp_targetILNS1_3genE0ELNS1_11target_archE4294967295ELNS1_3gpuE0ELNS1_3repE0EEENS1_30default_config_static_selectorELNS0_4arch9wavefront6targetE1EEEvT1_.num_named_barrier, 0
	.set _ZN7rocprim17ROCPRIM_400000_NS6detail17trampoline_kernelINS0_14default_configENS1_25partition_config_selectorILNS1_17partition_subalgoE8EsNS0_10empty_typeEbEEZZNS1_14partition_implILS5_8ELb0ES3_jN6thrust23THRUST_200600_302600_NS6detail15normal_iteratorINSA_10device_ptrIsEEEEPS6_PKS6_NS0_5tupleIJSF_S6_EEENSJ_IJSG_SG_EEENS0_18inequality_wrapperI22is_equal_div_10_uniqueIsEEEPmJS6_EEE10hipError_tPvRmT3_T4_T5_T6_T7_T9_mT8_P12ihipStream_tbDpT10_ENKUlT_T0_E_clISt17integral_constantIbLb0EES19_IbLb1EEEEDaS15_S16_EUlS15_E_NS1_11comp_targetILNS1_3genE0ELNS1_11target_archE4294967295ELNS1_3gpuE0ELNS1_3repE0EEENS1_30default_config_static_selectorELNS0_4arch9wavefront6targetE1EEEvT1_.private_seg_size, 0
	.set _ZN7rocprim17ROCPRIM_400000_NS6detail17trampoline_kernelINS0_14default_configENS1_25partition_config_selectorILNS1_17partition_subalgoE8EsNS0_10empty_typeEbEEZZNS1_14partition_implILS5_8ELb0ES3_jN6thrust23THRUST_200600_302600_NS6detail15normal_iteratorINSA_10device_ptrIsEEEEPS6_PKS6_NS0_5tupleIJSF_S6_EEENSJ_IJSG_SG_EEENS0_18inequality_wrapperI22is_equal_div_10_uniqueIsEEEPmJS6_EEE10hipError_tPvRmT3_T4_T5_T6_T7_T9_mT8_P12ihipStream_tbDpT10_ENKUlT_T0_E_clISt17integral_constantIbLb0EES19_IbLb1EEEEDaS15_S16_EUlS15_E_NS1_11comp_targetILNS1_3genE0ELNS1_11target_archE4294967295ELNS1_3gpuE0ELNS1_3repE0EEENS1_30default_config_static_selectorELNS0_4arch9wavefront6targetE1EEEvT1_.uses_vcc, 0
	.set _ZN7rocprim17ROCPRIM_400000_NS6detail17trampoline_kernelINS0_14default_configENS1_25partition_config_selectorILNS1_17partition_subalgoE8EsNS0_10empty_typeEbEEZZNS1_14partition_implILS5_8ELb0ES3_jN6thrust23THRUST_200600_302600_NS6detail15normal_iteratorINSA_10device_ptrIsEEEEPS6_PKS6_NS0_5tupleIJSF_S6_EEENSJ_IJSG_SG_EEENS0_18inequality_wrapperI22is_equal_div_10_uniqueIsEEEPmJS6_EEE10hipError_tPvRmT3_T4_T5_T6_T7_T9_mT8_P12ihipStream_tbDpT10_ENKUlT_T0_E_clISt17integral_constantIbLb0EES19_IbLb1EEEEDaS15_S16_EUlS15_E_NS1_11comp_targetILNS1_3genE0ELNS1_11target_archE4294967295ELNS1_3gpuE0ELNS1_3repE0EEENS1_30default_config_static_selectorELNS0_4arch9wavefront6targetE1EEEvT1_.uses_flat_scratch, 0
	.set _ZN7rocprim17ROCPRIM_400000_NS6detail17trampoline_kernelINS0_14default_configENS1_25partition_config_selectorILNS1_17partition_subalgoE8EsNS0_10empty_typeEbEEZZNS1_14partition_implILS5_8ELb0ES3_jN6thrust23THRUST_200600_302600_NS6detail15normal_iteratorINSA_10device_ptrIsEEEEPS6_PKS6_NS0_5tupleIJSF_S6_EEENSJ_IJSG_SG_EEENS0_18inequality_wrapperI22is_equal_div_10_uniqueIsEEEPmJS6_EEE10hipError_tPvRmT3_T4_T5_T6_T7_T9_mT8_P12ihipStream_tbDpT10_ENKUlT_T0_E_clISt17integral_constantIbLb0EES19_IbLb1EEEEDaS15_S16_EUlS15_E_NS1_11comp_targetILNS1_3genE0ELNS1_11target_archE4294967295ELNS1_3gpuE0ELNS1_3repE0EEENS1_30default_config_static_selectorELNS0_4arch9wavefront6targetE1EEEvT1_.has_dyn_sized_stack, 0
	.set _ZN7rocprim17ROCPRIM_400000_NS6detail17trampoline_kernelINS0_14default_configENS1_25partition_config_selectorILNS1_17partition_subalgoE8EsNS0_10empty_typeEbEEZZNS1_14partition_implILS5_8ELb0ES3_jN6thrust23THRUST_200600_302600_NS6detail15normal_iteratorINSA_10device_ptrIsEEEEPS6_PKS6_NS0_5tupleIJSF_S6_EEENSJ_IJSG_SG_EEENS0_18inequality_wrapperI22is_equal_div_10_uniqueIsEEEPmJS6_EEE10hipError_tPvRmT3_T4_T5_T6_T7_T9_mT8_P12ihipStream_tbDpT10_ENKUlT_T0_E_clISt17integral_constantIbLb0EES19_IbLb1EEEEDaS15_S16_EUlS15_E_NS1_11comp_targetILNS1_3genE0ELNS1_11target_archE4294967295ELNS1_3gpuE0ELNS1_3repE0EEENS1_30default_config_static_selectorELNS0_4arch9wavefront6targetE1EEEvT1_.has_recursion, 0
	.set _ZN7rocprim17ROCPRIM_400000_NS6detail17trampoline_kernelINS0_14default_configENS1_25partition_config_selectorILNS1_17partition_subalgoE8EsNS0_10empty_typeEbEEZZNS1_14partition_implILS5_8ELb0ES3_jN6thrust23THRUST_200600_302600_NS6detail15normal_iteratorINSA_10device_ptrIsEEEEPS6_PKS6_NS0_5tupleIJSF_S6_EEENSJ_IJSG_SG_EEENS0_18inequality_wrapperI22is_equal_div_10_uniqueIsEEEPmJS6_EEE10hipError_tPvRmT3_T4_T5_T6_T7_T9_mT8_P12ihipStream_tbDpT10_ENKUlT_T0_E_clISt17integral_constantIbLb0EES19_IbLb1EEEEDaS15_S16_EUlS15_E_NS1_11comp_targetILNS1_3genE0ELNS1_11target_archE4294967295ELNS1_3gpuE0ELNS1_3repE0EEENS1_30default_config_static_selectorELNS0_4arch9wavefront6targetE1EEEvT1_.has_indirect_call, 0
	.section	.AMDGPU.csdata,"",@progbits
; Kernel info:
; codeLenInByte = 0
; TotalNumSgprs: 4
; NumVgprs: 0
; ScratchSize: 0
; MemoryBound: 0
; FloatMode: 240
; IeeeMode: 1
; LDSByteSize: 0 bytes/workgroup (compile time only)
; SGPRBlocks: 0
; VGPRBlocks: 0
; NumSGPRsForWavesPerEU: 4
; NumVGPRsForWavesPerEU: 1
; Occupancy: 10
; WaveLimiterHint : 0
; COMPUTE_PGM_RSRC2:SCRATCH_EN: 0
; COMPUTE_PGM_RSRC2:USER_SGPR: 6
; COMPUTE_PGM_RSRC2:TRAP_HANDLER: 0
; COMPUTE_PGM_RSRC2:TGID_X_EN: 1
; COMPUTE_PGM_RSRC2:TGID_Y_EN: 0
; COMPUTE_PGM_RSRC2:TGID_Z_EN: 0
; COMPUTE_PGM_RSRC2:TIDIG_COMP_CNT: 0
	.section	.text._ZN7rocprim17ROCPRIM_400000_NS6detail17trampoline_kernelINS0_14default_configENS1_25partition_config_selectorILNS1_17partition_subalgoE8EsNS0_10empty_typeEbEEZZNS1_14partition_implILS5_8ELb0ES3_jN6thrust23THRUST_200600_302600_NS6detail15normal_iteratorINSA_10device_ptrIsEEEEPS6_PKS6_NS0_5tupleIJSF_S6_EEENSJ_IJSG_SG_EEENS0_18inequality_wrapperI22is_equal_div_10_uniqueIsEEEPmJS6_EEE10hipError_tPvRmT3_T4_T5_T6_T7_T9_mT8_P12ihipStream_tbDpT10_ENKUlT_T0_E_clISt17integral_constantIbLb0EES19_IbLb1EEEEDaS15_S16_EUlS15_E_NS1_11comp_targetILNS1_3genE5ELNS1_11target_archE942ELNS1_3gpuE9ELNS1_3repE0EEENS1_30default_config_static_selectorELNS0_4arch9wavefront6targetE1EEEvT1_,"axG",@progbits,_ZN7rocprim17ROCPRIM_400000_NS6detail17trampoline_kernelINS0_14default_configENS1_25partition_config_selectorILNS1_17partition_subalgoE8EsNS0_10empty_typeEbEEZZNS1_14partition_implILS5_8ELb0ES3_jN6thrust23THRUST_200600_302600_NS6detail15normal_iteratorINSA_10device_ptrIsEEEEPS6_PKS6_NS0_5tupleIJSF_S6_EEENSJ_IJSG_SG_EEENS0_18inequality_wrapperI22is_equal_div_10_uniqueIsEEEPmJS6_EEE10hipError_tPvRmT3_T4_T5_T6_T7_T9_mT8_P12ihipStream_tbDpT10_ENKUlT_T0_E_clISt17integral_constantIbLb0EES19_IbLb1EEEEDaS15_S16_EUlS15_E_NS1_11comp_targetILNS1_3genE5ELNS1_11target_archE942ELNS1_3gpuE9ELNS1_3repE0EEENS1_30default_config_static_selectorELNS0_4arch9wavefront6targetE1EEEvT1_,comdat
	.protected	_ZN7rocprim17ROCPRIM_400000_NS6detail17trampoline_kernelINS0_14default_configENS1_25partition_config_selectorILNS1_17partition_subalgoE8EsNS0_10empty_typeEbEEZZNS1_14partition_implILS5_8ELb0ES3_jN6thrust23THRUST_200600_302600_NS6detail15normal_iteratorINSA_10device_ptrIsEEEEPS6_PKS6_NS0_5tupleIJSF_S6_EEENSJ_IJSG_SG_EEENS0_18inequality_wrapperI22is_equal_div_10_uniqueIsEEEPmJS6_EEE10hipError_tPvRmT3_T4_T5_T6_T7_T9_mT8_P12ihipStream_tbDpT10_ENKUlT_T0_E_clISt17integral_constantIbLb0EES19_IbLb1EEEEDaS15_S16_EUlS15_E_NS1_11comp_targetILNS1_3genE5ELNS1_11target_archE942ELNS1_3gpuE9ELNS1_3repE0EEENS1_30default_config_static_selectorELNS0_4arch9wavefront6targetE1EEEvT1_ ; -- Begin function _ZN7rocprim17ROCPRIM_400000_NS6detail17trampoline_kernelINS0_14default_configENS1_25partition_config_selectorILNS1_17partition_subalgoE8EsNS0_10empty_typeEbEEZZNS1_14partition_implILS5_8ELb0ES3_jN6thrust23THRUST_200600_302600_NS6detail15normal_iteratorINSA_10device_ptrIsEEEEPS6_PKS6_NS0_5tupleIJSF_S6_EEENSJ_IJSG_SG_EEENS0_18inequality_wrapperI22is_equal_div_10_uniqueIsEEEPmJS6_EEE10hipError_tPvRmT3_T4_T5_T6_T7_T9_mT8_P12ihipStream_tbDpT10_ENKUlT_T0_E_clISt17integral_constantIbLb0EES19_IbLb1EEEEDaS15_S16_EUlS15_E_NS1_11comp_targetILNS1_3genE5ELNS1_11target_archE942ELNS1_3gpuE9ELNS1_3repE0EEENS1_30default_config_static_selectorELNS0_4arch9wavefront6targetE1EEEvT1_
	.globl	_ZN7rocprim17ROCPRIM_400000_NS6detail17trampoline_kernelINS0_14default_configENS1_25partition_config_selectorILNS1_17partition_subalgoE8EsNS0_10empty_typeEbEEZZNS1_14partition_implILS5_8ELb0ES3_jN6thrust23THRUST_200600_302600_NS6detail15normal_iteratorINSA_10device_ptrIsEEEEPS6_PKS6_NS0_5tupleIJSF_S6_EEENSJ_IJSG_SG_EEENS0_18inequality_wrapperI22is_equal_div_10_uniqueIsEEEPmJS6_EEE10hipError_tPvRmT3_T4_T5_T6_T7_T9_mT8_P12ihipStream_tbDpT10_ENKUlT_T0_E_clISt17integral_constantIbLb0EES19_IbLb1EEEEDaS15_S16_EUlS15_E_NS1_11comp_targetILNS1_3genE5ELNS1_11target_archE942ELNS1_3gpuE9ELNS1_3repE0EEENS1_30default_config_static_selectorELNS0_4arch9wavefront6targetE1EEEvT1_
	.p2align	8
	.type	_ZN7rocprim17ROCPRIM_400000_NS6detail17trampoline_kernelINS0_14default_configENS1_25partition_config_selectorILNS1_17partition_subalgoE8EsNS0_10empty_typeEbEEZZNS1_14partition_implILS5_8ELb0ES3_jN6thrust23THRUST_200600_302600_NS6detail15normal_iteratorINSA_10device_ptrIsEEEEPS6_PKS6_NS0_5tupleIJSF_S6_EEENSJ_IJSG_SG_EEENS0_18inequality_wrapperI22is_equal_div_10_uniqueIsEEEPmJS6_EEE10hipError_tPvRmT3_T4_T5_T6_T7_T9_mT8_P12ihipStream_tbDpT10_ENKUlT_T0_E_clISt17integral_constantIbLb0EES19_IbLb1EEEEDaS15_S16_EUlS15_E_NS1_11comp_targetILNS1_3genE5ELNS1_11target_archE942ELNS1_3gpuE9ELNS1_3repE0EEENS1_30default_config_static_selectorELNS0_4arch9wavefront6targetE1EEEvT1_,@function
_ZN7rocprim17ROCPRIM_400000_NS6detail17trampoline_kernelINS0_14default_configENS1_25partition_config_selectorILNS1_17partition_subalgoE8EsNS0_10empty_typeEbEEZZNS1_14partition_implILS5_8ELb0ES3_jN6thrust23THRUST_200600_302600_NS6detail15normal_iteratorINSA_10device_ptrIsEEEEPS6_PKS6_NS0_5tupleIJSF_S6_EEENSJ_IJSG_SG_EEENS0_18inequality_wrapperI22is_equal_div_10_uniqueIsEEEPmJS6_EEE10hipError_tPvRmT3_T4_T5_T6_T7_T9_mT8_P12ihipStream_tbDpT10_ENKUlT_T0_E_clISt17integral_constantIbLb0EES19_IbLb1EEEEDaS15_S16_EUlS15_E_NS1_11comp_targetILNS1_3genE5ELNS1_11target_archE942ELNS1_3gpuE9ELNS1_3repE0EEENS1_30default_config_static_selectorELNS0_4arch9wavefront6targetE1EEEvT1_: ; @_ZN7rocprim17ROCPRIM_400000_NS6detail17trampoline_kernelINS0_14default_configENS1_25partition_config_selectorILNS1_17partition_subalgoE8EsNS0_10empty_typeEbEEZZNS1_14partition_implILS5_8ELb0ES3_jN6thrust23THRUST_200600_302600_NS6detail15normal_iteratorINSA_10device_ptrIsEEEEPS6_PKS6_NS0_5tupleIJSF_S6_EEENSJ_IJSG_SG_EEENS0_18inequality_wrapperI22is_equal_div_10_uniqueIsEEEPmJS6_EEE10hipError_tPvRmT3_T4_T5_T6_T7_T9_mT8_P12ihipStream_tbDpT10_ENKUlT_T0_E_clISt17integral_constantIbLb0EES19_IbLb1EEEEDaS15_S16_EUlS15_E_NS1_11comp_targetILNS1_3genE5ELNS1_11target_archE942ELNS1_3gpuE9ELNS1_3repE0EEENS1_30default_config_static_selectorELNS0_4arch9wavefront6targetE1EEEvT1_
; %bb.0:
	.section	.rodata,"a",@progbits
	.p2align	6, 0x0
	.amdhsa_kernel _ZN7rocprim17ROCPRIM_400000_NS6detail17trampoline_kernelINS0_14default_configENS1_25partition_config_selectorILNS1_17partition_subalgoE8EsNS0_10empty_typeEbEEZZNS1_14partition_implILS5_8ELb0ES3_jN6thrust23THRUST_200600_302600_NS6detail15normal_iteratorINSA_10device_ptrIsEEEEPS6_PKS6_NS0_5tupleIJSF_S6_EEENSJ_IJSG_SG_EEENS0_18inequality_wrapperI22is_equal_div_10_uniqueIsEEEPmJS6_EEE10hipError_tPvRmT3_T4_T5_T6_T7_T9_mT8_P12ihipStream_tbDpT10_ENKUlT_T0_E_clISt17integral_constantIbLb0EES19_IbLb1EEEEDaS15_S16_EUlS15_E_NS1_11comp_targetILNS1_3genE5ELNS1_11target_archE942ELNS1_3gpuE9ELNS1_3repE0EEENS1_30default_config_static_selectorELNS0_4arch9wavefront6targetE1EEEvT1_
		.amdhsa_group_segment_fixed_size 0
		.amdhsa_private_segment_fixed_size 0
		.amdhsa_kernarg_size 128
		.amdhsa_user_sgpr_count 6
		.amdhsa_user_sgpr_private_segment_buffer 1
		.amdhsa_user_sgpr_dispatch_ptr 0
		.amdhsa_user_sgpr_queue_ptr 0
		.amdhsa_user_sgpr_kernarg_segment_ptr 1
		.amdhsa_user_sgpr_dispatch_id 0
		.amdhsa_user_sgpr_flat_scratch_init 0
		.amdhsa_user_sgpr_private_segment_size 0
		.amdhsa_uses_dynamic_stack 0
		.amdhsa_system_sgpr_private_segment_wavefront_offset 0
		.amdhsa_system_sgpr_workgroup_id_x 1
		.amdhsa_system_sgpr_workgroup_id_y 0
		.amdhsa_system_sgpr_workgroup_id_z 0
		.amdhsa_system_sgpr_workgroup_info 0
		.amdhsa_system_vgpr_workitem_id 0
		.amdhsa_next_free_vgpr 1
		.amdhsa_next_free_sgpr 0
		.amdhsa_reserve_vcc 0
		.amdhsa_reserve_flat_scratch 0
		.amdhsa_float_round_mode_32 0
		.amdhsa_float_round_mode_16_64 0
		.amdhsa_float_denorm_mode_32 3
		.amdhsa_float_denorm_mode_16_64 3
		.amdhsa_dx10_clamp 1
		.amdhsa_ieee_mode 1
		.amdhsa_fp16_overflow 0
		.amdhsa_exception_fp_ieee_invalid_op 0
		.amdhsa_exception_fp_denorm_src 0
		.amdhsa_exception_fp_ieee_div_zero 0
		.amdhsa_exception_fp_ieee_overflow 0
		.amdhsa_exception_fp_ieee_underflow 0
		.amdhsa_exception_fp_ieee_inexact 0
		.amdhsa_exception_int_div_zero 0
	.end_amdhsa_kernel
	.section	.text._ZN7rocprim17ROCPRIM_400000_NS6detail17trampoline_kernelINS0_14default_configENS1_25partition_config_selectorILNS1_17partition_subalgoE8EsNS0_10empty_typeEbEEZZNS1_14partition_implILS5_8ELb0ES3_jN6thrust23THRUST_200600_302600_NS6detail15normal_iteratorINSA_10device_ptrIsEEEEPS6_PKS6_NS0_5tupleIJSF_S6_EEENSJ_IJSG_SG_EEENS0_18inequality_wrapperI22is_equal_div_10_uniqueIsEEEPmJS6_EEE10hipError_tPvRmT3_T4_T5_T6_T7_T9_mT8_P12ihipStream_tbDpT10_ENKUlT_T0_E_clISt17integral_constantIbLb0EES19_IbLb1EEEEDaS15_S16_EUlS15_E_NS1_11comp_targetILNS1_3genE5ELNS1_11target_archE942ELNS1_3gpuE9ELNS1_3repE0EEENS1_30default_config_static_selectorELNS0_4arch9wavefront6targetE1EEEvT1_,"axG",@progbits,_ZN7rocprim17ROCPRIM_400000_NS6detail17trampoline_kernelINS0_14default_configENS1_25partition_config_selectorILNS1_17partition_subalgoE8EsNS0_10empty_typeEbEEZZNS1_14partition_implILS5_8ELb0ES3_jN6thrust23THRUST_200600_302600_NS6detail15normal_iteratorINSA_10device_ptrIsEEEEPS6_PKS6_NS0_5tupleIJSF_S6_EEENSJ_IJSG_SG_EEENS0_18inequality_wrapperI22is_equal_div_10_uniqueIsEEEPmJS6_EEE10hipError_tPvRmT3_T4_T5_T6_T7_T9_mT8_P12ihipStream_tbDpT10_ENKUlT_T0_E_clISt17integral_constantIbLb0EES19_IbLb1EEEEDaS15_S16_EUlS15_E_NS1_11comp_targetILNS1_3genE5ELNS1_11target_archE942ELNS1_3gpuE9ELNS1_3repE0EEENS1_30default_config_static_selectorELNS0_4arch9wavefront6targetE1EEEvT1_,comdat
.Lfunc_end526:
	.size	_ZN7rocprim17ROCPRIM_400000_NS6detail17trampoline_kernelINS0_14default_configENS1_25partition_config_selectorILNS1_17partition_subalgoE8EsNS0_10empty_typeEbEEZZNS1_14partition_implILS5_8ELb0ES3_jN6thrust23THRUST_200600_302600_NS6detail15normal_iteratorINSA_10device_ptrIsEEEEPS6_PKS6_NS0_5tupleIJSF_S6_EEENSJ_IJSG_SG_EEENS0_18inequality_wrapperI22is_equal_div_10_uniqueIsEEEPmJS6_EEE10hipError_tPvRmT3_T4_T5_T6_T7_T9_mT8_P12ihipStream_tbDpT10_ENKUlT_T0_E_clISt17integral_constantIbLb0EES19_IbLb1EEEEDaS15_S16_EUlS15_E_NS1_11comp_targetILNS1_3genE5ELNS1_11target_archE942ELNS1_3gpuE9ELNS1_3repE0EEENS1_30default_config_static_selectorELNS0_4arch9wavefront6targetE1EEEvT1_, .Lfunc_end526-_ZN7rocprim17ROCPRIM_400000_NS6detail17trampoline_kernelINS0_14default_configENS1_25partition_config_selectorILNS1_17partition_subalgoE8EsNS0_10empty_typeEbEEZZNS1_14partition_implILS5_8ELb0ES3_jN6thrust23THRUST_200600_302600_NS6detail15normal_iteratorINSA_10device_ptrIsEEEEPS6_PKS6_NS0_5tupleIJSF_S6_EEENSJ_IJSG_SG_EEENS0_18inequality_wrapperI22is_equal_div_10_uniqueIsEEEPmJS6_EEE10hipError_tPvRmT3_T4_T5_T6_T7_T9_mT8_P12ihipStream_tbDpT10_ENKUlT_T0_E_clISt17integral_constantIbLb0EES19_IbLb1EEEEDaS15_S16_EUlS15_E_NS1_11comp_targetILNS1_3genE5ELNS1_11target_archE942ELNS1_3gpuE9ELNS1_3repE0EEENS1_30default_config_static_selectorELNS0_4arch9wavefront6targetE1EEEvT1_
                                        ; -- End function
	.set _ZN7rocprim17ROCPRIM_400000_NS6detail17trampoline_kernelINS0_14default_configENS1_25partition_config_selectorILNS1_17partition_subalgoE8EsNS0_10empty_typeEbEEZZNS1_14partition_implILS5_8ELb0ES3_jN6thrust23THRUST_200600_302600_NS6detail15normal_iteratorINSA_10device_ptrIsEEEEPS6_PKS6_NS0_5tupleIJSF_S6_EEENSJ_IJSG_SG_EEENS0_18inequality_wrapperI22is_equal_div_10_uniqueIsEEEPmJS6_EEE10hipError_tPvRmT3_T4_T5_T6_T7_T9_mT8_P12ihipStream_tbDpT10_ENKUlT_T0_E_clISt17integral_constantIbLb0EES19_IbLb1EEEEDaS15_S16_EUlS15_E_NS1_11comp_targetILNS1_3genE5ELNS1_11target_archE942ELNS1_3gpuE9ELNS1_3repE0EEENS1_30default_config_static_selectorELNS0_4arch9wavefront6targetE1EEEvT1_.num_vgpr, 0
	.set _ZN7rocprim17ROCPRIM_400000_NS6detail17trampoline_kernelINS0_14default_configENS1_25partition_config_selectorILNS1_17partition_subalgoE8EsNS0_10empty_typeEbEEZZNS1_14partition_implILS5_8ELb0ES3_jN6thrust23THRUST_200600_302600_NS6detail15normal_iteratorINSA_10device_ptrIsEEEEPS6_PKS6_NS0_5tupleIJSF_S6_EEENSJ_IJSG_SG_EEENS0_18inequality_wrapperI22is_equal_div_10_uniqueIsEEEPmJS6_EEE10hipError_tPvRmT3_T4_T5_T6_T7_T9_mT8_P12ihipStream_tbDpT10_ENKUlT_T0_E_clISt17integral_constantIbLb0EES19_IbLb1EEEEDaS15_S16_EUlS15_E_NS1_11comp_targetILNS1_3genE5ELNS1_11target_archE942ELNS1_3gpuE9ELNS1_3repE0EEENS1_30default_config_static_selectorELNS0_4arch9wavefront6targetE1EEEvT1_.num_agpr, 0
	.set _ZN7rocprim17ROCPRIM_400000_NS6detail17trampoline_kernelINS0_14default_configENS1_25partition_config_selectorILNS1_17partition_subalgoE8EsNS0_10empty_typeEbEEZZNS1_14partition_implILS5_8ELb0ES3_jN6thrust23THRUST_200600_302600_NS6detail15normal_iteratorINSA_10device_ptrIsEEEEPS6_PKS6_NS0_5tupleIJSF_S6_EEENSJ_IJSG_SG_EEENS0_18inequality_wrapperI22is_equal_div_10_uniqueIsEEEPmJS6_EEE10hipError_tPvRmT3_T4_T5_T6_T7_T9_mT8_P12ihipStream_tbDpT10_ENKUlT_T0_E_clISt17integral_constantIbLb0EES19_IbLb1EEEEDaS15_S16_EUlS15_E_NS1_11comp_targetILNS1_3genE5ELNS1_11target_archE942ELNS1_3gpuE9ELNS1_3repE0EEENS1_30default_config_static_selectorELNS0_4arch9wavefront6targetE1EEEvT1_.numbered_sgpr, 0
	.set _ZN7rocprim17ROCPRIM_400000_NS6detail17trampoline_kernelINS0_14default_configENS1_25partition_config_selectorILNS1_17partition_subalgoE8EsNS0_10empty_typeEbEEZZNS1_14partition_implILS5_8ELb0ES3_jN6thrust23THRUST_200600_302600_NS6detail15normal_iteratorINSA_10device_ptrIsEEEEPS6_PKS6_NS0_5tupleIJSF_S6_EEENSJ_IJSG_SG_EEENS0_18inequality_wrapperI22is_equal_div_10_uniqueIsEEEPmJS6_EEE10hipError_tPvRmT3_T4_T5_T6_T7_T9_mT8_P12ihipStream_tbDpT10_ENKUlT_T0_E_clISt17integral_constantIbLb0EES19_IbLb1EEEEDaS15_S16_EUlS15_E_NS1_11comp_targetILNS1_3genE5ELNS1_11target_archE942ELNS1_3gpuE9ELNS1_3repE0EEENS1_30default_config_static_selectorELNS0_4arch9wavefront6targetE1EEEvT1_.num_named_barrier, 0
	.set _ZN7rocprim17ROCPRIM_400000_NS6detail17trampoline_kernelINS0_14default_configENS1_25partition_config_selectorILNS1_17partition_subalgoE8EsNS0_10empty_typeEbEEZZNS1_14partition_implILS5_8ELb0ES3_jN6thrust23THRUST_200600_302600_NS6detail15normal_iteratorINSA_10device_ptrIsEEEEPS6_PKS6_NS0_5tupleIJSF_S6_EEENSJ_IJSG_SG_EEENS0_18inequality_wrapperI22is_equal_div_10_uniqueIsEEEPmJS6_EEE10hipError_tPvRmT3_T4_T5_T6_T7_T9_mT8_P12ihipStream_tbDpT10_ENKUlT_T0_E_clISt17integral_constantIbLb0EES19_IbLb1EEEEDaS15_S16_EUlS15_E_NS1_11comp_targetILNS1_3genE5ELNS1_11target_archE942ELNS1_3gpuE9ELNS1_3repE0EEENS1_30default_config_static_selectorELNS0_4arch9wavefront6targetE1EEEvT1_.private_seg_size, 0
	.set _ZN7rocprim17ROCPRIM_400000_NS6detail17trampoline_kernelINS0_14default_configENS1_25partition_config_selectorILNS1_17partition_subalgoE8EsNS0_10empty_typeEbEEZZNS1_14partition_implILS5_8ELb0ES3_jN6thrust23THRUST_200600_302600_NS6detail15normal_iteratorINSA_10device_ptrIsEEEEPS6_PKS6_NS0_5tupleIJSF_S6_EEENSJ_IJSG_SG_EEENS0_18inequality_wrapperI22is_equal_div_10_uniqueIsEEEPmJS6_EEE10hipError_tPvRmT3_T4_T5_T6_T7_T9_mT8_P12ihipStream_tbDpT10_ENKUlT_T0_E_clISt17integral_constantIbLb0EES19_IbLb1EEEEDaS15_S16_EUlS15_E_NS1_11comp_targetILNS1_3genE5ELNS1_11target_archE942ELNS1_3gpuE9ELNS1_3repE0EEENS1_30default_config_static_selectorELNS0_4arch9wavefront6targetE1EEEvT1_.uses_vcc, 0
	.set _ZN7rocprim17ROCPRIM_400000_NS6detail17trampoline_kernelINS0_14default_configENS1_25partition_config_selectorILNS1_17partition_subalgoE8EsNS0_10empty_typeEbEEZZNS1_14partition_implILS5_8ELb0ES3_jN6thrust23THRUST_200600_302600_NS6detail15normal_iteratorINSA_10device_ptrIsEEEEPS6_PKS6_NS0_5tupleIJSF_S6_EEENSJ_IJSG_SG_EEENS0_18inequality_wrapperI22is_equal_div_10_uniqueIsEEEPmJS6_EEE10hipError_tPvRmT3_T4_T5_T6_T7_T9_mT8_P12ihipStream_tbDpT10_ENKUlT_T0_E_clISt17integral_constantIbLb0EES19_IbLb1EEEEDaS15_S16_EUlS15_E_NS1_11comp_targetILNS1_3genE5ELNS1_11target_archE942ELNS1_3gpuE9ELNS1_3repE0EEENS1_30default_config_static_selectorELNS0_4arch9wavefront6targetE1EEEvT1_.uses_flat_scratch, 0
	.set _ZN7rocprim17ROCPRIM_400000_NS6detail17trampoline_kernelINS0_14default_configENS1_25partition_config_selectorILNS1_17partition_subalgoE8EsNS0_10empty_typeEbEEZZNS1_14partition_implILS5_8ELb0ES3_jN6thrust23THRUST_200600_302600_NS6detail15normal_iteratorINSA_10device_ptrIsEEEEPS6_PKS6_NS0_5tupleIJSF_S6_EEENSJ_IJSG_SG_EEENS0_18inequality_wrapperI22is_equal_div_10_uniqueIsEEEPmJS6_EEE10hipError_tPvRmT3_T4_T5_T6_T7_T9_mT8_P12ihipStream_tbDpT10_ENKUlT_T0_E_clISt17integral_constantIbLb0EES19_IbLb1EEEEDaS15_S16_EUlS15_E_NS1_11comp_targetILNS1_3genE5ELNS1_11target_archE942ELNS1_3gpuE9ELNS1_3repE0EEENS1_30default_config_static_selectorELNS0_4arch9wavefront6targetE1EEEvT1_.has_dyn_sized_stack, 0
	.set _ZN7rocprim17ROCPRIM_400000_NS6detail17trampoline_kernelINS0_14default_configENS1_25partition_config_selectorILNS1_17partition_subalgoE8EsNS0_10empty_typeEbEEZZNS1_14partition_implILS5_8ELb0ES3_jN6thrust23THRUST_200600_302600_NS6detail15normal_iteratorINSA_10device_ptrIsEEEEPS6_PKS6_NS0_5tupleIJSF_S6_EEENSJ_IJSG_SG_EEENS0_18inequality_wrapperI22is_equal_div_10_uniqueIsEEEPmJS6_EEE10hipError_tPvRmT3_T4_T5_T6_T7_T9_mT8_P12ihipStream_tbDpT10_ENKUlT_T0_E_clISt17integral_constantIbLb0EES19_IbLb1EEEEDaS15_S16_EUlS15_E_NS1_11comp_targetILNS1_3genE5ELNS1_11target_archE942ELNS1_3gpuE9ELNS1_3repE0EEENS1_30default_config_static_selectorELNS0_4arch9wavefront6targetE1EEEvT1_.has_recursion, 0
	.set _ZN7rocprim17ROCPRIM_400000_NS6detail17trampoline_kernelINS0_14default_configENS1_25partition_config_selectorILNS1_17partition_subalgoE8EsNS0_10empty_typeEbEEZZNS1_14partition_implILS5_8ELb0ES3_jN6thrust23THRUST_200600_302600_NS6detail15normal_iteratorINSA_10device_ptrIsEEEEPS6_PKS6_NS0_5tupleIJSF_S6_EEENSJ_IJSG_SG_EEENS0_18inequality_wrapperI22is_equal_div_10_uniqueIsEEEPmJS6_EEE10hipError_tPvRmT3_T4_T5_T6_T7_T9_mT8_P12ihipStream_tbDpT10_ENKUlT_T0_E_clISt17integral_constantIbLb0EES19_IbLb1EEEEDaS15_S16_EUlS15_E_NS1_11comp_targetILNS1_3genE5ELNS1_11target_archE942ELNS1_3gpuE9ELNS1_3repE0EEENS1_30default_config_static_selectorELNS0_4arch9wavefront6targetE1EEEvT1_.has_indirect_call, 0
	.section	.AMDGPU.csdata,"",@progbits
; Kernel info:
; codeLenInByte = 0
; TotalNumSgprs: 4
; NumVgprs: 0
; ScratchSize: 0
; MemoryBound: 0
; FloatMode: 240
; IeeeMode: 1
; LDSByteSize: 0 bytes/workgroup (compile time only)
; SGPRBlocks: 0
; VGPRBlocks: 0
; NumSGPRsForWavesPerEU: 4
; NumVGPRsForWavesPerEU: 1
; Occupancy: 10
; WaveLimiterHint : 0
; COMPUTE_PGM_RSRC2:SCRATCH_EN: 0
; COMPUTE_PGM_RSRC2:USER_SGPR: 6
; COMPUTE_PGM_RSRC2:TRAP_HANDLER: 0
; COMPUTE_PGM_RSRC2:TGID_X_EN: 1
; COMPUTE_PGM_RSRC2:TGID_Y_EN: 0
; COMPUTE_PGM_RSRC2:TGID_Z_EN: 0
; COMPUTE_PGM_RSRC2:TIDIG_COMP_CNT: 0
	.section	.text._ZN7rocprim17ROCPRIM_400000_NS6detail17trampoline_kernelINS0_14default_configENS1_25partition_config_selectorILNS1_17partition_subalgoE8EsNS0_10empty_typeEbEEZZNS1_14partition_implILS5_8ELb0ES3_jN6thrust23THRUST_200600_302600_NS6detail15normal_iteratorINSA_10device_ptrIsEEEEPS6_PKS6_NS0_5tupleIJSF_S6_EEENSJ_IJSG_SG_EEENS0_18inequality_wrapperI22is_equal_div_10_uniqueIsEEEPmJS6_EEE10hipError_tPvRmT3_T4_T5_T6_T7_T9_mT8_P12ihipStream_tbDpT10_ENKUlT_T0_E_clISt17integral_constantIbLb0EES19_IbLb1EEEEDaS15_S16_EUlS15_E_NS1_11comp_targetILNS1_3genE4ELNS1_11target_archE910ELNS1_3gpuE8ELNS1_3repE0EEENS1_30default_config_static_selectorELNS0_4arch9wavefront6targetE1EEEvT1_,"axG",@progbits,_ZN7rocprim17ROCPRIM_400000_NS6detail17trampoline_kernelINS0_14default_configENS1_25partition_config_selectorILNS1_17partition_subalgoE8EsNS0_10empty_typeEbEEZZNS1_14partition_implILS5_8ELb0ES3_jN6thrust23THRUST_200600_302600_NS6detail15normal_iteratorINSA_10device_ptrIsEEEEPS6_PKS6_NS0_5tupleIJSF_S6_EEENSJ_IJSG_SG_EEENS0_18inequality_wrapperI22is_equal_div_10_uniqueIsEEEPmJS6_EEE10hipError_tPvRmT3_T4_T5_T6_T7_T9_mT8_P12ihipStream_tbDpT10_ENKUlT_T0_E_clISt17integral_constantIbLb0EES19_IbLb1EEEEDaS15_S16_EUlS15_E_NS1_11comp_targetILNS1_3genE4ELNS1_11target_archE910ELNS1_3gpuE8ELNS1_3repE0EEENS1_30default_config_static_selectorELNS0_4arch9wavefront6targetE1EEEvT1_,comdat
	.protected	_ZN7rocprim17ROCPRIM_400000_NS6detail17trampoline_kernelINS0_14default_configENS1_25partition_config_selectorILNS1_17partition_subalgoE8EsNS0_10empty_typeEbEEZZNS1_14partition_implILS5_8ELb0ES3_jN6thrust23THRUST_200600_302600_NS6detail15normal_iteratorINSA_10device_ptrIsEEEEPS6_PKS6_NS0_5tupleIJSF_S6_EEENSJ_IJSG_SG_EEENS0_18inequality_wrapperI22is_equal_div_10_uniqueIsEEEPmJS6_EEE10hipError_tPvRmT3_T4_T5_T6_T7_T9_mT8_P12ihipStream_tbDpT10_ENKUlT_T0_E_clISt17integral_constantIbLb0EES19_IbLb1EEEEDaS15_S16_EUlS15_E_NS1_11comp_targetILNS1_3genE4ELNS1_11target_archE910ELNS1_3gpuE8ELNS1_3repE0EEENS1_30default_config_static_selectorELNS0_4arch9wavefront6targetE1EEEvT1_ ; -- Begin function _ZN7rocprim17ROCPRIM_400000_NS6detail17trampoline_kernelINS0_14default_configENS1_25partition_config_selectorILNS1_17partition_subalgoE8EsNS0_10empty_typeEbEEZZNS1_14partition_implILS5_8ELb0ES3_jN6thrust23THRUST_200600_302600_NS6detail15normal_iteratorINSA_10device_ptrIsEEEEPS6_PKS6_NS0_5tupleIJSF_S6_EEENSJ_IJSG_SG_EEENS0_18inequality_wrapperI22is_equal_div_10_uniqueIsEEEPmJS6_EEE10hipError_tPvRmT3_T4_T5_T6_T7_T9_mT8_P12ihipStream_tbDpT10_ENKUlT_T0_E_clISt17integral_constantIbLb0EES19_IbLb1EEEEDaS15_S16_EUlS15_E_NS1_11comp_targetILNS1_3genE4ELNS1_11target_archE910ELNS1_3gpuE8ELNS1_3repE0EEENS1_30default_config_static_selectorELNS0_4arch9wavefront6targetE1EEEvT1_
	.globl	_ZN7rocprim17ROCPRIM_400000_NS6detail17trampoline_kernelINS0_14default_configENS1_25partition_config_selectorILNS1_17partition_subalgoE8EsNS0_10empty_typeEbEEZZNS1_14partition_implILS5_8ELb0ES3_jN6thrust23THRUST_200600_302600_NS6detail15normal_iteratorINSA_10device_ptrIsEEEEPS6_PKS6_NS0_5tupleIJSF_S6_EEENSJ_IJSG_SG_EEENS0_18inequality_wrapperI22is_equal_div_10_uniqueIsEEEPmJS6_EEE10hipError_tPvRmT3_T4_T5_T6_T7_T9_mT8_P12ihipStream_tbDpT10_ENKUlT_T0_E_clISt17integral_constantIbLb0EES19_IbLb1EEEEDaS15_S16_EUlS15_E_NS1_11comp_targetILNS1_3genE4ELNS1_11target_archE910ELNS1_3gpuE8ELNS1_3repE0EEENS1_30default_config_static_selectorELNS0_4arch9wavefront6targetE1EEEvT1_
	.p2align	8
	.type	_ZN7rocprim17ROCPRIM_400000_NS6detail17trampoline_kernelINS0_14default_configENS1_25partition_config_selectorILNS1_17partition_subalgoE8EsNS0_10empty_typeEbEEZZNS1_14partition_implILS5_8ELb0ES3_jN6thrust23THRUST_200600_302600_NS6detail15normal_iteratorINSA_10device_ptrIsEEEEPS6_PKS6_NS0_5tupleIJSF_S6_EEENSJ_IJSG_SG_EEENS0_18inequality_wrapperI22is_equal_div_10_uniqueIsEEEPmJS6_EEE10hipError_tPvRmT3_T4_T5_T6_T7_T9_mT8_P12ihipStream_tbDpT10_ENKUlT_T0_E_clISt17integral_constantIbLb0EES19_IbLb1EEEEDaS15_S16_EUlS15_E_NS1_11comp_targetILNS1_3genE4ELNS1_11target_archE910ELNS1_3gpuE8ELNS1_3repE0EEENS1_30default_config_static_selectorELNS0_4arch9wavefront6targetE1EEEvT1_,@function
_ZN7rocprim17ROCPRIM_400000_NS6detail17trampoline_kernelINS0_14default_configENS1_25partition_config_selectorILNS1_17partition_subalgoE8EsNS0_10empty_typeEbEEZZNS1_14partition_implILS5_8ELb0ES3_jN6thrust23THRUST_200600_302600_NS6detail15normal_iteratorINSA_10device_ptrIsEEEEPS6_PKS6_NS0_5tupleIJSF_S6_EEENSJ_IJSG_SG_EEENS0_18inequality_wrapperI22is_equal_div_10_uniqueIsEEEPmJS6_EEE10hipError_tPvRmT3_T4_T5_T6_T7_T9_mT8_P12ihipStream_tbDpT10_ENKUlT_T0_E_clISt17integral_constantIbLb0EES19_IbLb1EEEEDaS15_S16_EUlS15_E_NS1_11comp_targetILNS1_3genE4ELNS1_11target_archE910ELNS1_3gpuE8ELNS1_3repE0EEENS1_30default_config_static_selectorELNS0_4arch9wavefront6targetE1EEEvT1_: ; @_ZN7rocprim17ROCPRIM_400000_NS6detail17trampoline_kernelINS0_14default_configENS1_25partition_config_selectorILNS1_17partition_subalgoE8EsNS0_10empty_typeEbEEZZNS1_14partition_implILS5_8ELb0ES3_jN6thrust23THRUST_200600_302600_NS6detail15normal_iteratorINSA_10device_ptrIsEEEEPS6_PKS6_NS0_5tupleIJSF_S6_EEENSJ_IJSG_SG_EEENS0_18inequality_wrapperI22is_equal_div_10_uniqueIsEEEPmJS6_EEE10hipError_tPvRmT3_T4_T5_T6_T7_T9_mT8_P12ihipStream_tbDpT10_ENKUlT_T0_E_clISt17integral_constantIbLb0EES19_IbLb1EEEEDaS15_S16_EUlS15_E_NS1_11comp_targetILNS1_3genE4ELNS1_11target_archE910ELNS1_3gpuE8ELNS1_3repE0EEENS1_30default_config_static_selectorELNS0_4arch9wavefront6targetE1EEEvT1_
; %bb.0:
	.section	.rodata,"a",@progbits
	.p2align	6, 0x0
	.amdhsa_kernel _ZN7rocprim17ROCPRIM_400000_NS6detail17trampoline_kernelINS0_14default_configENS1_25partition_config_selectorILNS1_17partition_subalgoE8EsNS0_10empty_typeEbEEZZNS1_14partition_implILS5_8ELb0ES3_jN6thrust23THRUST_200600_302600_NS6detail15normal_iteratorINSA_10device_ptrIsEEEEPS6_PKS6_NS0_5tupleIJSF_S6_EEENSJ_IJSG_SG_EEENS0_18inequality_wrapperI22is_equal_div_10_uniqueIsEEEPmJS6_EEE10hipError_tPvRmT3_T4_T5_T6_T7_T9_mT8_P12ihipStream_tbDpT10_ENKUlT_T0_E_clISt17integral_constantIbLb0EES19_IbLb1EEEEDaS15_S16_EUlS15_E_NS1_11comp_targetILNS1_3genE4ELNS1_11target_archE910ELNS1_3gpuE8ELNS1_3repE0EEENS1_30default_config_static_selectorELNS0_4arch9wavefront6targetE1EEEvT1_
		.amdhsa_group_segment_fixed_size 0
		.amdhsa_private_segment_fixed_size 0
		.amdhsa_kernarg_size 128
		.amdhsa_user_sgpr_count 6
		.amdhsa_user_sgpr_private_segment_buffer 1
		.amdhsa_user_sgpr_dispatch_ptr 0
		.amdhsa_user_sgpr_queue_ptr 0
		.amdhsa_user_sgpr_kernarg_segment_ptr 1
		.amdhsa_user_sgpr_dispatch_id 0
		.amdhsa_user_sgpr_flat_scratch_init 0
		.amdhsa_user_sgpr_private_segment_size 0
		.amdhsa_uses_dynamic_stack 0
		.amdhsa_system_sgpr_private_segment_wavefront_offset 0
		.amdhsa_system_sgpr_workgroup_id_x 1
		.amdhsa_system_sgpr_workgroup_id_y 0
		.amdhsa_system_sgpr_workgroup_id_z 0
		.amdhsa_system_sgpr_workgroup_info 0
		.amdhsa_system_vgpr_workitem_id 0
		.amdhsa_next_free_vgpr 1
		.amdhsa_next_free_sgpr 0
		.amdhsa_reserve_vcc 0
		.amdhsa_reserve_flat_scratch 0
		.amdhsa_float_round_mode_32 0
		.amdhsa_float_round_mode_16_64 0
		.amdhsa_float_denorm_mode_32 3
		.amdhsa_float_denorm_mode_16_64 3
		.amdhsa_dx10_clamp 1
		.amdhsa_ieee_mode 1
		.amdhsa_fp16_overflow 0
		.amdhsa_exception_fp_ieee_invalid_op 0
		.amdhsa_exception_fp_denorm_src 0
		.amdhsa_exception_fp_ieee_div_zero 0
		.amdhsa_exception_fp_ieee_overflow 0
		.amdhsa_exception_fp_ieee_underflow 0
		.amdhsa_exception_fp_ieee_inexact 0
		.amdhsa_exception_int_div_zero 0
	.end_amdhsa_kernel
	.section	.text._ZN7rocprim17ROCPRIM_400000_NS6detail17trampoline_kernelINS0_14default_configENS1_25partition_config_selectorILNS1_17partition_subalgoE8EsNS0_10empty_typeEbEEZZNS1_14partition_implILS5_8ELb0ES3_jN6thrust23THRUST_200600_302600_NS6detail15normal_iteratorINSA_10device_ptrIsEEEEPS6_PKS6_NS0_5tupleIJSF_S6_EEENSJ_IJSG_SG_EEENS0_18inequality_wrapperI22is_equal_div_10_uniqueIsEEEPmJS6_EEE10hipError_tPvRmT3_T4_T5_T6_T7_T9_mT8_P12ihipStream_tbDpT10_ENKUlT_T0_E_clISt17integral_constantIbLb0EES19_IbLb1EEEEDaS15_S16_EUlS15_E_NS1_11comp_targetILNS1_3genE4ELNS1_11target_archE910ELNS1_3gpuE8ELNS1_3repE0EEENS1_30default_config_static_selectorELNS0_4arch9wavefront6targetE1EEEvT1_,"axG",@progbits,_ZN7rocprim17ROCPRIM_400000_NS6detail17trampoline_kernelINS0_14default_configENS1_25partition_config_selectorILNS1_17partition_subalgoE8EsNS0_10empty_typeEbEEZZNS1_14partition_implILS5_8ELb0ES3_jN6thrust23THRUST_200600_302600_NS6detail15normal_iteratorINSA_10device_ptrIsEEEEPS6_PKS6_NS0_5tupleIJSF_S6_EEENSJ_IJSG_SG_EEENS0_18inequality_wrapperI22is_equal_div_10_uniqueIsEEEPmJS6_EEE10hipError_tPvRmT3_T4_T5_T6_T7_T9_mT8_P12ihipStream_tbDpT10_ENKUlT_T0_E_clISt17integral_constantIbLb0EES19_IbLb1EEEEDaS15_S16_EUlS15_E_NS1_11comp_targetILNS1_3genE4ELNS1_11target_archE910ELNS1_3gpuE8ELNS1_3repE0EEENS1_30default_config_static_selectorELNS0_4arch9wavefront6targetE1EEEvT1_,comdat
.Lfunc_end527:
	.size	_ZN7rocprim17ROCPRIM_400000_NS6detail17trampoline_kernelINS0_14default_configENS1_25partition_config_selectorILNS1_17partition_subalgoE8EsNS0_10empty_typeEbEEZZNS1_14partition_implILS5_8ELb0ES3_jN6thrust23THRUST_200600_302600_NS6detail15normal_iteratorINSA_10device_ptrIsEEEEPS6_PKS6_NS0_5tupleIJSF_S6_EEENSJ_IJSG_SG_EEENS0_18inequality_wrapperI22is_equal_div_10_uniqueIsEEEPmJS6_EEE10hipError_tPvRmT3_T4_T5_T6_T7_T9_mT8_P12ihipStream_tbDpT10_ENKUlT_T0_E_clISt17integral_constantIbLb0EES19_IbLb1EEEEDaS15_S16_EUlS15_E_NS1_11comp_targetILNS1_3genE4ELNS1_11target_archE910ELNS1_3gpuE8ELNS1_3repE0EEENS1_30default_config_static_selectorELNS0_4arch9wavefront6targetE1EEEvT1_, .Lfunc_end527-_ZN7rocprim17ROCPRIM_400000_NS6detail17trampoline_kernelINS0_14default_configENS1_25partition_config_selectorILNS1_17partition_subalgoE8EsNS0_10empty_typeEbEEZZNS1_14partition_implILS5_8ELb0ES3_jN6thrust23THRUST_200600_302600_NS6detail15normal_iteratorINSA_10device_ptrIsEEEEPS6_PKS6_NS0_5tupleIJSF_S6_EEENSJ_IJSG_SG_EEENS0_18inequality_wrapperI22is_equal_div_10_uniqueIsEEEPmJS6_EEE10hipError_tPvRmT3_T4_T5_T6_T7_T9_mT8_P12ihipStream_tbDpT10_ENKUlT_T0_E_clISt17integral_constantIbLb0EES19_IbLb1EEEEDaS15_S16_EUlS15_E_NS1_11comp_targetILNS1_3genE4ELNS1_11target_archE910ELNS1_3gpuE8ELNS1_3repE0EEENS1_30default_config_static_selectorELNS0_4arch9wavefront6targetE1EEEvT1_
                                        ; -- End function
	.set _ZN7rocprim17ROCPRIM_400000_NS6detail17trampoline_kernelINS0_14default_configENS1_25partition_config_selectorILNS1_17partition_subalgoE8EsNS0_10empty_typeEbEEZZNS1_14partition_implILS5_8ELb0ES3_jN6thrust23THRUST_200600_302600_NS6detail15normal_iteratorINSA_10device_ptrIsEEEEPS6_PKS6_NS0_5tupleIJSF_S6_EEENSJ_IJSG_SG_EEENS0_18inequality_wrapperI22is_equal_div_10_uniqueIsEEEPmJS6_EEE10hipError_tPvRmT3_T4_T5_T6_T7_T9_mT8_P12ihipStream_tbDpT10_ENKUlT_T0_E_clISt17integral_constantIbLb0EES19_IbLb1EEEEDaS15_S16_EUlS15_E_NS1_11comp_targetILNS1_3genE4ELNS1_11target_archE910ELNS1_3gpuE8ELNS1_3repE0EEENS1_30default_config_static_selectorELNS0_4arch9wavefront6targetE1EEEvT1_.num_vgpr, 0
	.set _ZN7rocprim17ROCPRIM_400000_NS6detail17trampoline_kernelINS0_14default_configENS1_25partition_config_selectorILNS1_17partition_subalgoE8EsNS0_10empty_typeEbEEZZNS1_14partition_implILS5_8ELb0ES3_jN6thrust23THRUST_200600_302600_NS6detail15normal_iteratorINSA_10device_ptrIsEEEEPS6_PKS6_NS0_5tupleIJSF_S6_EEENSJ_IJSG_SG_EEENS0_18inequality_wrapperI22is_equal_div_10_uniqueIsEEEPmJS6_EEE10hipError_tPvRmT3_T4_T5_T6_T7_T9_mT8_P12ihipStream_tbDpT10_ENKUlT_T0_E_clISt17integral_constantIbLb0EES19_IbLb1EEEEDaS15_S16_EUlS15_E_NS1_11comp_targetILNS1_3genE4ELNS1_11target_archE910ELNS1_3gpuE8ELNS1_3repE0EEENS1_30default_config_static_selectorELNS0_4arch9wavefront6targetE1EEEvT1_.num_agpr, 0
	.set _ZN7rocprim17ROCPRIM_400000_NS6detail17trampoline_kernelINS0_14default_configENS1_25partition_config_selectorILNS1_17partition_subalgoE8EsNS0_10empty_typeEbEEZZNS1_14partition_implILS5_8ELb0ES3_jN6thrust23THRUST_200600_302600_NS6detail15normal_iteratorINSA_10device_ptrIsEEEEPS6_PKS6_NS0_5tupleIJSF_S6_EEENSJ_IJSG_SG_EEENS0_18inequality_wrapperI22is_equal_div_10_uniqueIsEEEPmJS6_EEE10hipError_tPvRmT3_T4_T5_T6_T7_T9_mT8_P12ihipStream_tbDpT10_ENKUlT_T0_E_clISt17integral_constantIbLb0EES19_IbLb1EEEEDaS15_S16_EUlS15_E_NS1_11comp_targetILNS1_3genE4ELNS1_11target_archE910ELNS1_3gpuE8ELNS1_3repE0EEENS1_30default_config_static_selectorELNS0_4arch9wavefront6targetE1EEEvT1_.numbered_sgpr, 0
	.set _ZN7rocprim17ROCPRIM_400000_NS6detail17trampoline_kernelINS0_14default_configENS1_25partition_config_selectorILNS1_17partition_subalgoE8EsNS0_10empty_typeEbEEZZNS1_14partition_implILS5_8ELb0ES3_jN6thrust23THRUST_200600_302600_NS6detail15normal_iteratorINSA_10device_ptrIsEEEEPS6_PKS6_NS0_5tupleIJSF_S6_EEENSJ_IJSG_SG_EEENS0_18inequality_wrapperI22is_equal_div_10_uniqueIsEEEPmJS6_EEE10hipError_tPvRmT3_T4_T5_T6_T7_T9_mT8_P12ihipStream_tbDpT10_ENKUlT_T0_E_clISt17integral_constantIbLb0EES19_IbLb1EEEEDaS15_S16_EUlS15_E_NS1_11comp_targetILNS1_3genE4ELNS1_11target_archE910ELNS1_3gpuE8ELNS1_3repE0EEENS1_30default_config_static_selectorELNS0_4arch9wavefront6targetE1EEEvT1_.num_named_barrier, 0
	.set _ZN7rocprim17ROCPRIM_400000_NS6detail17trampoline_kernelINS0_14default_configENS1_25partition_config_selectorILNS1_17partition_subalgoE8EsNS0_10empty_typeEbEEZZNS1_14partition_implILS5_8ELb0ES3_jN6thrust23THRUST_200600_302600_NS6detail15normal_iteratorINSA_10device_ptrIsEEEEPS6_PKS6_NS0_5tupleIJSF_S6_EEENSJ_IJSG_SG_EEENS0_18inequality_wrapperI22is_equal_div_10_uniqueIsEEEPmJS6_EEE10hipError_tPvRmT3_T4_T5_T6_T7_T9_mT8_P12ihipStream_tbDpT10_ENKUlT_T0_E_clISt17integral_constantIbLb0EES19_IbLb1EEEEDaS15_S16_EUlS15_E_NS1_11comp_targetILNS1_3genE4ELNS1_11target_archE910ELNS1_3gpuE8ELNS1_3repE0EEENS1_30default_config_static_selectorELNS0_4arch9wavefront6targetE1EEEvT1_.private_seg_size, 0
	.set _ZN7rocprim17ROCPRIM_400000_NS6detail17trampoline_kernelINS0_14default_configENS1_25partition_config_selectorILNS1_17partition_subalgoE8EsNS0_10empty_typeEbEEZZNS1_14partition_implILS5_8ELb0ES3_jN6thrust23THRUST_200600_302600_NS6detail15normal_iteratorINSA_10device_ptrIsEEEEPS6_PKS6_NS0_5tupleIJSF_S6_EEENSJ_IJSG_SG_EEENS0_18inequality_wrapperI22is_equal_div_10_uniqueIsEEEPmJS6_EEE10hipError_tPvRmT3_T4_T5_T6_T7_T9_mT8_P12ihipStream_tbDpT10_ENKUlT_T0_E_clISt17integral_constantIbLb0EES19_IbLb1EEEEDaS15_S16_EUlS15_E_NS1_11comp_targetILNS1_3genE4ELNS1_11target_archE910ELNS1_3gpuE8ELNS1_3repE0EEENS1_30default_config_static_selectorELNS0_4arch9wavefront6targetE1EEEvT1_.uses_vcc, 0
	.set _ZN7rocprim17ROCPRIM_400000_NS6detail17trampoline_kernelINS0_14default_configENS1_25partition_config_selectorILNS1_17partition_subalgoE8EsNS0_10empty_typeEbEEZZNS1_14partition_implILS5_8ELb0ES3_jN6thrust23THRUST_200600_302600_NS6detail15normal_iteratorINSA_10device_ptrIsEEEEPS6_PKS6_NS0_5tupleIJSF_S6_EEENSJ_IJSG_SG_EEENS0_18inequality_wrapperI22is_equal_div_10_uniqueIsEEEPmJS6_EEE10hipError_tPvRmT3_T4_T5_T6_T7_T9_mT8_P12ihipStream_tbDpT10_ENKUlT_T0_E_clISt17integral_constantIbLb0EES19_IbLb1EEEEDaS15_S16_EUlS15_E_NS1_11comp_targetILNS1_3genE4ELNS1_11target_archE910ELNS1_3gpuE8ELNS1_3repE0EEENS1_30default_config_static_selectorELNS0_4arch9wavefront6targetE1EEEvT1_.uses_flat_scratch, 0
	.set _ZN7rocprim17ROCPRIM_400000_NS6detail17trampoline_kernelINS0_14default_configENS1_25partition_config_selectorILNS1_17partition_subalgoE8EsNS0_10empty_typeEbEEZZNS1_14partition_implILS5_8ELb0ES3_jN6thrust23THRUST_200600_302600_NS6detail15normal_iteratorINSA_10device_ptrIsEEEEPS6_PKS6_NS0_5tupleIJSF_S6_EEENSJ_IJSG_SG_EEENS0_18inequality_wrapperI22is_equal_div_10_uniqueIsEEEPmJS6_EEE10hipError_tPvRmT3_T4_T5_T6_T7_T9_mT8_P12ihipStream_tbDpT10_ENKUlT_T0_E_clISt17integral_constantIbLb0EES19_IbLb1EEEEDaS15_S16_EUlS15_E_NS1_11comp_targetILNS1_3genE4ELNS1_11target_archE910ELNS1_3gpuE8ELNS1_3repE0EEENS1_30default_config_static_selectorELNS0_4arch9wavefront6targetE1EEEvT1_.has_dyn_sized_stack, 0
	.set _ZN7rocprim17ROCPRIM_400000_NS6detail17trampoline_kernelINS0_14default_configENS1_25partition_config_selectorILNS1_17partition_subalgoE8EsNS0_10empty_typeEbEEZZNS1_14partition_implILS5_8ELb0ES3_jN6thrust23THRUST_200600_302600_NS6detail15normal_iteratorINSA_10device_ptrIsEEEEPS6_PKS6_NS0_5tupleIJSF_S6_EEENSJ_IJSG_SG_EEENS0_18inequality_wrapperI22is_equal_div_10_uniqueIsEEEPmJS6_EEE10hipError_tPvRmT3_T4_T5_T6_T7_T9_mT8_P12ihipStream_tbDpT10_ENKUlT_T0_E_clISt17integral_constantIbLb0EES19_IbLb1EEEEDaS15_S16_EUlS15_E_NS1_11comp_targetILNS1_3genE4ELNS1_11target_archE910ELNS1_3gpuE8ELNS1_3repE0EEENS1_30default_config_static_selectorELNS0_4arch9wavefront6targetE1EEEvT1_.has_recursion, 0
	.set _ZN7rocprim17ROCPRIM_400000_NS6detail17trampoline_kernelINS0_14default_configENS1_25partition_config_selectorILNS1_17partition_subalgoE8EsNS0_10empty_typeEbEEZZNS1_14partition_implILS5_8ELb0ES3_jN6thrust23THRUST_200600_302600_NS6detail15normal_iteratorINSA_10device_ptrIsEEEEPS6_PKS6_NS0_5tupleIJSF_S6_EEENSJ_IJSG_SG_EEENS0_18inequality_wrapperI22is_equal_div_10_uniqueIsEEEPmJS6_EEE10hipError_tPvRmT3_T4_T5_T6_T7_T9_mT8_P12ihipStream_tbDpT10_ENKUlT_T0_E_clISt17integral_constantIbLb0EES19_IbLb1EEEEDaS15_S16_EUlS15_E_NS1_11comp_targetILNS1_3genE4ELNS1_11target_archE910ELNS1_3gpuE8ELNS1_3repE0EEENS1_30default_config_static_selectorELNS0_4arch9wavefront6targetE1EEEvT1_.has_indirect_call, 0
	.section	.AMDGPU.csdata,"",@progbits
; Kernel info:
; codeLenInByte = 0
; TotalNumSgprs: 4
; NumVgprs: 0
; ScratchSize: 0
; MemoryBound: 0
; FloatMode: 240
; IeeeMode: 1
; LDSByteSize: 0 bytes/workgroup (compile time only)
; SGPRBlocks: 0
; VGPRBlocks: 0
; NumSGPRsForWavesPerEU: 4
; NumVGPRsForWavesPerEU: 1
; Occupancy: 10
; WaveLimiterHint : 0
; COMPUTE_PGM_RSRC2:SCRATCH_EN: 0
; COMPUTE_PGM_RSRC2:USER_SGPR: 6
; COMPUTE_PGM_RSRC2:TRAP_HANDLER: 0
; COMPUTE_PGM_RSRC2:TGID_X_EN: 1
; COMPUTE_PGM_RSRC2:TGID_Y_EN: 0
; COMPUTE_PGM_RSRC2:TGID_Z_EN: 0
; COMPUTE_PGM_RSRC2:TIDIG_COMP_CNT: 0
	.section	.text._ZN7rocprim17ROCPRIM_400000_NS6detail17trampoline_kernelINS0_14default_configENS1_25partition_config_selectorILNS1_17partition_subalgoE8EsNS0_10empty_typeEbEEZZNS1_14partition_implILS5_8ELb0ES3_jN6thrust23THRUST_200600_302600_NS6detail15normal_iteratorINSA_10device_ptrIsEEEEPS6_PKS6_NS0_5tupleIJSF_S6_EEENSJ_IJSG_SG_EEENS0_18inequality_wrapperI22is_equal_div_10_uniqueIsEEEPmJS6_EEE10hipError_tPvRmT3_T4_T5_T6_T7_T9_mT8_P12ihipStream_tbDpT10_ENKUlT_T0_E_clISt17integral_constantIbLb0EES19_IbLb1EEEEDaS15_S16_EUlS15_E_NS1_11comp_targetILNS1_3genE3ELNS1_11target_archE908ELNS1_3gpuE7ELNS1_3repE0EEENS1_30default_config_static_selectorELNS0_4arch9wavefront6targetE1EEEvT1_,"axG",@progbits,_ZN7rocprim17ROCPRIM_400000_NS6detail17trampoline_kernelINS0_14default_configENS1_25partition_config_selectorILNS1_17partition_subalgoE8EsNS0_10empty_typeEbEEZZNS1_14partition_implILS5_8ELb0ES3_jN6thrust23THRUST_200600_302600_NS6detail15normal_iteratorINSA_10device_ptrIsEEEEPS6_PKS6_NS0_5tupleIJSF_S6_EEENSJ_IJSG_SG_EEENS0_18inequality_wrapperI22is_equal_div_10_uniqueIsEEEPmJS6_EEE10hipError_tPvRmT3_T4_T5_T6_T7_T9_mT8_P12ihipStream_tbDpT10_ENKUlT_T0_E_clISt17integral_constantIbLb0EES19_IbLb1EEEEDaS15_S16_EUlS15_E_NS1_11comp_targetILNS1_3genE3ELNS1_11target_archE908ELNS1_3gpuE7ELNS1_3repE0EEENS1_30default_config_static_selectorELNS0_4arch9wavefront6targetE1EEEvT1_,comdat
	.protected	_ZN7rocprim17ROCPRIM_400000_NS6detail17trampoline_kernelINS0_14default_configENS1_25partition_config_selectorILNS1_17partition_subalgoE8EsNS0_10empty_typeEbEEZZNS1_14partition_implILS5_8ELb0ES3_jN6thrust23THRUST_200600_302600_NS6detail15normal_iteratorINSA_10device_ptrIsEEEEPS6_PKS6_NS0_5tupleIJSF_S6_EEENSJ_IJSG_SG_EEENS0_18inequality_wrapperI22is_equal_div_10_uniqueIsEEEPmJS6_EEE10hipError_tPvRmT3_T4_T5_T6_T7_T9_mT8_P12ihipStream_tbDpT10_ENKUlT_T0_E_clISt17integral_constantIbLb0EES19_IbLb1EEEEDaS15_S16_EUlS15_E_NS1_11comp_targetILNS1_3genE3ELNS1_11target_archE908ELNS1_3gpuE7ELNS1_3repE0EEENS1_30default_config_static_selectorELNS0_4arch9wavefront6targetE1EEEvT1_ ; -- Begin function _ZN7rocprim17ROCPRIM_400000_NS6detail17trampoline_kernelINS0_14default_configENS1_25partition_config_selectorILNS1_17partition_subalgoE8EsNS0_10empty_typeEbEEZZNS1_14partition_implILS5_8ELb0ES3_jN6thrust23THRUST_200600_302600_NS6detail15normal_iteratorINSA_10device_ptrIsEEEEPS6_PKS6_NS0_5tupleIJSF_S6_EEENSJ_IJSG_SG_EEENS0_18inequality_wrapperI22is_equal_div_10_uniqueIsEEEPmJS6_EEE10hipError_tPvRmT3_T4_T5_T6_T7_T9_mT8_P12ihipStream_tbDpT10_ENKUlT_T0_E_clISt17integral_constantIbLb0EES19_IbLb1EEEEDaS15_S16_EUlS15_E_NS1_11comp_targetILNS1_3genE3ELNS1_11target_archE908ELNS1_3gpuE7ELNS1_3repE0EEENS1_30default_config_static_selectorELNS0_4arch9wavefront6targetE1EEEvT1_
	.globl	_ZN7rocprim17ROCPRIM_400000_NS6detail17trampoline_kernelINS0_14default_configENS1_25partition_config_selectorILNS1_17partition_subalgoE8EsNS0_10empty_typeEbEEZZNS1_14partition_implILS5_8ELb0ES3_jN6thrust23THRUST_200600_302600_NS6detail15normal_iteratorINSA_10device_ptrIsEEEEPS6_PKS6_NS0_5tupleIJSF_S6_EEENSJ_IJSG_SG_EEENS0_18inequality_wrapperI22is_equal_div_10_uniqueIsEEEPmJS6_EEE10hipError_tPvRmT3_T4_T5_T6_T7_T9_mT8_P12ihipStream_tbDpT10_ENKUlT_T0_E_clISt17integral_constantIbLb0EES19_IbLb1EEEEDaS15_S16_EUlS15_E_NS1_11comp_targetILNS1_3genE3ELNS1_11target_archE908ELNS1_3gpuE7ELNS1_3repE0EEENS1_30default_config_static_selectorELNS0_4arch9wavefront6targetE1EEEvT1_
	.p2align	8
	.type	_ZN7rocprim17ROCPRIM_400000_NS6detail17trampoline_kernelINS0_14default_configENS1_25partition_config_selectorILNS1_17partition_subalgoE8EsNS0_10empty_typeEbEEZZNS1_14partition_implILS5_8ELb0ES3_jN6thrust23THRUST_200600_302600_NS6detail15normal_iteratorINSA_10device_ptrIsEEEEPS6_PKS6_NS0_5tupleIJSF_S6_EEENSJ_IJSG_SG_EEENS0_18inequality_wrapperI22is_equal_div_10_uniqueIsEEEPmJS6_EEE10hipError_tPvRmT3_T4_T5_T6_T7_T9_mT8_P12ihipStream_tbDpT10_ENKUlT_T0_E_clISt17integral_constantIbLb0EES19_IbLb1EEEEDaS15_S16_EUlS15_E_NS1_11comp_targetILNS1_3genE3ELNS1_11target_archE908ELNS1_3gpuE7ELNS1_3repE0EEENS1_30default_config_static_selectorELNS0_4arch9wavefront6targetE1EEEvT1_,@function
_ZN7rocprim17ROCPRIM_400000_NS6detail17trampoline_kernelINS0_14default_configENS1_25partition_config_selectorILNS1_17partition_subalgoE8EsNS0_10empty_typeEbEEZZNS1_14partition_implILS5_8ELb0ES3_jN6thrust23THRUST_200600_302600_NS6detail15normal_iteratorINSA_10device_ptrIsEEEEPS6_PKS6_NS0_5tupleIJSF_S6_EEENSJ_IJSG_SG_EEENS0_18inequality_wrapperI22is_equal_div_10_uniqueIsEEEPmJS6_EEE10hipError_tPvRmT3_T4_T5_T6_T7_T9_mT8_P12ihipStream_tbDpT10_ENKUlT_T0_E_clISt17integral_constantIbLb0EES19_IbLb1EEEEDaS15_S16_EUlS15_E_NS1_11comp_targetILNS1_3genE3ELNS1_11target_archE908ELNS1_3gpuE7ELNS1_3repE0EEENS1_30default_config_static_selectorELNS0_4arch9wavefront6targetE1EEEvT1_: ; @_ZN7rocprim17ROCPRIM_400000_NS6detail17trampoline_kernelINS0_14default_configENS1_25partition_config_selectorILNS1_17partition_subalgoE8EsNS0_10empty_typeEbEEZZNS1_14partition_implILS5_8ELb0ES3_jN6thrust23THRUST_200600_302600_NS6detail15normal_iteratorINSA_10device_ptrIsEEEEPS6_PKS6_NS0_5tupleIJSF_S6_EEENSJ_IJSG_SG_EEENS0_18inequality_wrapperI22is_equal_div_10_uniqueIsEEEPmJS6_EEE10hipError_tPvRmT3_T4_T5_T6_T7_T9_mT8_P12ihipStream_tbDpT10_ENKUlT_T0_E_clISt17integral_constantIbLb0EES19_IbLb1EEEEDaS15_S16_EUlS15_E_NS1_11comp_targetILNS1_3genE3ELNS1_11target_archE908ELNS1_3gpuE7ELNS1_3repE0EEENS1_30default_config_static_selectorELNS0_4arch9wavefront6targetE1EEEvT1_
; %bb.0:
	.section	.rodata,"a",@progbits
	.p2align	6, 0x0
	.amdhsa_kernel _ZN7rocprim17ROCPRIM_400000_NS6detail17trampoline_kernelINS0_14default_configENS1_25partition_config_selectorILNS1_17partition_subalgoE8EsNS0_10empty_typeEbEEZZNS1_14partition_implILS5_8ELb0ES3_jN6thrust23THRUST_200600_302600_NS6detail15normal_iteratorINSA_10device_ptrIsEEEEPS6_PKS6_NS0_5tupleIJSF_S6_EEENSJ_IJSG_SG_EEENS0_18inequality_wrapperI22is_equal_div_10_uniqueIsEEEPmJS6_EEE10hipError_tPvRmT3_T4_T5_T6_T7_T9_mT8_P12ihipStream_tbDpT10_ENKUlT_T0_E_clISt17integral_constantIbLb0EES19_IbLb1EEEEDaS15_S16_EUlS15_E_NS1_11comp_targetILNS1_3genE3ELNS1_11target_archE908ELNS1_3gpuE7ELNS1_3repE0EEENS1_30default_config_static_selectorELNS0_4arch9wavefront6targetE1EEEvT1_
		.amdhsa_group_segment_fixed_size 0
		.amdhsa_private_segment_fixed_size 0
		.amdhsa_kernarg_size 128
		.amdhsa_user_sgpr_count 6
		.amdhsa_user_sgpr_private_segment_buffer 1
		.amdhsa_user_sgpr_dispatch_ptr 0
		.amdhsa_user_sgpr_queue_ptr 0
		.amdhsa_user_sgpr_kernarg_segment_ptr 1
		.amdhsa_user_sgpr_dispatch_id 0
		.amdhsa_user_sgpr_flat_scratch_init 0
		.amdhsa_user_sgpr_private_segment_size 0
		.amdhsa_uses_dynamic_stack 0
		.amdhsa_system_sgpr_private_segment_wavefront_offset 0
		.amdhsa_system_sgpr_workgroup_id_x 1
		.amdhsa_system_sgpr_workgroup_id_y 0
		.amdhsa_system_sgpr_workgroup_id_z 0
		.amdhsa_system_sgpr_workgroup_info 0
		.amdhsa_system_vgpr_workitem_id 0
		.amdhsa_next_free_vgpr 1
		.amdhsa_next_free_sgpr 0
		.amdhsa_reserve_vcc 0
		.amdhsa_reserve_flat_scratch 0
		.amdhsa_float_round_mode_32 0
		.amdhsa_float_round_mode_16_64 0
		.amdhsa_float_denorm_mode_32 3
		.amdhsa_float_denorm_mode_16_64 3
		.amdhsa_dx10_clamp 1
		.amdhsa_ieee_mode 1
		.amdhsa_fp16_overflow 0
		.amdhsa_exception_fp_ieee_invalid_op 0
		.amdhsa_exception_fp_denorm_src 0
		.amdhsa_exception_fp_ieee_div_zero 0
		.amdhsa_exception_fp_ieee_overflow 0
		.amdhsa_exception_fp_ieee_underflow 0
		.amdhsa_exception_fp_ieee_inexact 0
		.amdhsa_exception_int_div_zero 0
	.end_amdhsa_kernel
	.section	.text._ZN7rocprim17ROCPRIM_400000_NS6detail17trampoline_kernelINS0_14default_configENS1_25partition_config_selectorILNS1_17partition_subalgoE8EsNS0_10empty_typeEbEEZZNS1_14partition_implILS5_8ELb0ES3_jN6thrust23THRUST_200600_302600_NS6detail15normal_iteratorINSA_10device_ptrIsEEEEPS6_PKS6_NS0_5tupleIJSF_S6_EEENSJ_IJSG_SG_EEENS0_18inequality_wrapperI22is_equal_div_10_uniqueIsEEEPmJS6_EEE10hipError_tPvRmT3_T4_T5_T6_T7_T9_mT8_P12ihipStream_tbDpT10_ENKUlT_T0_E_clISt17integral_constantIbLb0EES19_IbLb1EEEEDaS15_S16_EUlS15_E_NS1_11comp_targetILNS1_3genE3ELNS1_11target_archE908ELNS1_3gpuE7ELNS1_3repE0EEENS1_30default_config_static_selectorELNS0_4arch9wavefront6targetE1EEEvT1_,"axG",@progbits,_ZN7rocprim17ROCPRIM_400000_NS6detail17trampoline_kernelINS0_14default_configENS1_25partition_config_selectorILNS1_17partition_subalgoE8EsNS0_10empty_typeEbEEZZNS1_14partition_implILS5_8ELb0ES3_jN6thrust23THRUST_200600_302600_NS6detail15normal_iteratorINSA_10device_ptrIsEEEEPS6_PKS6_NS0_5tupleIJSF_S6_EEENSJ_IJSG_SG_EEENS0_18inequality_wrapperI22is_equal_div_10_uniqueIsEEEPmJS6_EEE10hipError_tPvRmT3_T4_T5_T6_T7_T9_mT8_P12ihipStream_tbDpT10_ENKUlT_T0_E_clISt17integral_constantIbLb0EES19_IbLb1EEEEDaS15_S16_EUlS15_E_NS1_11comp_targetILNS1_3genE3ELNS1_11target_archE908ELNS1_3gpuE7ELNS1_3repE0EEENS1_30default_config_static_selectorELNS0_4arch9wavefront6targetE1EEEvT1_,comdat
.Lfunc_end528:
	.size	_ZN7rocprim17ROCPRIM_400000_NS6detail17trampoline_kernelINS0_14default_configENS1_25partition_config_selectorILNS1_17partition_subalgoE8EsNS0_10empty_typeEbEEZZNS1_14partition_implILS5_8ELb0ES3_jN6thrust23THRUST_200600_302600_NS6detail15normal_iteratorINSA_10device_ptrIsEEEEPS6_PKS6_NS0_5tupleIJSF_S6_EEENSJ_IJSG_SG_EEENS0_18inequality_wrapperI22is_equal_div_10_uniqueIsEEEPmJS6_EEE10hipError_tPvRmT3_T4_T5_T6_T7_T9_mT8_P12ihipStream_tbDpT10_ENKUlT_T0_E_clISt17integral_constantIbLb0EES19_IbLb1EEEEDaS15_S16_EUlS15_E_NS1_11comp_targetILNS1_3genE3ELNS1_11target_archE908ELNS1_3gpuE7ELNS1_3repE0EEENS1_30default_config_static_selectorELNS0_4arch9wavefront6targetE1EEEvT1_, .Lfunc_end528-_ZN7rocprim17ROCPRIM_400000_NS6detail17trampoline_kernelINS0_14default_configENS1_25partition_config_selectorILNS1_17partition_subalgoE8EsNS0_10empty_typeEbEEZZNS1_14partition_implILS5_8ELb0ES3_jN6thrust23THRUST_200600_302600_NS6detail15normal_iteratorINSA_10device_ptrIsEEEEPS6_PKS6_NS0_5tupleIJSF_S6_EEENSJ_IJSG_SG_EEENS0_18inequality_wrapperI22is_equal_div_10_uniqueIsEEEPmJS6_EEE10hipError_tPvRmT3_T4_T5_T6_T7_T9_mT8_P12ihipStream_tbDpT10_ENKUlT_T0_E_clISt17integral_constantIbLb0EES19_IbLb1EEEEDaS15_S16_EUlS15_E_NS1_11comp_targetILNS1_3genE3ELNS1_11target_archE908ELNS1_3gpuE7ELNS1_3repE0EEENS1_30default_config_static_selectorELNS0_4arch9wavefront6targetE1EEEvT1_
                                        ; -- End function
	.set _ZN7rocprim17ROCPRIM_400000_NS6detail17trampoline_kernelINS0_14default_configENS1_25partition_config_selectorILNS1_17partition_subalgoE8EsNS0_10empty_typeEbEEZZNS1_14partition_implILS5_8ELb0ES3_jN6thrust23THRUST_200600_302600_NS6detail15normal_iteratorINSA_10device_ptrIsEEEEPS6_PKS6_NS0_5tupleIJSF_S6_EEENSJ_IJSG_SG_EEENS0_18inequality_wrapperI22is_equal_div_10_uniqueIsEEEPmJS6_EEE10hipError_tPvRmT3_T4_T5_T6_T7_T9_mT8_P12ihipStream_tbDpT10_ENKUlT_T0_E_clISt17integral_constantIbLb0EES19_IbLb1EEEEDaS15_S16_EUlS15_E_NS1_11comp_targetILNS1_3genE3ELNS1_11target_archE908ELNS1_3gpuE7ELNS1_3repE0EEENS1_30default_config_static_selectorELNS0_4arch9wavefront6targetE1EEEvT1_.num_vgpr, 0
	.set _ZN7rocprim17ROCPRIM_400000_NS6detail17trampoline_kernelINS0_14default_configENS1_25partition_config_selectorILNS1_17partition_subalgoE8EsNS0_10empty_typeEbEEZZNS1_14partition_implILS5_8ELb0ES3_jN6thrust23THRUST_200600_302600_NS6detail15normal_iteratorINSA_10device_ptrIsEEEEPS6_PKS6_NS0_5tupleIJSF_S6_EEENSJ_IJSG_SG_EEENS0_18inequality_wrapperI22is_equal_div_10_uniqueIsEEEPmJS6_EEE10hipError_tPvRmT3_T4_T5_T6_T7_T9_mT8_P12ihipStream_tbDpT10_ENKUlT_T0_E_clISt17integral_constantIbLb0EES19_IbLb1EEEEDaS15_S16_EUlS15_E_NS1_11comp_targetILNS1_3genE3ELNS1_11target_archE908ELNS1_3gpuE7ELNS1_3repE0EEENS1_30default_config_static_selectorELNS0_4arch9wavefront6targetE1EEEvT1_.num_agpr, 0
	.set _ZN7rocprim17ROCPRIM_400000_NS6detail17trampoline_kernelINS0_14default_configENS1_25partition_config_selectorILNS1_17partition_subalgoE8EsNS0_10empty_typeEbEEZZNS1_14partition_implILS5_8ELb0ES3_jN6thrust23THRUST_200600_302600_NS6detail15normal_iteratorINSA_10device_ptrIsEEEEPS6_PKS6_NS0_5tupleIJSF_S6_EEENSJ_IJSG_SG_EEENS0_18inequality_wrapperI22is_equal_div_10_uniqueIsEEEPmJS6_EEE10hipError_tPvRmT3_T4_T5_T6_T7_T9_mT8_P12ihipStream_tbDpT10_ENKUlT_T0_E_clISt17integral_constantIbLb0EES19_IbLb1EEEEDaS15_S16_EUlS15_E_NS1_11comp_targetILNS1_3genE3ELNS1_11target_archE908ELNS1_3gpuE7ELNS1_3repE0EEENS1_30default_config_static_selectorELNS0_4arch9wavefront6targetE1EEEvT1_.numbered_sgpr, 0
	.set _ZN7rocprim17ROCPRIM_400000_NS6detail17trampoline_kernelINS0_14default_configENS1_25partition_config_selectorILNS1_17partition_subalgoE8EsNS0_10empty_typeEbEEZZNS1_14partition_implILS5_8ELb0ES3_jN6thrust23THRUST_200600_302600_NS6detail15normal_iteratorINSA_10device_ptrIsEEEEPS6_PKS6_NS0_5tupleIJSF_S6_EEENSJ_IJSG_SG_EEENS0_18inequality_wrapperI22is_equal_div_10_uniqueIsEEEPmJS6_EEE10hipError_tPvRmT3_T4_T5_T6_T7_T9_mT8_P12ihipStream_tbDpT10_ENKUlT_T0_E_clISt17integral_constantIbLb0EES19_IbLb1EEEEDaS15_S16_EUlS15_E_NS1_11comp_targetILNS1_3genE3ELNS1_11target_archE908ELNS1_3gpuE7ELNS1_3repE0EEENS1_30default_config_static_selectorELNS0_4arch9wavefront6targetE1EEEvT1_.num_named_barrier, 0
	.set _ZN7rocprim17ROCPRIM_400000_NS6detail17trampoline_kernelINS0_14default_configENS1_25partition_config_selectorILNS1_17partition_subalgoE8EsNS0_10empty_typeEbEEZZNS1_14partition_implILS5_8ELb0ES3_jN6thrust23THRUST_200600_302600_NS6detail15normal_iteratorINSA_10device_ptrIsEEEEPS6_PKS6_NS0_5tupleIJSF_S6_EEENSJ_IJSG_SG_EEENS0_18inequality_wrapperI22is_equal_div_10_uniqueIsEEEPmJS6_EEE10hipError_tPvRmT3_T4_T5_T6_T7_T9_mT8_P12ihipStream_tbDpT10_ENKUlT_T0_E_clISt17integral_constantIbLb0EES19_IbLb1EEEEDaS15_S16_EUlS15_E_NS1_11comp_targetILNS1_3genE3ELNS1_11target_archE908ELNS1_3gpuE7ELNS1_3repE0EEENS1_30default_config_static_selectorELNS0_4arch9wavefront6targetE1EEEvT1_.private_seg_size, 0
	.set _ZN7rocprim17ROCPRIM_400000_NS6detail17trampoline_kernelINS0_14default_configENS1_25partition_config_selectorILNS1_17partition_subalgoE8EsNS0_10empty_typeEbEEZZNS1_14partition_implILS5_8ELb0ES3_jN6thrust23THRUST_200600_302600_NS6detail15normal_iteratorINSA_10device_ptrIsEEEEPS6_PKS6_NS0_5tupleIJSF_S6_EEENSJ_IJSG_SG_EEENS0_18inequality_wrapperI22is_equal_div_10_uniqueIsEEEPmJS6_EEE10hipError_tPvRmT3_T4_T5_T6_T7_T9_mT8_P12ihipStream_tbDpT10_ENKUlT_T0_E_clISt17integral_constantIbLb0EES19_IbLb1EEEEDaS15_S16_EUlS15_E_NS1_11comp_targetILNS1_3genE3ELNS1_11target_archE908ELNS1_3gpuE7ELNS1_3repE0EEENS1_30default_config_static_selectorELNS0_4arch9wavefront6targetE1EEEvT1_.uses_vcc, 0
	.set _ZN7rocprim17ROCPRIM_400000_NS6detail17trampoline_kernelINS0_14default_configENS1_25partition_config_selectorILNS1_17partition_subalgoE8EsNS0_10empty_typeEbEEZZNS1_14partition_implILS5_8ELb0ES3_jN6thrust23THRUST_200600_302600_NS6detail15normal_iteratorINSA_10device_ptrIsEEEEPS6_PKS6_NS0_5tupleIJSF_S6_EEENSJ_IJSG_SG_EEENS0_18inequality_wrapperI22is_equal_div_10_uniqueIsEEEPmJS6_EEE10hipError_tPvRmT3_T4_T5_T6_T7_T9_mT8_P12ihipStream_tbDpT10_ENKUlT_T0_E_clISt17integral_constantIbLb0EES19_IbLb1EEEEDaS15_S16_EUlS15_E_NS1_11comp_targetILNS1_3genE3ELNS1_11target_archE908ELNS1_3gpuE7ELNS1_3repE0EEENS1_30default_config_static_selectorELNS0_4arch9wavefront6targetE1EEEvT1_.uses_flat_scratch, 0
	.set _ZN7rocprim17ROCPRIM_400000_NS6detail17trampoline_kernelINS0_14default_configENS1_25partition_config_selectorILNS1_17partition_subalgoE8EsNS0_10empty_typeEbEEZZNS1_14partition_implILS5_8ELb0ES3_jN6thrust23THRUST_200600_302600_NS6detail15normal_iteratorINSA_10device_ptrIsEEEEPS6_PKS6_NS0_5tupleIJSF_S6_EEENSJ_IJSG_SG_EEENS0_18inequality_wrapperI22is_equal_div_10_uniqueIsEEEPmJS6_EEE10hipError_tPvRmT3_T4_T5_T6_T7_T9_mT8_P12ihipStream_tbDpT10_ENKUlT_T0_E_clISt17integral_constantIbLb0EES19_IbLb1EEEEDaS15_S16_EUlS15_E_NS1_11comp_targetILNS1_3genE3ELNS1_11target_archE908ELNS1_3gpuE7ELNS1_3repE0EEENS1_30default_config_static_selectorELNS0_4arch9wavefront6targetE1EEEvT1_.has_dyn_sized_stack, 0
	.set _ZN7rocprim17ROCPRIM_400000_NS6detail17trampoline_kernelINS0_14default_configENS1_25partition_config_selectorILNS1_17partition_subalgoE8EsNS0_10empty_typeEbEEZZNS1_14partition_implILS5_8ELb0ES3_jN6thrust23THRUST_200600_302600_NS6detail15normal_iteratorINSA_10device_ptrIsEEEEPS6_PKS6_NS0_5tupleIJSF_S6_EEENSJ_IJSG_SG_EEENS0_18inequality_wrapperI22is_equal_div_10_uniqueIsEEEPmJS6_EEE10hipError_tPvRmT3_T4_T5_T6_T7_T9_mT8_P12ihipStream_tbDpT10_ENKUlT_T0_E_clISt17integral_constantIbLb0EES19_IbLb1EEEEDaS15_S16_EUlS15_E_NS1_11comp_targetILNS1_3genE3ELNS1_11target_archE908ELNS1_3gpuE7ELNS1_3repE0EEENS1_30default_config_static_selectorELNS0_4arch9wavefront6targetE1EEEvT1_.has_recursion, 0
	.set _ZN7rocprim17ROCPRIM_400000_NS6detail17trampoline_kernelINS0_14default_configENS1_25partition_config_selectorILNS1_17partition_subalgoE8EsNS0_10empty_typeEbEEZZNS1_14partition_implILS5_8ELb0ES3_jN6thrust23THRUST_200600_302600_NS6detail15normal_iteratorINSA_10device_ptrIsEEEEPS6_PKS6_NS0_5tupleIJSF_S6_EEENSJ_IJSG_SG_EEENS0_18inequality_wrapperI22is_equal_div_10_uniqueIsEEEPmJS6_EEE10hipError_tPvRmT3_T4_T5_T6_T7_T9_mT8_P12ihipStream_tbDpT10_ENKUlT_T0_E_clISt17integral_constantIbLb0EES19_IbLb1EEEEDaS15_S16_EUlS15_E_NS1_11comp_targetILNS1_3genE3ELNS1_11target_archE908ELNS1_3gpuE7ELNS1_3repE0EEENS1_30default_config_static_selectorELNS0_4arch9wavefront6targetE1EEEvT1_.has_indirect_call, 0
	.section	.AMDGPU.csdata,"",@progbits
; Kernel info:
; codeLenInByte = 0
; TotalNumSgprs: 4
; NumVgprs: 0
; ScratchSize: 0
; MemoryBound: 0
; FloatMode: 240
; IeeeMode: 1
; LDSByteSize: 0 bytes/workgroup (compile time only)
; SGPRBlocks: 0
; VGPRBlocks: 0
; NumSGPRsForWavesPerEU: 4
; NumVGPRsForWavesPerEU: 1
; Occupancy: 10
; WaveLimiterHint : 0
; COMPUTE_PGM_RSRC2:SCRATCH_EN: 0
; COMPUTE_PGM_RSRC2:USER_SGPR: 6
; COMPUTE_PGM_RSRC2:TRAP_HANDLER: 0
; COMPUTE_PGM_RSRC2:TGID_X_EN: 1
; COMPUTE_PGM_RSRC2:TGID_Y_EN: 0
; COMPUTE_PGM_RSRC2:TGID_Z_EN: 0
; COMPUTE_PGM_RSRC2:TIDIG_COMP_CNT: 0
	.section	.text._ZN7rocprim17ROCPRIM_400000_NS6detail17trampoline_kernelINS0_14default_configENS1_25partition_config_selectorILNS1_17partition_subalgoE8EsNS0_10empty_typeEbEEZZNS1_14partition_implILS5_8ELb0ES3_jN6thrust23THRUST_200600_302600_NS6detail15normal_iteratorINSA_10device_ptrIsEEEEPS6_PKS6_NS0_5tupleIJSF_S6_EEENSJ_IJSG_SG_EEENS0_18inequality_wrapperI22is_equal_div_10_uniqueIsEEEPmJS6_EEE10hipError_tPvRmT3_T4_T5_T6_T7_T9_mT8_P12ihipStream_tbDpT10_ENKUlT_T0_E_clISt17integral_constantIbLb0EES19_IbLb1EEEEDaS15_S16_EUlS15_E_NS1_11comp_targetILNS1_3genE2ELNS1_11target_archE906ELNS1_3gpuE6ELNS1_3repE0EEENS1_30default_config_static_selectorELNS0_4arch9wavefront6targetE1EEEvT1_,"axG",@progbits,_ZN7rocprim17ROCPRIM_400000_NS6detail17trampoline_kernelINS0_14default_configENS1_25partition_config_selectorILNS1_17partition_subalgoE8EsNS0_10empty_typeEbEEZZNS1_14partition_implILS5_8ELb0ES3_jN6thrust23THRUST_200600_302600_NS6detail15normal_iteratorINSA_10device_ptrIsEEEEPS6_PKS6_NS0_5tupleIJSF_S6_EEENSJ_IJSG_SG_EEENS0_18inequality_wrapperI22is_equal_div_10_uniqueIsEEEPmJS6_EEE10hipError_tPvRmT3_T4_T5_T6_T7_T9_mT8_P12ihipStream_tbDpT10_ENKUlT_T0_E_clISt17integral_constantIbLb0EES19_IbLb1EEEEDaS15_S16_EUlS15_E_NS1_11comp_targetILNS1_3genE2ELNS1_11target_archE906ELNS1_3gpuE6ELNS1_3repE0EEENS1_30default_config_static_selectorELNS0_4arch9wavefront6targetE1EEEvT1_,comdat
	.protected	_ZN7rocprim17ROCPRIM_400000_NS6detail17trampoline_kernelINS0_14default_configENS1_25partition_config_selectorILNS1_17partition_subalgoE8EsNS0_10empty_typeEbEEZZNS1_14partition_implILS5_8ELb0ES3_jN6thrust23THRUST_200600_302600_NS6detail15normal_iteratorINSA_10device_ptrIsEEEEPS6_PKS6_NS0_5tupleIJSF_S6_EEENSJ_IJSG_SG_EEENS0_18inequality_wrapperI22is_equal_div_10_uniqueIsEEEPmJS6_EEE10hipError_tPvRmT3_T4_T5_T6_T7_T9_mT8_P12ihipStream_tbDpT10_ENKUlT_T0_E_clISt17integral_constantIbLb0EES19_IbLb1EEEEDaS15_S16_EUlS15_E_NS1_11comp_targetILNS1_3genE2ELNS1_11target_archE906ELNS1_3gpuE6ELNS1_3repE0EEENS1_30default_config_static_selectorELNS0_4arch9wavefront6targetE1EEEvT1_ ; -- Begin function _ZN7rocprim17ROCPRIM_400000_NS6detail17trampoline_kernelINS0_14default_configENS1_25partition_config_selectorILNS1_17partition_subalgoE8EsNS0_10empty_typeEbEEZZNS1_14partition_implILS5_8ELb0ES3_jN6thrust23THRUST_200600_302600_NS6detail15normal_iteratorINSA_10device_ptrIsEEEEPS6_PKS6_NS0_5tupleIJSF_S6_EEENSJ_IJSG_SG_EEENS0_18inequality_wrapperI22is_equal_div_10_uniqueIsEEEPmJS6_EEE10hipError_tPvRmT3_T4_T5_T6_T7_T9_mT8_P12ihipStream_tbDpT10_ENKUlT_T0_E_clISt17integral_constantIbLb0EES19_IbLb1EEEEDaS15_S16_EUlS15_E_NS1_11comp_targetILNS1_3genE2ELNS1_11target_archE906ELNS1_3gpuE6ELNS1_3repE0EEENS1_30default_config_static_selectorELNS0_4arch9wavefront6targetE1EEEvT1_
	.globl	_ZN7rocprim17ROCPRIM_400000_NS6detail17trampoline_kernelINS0_14default_configENS1_25partition_config_selectorILNS1_17partition_subalgoE8EsNS0_10empty_typeEbEEZZNS1_14partition_implILS5_8ELb0ES3_jN6thrust23THRUST_200600_302600_NS6detail15normal_iteratorINSA_10device_ptrIsEEEEPS6_PKS6_NS0_5tupleIJSF_S6_EEENSJ_IJSG_SG_EEENS0_18inequality_wrapperI22is_equal_div_10_uniqueIsEEEPmJS6_EEE10hipError_tPvRmT3_T4_T5_T6_T7_T9_mT8_P12ihipStream_tbDpT10_ENKUlT_T0_E_clISt17integral_constantIbLb0EES19_IbLb1EEEEDaS15_S16_EUlS15_E_NS1_11comp_targetILNS1_3genE2ELNS1_11target_archE906ELNS1_3gpuE6ELNS1_3repE0EEENS1_30default_config_static_selectorELNS0_4arch9wavefront6targetE1EEEvT1_
	.p2align	8
	.type	_ZN7rocprim17ROCPRIM_400000_NS6detail17trampoline_kernelINS0_14default_configENS1_25partition_config_selectorILNS1_17partition_subalgoE8EsNS0_10empty_typeEbEEZZNS1_14partition_implILS5_8ELb0ES3_jN6thrust23THRUST_200600_302600_NS6detail15normal_iteratorINSA_10device_ptrIsEEEEPS6_PKS6_NS0_5tupleIJSF_S6_EEENSJ_IJSG_SG_EEENS0_18inequality_wrapperI22is_equal_div_10_uniqueIsEEEPmJS6_EEE10hipError_tPvRmT3_T4_T5_T6_T7_T9_mT8_P12ihipStream_tbDpT10_ENKUlT_T0_E_clISt17integral_constantIbLb0EES19_IbLb1EEEEDaS15_S16_EUlS15_E_NS1_11comp_targetILNS1_3genE2ELNS1_11target_archE906ELNS1_3gpuE6ELNS1_3repE0EEENS1_30default_config_static_selectorELNS0_4arch9wavefront6targetE1EEEvT1_,@function
_ZN7rocprim17ROCPRIM_400000_NS6detail17trampoline_kernelINS0_14default_configENS1_25partition_config_selectorILNS1_17partition_subalgoE8EsNS0_10empty_typeEbEEZZNS1_14partition_implILS5_8ELb0ES3_jN6thrust23THRUST_200600_302600_NS6detail15normal_iteratorINSA_10device_ptrIsEEEEPS6_PKS6_NS0_5tupleIJSF_S6_EEENSJ_IJSG_SG_EEENS0_18inequality_wrapperI22is_equal_div_10_uniqueIsEEEPmJS6_EEE10hipError_tPvRmT3_T4_T5_T6_T7_T9_mT8_P12ihipStream_tbDpT10_ENKUlT_T0_E_clISt17integral_constantIbLb0EES19_IbLb1EEEEDaS15_S16_EUlS15_E_NS1_11comp_targetILNS1_3genE2ELNS1_11target_archE906ELNS1_3gpuE6ELNS1_3repE0EEENS1_30default_config_static_selectorELNS0_4arch9wavefront6targetE1EEEvT1_: ; @_ZN7rocprim17ROCPRIM_400000_NS6detail17trampoline_kernelINS0_14default_configENS1_25partition_config_selectorILNS1_17partition_subalgoE8EsNS0_10empty_typeEbEEZZNS1_14partition_implILS5_8ELb0ES3_jN6thrust23THRUST_200600_302600_NS6detail15normal_iteratorINSA_10device_ptrIsEEEEPS6_PKS6_NS0_5tupleIJSF_S6_EEENSJ_IJSG_SG_EEENS0_18inequality_wrapperI22is_equal_div_10_uniqueIsEEEPmJS6_EEE10hipError_tPvRmT3_T4_T5_T6_T7_T9_mT8_P12ihipStream_tbDpT10_ENKUlT_T0_E_clISt17integral_constantIbLb0EES19_IbLb1EEEEDaS15_S16_EUlS15_E_NS1_11comp_targetILNS1_3genE2ELNS1_11target_archE906ELNS1_3gpuE6ELNS1_3repE0EEENS1_30default_config_static_selectorELNS0_4arch9wavefront6targetE1EEEvT1_
; %bb.0:
	s_load_dwordx2 s[38:39], s[4:5], 0x28
	s_load_dwordx4 s[40:43], s[4:5], 0x40
	s_load_dwordx2 s[6:7], s[4:5], 0x50
	s_load_dwordx2 s[46:47], s[4:5], 0x60
	v_cmp_ne_u32_e64 s[2:3], 0, v0
	v_cmp_eq_u32_e64 s[0:1], 0, v0
	s_and_saveexec_b64 s[8:9], s[0:1]
	s_cbranch_execz .LBB529_4
; %bb.1:
	s_mov_b64 s[12:13], exec
	v_mbcnt_lo_u32_b32 v1, s12, 0
	v_mbcnt_hi_u32_b32 v1, s13, v1
	v_cmp_eq_u32_e32 vcc, 0, v1
                                        ; implicit-def: $vgpr2
	s_and_saveexec_b64 s[10:11], vcc
	s_cbranch_execz .LBB529_3
; %bb.2:
	s_load_dwordx2 s[14:15], s[4:5], 0x70
	s_bcnt1_i32_b64 s12, s[12:13]
	v_mov_b32_e32 v2, 0
	v_mov_b32_e32 v3, s12
	s_waitcnt lgkmcnt(0)
	global_atomic_add v2, v2, v3, s[14:15] glc
.LBB529_3:
	s_or_b64 exec, exec, s[10:11]
	s_waitcnt vmcnt(0)
	v_readfirstlane_b32 s10, v2
	v_add_u32_e32 v1, s10, v1
	v_mov_b32_e32 v2, 0
	ds_write_b32 v2, v1
.LBB529_4:
	s_or_b64 exec, exec, s[8:9]
	v_mov_b32_e32 v2, 0
	s_load_dwordx4 s[8:11], s[4:5], 0x8
	s_load_dword s12, s[4:5], 0x68
	s_waitcnt lgkmcnt(0)
	s_barrier
	ds_read_b32 v1, v2
	s_waitcnt lgkmcnt(0)
	s_barrier
	global_load_dwordx2 v[17:18], v2, s[42:43]
	s_lshl_b64 s[4:5], s[10:11], 1
	s_add_u32 s8, s8, s4
	s_movk_i32 s4, 0xd80
	v_readfirstlane_b32 s33, v1
	v_mul_lo_u32 v1, v1, s4
	s_mul_i32 s4, s12, 0xd80
	s_addc_u32 s9, s9, s5
	s_add_i32 s5, s4, s10
	s_add_i32 s13, s12, -1
	s_sub_i32 s60, s6, s5
	s_add_u32 s4, s10, s4
	s_addc_u32 s5, s11, 0
	v_mov_b32_e32 v3, s4
	v_mov_b32_e32 v4, s5
	v_cmp_le_u64_e32 vcc, s[6:7], v[3:4]
	s_cmp_eq_u32 s33, s13
	v_lshlrev_b64 v[1:2], 1, v[1:2]
	s_cselect_b64 s[42:43], -1, 0
	s_and_b64 s[48:49], vcc, s[42:43]
	v_mov_b32_e32 v3, s9
	v_add_co_u32_e32 v19, vcc, s8, v1
	s_xor_b64 s[44:45], s[48:49], -1
	v_addc_co_u32_e32 v20, vcc, v3, v2, vcc
	s_mov_b64 s[4:5], -1
	s_and_b64 vcc, exec, s[44:45]
	v_lshlrev_b32_e32 v53, 1, v0
	s_cbranch_vccz .LBB529_6
; %bb.5:
	v_lshlrev_b32_e32 v5, 1, v0
	v_add_co_u32_e32 v1, vcc, v19, v5
	v_addc_co_u32_e32 v2, vcc, 0, v20, vcc
	v_add_co_u32_e32 v3, vcc, 0x1000, v1
	flat_load_ushort v6, v[1:2]
	flat_load_ushort v7, v[1:2] offset:384
	flat_load_ushort v8, v[1:2] offset:768
	;; [unrolled: 1-line block ×7, first 2 shown]
	v_addc_co_u32_e32 v4, vcc, 0, v2, vcc
	flat_load_ushort v14, v[1:2] offset:3072
	flat_load_ushort v15, v[1:2] offset:3456
	;; [unrolled: 1-line block ×10, first 2 shown]
	s_mov_b64 s[4:5], 0
	s_waitcnt vmcnt(0) lgkmcnt(0)
	ds_write_b16 v5, v6
	ds_write_b16 v5, v7 offset:384
	ds_write_b16 v5, v8 offset:768
	;; [unrolled: 1-line block ×17, first 2 shown]
	s_waitcnt lgkmcnt(0)
	s_barrier
.LBB529_6:
	s_andn2_b64 vcc, exec, s[4:5]
	s_addk_i32 s60, 0xd80
	s_cbranch_vccnz .LBB529_44
; %bb.7:
	v_mov_b32_e32 v1, 0
	v_cmp_gt_u32_e32 vcc, s60, v0
	v_mov_b32_e32 v2, v1
	v_mov_b32_e32 v3, v1
	;; [unrolled: 1-line block ×8, first 2 shown]
	s_and_saveexec_b64 s[4:5], vcc
	s_cbranch_execz .LBB529_9
; %bb.8:
	v_lshlrev_b32_e32 v2, 1, v0
	v_add_co_u32_e32 v2, vcc, v19, v2
	v_addc_co_u32_e32 v3, vcc, 0, v20, vcc
	flat_load_ushort v10, v[2:3]
	v_mov_b32_e32 v2, v1
	v_mov_b32_e32 v3, v1
	;; [unrolled: 1-line block ×8, first 2 shown]
	s_waitcnt vmcnt(0) lgkmcnt(0)
	v_and_b32_e32 v1, 0xffff, v10
.LBB529_9:
	s_or_b64 exec, exec, s[4:5]
	v_add_u32_e32 v10, 0xc0, v0
	v_cmp_gt_u32_e32 vcc, s60, v10
	s_and_saveexec_b64 s[4:5], vcc
	s_cbranch_execz .LBB529_11
; %bb.10:
	v_lshlrev_b32_e32 v10, 1, v0
	v_add_co_u32_e32 v10, vcc, v19, v10
	v_addc_co_u32_e32 v11, vcc, 0, v20, vcc
	flat_load_ushort v10, v[10:11] offset:384
	s_mov_b32 s6, 0x5040100
	s_waitcnt vmcnt(0) lgkmcnt(0)
	v_perm_b32 v1, v10, v1, s6
.LBB529_11:
	s_or_b64 exec, exec, s[4:5]
	v_add_u32_e32 v10, 0x180, v0
	v_cmp_gt_u32_e32 vcc, s60, v10
	s_and_saveexec_b64 s[4:5], vcc
	s_cbranch_execz .LBB529_13
; %bb.12:
	v_lshlrev_b32_e32 v10, 1, v0
	v_add_co_u32_e32 v10, vcc, v19, v10
	v_addc_co_u32_e32 v11, vcc, 0, v20, vcc
	flat_load_ushort v10, v[10:11] offset:768
	s_mov_b32 s6, 0xffff
	s_waitcnt vmcnt(0) lgkmcnt(0)
	v_bfi_b32 v2, s6, v10, v2
.LBB529_13:
	s_or_b64 exec, exec, s[4:5]
	v_add_u32_e32 v10, 0x240, v0
	v_cmp_gt_u32_e32 vcc, s60, v10
	s_and_saveexec_b64 s[4:5], vcc
	s_cbranch_execz .LBB529_15
; %bb.14:
	v_lshlrev_b32_e32 v10, 1, v0
	v_add_co_u32_e32 v10, vcc, v19, v10
	v_addc_co_u32_e32 v11, vcc, 0, v20, vcc
	flat_load_ushort v10, v[10:11] offset:1152
	s_mov_b32 s6, 0x5040100
	s_waitcnt vmcnt(0) lgkmcnt(0)
	v_perm_b32 v2, v10, v2, s6
.LBB529_15:
	s_or_b64 exec, exec, s[4:5]
	v_or_b32_e32 v10, 0x300, v0
	v_cmp_gt_u32_e32 vcc, s60, v10
	s_and_saveexec_b64 s[4:5], vcc
	s_cbranch_execz .LBB529_17
; %bb.16:
	v_lshlrev_b32_e32 v10, 1, v0
	v_add_co_u32_e32 v10, vcc, v19, v10
	v_addc_co_u32_e32 v11, vcc, 0, v20, vcc
	flat_load_ushort v10, v[10:11] offset:1536
	s_mov_b32 s6, 0xffff
	s_waitcnt vmcnt(0) lgkmcnt(0)
	v_bfi_b32 v3, s6, v10, v3
.LBB529_17:
	s_or_b64 exec, exec, s[4:5]
	v_add_u32_e32 v10, 0x3c0, v0
	v_cmp_gt_u32_e32 vcc, s60, v10
	s_and_saveexec_b64 s[4:5], vcc
	s_cbranch_execz .LBB529_19
; %bb.18:
	v_lshlrev_b32_e32 v10, 1, v0
	v_add_co_u32_e32 v10, vcc, v19, v10
	v_addc_co_u32_e32 v11, vcc, 0, v20, vcc
	flat_load_ushort v10, v[10:11] offset:1920
	s_mov_b32 s6, 0x5040100
	s_waitcnt vmcnt(0) lgkmcnt(0)
	v_perm_b32 v3, v10, v3, s6
.LBB529_19:
	s_or_b64 exec, exec, s[4:5]
	v_add_u32_e32 v10, 0x480, v0
	v_cmp_gt_u32_e32 vcc, s60, v10
	s_and_saveexec_b64 s[4:5], vcc
	s_cbranch_execz .LBB529_21
; %bb.20:
	v_lshlrev_b32_e32 v10, 1, v0
	v_add_co_u32_e32 v10, vcc, v19, v10
	v_addc_co_u32_e32 v11, vcc, 0, v20, vcc
	flat_load_ushort v10, v[10:11] offset:2304
	s_mov_b32 s6, 0xffff
	s_waitcnt vmcnt(0) lgkmcnt(0)
	v_bfi_b32 v4, s6, v10, v4
.LBB529_21:
	s_or_b64 exec, exec, s[4:5]
	v_add_u32_e32 v10, 0x540, v0
	v_cmp_gt_u32_e32 vcc, s60, v10
	s_and_saveexec_b64 s[4:5], vcc
	s_cbranch_execz .LBB529_23
; %bb.22:
	v_lshlrev_b32_e32 v10, 1, v0
	v_add_co_u32_e32 v10, vcc, v19, v10
	v_addc_co_u32_e32 v11, vcc, 0, v20, vcc
	flat_load_ushort v10, v[10:11] offset:2688
	s_mov_b32 s6, 0x5040100
	s_waitcnt vmcnt(0) lgkmcnt(0)
	v_perm_b32 v4, v10, v4, s6
.LBB529_23:
	s_or_b64 exec, exec, s[4:5]
	v_or_b32_e32 v10, 0x600, v0
	v_cmp_gt_u32_e32 vcc, s60, v10
	s_and_saveexec_b64 s[4:5], vcc
	s_cbranch_execz .LBB529_25
; %bb.24:
	v_lshlrev_b32_e32 v10, 1, v0
	v_add_co_u32_e32 v10, vcc, v19, v10
	v_addc_co_u32_e32 v11, vcc, 0, v20, vcc
	flat_load_ushort v10, v[10:11] offset:3072
	s_mov_b32 s6, 0xffff
	s_waitcnt vmcnt(0) lgkmcnt(0)
	v_bfi_b32 v5, s6, v10, v5
.LBB529_25:
	s_or_b64 exec, exec, s[4:5]
	v_add_u32_e32 v10, 0x6c0, v0
	v_cmp_gt_u32_e32 vcc, s60, v10
	s_and_saveexec_b64 s[4:5], vcc
	s_cbranch_execz .LBB529_27
; %bb.26:
	v_lshlrev_b32_e32 v10, 1, v0
	v_add_co_u32_e32 v10, vcc, v19, v10
	v_addc_co_u32_e32 v11, vcc, 0, v20, vcc
	flat_load_ushort v10, v[10:11] offset:3456
	s_mov_b32 s6, 0x5040100
	s_waitcnt vmcnt(0) lgkmcnt(0)
	v_perm_b32 v5, v10, v5, s6
.LBB529_27:
	s_or_b64 exec, exec, s[4:5]
	v_add_u32_e32 v10, 0x780, v0
	v_cmp_gt_u32_e32 vcc, s60, v10
	s_and_saveexec_b64 s[4:5], vcc
	s_cbranch_execz .LBB529_29
; %bb.28:
	v_lshlrev_b32_e32 v10, 1, v0
	v_add_co_u32_e32 v10, vcc, v19, v10
	v_addc_co_u32_e32 v11, vcc, 0, v20, vcc
	flat_load_ushort v10, v[10:11] offset:3840
	s_mov_b32 s6, 0xffff
	s_waitcnt vmcnt(0) lgkmcnt(0)
	v_bfi_b32 v6, s6, v10, v6
.LBB529_29:
	s_or_b64 exec, exec, s[4:5]
	v_add_u32_e32 v10, 0x840, v0
	v_cmp_gt_u32_e32 vcc, s60, v10
	s_and_saveexec_b64 s[4:5], vcc
	s_cbranch_execz .LBB529_31
; %bb.30:
	v_lshlrev_b32_e32 v10, 1, v10
	v_add_co_u32_e32 v10, vcc, v19, v10
	v_addc_co_u32_e32 v11, vcc, 0, v20, vcc
	flat_load_ushort v10, v[10:11]
	s_mov_b32 s6, 0x5040100
	s_waitcnt vmcnt(0) lgkmcnt(0)
	v_perm_b32 v6, v10, v6, s6
.LBB529_31:
	s_or_b64 exec, exec, s[4:5]
	v_or_b32_e32 v10, 0x900, v0
	v_cmp_gt_u32_e32 vcc, s60, v10
	s_and_saveexec_b64 s[4:5], vcc
	s_cbranch_execz .LBB529_33
; %bb.32:
	v_lshlrev_b32_e32 v10, 1, v10
	v_add_co_u32_e32 v10, vcc, v19, v10
	v_addc_co_u32_e32 v11, vcc, 0, v20, vcc
	flat_load_ushort v10, v[10:11]
	s_mov_b32 s6, 0xffff
	s_waitcnt vmcnt(0) lgkmcnt(0)
	v_bfi_b32 v7, s6, v10, v7
.LBB529_33:
	s_or_b64 exec, exec, s[4:5]
	v_add_u32_e32 v10, 0x9c0, v0
	v_cmp_gt_u32_e32 vcc, s60, v10
	s_and_saveexec_b64 s[4:5], vcc
	s_cbranch_execz .LBB529_35
; %bb.34:
	v_lshlrev_b32_e32 v10, 1, v10
	v_add_co_u32_e32 v10, vcc, v19, v10
	v_addc_co_u32_e32 v11, vcc, 0, v20, vcc
	flat_load_ushort v10, v[10:11]
	s_mov_b32 s6, 0x5040100
	s_waitcnt vmcnt(0) lgkmcnt(0)
	v_perm_b32 v7, v10, v7, s6
.LBB529_35:
	s_or_b64 exec, exec, s[4:5]
	v_add_u32_e32 v10, 0xa80, v0
	v_cmp_gt_u32_e32 vcc, s60, v10
	s_and_saveexec_b64 s[4:5], vcc
	s_cbranch_execz .LBB529_37
; %bb.36:
	v_lshlrev_b32_e32 v10, 1, v10
	v_add_co_u32_e32 v10, vcc, v19, v10
	v_addc_co_u32_e32 v11, vcc, 0, v20, vcc
	flat_load_ushort v10, v[10:11]
	s_mov_b32 s6, 0xffff
	s_waitcnt vmcnt(0) lgkmcnt(0)
	v_bfi_b32 v8, s6, v10, v8
.LBB529_37:
	s_or_b64 exec, exec, s[4:5]
	v_add_u32_e32 v10, 0xb40, v0
	v_cmp_gt_u32_e32 vcc, s60, v10
	s_and_saveexec_b64 s[4:5], vcc
	s_cbranch_execz .LBB529_39
; %bb.38:
	v_lshlrev_b32_e32 v10, 1, v10
	v_add_co_u32_e32 v10, vcc, v19, v10
	v_addc_co_u32_e32 v11, vcc, 0, v20, vcc
	flat_load_ushort v10, v[10:11]
	s_mov_b32 s6, 0x5040100
	s_waitcnt vmcnt(0) lgkmcnt(0)
	v_perm_b32 v8, v10, v8, s6
.LBB529_39:
	s_or_b64 exec, exec, s[4:5]
	v_or_b32_e32 v10, 0xc00, v0
	v_cmp_gt_u32_e32 vcc, s60, v10
	s_and_saveexec_b64 s[4:5], vcc
	s_cbranch_execz .LBB529_41
; %bb.40:
	v_lshlrev_b32_e32 v10, 1, v10
	v_add_co_u32_e32 v10, vcc, v19, v10
	v_addc_co_u32_e32 v11, vcc, 0, v20, vcc
	flat_load_ushort v10, v[10:11]
	s_mov_b32 s6, 0xffff
	s_waitcnt vmcnt(0) lgkmcnt(0)
	v_bfi_b32 v9, s6, v10, v9
.LBB529_41:
	s_or_b64 exec, exec, s[4:5]
	v_add_u32_e32 v10, 0xcc0, v0
	v_cmp_gt_u32_e32 vcc, s60, v10
	s_and_saveexec_b64 s[4:5], vcc
	s_cbranch_execz .LBB529_43
; %bb.42:
	v_lshlrev_b32_e32 v10, 1, v10
	v_add_co_u32_e32 v10, vcc, v19, v10
	v_addc_co_u32_e32 v11, vcc, 0, v20, vcc
	flat_load_ushort v10, v[10:11]
	s_mov_b32 s6, 0x5040100
	s_waitcnt vmcnt(0) lgkmcnt(0)
	v_perm_b32 v9, v10, v9, s6
.LBB529_43:
	s_or_b64 exec, exec, s[4:5]
	v_lshlrev_b32_e32 v10, 1, v0
	ds_write_b16 v10, v1
	ds_write_b16_d16_hi v10, v1 offset:384
	ds_write_b16 v10, v2 offset:768
	ds_write_b16_d16_hi v10, v2 offset:1152
	ds_write_b16 v10, v3 offset:1536
	;; [unrolled: 2-line block ×8, first 2 shown]
	ds_write_b16_d16_hi v10, v9 offset:6528
	s_waitcnt vmcnt(0) lgkmcnt(0)
	s_barrier
.LBB529_44:
	v_mul_u32_u24_e32 v9, 18, v0
	v_lshlrev_b32_e32 v10, 1, v9
	ds_read2_b32 v[7:8], v10 offset1:1
	ds_read2_b32 v[5:6], v10 offset0:2 offset1:3
	ds_read2_b32 v[3:4], v10 offset0:4 offset1:5
	;; [unrolled: 1-line block ×3, first 2 shown]
	ds_read_b32 v55, v10 offset:32
	s_cmp_lg_u32 s33, 0
	s_cselect_b64 s[50:51], -1, 0
	s_cmp_lg_u64 s[10:11], 0
	s_cselect_b64 s[4:5], -1, 0
	s_or_b64 s[4:5], s[4:5], s[50:51]
	s_waitcnt lgkmcnt(4)
	v_lshrrev_b32_e32 v63, 16, v7
	v_lshrrev_b32_e32 v62, 16, v8
	s_waitcnt lgkmcnt(3)
	v_lshrrev_b32_e32 v61, 16, v5
	v_lshrrev_b32_e32 v60, 16, v6
	;; [unrolled: 3-line block ×4, first 2 shown]
	s_waitcnt lgkmcnt(0)
	v_lshrrev_b32_e32 v54, 16, v55
	s_mov_b64 s[52:53], 0
	s_and_b64 vcc, exec, s[4:5]
	s_waitcnt vmcnt(0)
	s_barrier
	s_cbranch_vccz .LBB529_49
; %bb.45:
	v_add_co_u32_e32 v11, vcc, -2, v19
	v_addc_co_u32_e32 v12, vcc, -1, v20, vcc
	flat_load_ushort v11, v[11:12]
	v_lshlrev_b32_e32 v12, 1, v0
	s_and_b64 vcc, exec, s[44:45]
	ds_write_b16 v12, v54
	s_cbranch_vccz .LBB529_50
; %bb.46:
	s_waitcnt vmcnt(0) lgkmcnt(0)
	v_mov_b32_e32 v13, v11
	s_barrier
	s_and_saveexec_b64 s[4:5], s[2:3]
; %bb.47:
	v_add_u32_e32 v13, -2, v12
	ds_read_u16 v13, v13
; %bb.48:
	s_or_b64 exec, exec, s[4:5]
	s_movk_i32 s4, 0x6667
	v_mul_i32_i24_sdwa v14, sext(v55), s4 dst_sel:DWORD dst_unused:UNUSED_PAD src0_sel:WORD_0 src1_sel:DWORD
	v_lshrrev_b32_e32 v15, 31, v14
	v_ashrrev_i32_e32 v14, 18, v14
	v_add_u16_e32 v14, v14, v15
	v_mul_i32_i24_sdwa v15, sext(v54), s4 dst_sel:DWORD dst_unused:UNUSED_PAD src0_sel:WORD_0 src1_sel:DWORD
	v_lshrrev_b32_e32 v16, 31, v15
	v_ashrrev_i32_e32 v15, 18, v15
	v_add_u16_e32 v15, v15, v16
	v_cmp_ne_u16_e32 vcc, v14, v15
	v_mul_i32_i24_sdwa v15, sext(v56), s4 dst_sel:DWORD dst_unused:UNUSED_PAD src0_sel:WORD_0 src1_sel:DWORD
	v_lshrrev_b32_e32 v16, 31, v15
	v_ashrrev_i32_e32 v15, 18, v15
	v_add_u16_e32 v15, v15, v16
	v_cndmask_b32_e64 v64, 0, 1, vcc
	v_cmp_ne_u16_e32 vcc, v15, v14
	v_mul_i32_i24_sdwa v14, sext(v2), s4 dst_sel:DWORD dst_unused:UNUSED_PAD src0_sel:WORD_0 src1_sel:DWORD
	v_lshrrev_b32_e32 v16, 31, v14
	v_ashrrev_i32_e32 v14, 18, v14
	v_add_u16_e32 v14, v14, v16
	v_cndmask_b32_e64 v65, 0, 1, vcc
	;; [unrolled: 6-line block ×15, first 2 shown]
	v_cmp_ne_u16_e32 vcc, v15, v14
	v_mul_i32_i24_sdwa v14, sext(v7), s4 dst_sel:DWORD dst_unused:UNUSED_PAD src0_sel:WORD_0 src1_sel:DWORD
	v_lshrrev_b32_e32 v16, 31, v14
	v_ashrrev_i32_e32 v14, 18, v14
	v_add_u16_e32 v14, v14, v16
	s_waitcnt lgkmcnt(0)
	v_mul_i32_i24_sdwa v13, sext(v13), s4 dst_sel:DWORD dst_unused:UNUSED_PAD src0_sel:WORD_0 src1_sel:DWORD
	v_cndmask_b32_e64 v79, 0, 1, vcc
	v_cmp_ne_u16_e32 vcc, v14, v15
	v_lshrrev_b32_e32 v15, 31, v13
	v_ashrrev_i32_e32 v13, 18, v13
	v_add_u16_e32 v13, v13, v15
	v_cndmask_b32_e64 v80, 0, 1, vcc
	v_cmp_ne_u16_e64 s[54:55], v13, v14
	s_branch .LBB529_90
.LBB529_49:
                                        ; implicit-def: $sgpr54_sgpr55
                                        ; implicit-def: $vgpr64
                                        ; implicit-def: $vgpr65
                                        ; implicit-def: $vgpr66
                                        ; implicit-def: $vgpr67
                                        ; implicit-def: $vgpr68
                                        ; implicit-def: $vgpr69
                                        ; implicit-def: $vgpr70
                                        ; implicit-def: $vgpr71
                                        ; implicit-def: $vgpr72
                                        ; implicit-def: $vgpr80
                                        ; implicit-def: $vgpr79
                                        ; implicit-def: $vgpr78
                                        ; implicit-def: $vgpr77
                                        ; implicit-def: $vgpr76
                                        ; implicit-def: $vgpr75
                                        ; implicit-def: $vgpr74
                                        ; implicit-def: $vgpr73
	s_branch .LBB529_91
.LBB529_50:
                                        ; implicit-def: $sgpr54_sgpr55
                                        ; implicit-def: $vgpr64
                                        ; implicit-def: $vgpr65
                                        ; implicit-def: $vgpr66
                                        ; implicit-def: $vgpr67
                                        ; implicit-def: $vgpr68
                                        ; implicit-def: $vgpr69
                                        ; implicit-def: $vgpr70
                                        ; implicit-def: $vgpr71
                                        ; implicit-def: $vgpr72
                                        ; implicit-def: $vgpr80
                                        ; implicit-def: $vgpr79
                                        ; implicit-def: $vgpr78
                                        ; implicit-def: $vgpr77
                                        ; implicit-def: $vgpr76
                                        ; implicit-def: $vgpr75
                                        ; implicit-def: $vgpr74
                                        ; implicit-def: $vgpr73
	s_cbranch_execz .LBB529_90
; %bb.51:
	v_add_u32_e32 v13, 17, v9
	v_cmp_gt_u32_e32 vcc, s60, v13
	s_mov_b64 s[6:7], 0
	s_mov_b64 s[4:5], 0
	s_and_saveexec_b64 s[8:9], vcc
	s_cbranch_execz .LBB529_53
; %bb.52:
	s_movk_i32 s4, 0x6667
	v_mul_i32_i24_sdwa v13, sext(v55), s4 dst_sel:DWORD dst_unused:UNUSED_PAD src0_sel:WORD_0 src1_sel:DWORD
	v_lshrrev_b32_e32 v14, 31, v13
	v_ashrrev_i32_e32 v13, 18, v13
	v_add_u16_e32 v13, v13, v14
	v_mul_i32_i24_sdwa v14, sext(v54), s4 dst_sel:DWORD dst_unused:UNUSED_PAD src0_sel:WORD_0 src1_sel:DWORD
	v_lshrrev_b32_e32 v15, 31, v14
	v_ashrrev_i32_e32 v14, 18, v14
	v_add_u16_e32 v14, v14, v15
	v_cmp_ne_u16_e32 vcc, v13, v14
	s_and_b64 s[4:5], vcc, exec
.LBB529_53:
	s_or_b64 exec, exec, s[8:9]
	v_add_u32_e32 v13, 16, v9
	v_cmp_gt_u32_e32 vcc, s60, v13
	s_and_saveexec_b64 s[8:9], vcc
	s_cbranch_execz .LBB529_55
; %bb.54:
	s_movk_i32 s6, 0x6667
	v_mul_i32_i24_sdwa v13, sext(v56), s6 dst_sel:DWORD dst_unused:UNUSED_PAD src0_sel:WORD_0 src1_sel:DWORD
	v_lshrrev_b32_e32 v14, 31, v13
	v_ashrrev_i32_e32 v13, 18, v13
	v_add_u16_e32 v13, v13, v14
	v_mul_i32_i24_sdwa v14, sext(v55), s6 dst_sel:DWORD dst_unused:UNUSED_PAD src0_sel:WORD_0 src1_sel:DWORD
	v_lshrrev_b32_e32 v15, 31, v14
	v_ashrrev_i32_e32 v14, 18, v14
	v_add_u16_e32 v14, v14, v15
	v_cmp_ne_u16_e32 vcc, v13, v14
	s_and_b64 s[6:7], vcc, exec
.LBB529_55:
	s_or_b64 exec, exec, s[8:9]
	v_add_u32_e32 v13, 15, v9
	v_cmp_gt_u32_e32 vcc, s60, v13
	s_mov_b64 s[10:11], 0
	s_mov_b64 s[8:9], 0
	s_and_saveexec_b64 s[12:13], vcc
	s_cbranch_execz .LBB529_57
; %bb.56:
	s_movk_i32 s8, 0x6667
	v_mul_i32_i24_sdwa v13, sext(v2), s8 dst_sel:DWORD dst_unused:UNUSED_PAD src0_sel:WORD_0 src1_sel:DWORD
	v_lshrrev_b32_e32 v14, 31, v13
	v_ashrrev_i32_e32 v13, 18, v13
	v_add_u16_e32 v13, v13, v14
	v_mul_i32_i24_sdwa v14, sext(v56), s8 dst_sel:DWORD dst_unused:UNUSED_PAD src0_sel:WORD_0 src1_sel:DWORD
	v_lshrrev_b32_e32 v15, 31, v14
	v_ashrrev_i32_e32 v14, 18, v14
	v_add_u16_e32 v14, v14, v15
	v_cmp_ne_u16_e32 vcc, v13, v14
	s_and_b64 s[8:9], vcc, exec
.LBB529_57:
	s_or_b64 exec, exec, s[12:13]
	v_add_u32_e32 v13, 14, v9
	v_cmp_gt_u32_e32 vcc, s60, v13
	s_and_saveexec_b64 s[12:13], vcc
	s_cbranch_execz .LBB529_59
; %bb.58:
	s_movk_i32 s10, 0x6667
	v_mul_i32_i24_sdwa v13, sext(v57), s10 dst_sel:DWORD dst_unused:UNUSED_PAD src0_sel:WORD_0 src1_sel:DWORD
	v_lshrrev_b32_e32 v14, 31, v13
	v_ashrrev_i32_e32 v13, 18, v13
	v_add_u16_e32 v13, v13, v14
	v_mul_i32_i24_sdwa v14, sext(v2), s10 dst_sel:DWORD dst_unused:UNUSED_PAD src0_sel:WORD_0 src1_sel:DWORD
	v_lshrrev_b32_e32 v15, 31, v14
	v_ashrrev_i32_e32 v14, 18, v14
	v_add_u16_e32 v14, v14, v15
	v_cmp_ne_u16_e32 vcc, v13, v14
	s_and_b64 s[10:11], vcc, exec
.LBB529_59:
	s_or_b64 exec, exec, s[12:13]
	;; [unrolled: 38-line block ×8, first 2 shown]
	v_or_b32_e32 v13, 1, v9
	v_cmp_gt_u32_e32 vcc, s60, v13
	s_mov_b64 s[52:53], 0
	s_and_saveexec_b64 s[54:55], vcc
	s_cbranch_execz .LBB529_85
; %bb.84:
	s_movk_i32 s52, 0x6667
	v_mul_i32_i24_sdwa v13, sext(v7), s52 dst_sel:DWORD dst_unused:UNUSED_PAD src0_sel:WORD_0 src1_sel:DWORD
	v_lshrrev_b32_e32 v14, 31, v13
	v_ashrrev_i32_e32 v13, 18, v13
	v_add_u16_e32 v13, v13, v14
	v_mul_i32_i24_sdwa v14, sext(v63), s52 dst_sel:DWORD dst_unused:UNUSED_PAD src0_sel:WORD_0 src1_sel:DWORD
	v_lshrrev_b32_e32 v15, 31, v14
	v_ashrrev_i32_e32 v14, 18, v14
	v_add_u16_e32 v14, v14, v15
	v_cmp_ne_u16_e32 vcc, v13, v14
	s_and_b64 s[52:53], vcc, exec
.LBB529_85:
	s_or_b64 exec, exec, s[54:55]
	s_waitcnt vmcnt(0) lgkmcnt(0)
	s_barrier
	s_and_saveexec_b64 s[54:55], s[2:3]
; %bb.86:
	v_add_u32_e32 v11, -2, v12
	ds_read_u16 v11, v11
; %bb.87:
	s_or_b64 exec, exec, s[54:55]
	v_cmp_gt_u32_e32 vcc, s60, v9
	s_mov_b64 s[54:55], 0
	s_and_saveexec_b64 s[56:57], vcc
	s_cbranch_execz .LBB529_89
; %bb.88:
	s_movk_i32 s54, 0x6667
	s_waitcnt lgkmcnt(0)
	v_mul_i32_i24_sdwa v11, sext(v11), s54 dst_sel:DWORD dst_unused:UNUSED_PAD src0_sel:WORD_0 src1_sel:DWORD
	v_lshrrev_b32_e32 v12, 31, v11
	v_ashrrev_i32_e32 v11, 18, v11
	v_add_u16_e32 v11, v11, v12
	v_mul_i32_i24_sdwa v12, sext(v7), s54 dst_sel:DWORD dst_unused:UNUSED_PAD src0_sel:WORD_0 src1_sel:DWORD
	v_lshrrev_b32_e32 v13, 31, v12
	v_ashrrev_i32_e32 v12, 18, v12
	v_add_u16_e32 v12, v12, v13
	v_cmp_ne_u16_e32 vcc, v11, v12
	s_and_b64 s[54:55], vcc, exec
.LBB529_89:
	s_or_b64 exec, exec, s[56:57]
	v_cndmask_b32_e64 v80, 0, 1, s[52:53]
	v_cndmask_b32_e64 v79, 0, 1, s[36:37]
	;; [unrolled: 1-line block ×17, first 2 shown]
.LBB529_90:
	s_mov_b64 s[52:53], -1
	s_cbranch_execnz .LBB529_135
.LBB529_91:
	s_movk_i32 s4, 0xffde
	v_mad_i32_i24 v10, v0, s4, v10
	s_and_b64 vcc, exec, s[44:45]
	ds_write_b16 v10, v54
	s_cbranch_vccz .LBB529_95
; %bb.92:
	s_movk_i32 s36, 0x6667
	s_waitcnt vmcnt(0) lgkmcnt(0)
	v_mul_i32_i24_sdwa v11, sext(v55), s36 dst_sel:DWORD dst_unused:UNUSED_PAD src0_sel:WORD_0 src1_sel:DWORD
	v_lshrrev_b32_e32 v12, 31, v11
	v_ashrrev_i32_e32 v11, 18, v11
	v_add_u16_e32 v11, v11, v12
	v_mul_i32_i24_sdwa v12, sext(v54), s36 dst_sel:DWORD dst_unused:UNUSED_PAD src0_sel:WORD_0 src1_sel:DWORD
	v_lshrrev_b32_e32 v13, 31, v12
	v_ashrrev_i32_e32 v12, 18, v12
	v_add_u16_e32 v12, v12, v13
	v_cmp_ne_u16_e32 vcc, v11, v12
	v_mul_i32_i24_sdwa v12, sext(v56), s36 dst_sel:DWORD dst_unused:UNUSED_PAD src0_sel:WORD_0 src1_sel:DWORD
	v_lshrrev_b32_e32 v13, 31, v12
	v_ashrrev_i32_e32 v12, 18, v12
	v_add_u16_e32 v12, v12, v13
	v_cmp_ne_u16_e64 s[4:5], v12, v11
	v_mul_i32_i24_sdwa v11, sext(v2), s36 dst_sel:DWORD dst_unused:UNUSED_PAD src0_sel:WORD_0 src1_sel:DWORD
	v_lshrrev_b32_e32 v13, 31, v11
	v_ashrrev_i32_e32 v11, 18, v11
	v_add_u16_e32 v11, v11, v13
	v_cmp_ne_u16_e64 s[6:7], v11, v12
	;; [unrolled: 5-line block ×16, first 2 shown]
	s_barrier
                                        ; implicit-def: $sgpr54_sgpr55
	s_and_saveexec_b64 s[56:57], s[2:3]
	s_xor_b64 s[56:57], exec, s[56:57]
	s_cbranch_execz .LBB529_94
; %bb.93:
	v_add_u32_e32 v12, -2, v10
	ds_read_i16 v12, v12
	s_or_b64 s[52:53], s[52:53], exec
	s_waitcnt lgkmcnt(0)
	v_mul_i32_i24_e32 v12, 0x6667, v12
	v_lshrrev_b32_e32 v13, 31, v12
	v_ashrrev_i32_e32 v12, 18, v12
	v_add_u16_e32 v12, v12, v13
	v_cmp_ne_u16_e64 s[54:55], v12, v11
.LBB529_94:
	s_or_b64 exec, exec, s[56:57]
	v_cndmask_b32_e64 v64, 0, 1, vcc
	v_cndmask_b32_e64 v65, 0, 1, s[4:5]
	v_cndmask_b32_e64 v66, 0, 1, s[6:7]
	;; [unrolled: 1-line block ×16, first 2 shown]
	s_branch .LBB529_135
.LBB529_95:
                                        ; implicit-def: $sgpr54_sgpr55
                                        ; implicit-def: $vgpr64
                                        ; implicit-def: $vgpr65
                                        ; implicit-def: $vgpr66
                                        ; implicit-def: $vgpr67
                                        ; implicit-def: $vgpr68
                                        ; implicit-def: $vgpr69
                                        ; implicit-def: $vgpr70
                                        ; implicit-def: $vgpr71
                                        ; implicit-def: $vgpr72
                                        ; implicit-def: $vgpr80
                                        ; implicit-def: $vgpr79
                                        ; implicit-def: $vgpr78
                                        ; implicit-def: $vgpr77
                                        ; implicit-def: $vgpr76
                                        ; implicit-def: $vgpr75
                                        ; implicit-def: $vgpr74
                                        ; implicit-def: $vgpr73
	s_cbranch_execz .LBB529_135
; %bb.96:
	s_waitcnt vmcnt(0) lgkmcnt(0)
	v_add_u32_e32 v11, 17, v9
	v_cmp_gt_u32_e32 vcc, s60, v11
	s_mov_b64 s[6:7], 0
	s_mov_b64 s[4:5], 0
	s_and_saveexec_b64 s[8:9], vcc
	s_cbranch_execz .LBB529_98
; %bb.97:
	s_movk_i32 s4, 0x6667
	v_mul_i32_i24_sdwa v11, sext(v55), s4 dst_sel:DWORD dst_unused:UNUSED_PAD src0_sel:WORD_0 src1_sel:DWORD
	v_lshrrev_b32_e32 v12, 31, v11
	v_ashrrev_i32_e32 v11, 18, v11
	v_add_u16_e32 v11, v11, v12
	v_mul_i32_i24_sdwa v12, sext(v54), s4 dst_sel:DWORD dst_unused:UNUSED_PAD src0_sel:WORD_0 src1_sel:DWORD
	v_lshrrev_b32_e32 v13, 31, v12
	v_ashrrev_i32_e32 v12, 18, v12
	v_add_u16_e32 v12, v12, v13
	v_cmp_ne_u16_e32 vcc, v11, v12
	s_and_b64 s[4:5], vcc, exec
.LBB529_98:
	s_or_b64 exec, exec, s[8:9]
	v_add_u32_e32 v11, 16, v9
	v_cmp_gt_u32_e32 vcc, s60, v11
	s_and_saveexec_b64 s[8:9], vcc
	s_cbranch_execz .LBB529_100
; %bb.99:
	s_movk_i32 s6, 0x6667
	v_mul_i32_i24_sdwa v11, sext(v56), s6 dst_sel:DWORD dst_unused:UNUSED_PAD src0_sel:WORD_0 src1_sel:DWORD
	v_lshrrev_b32_e32 v12, 31, v11
	v_ashrrev_i32_e32 v11, 18, v11
	v_add_u16_e32 v11, v11, v12
	v_mul_i32_i24_sdwa v12, sext(v55), s6 dst_sel:DWORD dst_unused:UNUSED_PAD src0_sel:WORD_0 src1_sel:DWORD
	v_lshrrev_b32_e32 v13, 31, v12
	v_ashrrev_i32_e32 v12, 18, v12
	v_add_u16_e32 v12, v12, v13
	v_cmp_ne_u16_e32 vcc, v11, v12
	s_and_b64 s[6:7], vcc, exec
.LBB529_100:
	s_or_b64 exec, exec, s[8:9]
	v_add_u32_e32 v11, 15, v9
	v_cmp_gt_u32_e32 vcc, s60, v11
	s_mov_b64 s[10:11], 0
	s_mov_b64 s[8:9], 0
	s_and_saveexec_b64 s[12:13], vcc
	s_cbranch_execz .LBB529_102
; %bb.101:
	s_movk_i32 s8, 0x6667
	v_mul_i32_i24_sdwa v11, sext(v2), s8 dst_sel:DWORD dst_unused:UNUSED_PAD src0_sel:WORD_0 src1_sel:DWORD
	v_lshrrev_b32_e32 v12, 31, v11
	v_ashrrev_i32_e32 v11, 18, v11
	v_add_u16_e32 v11, v11, v12
	v_mul_i32_i24_sdwa v12, sext(v56), s8 dst_sel:DWORD dst_unused:UNUSED_PAD src0_sel:WORD_0 src1_sel:DWORD
	v_lshrrev_b32_e32 v13, 31, v12
	v_ashrrev_i32_e32 v12, 18, v12
	v_add_u16_e32 v12, v12, v13
	v_cmp_ne_u16_e32 vcc, v11, v12
	s_and_b64 s[8:9], vcc, exec
.LBB529_102:
	s_or_b64 exec, exec, s[12:13]
	v_add_u32_e32 v11, 14, v9
	v_cmp_gt_u32_e32 vcc, s60, v11
	s_and_saveexec_b64 s[12:13], vcc
	s_cbranch_execz .LBB529_104
; %bb.103:
	s_movk_i32 s10, 0x6667
	v_mul_i32_i24_sdwa v11, sext(v57), s10 dst_sel:DWORD dst_unused:UNUSED_PAD src0_sel:WORD_0 src1_sel:DWORD
	v_lshrrev_b32_e32 v12, 31, v11
	v_ashrrev_i32_e32 v11, 18, v11
	v_add_u16_e32 v11, v11, v12
	v_mul_i32_i24_sdwa v12, sext(v2), s10 dst_sel:DWORD dst_unused:UNUSED_PAD src0_sel:WORD_0 src1_sel:DWORD
	v_lshrrev_b32_e32 v13, 31, v12
	v_ashrrev_i32_e32 v12, 18, v12
	v_add_u16_e32 v12, v12, v13
	v_cmp_ne_u16_e32 vcc, v11, v12
	s_and_b64 s[10:11], vcc, exec
.LBB529_104:
	s_or_b64 exec, exec, s[12:13]
	v_add_u32_e32 v11, 13, v9
	v_cmp_gt_u32_e32 vcc, s60, v11
	s_mov_b64 s[14:15], 0
	s_mov_b64 s[12:13], 0
	s_and_saveexec_b64 s[16:17], vcc
	s_cbranch_execz .LBB529_106
; %bb.105:
	s_movk_i32 s12, 0x6667
	v_mul_i32_i24_sdwa v11, sext(v1), s12 dst_sel:DWORD dst_unused:UNUSED_PAD src0_sel:WORD_0 src1_sel:DWORD
	v_lshrrev_b32_e32 v12, 31, v11
	v_ashrrev_i32_e32 v11, 18, v11
	v_add_u16_e32 v11, v11, v12
	v_mul_i32_i24_sdwa v12, sext(v57), s12 dst_sel:DWORD dst_unused:UNUSED_PAD src0_sel:WORD_0 src1_sel:DWORD
	v_lshrrev_b32_e32 v13, 31, v12
	v_ashrrev_i32_e32 v12, 18, v12
	v_add_u16_e32 v12, v12, v13
	v_cmp_ne_u16_e32 vcc, v11, v12
	s_and_b64 s[12:13], vcc, exec
.LBB529_106:
	s_or_b64 exec, exec, s[16:17]
	v_add_u32_e32 v11, 12, v9
	v_cmp_gt_u32_e32 vcc, s60, v11
	s_and_saveexec_b64 s[16:17], vcc
	s_cbranch_execz .LBB529_108
; %bb.107:
	s_movk_i32 s14, 0x6667
	v_mul_i32_i24_sdwa v11, sext(v58), s14 dst_sel:DWORD dst_unused:UNUSED_PAD src0_sel:WORD_0 src1_sel:DWORD
	v_lshrrev_b32_e32 v12, 31, v11
	v_ashrrev_i32_e32 v11, 18, v11
	v_add_u16_e32 v11, v11, v12
	v_mul_i32_i24_sdwa v12, sext(v1), s14 dst_sel:DWORD dst_unused:UNUSED_PAD src0_sel:WORD_0 src1_sel:DWORD
	v_lshrrev_b32_e32 v13, 31, v12
	v_ashrrev_i32_e32 v12, 18, v12
	v_add_u16_e32 v12, v12, v13
	v_cmp_ne_u16_e32 vcc, v11, v12
	s_and_b64 s[14:15], vcc, exec
.LBB529_108:
	s_or_b64 exec, exec, s[16:17]
	v_add_u32_e32 v11, 11, v9
	v_cmp_gt_u32_e32 vcc, s60, v11
	s_mov_b64 s[18:19], 0
	s_mov_b64 s[16:17], 0
	s_and_saveexec_b64 s[20:21], vcc
	s_cbranch_execz .LBB529_110
; %bb.109:
	s_movk_i32 s16, 0x6667
	v_mul_i32_i24_sdwa v11, sext(v4), s16 dst_sel:DWORD dst_unused:UNUSED_PAD src0_sel:WORD_0 src1_sel:DWORD
	v_lshrrev_b32_e32 v12, 31, v11
	v_ashrrev_i32_e32 v11, 18, v11
	v_add_u16_e32 v11, v11, v12
	v_mul_i32_i24_sdwa v12, sext(v58), s16 dst_sel:DWORD dst_unused:UNUSED_PAD src0_sel:WORD_0 src1_sel:DWORD
	v_lshrrev_b32_e32 v13, 31, v12
	v_ashrrev_i32_e32 v12, 18, v12
	v_add_u16_e32 v12, v12, v13
	v_cmp_ne_u16_e32 vcc, v11, v12
	s_and_b64 s[16:17], vcc, exec
.LBB529_110:
	s_or_b64 exec, exec, s[20:21]
	v_add_u32_e32 v11, 10, v9
	v_cmp_gt_u32_e32 vcc, s60, v11
	s_and_saveexec_b64 s[20:21], vcc
	s_cbranch_execz .LBB529_112
; %bb.111:
	s_movk_i32 s18, 0x6667
	v_mul_i32_i24_sdwa v11, sext(v59), s18 dst_sel:DWORD dst_unused:UNUSED_PAD src0_sel:WORD_0 src1_sel:DWORD
	v_lshrrev_b32_e32 v12, 31, v11
	v_ashrrev_i32_e32 v11, 18, v11
	v_add_u16_e32 v11, v11, v12
	v_mul_i32_i24_sdwa v12, sext(v4), s18 dst_sel:DWORD dst_unused:UNUSED_PAD src0_sel:WORD_0 src1_sel:DWORD
	v_lshrrev_b32_e32 v13, 31, v12
	v_ashrrev_i32_e32 v12, 18, v12
	v_add_u16_e32 v12, v12, v13
	v_cmp_ne_u16_e32 vcc, v11, v12
	s_and_b64 s[18:19], vcc, exec
.LBB529_112:
	s_or_b64 exec, exec, s[20:21]
	v_add_u32_e32 v11, 9, v9
	v_cmp_gt_u32_e32 vcc, s60, v11
	s_mov_b64 s[22:23], 0
	s_mov_b64 s[20:21], 0
	s_and_saveexec_b64 s[24:25], vcc
	s_cbranch_execz .LBB529_114
; %bb.113:
	s_movk_i32 s20, 0x6667
	v_mul_i32_i24_sdwa v11, sext(v3), s20 dst_sel:DWORD dst_unused:UNUSED_PAD src0_sel:WORD_0 src1_sel:DWORD
	v_lshrrev_b32_e32 v12, 31, v11
	v_ashrrev_i32_e32 v11, 18, v11
	v_add_u16_e32 v11, v11, v12
	v_mul_i32_i24_sdwa v12, sext(v59), s20 dst_sel:DWORD dst_unused:UNUSED_PAD src0_sel:WORD_0 src1_sel:DWORD
	v_lshrrev_b32_e32 v13, 31, v12
	v_ashrrev_i32_e32 v12, 18, v12
	v_add_u16_e32 v12, v12, v13
	v_cmp_ne_u16_e32 vcc, v11, v12
	s_and_b64 s[20:21], vcc, exec
.LBB529_114:
	s_or_b64 exec, exec, s[24:25]
	v_add_u32_e32 v11, 8, v9
	v_cmp_gt_u32_e32 vcc, s60, v11
	s_and_saveexec_b64 s[24:25], vcc
	s_cbranch_execz .LBB529_116
; %bb.115:
	s_movk_i32 s22, 0x6667
	v_mul_i32_i24_sdwa v11, sext(v60), s22 dst_sel:DWORD dst_unused:UNUSED_PAD src0_sel:WORD_0 src1_sel:DWORD
	v_lshrrev_b32_e32 v12, 31, v11
	v_ashrrev_i32_e32 v11, 18, v11
	v_add_u16_e32 v11, v11, v12
	v_mul_i32_i24_sdwa v12, sext(v3), s22 dst_sel:DWORD dst_unused:UNUSED_PAD src0_sel:WORD_0 src1_sel:DWORD
	v_lshrrev_b32_e32 v13, 31, v12
	v_ashrrev_i32_e32 v12, 18, v12
	v_add_u16_e32 v12, v12, v13
	v_cmp_ne_u16_e32 vcc, v11, v12
	s_and_b64 s[22:23], vcc, exec
.LBB529_116:
	s_or_b64 exec, exec, s[24:25]
	v_add_u32_e32 v11, 7, v9
	v_cmp_gt_u32_e32 vcc, s60, v11
	s_mov_b64 s[26:27], 0
	s_mov_b64 s[24:25], 0
	s_and_saveexec_b64 s[28:29], vcc
	s_cbranch_execz .LBB529_118
; %bb.117:
	s_movk_i32 s24, 0x6667
	v_mul_i32_i24_sdwa v11, sext(v6), s24 dst_sel:DWORD dst_unused:UNUSED_PAD src0_sel:WORD_0 src1_sel:DWORD
	v_lshrrev_b32_e32 v12, 31, v11
	v_ashrrev_i32_e32 v11, 18, v11
	v_add_u16_e32 v11, v11, v12
	v_mul_i32_i24_sdwa v12, sext(v60), s24 dst_sel:DWORD dst_unused:UNUSED_PAD src0_sel:WORD_0 src1_sel:DWORD
	v_lshrrev_b32_e32 v13, 31, v12
	v_ashrrev_i32_e32 v12, 18, v12
	v_add_u16_e32 v12, v12, v13
	v_cmp_ne_u16_e32 vcc, v11, v12
	s_and_b64 s[24:25], vcc, exec
.LBB529_118:
	s_or_b64 exec, exec, s[28:29]
	v_add_u32_e32 v11, 6, v9
	v_cmp_gt_u32_e32 vcc, s60, v11
	s_and_saveexec_b64 s[28:29], vcc
	s_cbranch_execz .LBB529_120
; %bb.119:
	s_movk_i32 s26, 0x6667
	v_mul_i32_i24_sdwa v11, sext(v61), s26 dst_sel:DWORD dst_unused:UNUSED_PAD src0_sel:WORD_0 src1_sel:DWORD
	v_lshrrev_b32_e32 v12, 31, v11
	v_ashrrev_i32_e32 v11, 18, v11
	v_add_u16_e32 v11, v11, v12
	v_mul_i32_i24_sdwa v12, sext(v6), s26 dst_sel:DWORD dst_unused:UNUSED_PAD src0_sel:WORD_0 src1_sel:DWORD
	v_lshrrev_b32_e32 v13, 31, v12
	v_ashrrev_i32_e32 v12, 18, v12
	v_add_u16_e32 v12, v12, v13
	v_cmp_ne_u16_e32 vcc, v11, v12
	s_and_b64 s[26:27], vcc, exec
.LBB529_120:
	s_or_b64 exec, exec, s[28:29]
	v_add_u32_e32 v11, 5, v9
	v_cmp_gt_u32_e32 vcc, s60, v11
	s_mov_b64 s[30:31], 0
	s_mov_b64 s[28:29], 0
	s_and_saveexec_b64 s[34:35], vcc
	s_cbranch_execz .LBB529_122
; %bb.121:
	s_movk_i32 s28, 0x6667
	v_mul_i32_i24_sdwa v11, sext(v5), s28 dst_sel:DWORD dst_unused:UNUSED_PAD src0_sel:WORD_0 src1_sel:DWORD
	v_lshrrev_b32_e32 v12, 31, v11
	v_ashrrev_i32_e32 v11, 18, v11
	v_add_u16_e32 v11, v11, v12
	v_mul_i32_i24_sdwa v12, sext(v61), s28 dst_sel:DWORD dst_unused:UNUSED_PAD src0_sel:WORD_0 src1_sel:DWORD
	v_lshrrev_b32_e32 v13, 31, v12
	v_ashrrev_i32_e32 v12, 18, v12
	v_add_u16_e32 v12, v12, v13
	v_cmp_ne_u16_e32 vcc, v11, v12
	s_and_b64 s[28:29], vcc, exec
.LBB529_122:
	s_or_b64 exec, exec, s[34:35]
	v_add_u32_e32 v11, 4, v9
	v_cmp_gt_u32_e32 vcc, s60, v11
	s_and_saveexec_b64 s[34:35], vcc
	s_cbranch_execz .LBB529_124
; %bb.123:
	s_movk_i32 s30, 0x6667
	v_mul_i32_i24_sdwa v11, sext(v62), s30 dst_sel:DWORD dst_unused:UNUSED_PAD src0_sel:WORD_0 src1_sel:DWORD
	v_lshrrev_b32_e32 v12, 31, v11
	v_ashrrev_i32_e32 v11, 18, v11
	v_add_u16_e32 v11, v11, v12
	v_mul_i32_i24_sdwa v12, sext(v5), s30 dst_sel:DWORD dst_unused:UNUSED_PAD src0_sel:WORD_0 src1_sel:DWORD
	v_lshrrev_b32_e32 v13, 31, v12
	v_ashrrev_i32_e32 v12, 18, v12
	v_add_u16_e32 v12, v12, v13
	v_cmp_ne_u16_e32 vcc, v11, v12
	s_and_b64 s[30:31], vcc, exec
.LBB529_124:
	s_or_b64 exec, exec, s[34:35]
	v_add_u32_e32 v11, 3, v9
	v_cmp_gt_u32_e32 vcc, s60, v11
	s_mov_b64 s[36:37], 0
	s_mov_b64 s[34:35], 0
	s_and_saveexec_b64 s[54:55], vcc
	s_cbranch_execz .LBB529_126
; %bb.125:
	s_movk_i32 s34, 0x6667
	v_mul_i32_i24_sdwa v11, sext(v8), s34 dst_sel:DWORD dst_unused:UNUSED_PAD src0_sel:WORD_0 src1_sel:DWORD
	v_lshrrev_b32_e32 v12, 31, v11
	v_ashrrev_i32_e32 v11, 18, v11
	v_add_u16_e32 v11, v11, v12
	v_mul_i32_i24_sdwa v12, sext(v62), s34 dst_sel:DWORD dst_unused:UNUSED_PAD src0_sel:WORD_0 src1_sel:DWORD
	v_lshrrev_b32_e32 v13, 31, v12
	v_ashrrev_i32_e32 v12, 18, v12
	v_add_u16_e32 v12, v12, v13
	v_cmp_ne_u16_e32 vcc, v11, v12
	s_and_b64 s[34:35], vcc, exec
.LBB529_126:
	s_or_b64 exec, exec, s[54:55]
	v_add_u32_e32 v11, 2, v9
	v_cmp_gt_u32_e32 vcc, s60, v11
	s_and_saveexec_b64 s[54:55], vcc
	s_cbranch_execz .LBB529_128
; %bb.127:
	s_movk_i32 s36, 0x6667
	v_mul_i32_i24_sdwa v11, sext(v63), s36 dst_sel:DWORD dst_unused:UNUSED_PAD src0_sel:WORD_0 src1_sel:DWORD
	v_lshrrev_b32_e32 v12, 31, v11
	v_ashrrev_i32_e32 v11, 18, v11
	v_add_u16_e32 v11, v11, v12
	v_mul_i32_i24_sdwa v12, sext(v8), s36 dst_sel:DWORD dst_unused:UNUSED_PAD src0_sel:WORD_0 src1_sel:DWORD
	v_lshrrev_b32_e32 v13, 31, v12
	v_ashrrev_i32_e32 v12, 18, v12
	v_add_u16_e32 v12, v12, v13
	v_cmp_ne_u16_e32 vcc, v11, v12
	s_and_b64 s[36:37], vcc, exec
.LBB529_128:
	s_or_b64 exec, exec, s[54:55]
	v_or_b32_e32 v11, 1, v9
	v_cmp_gt_u32_e32 vcc, s60, v11
	s_mov_b64 s[56:57], 0
	s_and_saveexec_b64 s[54:55], vcc
	s_cbranch_execz .LBB529_130
; %bb.129:
	s_movk_i32 s56, 0x6667
	v_mul_i32_i24_sdwa v11, sext(v7), s56 dst_sel:DWORD dst_unused:UNUSED_PAD src0_sel:WORD_0 src1_sel:DWORD
	v_lshrrev_b32_e32 v12, 31, v11
	v_ashrrev_i32_e32 v11, 18, v11
	v_add_u16_e32 v11, v11, v12
	v_mul_i32_i24_sdwa v12, sext(v63), s56 dst_sel:DWORD dst_unused:UNUSED_PAD src0_sel:WORD_0 src1_sel:DWORD
	v_lshrrev_b32_e32 v13, 31, v12
	v_ashrrev_i32_e32 v12, 18, v12
	v_add_u16_e32 v12, v12, v13
	v_cmp_ne_u16_e32 vcc, v11, v12
	s_and_b64 s[56:57], vcc, exec
.LBB529_130:
	s_or_b64 exec, exec, s[54:55]
	s_barrier
                                        ; implicit-def: $sgpr54_sgpr55
	s_and_saveexec_b64 s[58:59], s[2:3]
	s_cbranch_execz .LBB529_134
; %bb.131:
	v_cmp_gt_u32_e32 vcc, s60, v9
	s_mov_b64 s[54:55], 0
	s_and_saveexec_b64 s[2:3], vcc
	s_cbranch_execz .LBB529_133
; %bb.132:
	v_add_u32_e32 v10, -2, v10
	ds_read_i16 v10, v10
	s_movk_i32 s54, 0x6667
	v_mul_i32_i24_sdwa v11, sext(v7), s54 dst_sel:DWORD dst_unused:UNUSED_PAD src0_sel:WORD_0 src1_sel:DWORD
	v_lshrrev_b32_e32 v12, 31, v11
	v_ashrrev_i32_e32 v11, 18, v11
	s_waitcnt lgkmcnt(0)
	v_mul_i32_i24_e32 v10, 0x6667, v10
	v_lshrrev_b32_e32 v13, 31, v10
	v_ashrrev_i32_e32 v10, 18, v10
	v_add_u16_e32 v10, v10, v13
	v_add_u16_e32 v11, v11, v12
	v_cmp_ne_u16_e32 vcc, v10, v11
	s_and_b64 s[54:55], vcc, exec
.LBB529_133:
	s_or_b64 exec, exec, s[2:3]
	s_or_b64 s[52:53], s[52:53], exec
.LBB529_134:
	s_or_b64 exec, exec, s[58:59]
	v_cndmask_b32_e64 v79, 0, 1, s[36:37]
	v_cndmask_b32_e64 v78, 0, 1, s[34:35]
	;; [unrolled: 1-line block ×17, first 2 shown]
.LBB529_135:
	v_mov_b32_e32 v22, 1
	s_and_saveexec_b64 s[2:3], s[52:53]
; %bb.136:
	v_cndmask_b32_e64 v22, 0, 1, s[54:55]
; %bb.137:
	s_or_b64 exec, exec, s[2:3]
	s_andn2_b64 vcc, exec, s[48:49]
	s_cbranch_vccnz .LBB529_139
; %bb.138:
	v_cmp_gt_u32_e32 vcc, s60, v9
	v_or_b32_e32 v10, 1, v9
	v_cndmask_b32_e32 v22, 0, v22, vcc
	v_cmp_gt_u32_e32 vcc, s60, v10
	v_add_u32_e32 v10, 2, v9
	v_cndmask_b32_e32 v80, 0, v80, vcc
	v_cmp_gt_u32_e32 vcc, s60, v10
	v_add_u32_e32 v10, 3, v9
	;; [unrolled: 3-line block ×16, first 2 shown]
	v_cndmask_b32_e32 v65, 0, v65, vcc
	v_cmp_gt_u32_e32 vcc, s60, v9
	v_cndmask_b32_e32 v64, 0, v64, vcc
.LBB529_139:
	v_and_b32_e32 v35, 0xff, v76
	v_and_b32_e32 v36, 0xff, v75
	v_add_u32_sdwa v10, v74, v73 dst_sel:DWORD dst_unused:UNUSED_PAD src0_sel:BYTE_0 src1_sel:BYTE_0
	v_and_b32_e32 v33, 0xff, v78
	v_and_b32_e32 v34, 0xff, v77
	v_add3_u32 v10, v10, v36, v35
	v_and_b32_e32 v29, 0xff, v80
	v_and_b32_e32 v31, 0xff, v79
	v_add3_u32 v10, v10, v34, v33
	;; [unrolled: 3-line block ×7, first 2 shown]
	v_add3_u32 v39, v10, v32, v9
	v_mbcnt_lo_u32_b32 v9, -1, 0
	v_mbcnt_hi_u32_b32 v37, -1, v9
	v_and_b32_e32 v9, 15, v37
	v_cmp_eq_u32_e64 s[14:15], 0, v9
	v_cmp_lt_u32_e64 s[12:13], 1, v9
	v_cmp_lt_u32_e64 s[10:11], 3, v9
	;; [unrolled: 1-line block ×3, first 2 shown]
	v_and_b32_e32 v9, 16, v37
	v_cmp_eq_u32_e64 s[4:5], 0, v9
	v_and_b32_e32 v9, 0xc0, v0
	v_min_u32_e32 v9, 0x80, v9
	v_or_b32_e32 v9, 63, v9
	v_cmp_lt_u32_e64 s[2:3], 31, v37
	v_lshrrev_b32_e32 v38, 6, v0
	v_cmp_eq_u32_e64 s[6:7], v0, v9
	s_and_b64 vcc, exec, s[50:51]
	s_waitcnt vmcnt(0) lgkmcnt(0)
	s_barrier
	s_cbranch_vccz .LBB529_161
; %bb.140:
	v_mov_b32_dpp v9, v39 row_shr:1 row_mask:0xf bank_mask:0xf
	v_cndmask_b32_e64 v9, v9, 0, s[14:15]
	v_add_u32_e32 v9, v9, v39
	s_nop 1
	v_mov_b32_dpp v10, v9 row_shr:2 row_mask:0xf bank_mask:0xf
	v_cndmask_b32_e64 v10, 0, v10, s[12:13]
	v_add_u32_e32 v9, v9, v10
	s_nop 1
	;; [unrolled: 4-line block ×4, first 2 shown]
	v_mov_b32_dpp v10, v9 row_bcast:15 row_mask:0xf bank_mask:0xf
	v_cndmask_b32_e64 v10, v10, 0, s[4:5]
	v_add_u32_e32 v9, v9, v10
	s_nop 1
	v_mov_b32_dpp v10, v9 row_bcast:31 row_mask:0xf bank_mask:0xf
	v_cndmask_b32_e64 v10, 0, v10, s[2:3]
	v_add_u32_e32 v9, v9, v10
	s_and_saveexec_b64 s[16:17], s[6:7]
; %bb.141:
	v_lshlrev_b32_e32 v10, 2, v38
	ds_write_b32 v10, v9
; %bb.142:
	s_or_b64 exec, exec, s[16:17]
	v_cmp_gt_u32_e32 vcc, 3, v0
	s_waitcnt lgkmcnt(0)
	s_barrier
	s_and_saveexec_b64 s[16:17], vcc
	s_cbranch_execz .LBB529_144
; %bb.143:
	v_lshlrev_b32_e32 v10, 2, v0
	ds_read_b32 v11, v10
	v_and_b32_e32 v12, 3, v37
	v_cmp_ne_u32_e32 vcc, 0, v12
	s_waitcnt lgkmcnt(0)
	v_mov_b32_dpp v13, v11 row_shr:1 row_mask:0xf bank_mask:0xf
	v_cndmask_b32_e32 v13, 0, v13, vcc
	v_add_u32_e32 v11, v13, v11
	v_cmp_lt_u32_e32 vcc, 1, v12
	s_nop 0
	v_mov_b32_dpp v13, v11 row_shr:2 row_mask:0xf bank_mask:0xf
	v_cndmask_b32_e32 v12, 0, v13, vcc
	v_add_u32_e32 v11, v11, v12
	ds_write_b32 v10, v11
.LBB529_144:
	s_or_b64 exec, exec, s[16:17]
	v_cmp_gt_u32_e32 vcc, 64, v0
	v_cmp_lt_u32_e64 s[16:17], 63, v0
	s_waitcnt lgkmcnt(0)
	s_barrier
                                        ; implicit-def: $vgpr40
	s_and_saveexec_b64 s[18:19], s[16:17]
	s_cbranch_execz .LBB529_146
; %bb.145:
	v_lshl_add_u32 v10, v38, 2, -4
	ds_read_b32 v40, v10
	s_waitcnt lgkmcnt(0)
	v_add_u32_e32 v9, v40, v9
.LBB529_146:
	s_or_b64 exec, exec, s[18:19]
	v_subrev_co_u32_e64 v10, s[16:17], 1, v37
	v_and_b32_e32 v11, 64, v37
	v_cmp_lt_i32_e64 s[18:19], v10, v11
	v_cndmask_b32_e64 v10, v10, v37, s[18:19]
	v_lshlrev_b32_e32 v10, 2, v10
	ds_bpermute_b32 v41, v10, v9
	s_and_saveexec_b64 s[18:19], vcc
	s_cbranch_execz .LBB529_166
; %bb.147:
	v_mov_b32_e32 v15, 0
	ds_read_b32 v9, v15 offset:8
	s_and_saveexec_b64 s[20:21], s[16:17]
	s_cbranch_execz .LBB529_149
; %bb.148:
	s_add_i32 s22, s33, 64
	s_mov_b32 s23, 0
	s_lshl_b64 s[22:23], s[22:23], 3
	s_add_u32 s22, s46, s22
	v_mov_b32_e32 v10, 1
	s_addc_u32 s23, s47, s23
	s_waitcnt lgkmcnt(0)
	global_store_dwordx2 v15, v[9:10], s[22:23]
.LBB529_149:
	s_or_b64 exec, exec, s[20:21]
	v_xad_u32 v11, v37, -1, s33
	v_add_u32_e32 v14, 64, v11
	v_lshlrev_b64 v[12:13], 3, v[14:15]
	v_mov_b32_e32 v10, s47
	v_add_co_u32_e32 v19, vcc, s46, v12
	v_addc_co_u32_e32 v20, vcc, v10, v13, vcc
	global_load_dwordx2 v[13:14], v[19:20], off glc
	s_waitcnt vmcnt(0)
	v_cmp_eq_u16_sdwa s[22:23], v14, v15 src0_sel:BYTE_0 src1_sel:DWORD
	s_and_saveexec_b64 s[20:21], s[22:23]
	s_cbranch_execz .LBB529_153
; %bb.150:
	s_mov_b64 s[22:23], 0
	v_mov_b32_e32 v10, 0
.LBB529_151:                            ; =>This Inner Loop Header: Depth=1
	global_load_dwordx2 v[13:14], v[19:20], off glc
	s_waitcnt vmcnt(0)
	v_cmp_ne_u16_sdwa s[24:25], v14, v10 src0_sel:BYTE_0 src1_sel:DWORD
	s_or_b64 s[22:23], s[24:25], s[22:23]
	s_andn2_b64 exec, exec, s[22:23]
	s_cbranch_execnz .LBB529_151
; %bb.152:
	s_or_b64 exec, exec, s[22:23]
.LBB529_153:
	s_or_b64 exec, exec, s[20:21]
	v_and_b32_e32 v43, 63, v37
	v_mov_b32_e32 v42, 2
	v_lshlrev_b64 v[15:16], v37, -1
	v_cmp_ne_u32_e32 vcc, 63, v43
	v_cmp_eq_u16_sdwa s[20:21], v14, v42 src0_sel:BYTE_0 src1_sel:DWORD
	v_addc_co_u32_e32 v19, vcc, 0, v37, vcc
	v_and_b32_e32 v10, s21, v16
	v_lshlrev_b32_e32 v44, 2, v19
	v_or_b32_e32 v10, 0x80000000, v10
	ds_bpermute_b32 v19, v44, v13
	v_and_b32_e32 v12, s20, v15
	v_ffbl_b32_e32 v10, v10
	v_add_u32_e32 v10, 32, v10
	v_ffbl_b32_e32 v12, v12
	v_min_u32_e32 v10, v12, v10
	v_cmp_lt_u32_e32 vcc, v43, v10
	s_waitcnt lgkmcnt(0)
	v_cndmask_b32_e32 v12, 0, v19, vcc
	v_cmp_gt_u32_e32 vcc, 62, v43
	v_add_u32_e32 v12, v12, v13
	v_cndmask_b32_e64 v13, 0, 2, vcc
	v_add_lshl_u32 v45, v13, v37, 2
	ds_bpermute_b32 v13, v45, v12
	v_add_u32_e32 v46, 2, v43
	v_cmp_le_u32_e32 vcc, v46, v10
	v_add_u32_e32 v48, 4, v43
	v_add_u32_e32 v50, 8, v43
	s_waitcnt lgkmcnt(0)
	v_cndmask_b32_e32 v13, 0, v13, vcc
	v_cmp_gt_u32_e32 vcc, 60, v43
	v_add_u32_e32 v12, v12, v13
	v_cndmask_b32_e64 v13, 0, 4, vcc
	v_add_lshl_u32 v47, v13, v37, 2
	ds_bpermute_b32 v13, v47, v12
	v_cmp_le_u32_e32 vcc, v48, v10
	v_add_u32_e32 v52, 16, v43
	v_add_u32_e32 v82, 32, v43
	s_waitcnt lgkmcnt(0)
	v_cndmask_b32_e32 v13, 0, v13, vcc
	v_cmp_gt_u32_e32 vcc, 56, v43
	v_add_u32_e32 v12, v12, v13
	v_cndmask_b32_e64 v13, 0, 8, vcc
	v_add_lshl_u32 v49, v13, v37, 2
	ds_bpermute_b32 v13, v49, v12
	v_cmp_le_u32_e32 vcc, v50, v10
	s_waitcnt lgkmcnt(0)
	v_cndmask_b32_e32 v13, 0, v13, vcc
	v_cmp_gt_u32_e32 vcc, 48, v43
	v_add_u32_e32 v12, v12, v13
	v_cndmask_b32_e64 v13, 0, 16, vcc
	v_add_lshl_u32 v51, v13, v37, 2
	ds_bpermute_b32 v13, v51, v12
	v_cmp_le_u32_e32 vcc, v52, v10
	s_waitcnt lgkmcnt(0)
	v_cndmask_b32_e32 v13, 0, v13, vcc
	v_add_u32_e32 v12, v12, v13
	v_mov_b32_e32 v13, 0x80
	v_lshl_or_b32 v81, v37, 2, v13
	ds_bpermute_b32 v13, v81, v12
	v_cmp_le_u32_e32 vcc, v82, v10
	s_waitcnt lgkmcnt(0)
	v_cndmask_b32_e32 v10, 0, v13, vcc
	v_add_u32_e32 v13, v12, v10
	v_mov_b32_e32 v12, 0
	s_branch .LBB529_156
.LBB529_154:                            ;   in Loop: Header=BB529_156 Depth=1
	s_or_b64 exec, exec, s[20:21]
	v_cmp_eq_u16_sdwa s[20:21], v14, v42 src0_sel:BYTE_0 src1_sel:DWORD
	v_and_b32_e32 v19, s21, v16
	v_or_b32_e32 v19, 0x80000000, v19
	v_and_b32_e32 v20, s20, v15
	v_ffbl_b32_e32 v19, v19
	v_add_u32_e32 v19, 32, v19
	v_ffbl_b32_e32 v20, v20
	v_min_u32_e32 v19, v20, v19
	ds_bpermute_b32 v20, v44, v13
	v_cmp_lt_u32_e32 vcc, v43, v19
	v_subrev_u32_e32 v11, 64, v11
	s_mov_b64 s[20:21], 0
	s_waitcnt lgkmcnt(0)
	v_cndmask_b32_e32 v20, 0, v20, vcc
	v_add_u32_e32 v13, v20, v13
	ds_bpermute_b32 v20, v45, v13
	v_cmp_le_u32_e32 vcc, v46, v19
	s_waitcnt lgkmcnt(0)
	v_cndmask_b32_e32 v20, 0, v20, vcc
	v_add_u32_e32 v13, v13, v20
	ds_bpermute_b32 v20, v47, v13
	v_cmp_le_u32_e32 vcc, v48, v19
	;; [unrolled: 5-line block ×5, first 2 shown]
	s_waitcnt lgkmcnt(0)
	v_cndmask_b32_e32 v19, 0, v20, vcc
	v_add3_u32 v13, v19, v10, v13
.LBB529_155:                            ;   in Loop: Header=BB529_156 Depth=1
	s_and_b64 vcc, exec, s[20:21]
	s_cbranch_vccnz .LBB529_162
.LBB529_156:                            ; =>This Loop Header: Depth=1
                                        ;     Child Loop BB529_159 Depth 2
	v_cmp_ne_u16_sdwa s[20:21], v14, v42 src0_sel:BYTE_0 src1_sel:DWORD
	v_mov_b32_e32 v10, v13
	s_cmp_lg_u64 s[20:21], exec
	s_mov_b64 s[20:21], -1
                                        ; implicit-def: $vgpr13
                                        ; implicit-def: $vgpr14
	s_cbranch_scc1 .LBB529_155
; %bb.157:                              ;   in Loop: Header=BB529_156 Depth=1
	v_lshlrev_b64 v[13:14], 3, v[11:12]
	v_mov_b32_e32 v20, s47
	v_add_co_u32_e32 v19, vcc, s46, v13
	v_addc_co_u32_e32 v20, vcc, v20, v14, vcc
	global_load_dwordx2 v[13:14], v[19:20], off glc
	s_waitcnt vmcnt(0)
	v_cmp_eq_u16_sdwa s[22:23], v14, v12 src0_sel:BYTE_0 src1_sel:DWORD
	s_and_saveexec_b64 s[20:21], s[22:23]
	s_cbranch_execz .LBB529_154
; %bb.158:                              ;   in Loop: Header=BB529_156 Depth=1
	s_mov_b64 s[22:23], 0
.LBB529_159:                            ;   Parent Loop BB529_156 Depth=1
                                        ; =>  This Inner Loop Header: Depth=2
	global_load_dwordx2 v[13:14], v[19:20], off glc
	s_waitcnt vmcnt(0)
	v_cmp_ne_u16_sdwa s[24:25], v14, v12 src0_sel:BYTE_0 src1_sel:DWORD
	s_or_b64 s[22:23], s[24:25], s[22:23]
	s_andn2_b64 exec, exec, s[22:23]
	s_cbranch_execnz .LBB529_159
; %bb.160:                              ;   in Loop: Header=BB529_156 Depth=1
	s_or_b64 exec, exec, s[22:23]
	s_branch .LBB529_154
.LBB529_161:
                                        ; implicit-def: $vgpr10
                                        ; implicit-def: $vgpr9
                                        ; implicit-def: $vgpr45
	s_cbranch_execnz .LBB529_167
	s_branch .LBB529_176
.LBB529_162:
	s_and_saveexec_b64 s[20:21], s[16:17]
	s_cbranch_execz .LBB529_164
; %bb.163:
	s_add_i32 s22, s33, 64
	s_mov_b32 s23, 0
	s_lshl_b64 s[22:23], s[22:23], 3
	s_add_u32 s22, s46, s22
	v_add_u32_e32 v11, v10, v9
	v_mov_b32_e32 v12, 2
	s_addc_u32 s23, s47, s23
	v_mov_b32_e32 v13, 0
	global_store_dwordx2 v13, v[11:12], s[22:23]
	ds_write_b64 v13, v[9:10] offset:6912
.LBB529_164:
	s_or_b64 exec, exec, s[20:21]
	s_and_b64 exec, exec, s[0:1]
; %bb.165:
	v_mov_b32_e32 v9, 0
	ds_write_b32 v9, v10 offset:8
.LBB529_166:
	s_or_b64 exec, exec, s[18:19]
	v_mov_b32_e32 v9, 0
	s_waitcnt vmcnt(0) lgkmcnt(0)
	s_barrier
	ds_read_b32 v11, v9 offset:8
	s_waitcnt lgkmcnt(0)
	s_barrier
	ds_read_b64 v[9:10], v9 offset:6912
	v_cndmask_b32_e64 v12, v41, v40, s[16:17]
	v_cndmask_b32_e64 v12, v12, 0, s[0:1]
	v_add_u32_e32 v45, v11, v12
	s_branch .LBB529_176
.LBB529_167:
	s_waitcnt lgkmcnt(0)
	v_mov_b32_dpp v9, v39 row_shr:1 row_mask:0xf bank_mask:0xf
	v_cndmask_b32_e64 v9, v9, 0, s[14:15]
	v_add_u32_e32 v9, v9, v39
	s_nop 1
	v_mov_b32_dpp v10, v9 row_shr:2 row_mask:0xf bank_mask:0xf
	v_cndmask_b32_e64 v10, 0, v10, s[12:13]
	v_add_u32_e32 v9, v9, v10
	s_nop 1
	;; [unrolled: 4-line block ×4, first 2 shown]
	v_mov_b32_dpp v10, v9 row_bcast:15 row_mask:0xf bank_mask:0xf
	v_cndmask_b32_e64 v10, v10, 0, s[4:5]
	v_add_u32_e32 v9, v9, v10
	s_nop 1
	v_mov_b32_dpp v10, v9 row_bcast:31 row_mask:0xf bank_mask:0xf
	v_cndmask_b32_e64 v10, 0, v10, s[2:3]
	v_add_u32_e32 v9, v9, v10
	s_and_saveexec_b64 s[2:3], s[6:7]
; %bb.168:
	v_lshlrev_b32_e32 v10, 2, v38
	ds_write_b32 v10, v9
; %bb.169:
	s_or_b64 exec, exec, s[2:3]
	v_cmp_gt_u32_e32 vcc, 3, v0
	s_waitcnt lgkmcnt(0)
	s_barrier
	s_and_saveexec_b64 s[2:3], vcc
	s_cbranch_execz .LBB529_171
; %bb.170:
	v_lshlrev_b32_e32 v10, 2, v0
	ds_read_b32 v11, v10
	v_and_b32_e32 v12, 3, v37
	v_cmp_ne_u32_e32 vcc, 0, v12
	s_waitcnt lgkmcnt(0)
	v_mov_b32_dpp v13, v11 row_shr:1 row_mask:0xf bank_mask:0xf
	v_cndmask_b32_e32 v13, 0, v13, vcc
	v_add_u32_e32 v11, v13, v11
	v_cmp_lt_u32_e32 vcc, 1, v12
	s_nop 0
	v_mov_b32_dpp v13, v11 row_shr:2 row_mask:0xf bank_mask:0xf
	v_cndmask_b32_e32 v12, 0, v13, vcc
	v_add_u32_e32 v11, v11, v12
	ds_write_b32 v10, v11
.LBB529_171:
	s_or_b64 exec, exec, s[2:3]
	v_cmp_lt_u32_e32 vcc, 63, v0
	v_mov_b32_e32 v10, 0
	v_mov_b32_e32 v11, 0
	s_waitcnt lgkmcnt(0)
	s_barrier
	s_and_saveexec_b64 s[2:3], vcc
; %bb.172:
	v_lshl_add_u32 v11, v38, 2, -4
	ds_read_b32 v11, v11
; %bb.173:
	s_or_b64 exec, exec, s[2:3]
	v_subrev_co_u32_e32 v12, vcc, 1, v37
	v_and_b32_e32 v13, 64, v37
	v_cmp_lt_i32_e64 s[2:3], v12, v13
	v_cndmask_b32_e64 v12, v12, v37, s[2:3]
	s_waitcnt lgkmcnt(0)
	v_add_u32_e32 v9, v11, v9
	v_lshlrev_b32_e32 v12, 2, v12
	ds_bpermute_b32 v12, v12, v9
	ds_read_b32 v9, v10 offset:8
	s_and_saveexec_b64 s[2:3], s[0:1]
	s_cbranch_execz .LBB529_175
; %bb.174:
	v_mov_b32_e32 v13, 0
	v_mov_b32_e32 v10, 2
	s_waitcnt lgkmcnt(0)
	global_store_dwordx2 v13, v[9:10], s[46:47] offset:512
.LBB529_175:
	s_or_b64 exec, exec, s[2:3]
	s_waitcnt lgkmcnt(1)
	v_cndmask_b32_e32 v10, v12, v11, vcc
	v_cndmask_b32_e64 v45, v10, 0, s[0:1]
	s_waitcnt vmcnt(0) lgkmcnt(0)
	s_barrier
	v_mov_b32_e32 v10, 0
.LBB529_176:
	v_add_u32_e32 v51, v45, v27
	v_add_u32_e32 v49, v51, v29
	;; [unrolled: 1-line block ×7, first 2 shown]
	v_add_u32_sdwa v35, v37, v74 dst_sel:DWORD dst_unused:UNUSED_PAD src0_sel:DWORD src1_sel:BYTE_0
	v_add_u32_sdwa v33, v35, v73 dst_sel:DWORD dst_unused:UNUSED_PAD src0_sel:DWORD src1_sel:BYTE_0
	v_add_u32_e32 v31, v33, v21
	v_add_u32_e32 v29, v31, v23
	;; [unrolled: 1-line block ×6, first 2 shown]
	s_movk_i32 s4, 0xc1
	v_add_u32_e32 v19, v21, v30
	s_waitcnt lgkmcnt(0)
	v_cmp_gt_u32_e32 vcc, s4, v9
	v_lshlrev_b64 v[12:13], 1, v[17:18]
	v_add_u32_e32 v14, v19, v32
	s_mov_b64 s[2:3], -1
	v_and_b32_e32 v11, 1, v22
	s_cbranch_vccnz .LBB529_180
; %bb.177:
	s_and_b64 vcc, exec, s[2:3]
	s_cbranch_vccnz .LBB529_217
.LBB529_178:
	s_and_b64 s[0:1], s[0:1], s[42:43]
	s_and_saveexec_b64 s[2:3], s[0:1]
	s_cbranch_execnz .LBB529_256
.LBB529_179:
	s_endpgm
.LBB529_180:
	v_mov_b32_e32 v20, s39
	v_add_co_u32_e32 v16, vcc, s38, v12
	v_add_u32_e32 v15, v10, v9
	v_addc_co_u32_e32 v81, vcc, v20, v13, vcc
	v_cmp_lt_u32_e32 vcc, v45, v15
	s_or_b64 s[2:3], s[44:45], vcc
	v_cmp_eq_u32_e32 vcc, 1, v11
	s_and_b64 s[4:5], s[2:3], vcc
	s_and_saveexec_b64 s[2:3], s[4:5]
	s_cbranch_execz .LBB529_182
; %bb.181:
	v_mov_b32_e32 v46, 0
	v_lshlrev_b64 v[82:83], 1, v[45:46]
	v_add_co_u32_e32 v82, vcc, v16, v82
	v_addc_co_u32_e32 v83, vcc, v81, v83, vcc
	global_store_short v[82:83], v7, off
.LBB529_182:
	s_or_b64 exec, exec, s[2:3]
	v_cmp_lt_u32_e32 vcc, v51, v15
	v_and_b32_e32 v20, 1, v80
	s_or_b64 s[2:3], s[44:45], vcc
	v_cmp_eq_u32_e32 vcc, 1, v20
	s_and_b64 s[4:5], s[2:3], vcc
	s_and_saveexec_b64 s[2:3], s[4:5]
	s_cbranch_execz .LBB529_184
; %bb.183:
	v_mov_b32_e32 v52, 0
	v_lshlrev_b64 v[82:83], 1, v[51:52]
	v_add_co_u32_e32 v82, vcc, v16, v82
	v_addc_co_u32_e32 v83, vcc, v81, v83, vcc
	global_store_short v[82:83], v63, off
.LBB529_184:
	s_or_b64 exec, exec, s[2:3]
	v_cmp_lt_u32_e32 vcc, v49, v15
	v_and_b32_e32 v20, 1, v79
	;; [unrolled: 15-line block ×17, first 2 shown]
	s_or_b64 s[2:3], s[44:45], vcc
	v_cmp_eq_u32_e32 vcc, 1, v15
	s_and_b64 s[4:5], s[2:3], vcc
	s_and_saveexec_b64 s[2:3], s[4:5]
	s_cbranch_execz .LBB529_216
; %bb.215:
	v_mov_b32_e32 v15, 0
	v_lshlrev_b64 v[82:83], 1, v[14:15]
	v_add_co_u32_e32 v15, vcc, v16, v82
	v_addc_co_u32_e32 v16, vcc, v81, v83, vcc
	global_store_short v[15:16], v54, off
.LBB529_216:
	s_or_b64 exec, exec, s[2:3]
	s_branch .LBB529_178
.LBB529_217:
	v_cmp_eq_u32_e32 vcc, 1, v11
	s_and_saveexec_b64 s[2:3], vcc
; %bb.218:
	v_sub_u32_e32 v11, v45, v10
	v_lshlrev_b32_e32 v11, 1, v11
	ds_write_b16 v11, v7
; %bb.219:
	s_or_b64 exec, exec, s[2:3]
	v_and_b32_e32 v7, 1, v80
	v_cmp_eq_u32_e32 vcc, 1, v7
	s_and_saveexec_b64 s[2:3], vcc
; %bb.220:
	v_sub_u32_e32 v7, v51, v10
	v_lshlrev_b32_e32 v7, 1, v7
	ds_write_b16 v7, v63
; %bb.221:
	s_or_b64 exec, exec, s[2:3]
	v_and_b32_e32 v7, 1, v79
	;; [unrolled: 9-line block ×17, first 2 shown]
	v_cmp_eq_u32_e32 vcc, 1, v1
	s_and_saveexec_b64 s[2:3], vcc
; %bb.252:
	v_sub_u32_e32 v1, v14, v10
	v_lshlrev_b32_e32 v1, 1, v1
	ds_write_b16 v1, v54
; %bb.253:
	s_or_b64 exec, exec, s[2:3]
	v_mov_b32_e32 v1, 0
	v_mov_b32_e32 v11, v1
	;; [unrolled: 1-line block ×3, first 2 shown]
	v_add_co_u32_e32 v4, vcc, s38, v12
	v_addc_co_u32_e32 v5, vcc, v2, v13, vcc
	v_lshlrev_b64 v[2:3], 1, v[10:11]
	s_mov_b64 s[4:5], 0
	v_add_co_u32_e32 v2, vcc, v4, v2
	v_addc_co_u32_e32 v3, vcc, v5, v3, vcc
	s_waitcnt vmcnt(0) lgkmcnt(0)
	s_barrier
.LBB529_254:                            ; =>This Inner Loop Header: Depth=1
	ds_read_u16 v6, v53
	v_lshlrev_b64 v[4:5], 1, v[0:1]
	v_add_u32_e32 v0, 0xc0, v0
	v_cmp_ge_u32_e32 vcc, v0, v9
	v_add_co_u32_e64 v4, s[2:3], v2, v4
	v_add_u32_e32 v53, 0x180, v53
	v_addc_co_u32_e64 v5, s[2:3], v3, v5, s[2:3]
	s_or_b64 s[4:5], vcc, s[4:5]
	s_waitcnt lgkmcnt(0)
	global_store_short v[4:5], v6, off
	s_andn2_b64 exec, exec, s[4:5]
	s_cbranch_execnz .LBB529_254
; %bb.255:
	s_or_b64 exec, exec, s[4:5]
	s_and_b64 s[0:1], s[0:1], s[42:43]
	s_and_saveexec_b64 s[2:3], s[0:1]
	s_cbranch_execz .LBB529_179
.LBB529_256:
	v_add_co_u32_e32 v0, vcc, v17, v9
	v_addc_co_u32_e32 v1, vcc, 0, v18, vcc
	v_add_co_u32_e32 v0, vcc, v0, v10
	v_mov_b32_e32 v2, 0
	v_addc_co_u32_e32 v1, vcc, 0, v1, vcc
	global_store_dwordx2 v2, v[0:1], s[40:41]
	s_endpgm
	.section	.rodata,"a",@progbits
	.p2align	6, 0x0
	.amdhsa_kernel _ZN7rocprim17ROCPRIM_400000_NS6detail17trampoline_kernelINS0_14default_configENS1_25partition_config_selectorILNS1_17partition_subalgoE8EsNS0_10empty_typeEbEEZZNS1_14partition_implILS5_8ELb0ES3_jN6thrust23THRUST_200600_302600_NS6detail15normal_iteratorINSA_10device_ptrIsEEEEPS6_PKS6_NS0_5tupleIJSF_S6_EEENSJ_IJSG_SG_EEENS0_18inequality_wrapperI22is_equal_div_10_uniqueIsEEEPmJS6_EEE10hipError_tPvRmT3_T4_T5_T6_T7_T9_mT8_P12ihipStream_tbDpT10_ENKUlT_T0_E_clISt17integral_constantIbLb0EES19_IbLb1EEEEDaS15_S16_EUlS15_E_NS1_11comp_targetILNS1_3genE2ELNS1_11target_archE906ELNS1_3gpuE6ELNS1_3repE0EEENS1_30default_config_static_selectorELNS0_4arch9wavefront6targetE1EEEvT1_
		.amdhsa_group_segment_fixed_size 6920
		.amdhsa_private_segment_fixed_size 0
		.amdhsa_kernarg_size 128
		.amdhsa_user_sgpr_count 6
		.amdhsa_user_sgpr_private_segment_buffer 1
		.amdhsa_user_sgpr_dispatch_ptr 0
		.amdhsa_user_sgpr_queue_ptr 0
		.amdhsa_user_sgpr_kernarg_segment_ptr 1
		.amdhsa_user_sgpr_dispatch_id 0
		.amdhsa_user_sgpr_flat_scratch_init 0
		.amdhsa_user_sgpr_private_segment_size 0
		.amdhsa_uses_dynamic_stack 0
		.amdhsa_system_sgpr_private_segment_wavefront_offset 0
		.amdhsa_system_sgpr_workgroup_id_x 1
		.amdhsa_system_sgpr_workgroup_id_y 0
		.amdhsa_system_sgpr_workgroup_id_z 0
		.amdhsa_system_sgpr_workgroup_info 0
		.amdhsa_system_vgpr_workitem_id 0
		.amdhsa_next_free_vgpr 84
		.amdhsa_next_free_sgpr 77
		.amdhsa_reserve_vcc 1
		.amdhsa_reserve_flat_scratch 0
		.amdhsa_float_round_mode_32 0
		.amdhsa_float_round_mode_16_64 0
		.amdhsa_float_denorm_mode_32 3
		.amdhsa_float_denorm_mode_16_64 3
		.amdhsa_dx10_clamp 1
		.amdhsa_ieee_mode 1
		.amdhsa_fp16_overflow 0
		.amdhsa_exception_fp_ieee_invalid_op 0
		.amdhsa_exception_fp_denorm_src 0
		.amdhsa_exception_fp_ieee_div_zero 0
		.amdhsa_exception_fp_ieee_overflow 0
		.amdhsa_exception_fp_ieee_underflow 0
		.amdhsa_exception_fp_ieee_inexact 0
		.amdhsa_exception_int_div_zero 0
	.end_amdhsa_kernel
	.section	.text._ZN7rocprim17ROCPRIM_400000_NS6detail17trampoline_kernelINS0_14default_configENS1_25partition_config_selectorILNS1_17partition_subalgoE8EsNS0_10empty_typeEbEEZZNS1_14partition_implILS5_8ELb0ES3_jN6thrust23THRUST_200600_302600_NS6detail15normal_iteratorINSA_10device_ptrIsEEEEPS6_PKS6_NS0_5tupleIJSF_S6_EEENSJ_IJSG_SG_EEENS0_18inequality_wrapperI22is_equal_div_10_uniqueIsEEEPmJS6_EEE10hipError_tPvRmT3_T4_T5_T6_T7_T9_mT8_P12ihipStream_tbDpT10_ENKUlT_T0_E_clISt17integral_constantIbLb0EES19_IbLb1EEEEDaS15_S16_EUlS15_E_NS1_11comp_targetILNS1_3genE2ELNS1_11target_archE906ELNS1_3gpuE6ELNS1_3repE0EEENS1_30default_config_static_selectorELNS0_4arch9wavefront6targetE1EEEvT1_,"axG",@progbits,_ZN7rocprim17ROCPRIM_400000_NS6detail17trampoline_kernelINS0_14default_configENS1_25partition_config_selectorILNS1_17partition_subalgoE8EsNS0_10empty_typeEbEEZZNS1_14partition_implILS5_8ELb0ES3_jN6thrust23THRUST_200600_302600_NS6detail15normal_iteratorINSA_10device_ptrIsEEEEPS6_PKS6_NS0_5tupleIJSF_S6_EEENSJ_IJSG_SG_EEENS0_18inequality_wrapperI22is_equal_div_10_uniqueIsEEEPmJS6_EEE10hipError_tPvRmT3_T4_T5_T6_T7_T9_mT8_P12ihipStream_tbDpT10_ENKUlT_T0_E_clISt17integral_constantIbLb0EES19_IbLb1EEEEDaS15_S16_EUlS15_E_NS1_11comp_targetILNS1_3genE2ELNS1_11target_archE906ELNS1_3gpuE6ELNS1_3repE0EEENS1_30default_config_static_selectorELNS0_4arch9wavefront6targetE1EEEvT1_,comdat
.Lfunc_end529:
	.size	_ZN7rocprim17ROCPRIM_400000_NS6detail17trampoline_kernelINS0_14default_configENS1_25partition_config_selectorILNS1_17partition_subalgoE8EsNS0_10empty_typeEbEEZZNS1_14partition_implILS5_8ELb0ES3_jN6thrust23THRUST_200600_302600_NS6detail15normal_iteratorINSA_10device_ptrIsEEEEPS6_PKS6_NS0_5tupleIJSF_S6_EEENSJ_IJSG_SG_EEENS0_18inequality_wrapperI22is_equal_div_10_uniqueIsEEEPmJS6_EEE10hipError_tPvRmT3_T4_T5_T6_T7_T9_mT8_P12ihipStream_tbDpT10_ENKUlT_T0_E_clISt17integral_constantIbLb0EES19_IbLb1EEEEDaS15_S16_EUlS15_E_NS1_11comp_targetILNS1_3genE2ELNS1_11target_archE906ELNS1_3gpuE6ELNS1_3repE0EEENS1_30default_config_static_selectorELNS0_4arch9wavefront6targetE1EEEvT1_, .Lfunc_end529-_ZN7rocprim17ROCPRIM_400000_NS6detail17trampoline_kernelINS0_14default_configENS1_25partition_config_selectorILNS1_17partition_subalgoE8EsNS0_10empty_typeEbEEZZNS1_14partition_implILS5_8ELb0ES3_jN6thrust23THRUST_200600_302600_NS6detail15normal_iteratorINSA_10device_ptrIsEEEEPS6_PKS6_NS0_5tupleIJSF_S6_EEENSJ_IJSG_SG_EEENS0_18inequality_wrapperI22is_equal_div_10_uniqueIsEEEPmJS6_EEE10hipError_tPvRmT3_T4_T5_T6_T7_T9_mT8_P12ihipStream_tbDpT10_ENKUlT_T0_E_clISt17integral_constantIbLb0EES19_IbLb1EEEEDaS15_S16_EUlS15_E_NS1_11comp_targetILNS1_3genE2ELNS1_11target_archE906ELNS1_3gpuE6ELNS1_3repE0EEENS1_30default_config_static_selectorELNS0_4arch9wavefront6targetE1EEEvT1_
                                        ; -- End function
	.set _ZN7rocprim17ROCPRIM_400000_NS6detail17trampoline_kernelINS0_14default_configENS1_25partition_config_selectorILNS1_17partition_subalgoE8EsNS0_10empty_typeEbEEZZNS1_14partition_implILS5_8ELb0ES3_jN6thrust23THRUST_200600_302600_NS6detail15normal_iteratorINSA_10device_ptrIsEEEEPS6_PKS6_NS0_5tupleIJSF_S6_EEENSJ_IJSG_SG_EEENS0_18inequality_wrapperI22is_equal_div_10_uniqueIsEEEPmJS6_EEE10hipError_tPvRmT3_T4_T5_T6_T7_T9_mT8_P12ihipStream_tbDpT10_ENKUlT_T0_E_clISt17integral_constantIbLb0EES19_IbLb1EEEEDaS15_S16_EUlS15_E_NS1_11comp_targetILNS1_3genE2ELNS1_11target_archE906ELNS1_3gpuE6ELNS1_3repE0EEENS1_30default_config_static_selectorELNS0_4arch9wavefront6targetE1EEEvT1_.num_vgpr, 84
	.set _ZN7rocprim17ROCPRIM_400000_NS6detail17trampoline_kernelINS0_14default_configENS1_25partition_config_selectorILNS1_17partition_subalgoE8EsNS0_10empty_typeEbEEZZNS1_14partition_implILS5_8ELb0ES3_jN6thrust23THRUST_200600_302600_NS6detail15normal_iteratorINSA_10device_ptrIsEEEEPS6_PKS6_NS0_5tupleIJSF_S6_EEENSJ_IJSG_SG_EEENS0_18inequality_wrapperI22is_equal_div_10_uniqueIsEEEPmJS6_EEE10hipError_tPvRmT3_T4_T5_T6_T7_T9_mT8_P12ihipStream_tbDpT10_ENKUlT_T0_E_clISt17integral_constantIbLb0EES19_IbLb1EEEEDaS15_S16_EUlS15_E_NS1_11comp_targetILNS1_3genE2ELNS1_11target_archE906ELNS1_3gpuE6ELNS1_3repE0EEENS1_30default_config_static_selectorELNS0_4arch9wavefront6targetE1EEEvT1_.num_agpr, 0
	.set _ZN7rocprim17ROCPRIM_400000_NS6detail17trampoline_kernelINS0_14default_configENS1_25partition_config_selectorILNS1_17partition_subalgoE8EsNS0_10empty_typeEbEEZZNS1_14partition_implILS5_8ELb0ES3_jN6thrust23THRUST_200600_302600_NS6detail15normal_iteratorINSA_10device_ptrIsEEEEPS6_PKS6_NS0_5tupleIJSF_S6_EEENSJ_IJSG_SG_EEENS0_18inequality_wrapperI22is_equal_div_10_uniqueIsEEEPmJS6_EEE10hipError_tPvRmT3_T4_T5_T6_T7_T9_mT8_P12ihipStream_tbDpT10_ENKUlT_T0_E_clISt17integral_constantIbLb0EES19_IbLb1EEEEDaS15_S16_EUlS15_E_NS1_11comp_targetILNS1_3genE2ELNS1_11target_archE906ELNS1_3gpuE6ELNS1_3repE0EEENS1_30default_config_static_selectorELNS0_4arch9wavefront6targetE1EEEvT1_.numbered_sgpr, 61
	.set _ZN7rocprim17ROCPRIM_400000_NS6detail17trampoline_kernelINS0_14default_configENS1_25partition_config_selectorILNS1_17partition_subalgoE8EsNS0_10empty_typeEbEEZZNS1_14partition_implILS5_8ELb0ES3_jN6thrust23THRUST_200600_302600_NS6detail15normal_iteratorINSA_10device_ptrIsEEEEPS6_PKS6_NS0_5tupleIJSF_S6_EEENSJ_IJSG_SG_EEENS0_18inequality_wrapperI22is_equal_div_10_uniqueIsEEEPmJS6_EEE10hipError_tPvRmT3_T4_T5_T6_T7_T9_mT8_P12ihipStream_tbDpT10_ENKUlT_T0_E_clISt17integral_constantIbLb0EES19_IbLb1EEEEDaS15_S16_EUlS15_E_NS1_11comp_targetILNS1_3genE2ELNS1_11target_archE906ELNS1_3gpuE6ELNS1_3repE0EEENS1_30default_config_static_selectorELNS0_4arch9wavefront6targetE1EEEvT1_.num_named_barrier, 0
	.set _ZN7rocprim17ROCPRIM_400000_NS6detail17trampoline_kernelINS0_14default_configENS1_25partition_config_selectorILNS1_17partition_subalgoE8EsNS0_10empty_typeEbEEZZNS1_14partition_implILS5_8ELb0ES3_jN6thrust23THRUST_200600_302600_NS6detail15normal_iteratorINSA_10device_ptrIsEEEEPS6_PKS6_NS0_5tupleIJSF_S6_EEENSJ_IJSG_SG_EEENS0_18inequality_wrapperI22is_equal_div_10_uniqueIsEEEPmJS6_EEE10hipError_tPvRmT3_T4_T5_T6_T7_T9_mT8_P12ihipStream_tbDpT10_ENKUlT_T0_E_clISt17integral_constantIbLb0EES19_IbLb1EEEEDaS15_S16_EUlS15_E_NS1_11comp_targetILNS1_3genE2ELNS1_11target_archE906ELNS1_3gpuE6ELNS1_3repE0EEENS1_30default_config_static_selectorELNS0_4arch9wavefront6targetE1EEEvT1_.private_seg_size, 0
	.set _ZN7rocprim17ROCPRIM_400000_NS6detail17trampoline_kernelINS0_14default_configENS1_25partition_config_selectorILNS1_17partition_subalgoE8EsNS0_10empty_typeEbEEZZNS1_14partition_implILS5_8ELb0ES3_jN6thrust23THRUST_200600_302600_NS6detail15normal_iteratorINSA_10device_ptrIsEEEEPS6_PKS6_NS0_5tupleIJSF_S6_EEENSJ_IJSG_SG_EEENS0_18inequality_wrapperI22is_equal_div_10_uniqueIsEEEPmJS6_EEE10hipError_tPvRmT3_T4_T5_T6_T7_T9_mT8_P12ihipStream_tbDpT10_ENKUlT_T0_E_clISt17integral_constantIbLb0EES19_IbLb1EEEEDaS15_S16_EUlS15_E_NS1_11comp_targetILNS1_3genE2ELNS1_11target_archE906ELNS1_3gpuE6ELNS1_3repE0EEENS1_30default_config_static_selectorELNS0_4arch9wavefront6targetE1EEEvT1_.uses_vcc, 1
	.set _ZN7rocprim17ROCPRIM_400000_NS6detail17trampoline_kernelINS0_14default_configENS1_25partition_config_selectorILNS1_17partition_subalgoE8EsNS0_10empty_typeEbEEZZNS1_14partition_implILS5_8ELb0ES3_jN6thrust23THRUST_200600_302600_NS6detail15normal_iteratorINSA_10device_ptrIsEEEEPS6_PKS6_NS0_5tupleIJSF_S6_EEENSJ_IJSG_SG_EEENS0_18inequality_wrapperI22is_equal_div_10_uniqueIsEEEPmJS6_EEE10hipError_tPvRmT3_T4_T5_T6_T7_T9_mT8_P12ihipStream_tbDpT10_ENKUlT_T0_E_clISt17integral_constantIbLb0EES19_IbLb1EEEEDaS15_S16_EUlS15_E_NS1_11comp_targetILNS1_3genE2ELNS1_11target_archE906ELNS1_3gpuE6ELNS1_3repE0EEENS1_30default_config_static_selectorELNS0_4arch9wavefront6targetE1EEEvT1_.uses_flat_scratch, 0
	.set _ZN7rocprim17ROCPRIM_400000_NS6detail17trampoline_kernelINS0_14default_configENS1_25partition_config_selectorILNS1_17partition_subalgoE8EsNS0_10empty_typeEbEEZZNS1_14partition_implILS5_8ELb0ES3_jN6thrust23THRUST_200600_302600_NS6detail15normal_iteratorINSA_10device_ptrIsEEEEPS6_PKS6_NS0_5tupleIJSF_S6_EEENSJ_IJSG_SG_EEENS0_18inequality_wrapperI22is_equal_div_10_uniqueIsEEEPmJS6_EEE10hipError_tPvRmT3_T4_T5_T6_T7_T9_mT8_P12ihipStream_tbDpT10_ENKUlT_T0_E_clISt17integral_constantIbLb0EES19_IbLb1EEEEDaS15_S16_EUlS15_E_NS1_11comp_targetILNS1_3genE2ELNS1_11target_archE906ELNS1_3gpuE6ELNS1_3repE0EEENS1_30default_config_static_selectorELNS0_4arch9wavefront6targetE1EEEvT1_.has_dyn_sized_stack, 0
	.set _ZN7rocprim17ROCPRIM_400000_NS6detail17trampoline_kernelINS0_14default_configENS1_25partition_config_selectorILNS1_17partition_subalgoE8EsNS0_10empty_typeEbEEZZNS1_14partition_implILS5_8ELb0ES3_jN6thrust23THRUST_200600_302600_NS6detail15normal_iteratorINSA_10device_ptrIsEEEEPS6_PKS6_NS0_5tupleIJSF_S6_EEENSJ_IJSG_SG_EEENS0_18inequality_wrapperI22is_equal_div_10_uniqueIsEEEPmJS6_EEE10hipError_tPvRmT3_T4_T5_T6_T7_T9_mT8_P12ihipStream_tbDpT10_ENKUlT_T0_E_clISt17integral_constantIbLb0EES19_IbLb1EEEEDaS15_S16_EUlS15_E_NS1_11comp_targetILNS1_3genE2ELNS1_11target_archE906ELNS1_3gpuE6ELNS1_3repE0EEENS1_30default_config_static_selectorELNS0_4arch9wavefront6targetE1EEEvT1_.has_recursion, 0
	.set _ZN7rocprim17ROCPRIM_400000_NS6detail17trampoline_kernelINS0_14default_configENS1_25partition_config_selectorILNS1_17partition_subalgoE8EsNS0_10empty_typeEbEEZZNS1_14partition_implILS5_8ELb0ES3_jN6thrust23THRUST_200600_302600_NS6detail15normal_iteratorINSA_10device_ptrIsEEEEPS6_PKS6_NS0_5tupleIJSF_S6_EEENSJ_IJSG_SG_EEENS0_18inequality_wrapperI22is_equal_div_10_uniqueIsEEEPmJS6_EEE10hipError_tPvRmT3_T4_T5_T6_T7_T9_mT8_P12ihipStream_tbDpT10_ENKUlT_T0_E_clISt17integral_constantIbLb0EES19_IbLb1EEEEDaS15_S16_EUlS15_E_NS1_11comp_targetILNS1_3genE2ELNS1_11target_archE906ELNS1_3gpuE6ELNS1_3repE0EEENS1_30default_config_static_selectorELNS0_4arch9wavefront6targetE1EEEvT1_.has_indirect_call, 0
	.section	.AMDGPU.csdata,"",@progbits
; Kernel info:
; codeLenInByte = 10952
; TotalNumSgprs: 65
; NumVgprs: 84
; ScratchSize: 0
; MemoryBound: 0
; FloatMode: 240
; IeeeMode: 1
; LDSByteSize: 6920 bytes/workgroup (compile time only)
; SGPRBlocks: 10
; VGPRBlocks: 20
; NumSGPRsForWavesPerEU: 81
; NumVGPRsForWavesPerEU: 84
; Occupancy: 3
; WaveLimiterHint : 1
; COMPUTE_PGM_RSRC2:SCRATCH_EN: 0
; COMPUTE_PGM_RSRC2:USER_SGPR: 6
; COMPUTE_PGM_RSRC2:TRAP_HANDLER: 0
; COMPUTE_PGM_RSRC2:TGID_X_EN: 1
; COMPUTE_PGM_RSRC2:TGID_Y_EN: 0
; COMPUTE_PGM_RSRC2:TGID_Z_EN: 0
; COMPUTE_PGM_RSRC2:TIDIG_COMP_CNT: 0
	.section	.text._ZN7rocprim17ROCPRIM_400000_NS6detail17trampoline_kernelINS0_14default_configENS1_25partition_config_selectorILNS1_17partition_subalgoE8EsNS0_10empty_typeEbEEZZNS1_14partition_implILS5_8ELb0ES3_jN6thrust23THRUST_200600_302600_NS6detail15normal_iteratorINSA_10device_ptrIsEEEEPS6_PKS6_NS0_5tupleIJSF_S6_EEENSJ_IJSG_SG_EEENS0_18inequality_wrapperI22is_equal_div_10_uniqueIsEEEPmJS6_EEE10hipError_tPvRmT3_T4_T5_T6_T7_T9_mT8_P12ihipStream_tbDpT10_ENKUlT_T0_E_clISt17integral_constantIbLb0EES19_IbLb1EEEEDaS15_S16_EUlS15_E_NS1_11comp_targetILNS1_3genE10ELNS1_11target_archE1200ELNS1_3gpuE4ELNS1_3repE0EEENS1_30default_config_static_selectorELNS0_4arch9wavefront6targetE1EEEvT1_,"axG",@progbits,_ZN7rocprim17ROCPRIM_400000_NS6detail17trampoline_kernelINS0_14default_configENS1_25partition_config_selectorILNS1_17partition_subalgoE8EsNS0_10empty_typeEbEEZZNS1_14partition_implILS5_8ELb0ES3_jN6thrust23THRUST_200600_302600_NS6detail15normal_iteratorINSA_10device_ptrIsEEEEPS6_PKS6_NS0_5tupleIJSF_S6_EEENSJ_IJSG_SG_EEENS0_18inequality_wrapperI22is_equal_div_10_uniqueIsEEEPmJS6_EEE10hipError_tPvRmT3_T4_T5_T6_T7_T9_mT8_P12ihipStream_tbDpT10_ENKUlT_T0_E_clISt17integral_constantIbLb0EES19_IbLb1EEEEDaS15_S16_EUlS15_E_NS1_11comp_targetILNS1_3genE10ELNS1_11target_archE1200ELNS1_3gpuE4ELNS1_3repE0EEENS1_30default_config_static_selectorELNS0_4arch9wavefront6targetE1EEEvT1_,comdat
	.protected	_ZN7rocprim17ROCPRIM_400000_NS6detail17trampoline_kernelINS0_14default_configENS1_25partition_config_selectorILNS1_17partition_subalgoE8EsNS0_10empty_typeEbEEZZNS1_14partition_implILS5_8ELb0ES3_jN6thrust23THRUST_200600_302600_NS6detail15normal_iteratorINSA_10device_ptrIsEEEEPS6_PKS6_NS0_5tupleIJSF_S6_EEENSJ_IJSG_SG_EEENS0_18inequality_wrapperI22is_equal_div_10_uniqueIsEEEPmJS6_EEE10hipError_tPvRmT3_T4_T5_T6_T7_T9_mT8_P12ihipStream_tbDpT10_ENKUlT_T0_E_clISt17integral_constantIbLb0EES19_IbLb1EEEEDaS15_S16_EUlS15_E_NS1_11comp_targetILNS1_3genE10ELNS1_11target_archE1200ELNS1_3gpuE4ELNS1_3repE0EEENS1_30default_config_static_selectorELNS0_4arch9wavefront6targetE1EEEvT1_ ; -- Begin function _ZN7rocprim17ROCPRIM_400000_NS6detail17trampoline_kernelINS0_14default_configENS1_25partition_config_selectorILNS1_17partition_subalgoE8EsNS0_10empty_typeEbEEZZNS1_14partition_implILS5_8ELb0ES3_jN6thrust23THRUST_200600_302600_NS6detail15normal_iteratorINSA_10device_ptrIsEEEEPS6_PKS6_NS0_5tupleIJSF_S6_EEENSJ_IJSG_SG_EEENS0_18inequality_wrapperI22is_equal_div_10_uniqueIsEEEPmJS6_EEE10hipError_tPvRmT3_T4_T5_T6_T7_T9_mT8_P12ihipStream_tbDpT10_ENKUlT_T0_E_clISt17integral_constantIbLb0EES19_IbLb1EEEEDaS15_S16_EUlS15_E_NS1_11comp_targetILNS1_3genE10ELNS1_11target_archE1200ELNS1_3gpuE4ELNS1_3repE0EEENS1_30default_config_static_selectorELNS0_4arch9wavefront6targetE1EEEvT1_
	.globl	_ZN7rocprim17ROCPRIM_400000_NS6detail17trampoline_kernelINS0_14default_configENS1_25partition_config_selectorILNS1_17partition_subalgoE8EsNS0_10empty_typeEbEEZZNS1_14partition_implILS5_8ELb0ES3_jN6thrust23THRUST_200600_302600_NS6detail15normal_iteratorINSA_10device_ptrIsEEEEPS6_PKS6_NS0_5tupleIJSF_S6_EEENSJ_IJSG_SG_EEENS0_18inequality_wrapperI22is_equal_div_10_uniqueIsEEEPmJS6_EEE10hipError_tPvRmT3_T4_T5_T6_T7_T9_mT8_P12ihipStream_tbDpT10_ENKUlT_T0_E_clISt17integral_constantIbLb0EES19_IbLb1EEEEDaS15_S16_EUlS15_E_NS1_11comp_targetILNS1_3genE10ELNS1_11target_archE1200ELNS1_3gpuE4ELNS1_3repE0EEENS1_30default_config_static_selectorELNS0_4arch9wavefront6targetE1EEEvT1_
	.p2align	8
	.type	_ZN7rocprim17ROCPRIM_400000_NS6detail17trampoline_kernelINS0_14default_configENS1_25partition_config_selectorILNS1_17partition_subalgoE8EsNS0_10empty_typeEbEEZZNS1_14partition_implILS5_8ELb0ES3_jN6thrust23THRUST_200600_302600_NS6detail15normal_iteratorINSA_10device_ptrIsEEEEPS6_PKS6_NS0_5tupleIJSF_S6_EEENSJ_IJSG_SG_EEENS0_18inequality_wrapperI22is_equal_div_10_uniqueIsEEEPmJS6_EEE10hipError_tPvRmT3_T4_T5_T6_T7_T9_mT8_P12ihipStream_tbDpT10_ENKUlT_T0_E_clISt17integral_constantIbLb0EES19_IbLb1EEEEDaS15_S16_EUlS15_E_NS1_11comp_targetILNS1_3genE10ELNS1_11target_archE1200ELNS1_3gpuE4ELNS1_3repE0EEENS1_30default_config_static_selectorELNS0_4arch9wavefront6targetE1EEEvT1_,@function
_ZN7rocprim17ROCPRIM_400000_NS6detail17trampoline_kernelINS0_14default_configENS1_25partition_config_selectorILNS1_17partition_subalgoE8EsNS0_10empty_typeEbEEZZNS1_14partition_implILS5_8ELb0ES3_jN6thrust23THRUST_200600_302600_NS6detail15normal_iteratorINSA_10device_ptrIsEEEEPS6_PKS6_NS0_5tupleIJSF_S6_EEENSJ_IJSG_SG_EEENS0_18inequality_wrapperI22is_equal_div_10_uniqueIsEEEPmJS6_EEE10hipError_tPvRmT3_T4_T5_T6_T7_T9_mT8_P12ihipStream_tbDpT10_ENKUlT_T0_E_clISt17integral_constantIbLb0EES19_IbLb1EEEEDaS15_S16_EUlS15_E_NS1_11comp_targetILNS1_3genE10ELNS1_11target_archE1200ELNS1_3gpuE4ELNS1_3repE0EEENS1_30default_config_static_selectorELNS0_4arch9wavefront6targetE1EEEvT1_: ; @_ZN7rocprim17ROCPRIM_400000_NS6detail17trampoline_kernelINS0_14default_configENS1_25partition_config_selectorILNS1_17partition_subalgoE8EsNS0_10empty_typeEbEEZZNS1_14partition_implILS5_8ELb0ES3_jN6thrust23THRUST_200600_302600_NS6detail15normal_iteratorINSA_10device_ptrIsEEEEPS6_PKS6_NS0_5tupleIJSF_S6_EEENSJ_IJSG_SG_EEENS0_18inequality_wrapperI22is_equal_div_10_uniqueIsEEEPmJS6_EEE10hipError_tPvRmT3_T4_T5_T6_T7_T9_mT8_P12ihipStream_tbDpT10_ENKUlT_T0_E_clISt17integral_constantIbLb0EES19_IbLb1EEEEDaS15_S16_EUlS15_E_NS1_11comp_targetILNS1_3genE10ELNS1_11target_archE1200ELNS1_3gpuE4ELNS1_3repE0EEENS1_30default_config_static_selectorELNS0_4arch9wavefront6targetE1EEEvT1_
; %bb.0:
	.section	.rodata,"a",@progbits
	.p2align	6, 0x0
	.amdhsa_kernel _ZN7rocprim17ROCPRIM_400000_NS6detail17trampoline_kernelINS0_14default_configENS1_25partition_config_selectorILNS1_17partition_subalgoE8EsNS0_10empty_typeEbEEZZNS1_14partition_implILS5_8ELb0ES3_jN6thrust23THRUST_200600_302600_NS6detail15normal_iteratorINSA_10device_ptrIsEEEEPS6_PKS6_NS0_5tupleIJSF_S6_EEENSJ_IJSG_SG_EEENS0_18inequality_wrapperI22is_equal_div_10_uniqueIsEEEPmJS6_EEE10hipError_tPvRmT3_T4_T5_T6_T7_T9_mT8_P12ihipStream_tbDpT10_ENKUlT_T0_E_clISt17integral_constantIbLb0EES19_IbLb1EEEEDaS15_S16_EUlS15_E_NS1_11comp_targetILNS1_3genE10ELNS1_11target_archE1200ELNS1_3gpuE4ELNS1_3repE0EEENS1_30default_config_static_selectorELNS0_4arch9wavefront6targetE1EEEvT1_
		.amdhsa_group_segment_fixed_size 0
		.amdhsa_private_segment_fixed_size 0
		.amdhsa_kernarg_size 128
		.amdhsa_user_sgpr_count 6
		.amdhsa_user_sgpr_private_segment_buffer 1
		.amdhsa_user_sgpr_dispatch_ptr 0
		.amdhsa_user_sgpr_queue_ptr 0
		.amdhsa_user_sgpr_kernarg_segment_ptr 1
		.amdhsa_user_sgpr_dispatch_id 0
		.amdhsa_user_sgpr_flat_scratch_init 0
		.amdhsa_user_sgpr_private_segment_size 0
		.amdhsa_uses_dynamic_stack 0
		.amdhsa_system_sgpr_private_segment_wavefront_offset 0
		.amdhsa_system_sgpr_workgroup_id_x 1
		.amdhsa_system_sgpr_workgroup_id_y 0
		.amdhsa_system_sgpr_workgroup_id_z 0
		.amdhsa_system_sgpr_workgroup_info 0
		.amdhsa_system_vgpr_workitem_id 0
		.amdhsa_next_free_vgpr 1
		.amdhsa_next_free_sgpr 0
		.amdhsa_reserve_vcc 0
		.amdhsa_reserve_flat_scratch 0
		.amdhsa_float_round_mode_32 0
		.amdhsa_float_round_mode_16_64 0
		.amdhsa_float_denorm_mode_32 3
		.amdhsa_float_denorm_mode_16_64 3
		.amdhsa_dx10_clamp 1
		.amdhsa_ieee_mode 1
		.amdhsa_fp16_overflow 0
		.amdhsa_exception_fp_ieee_invalid_op 0
		.amdhsa_exception_fp_denorm_src 0
		.amdhsa_exception_fp_ieee_div_zero 0
		.amdhsa_exception_fp_ieee_overflow 0
		.amdhsa_exception_fp_ieee_underflow 0
		.amdhsa_exception_fp_ieee_inexact 0
		.amdhsa_exception_int_div_zero 0
	.end_amdhsa_kernel
	.section	.text._ZN7rocprim17ROCPRIM_400000_NS6detail17trampoline_kernelINS0_14default_configENS1_25partition_config_selectorILNS1_17partition_subalgoE8EsNS0_10empty_typeEbEEZZNS1_14partition_implILS5_8ELb0ES3_jN6thrust23THRUST_200600_302600_NS6detail15normal_iteratorINSA_10device_ptrIsEEEEPS6_PKS6_NS0_5tupleIJSF_S6_EEENSJ_IJSG_SG_EEENS0_18inequality_wrapperI22is_equal_div_10_uniqueIsEEEPmJS6_EEE10hipError_tPvRmT3_T4_T5_T6_T7_T9_mT8_P12ihipStream_tbDpT10_ENKUlT_T0_E_clISt17integral_constantIbLb0EES19_IbLb1EEEEDaS15_S16_EUlS15_E_NS1_11comp_targetILNS1_3genE10ELNS1_11target_archE1200ELNS1_3gpuE4ELNS1_3repE0EEENS1_30default_config_static_selectorELNS0_4arch9wavefront6targetE1EEEvT1_,"axG",@progbits,_ZN7rocprim17ROCPRIM_400000_NS6detail17trampoline_kernelINS0_14default_configENS1_25partition_config_selectorILNS1_17partition_subalgoE8EsNS0_10empty_typeEbEEZZNS1_14partition_implILS5_8ELb0ES3_jN6thrust23THRUST_200600_302600_NS6detail15normal_iteratorINSA_10device_ptrIsEEEEPS6_PKS6_NS0_5tupleIJSF_S6_EEENSJ_IJSG_SG_EEENS0_18inequality_wrapperI22is_equal_div_10_uniqueIsEEEPmJS6_EEE10hipError_tPvRmT3_T4_T5_T6_T7_T9_mT8_P12ihipStream_tbDpT10_ENKUlT_T0_E_clISt17integral_constantIbLb0EES19_IbLb1EEEEDaS15_S16_EUlS15_E_NS1_11comp_targetILNS1_3genE10ELNS1_11target_archE1200ELNS1_3gpuE4ELNS1_3repE0EEENS1_30default_config_static_selectorELNS0_4arch9wavefront6targetE1EEEvT1_,comdat
.Lfunc_end530:
	.size	_ZN7rocprim17ROCPRIM_400000_NS6detail17trampoline_kernelINS0_14default_configENS1_25partition_config_selectorILNS1_17partition_subalgoE8EsNS0_10empty_typeEbEEZZNS1_14partition_implILS5_8ELb0ES3_jN6thrust23THRUST_200600_302600_NS6detail15normal_iteratorINSA_10device_ptrIsEEEEPS6_PKS6_NS0_5tupleIJSF_S6_EEENSJ_IJSG_SG_EEENS0_18inequality_wrapperI22is_equal_div_10_uniqueIsEEEPmJS6_EEE10hipError_tPvRmT3_T4_T5_T6_T7_T9_mT8_P12ihipStream_tbDpT10_ENKUlT_T0_E_clISt17integral_constantIbLb0EES19_IbLb1EEEEDaS15_S16_EUlS15_E_NS1_11comp_targetILNS1_3genE10ELNS1_11target_archE1200ELNS1_3gpuE4ELNS1_3repE0EEENS1_30default_config_static_selectorELNS0_4arch9wavefront6targetE1EEEvT1_, .Lfunc_end530-_ZN7rocprim17ROCPRIM_400000_NS6detail17trampoline_kernelINS0_14default_configENS1_25partition_config_selectorILNS1_17partition_subalgoE8EsNS0_10empty_typeEbEEZZNS1_14partition_implILS5_8ELb0ES3_jN6thrust23THRUST_200600_302600_NS6detail15normal_iteratorINSA_10device_ptrIsEEEEPS6_PKS6_NS0_5tupleIJSF_S6_EEENSJ_IJSG_SG_EEENS0_18inequality_wrapperI22is_equal_div_10_uniqueIsEEEPmJS6_EEE10hipError_tPvRmT3_T4_T5_T6_T7_T9_mT8_P12ihipStream_tbDpT10_ENKUlT_T0_E_clISt17integral_constantIbLb0EES19_IbLb1EEEEDaS15_S16_EUlS15_E_NS1_11comp_targetILNS1_3genE10ELNS1_11target_archE1200ELNS1_3gpuE4ELNS1_3repE0EEENS1_30default_config_static_selectorELNS0_4arch9wavefront6targetE1EEEvT1_
                                        ; -- End function
	.set _ZN7rocprim17ROCPRIM_400000_NS6detail17trampoline_kernelINS0_14default_configENS1_25partition_config_selectorILNS1_17partition_subalgoE8EsNS0_10empty_typeEbEEZZNS1_14partition_implILS5_8ELb0ES3_jN6thrust23THRUST_200600_302600_NS6detail15normal_iteratorINSA_10device_ptrIsEEEEPS6_PKS6_NS0_5tupleIJSF_S6_EEENSJ_IJSG_SG_EEENS0_18inequality_wrapperI22is_equal_div_10_uniqueIsEEEPmJS6_EEE10hipError_tPvRmT3_T4_T5_T6_T7_T9_mT8_P12ihipStream_tbDpT10_ENKUlT_T0_E_clISt17integral_constantIbLb0EES19_IbLb1EEEEDaS15_S16_EUlS15_E_NS1_11comp_targetILNS1_3genE10ELNS1_11target_archE1200ELNS1_3gpuE4ELNS1_3repE0EEENS1_30default_config_static_selectorELNS0_4arch9wavefront6targetE1EEEvT1_.num_vgpr, 0
	.set _ZN7rocprim17ROCPRIM_400000_NS6detail17trampoline_kernelINS0_14default_configENS1_25partition_config_selectorILNS1_17partition_subalgoE8EsNS0_10empty_typeEbEEZZNS1_14partition_implILS5_8ELb0ES3_jN6thrust23THRUST_200600_302600_NS6detail15normal_iteratorINSA_10device_ptrIsEEEEPS6_PKS6_NS0_5tupleIJSF_S6_EEENSJ_IJSG_SG_EEENS0_18inequality_wrapperI22is_equal_div_10_uniqueIsEEEPmJS6_EEE10hipError_tPvRmT3_T4_T5_T6_T7_T9_mT8_P12ihipStream_tbDpT10_ENKUlT_T0_E_clISt17integral_constantIbLb0EES19_IbLb1EEEEDaS15_S16_EUlS15_E_NS1_11comp_targetILNS1_3genE10ELNS1_11target_archE1200ELNS1_3gpuE4ELNS1_3repE0EEENS1_30default_config_static_selectorELNS0_4arch9wavefront6targetE1EEEvT1_.num_agpr, 0
	.set _ZN7rocprim17ROCPRIM_400000_NS6detail17trampoline_kernelINS0_14default_configENS1_25partition_config_selectorILNS1_17partition_subalgoE8EsNS0_10empty_typeEbEEZZNS1_14partition_implILS5_8ELb0ES3_jN6thrust23THRUST_200600_302600_NS6detail15normal_iteratorINSA_10device_ptrIsEEEEPS6_PKS6_NS0_5tupleIJSF_S6_EEENSJ_IJSG_SG_EEENS0_18inequality_wrapperI22is_equal_div_10_uniqueIsEEEPmJS6_EEE10hipError_tPvRmT3_T4_T5_T6_T7_T9_mT8_P12ihipStream_tbDpT10_ENKUlT_T0_E_clISt17integral_constantIbLb0EES19_IbLb1EEEEDaS15_S16_EUlS15_E_NS1_11comp_targetILNS1_3genE10ELNS1_11target_archE1200ELNS1_3gpuE4ELNS1_3repE0EEENS1_30default_config_static_selectorELNS0_4arch9wavefront6targetE1EEEvT1_.numbered_sgpr, 0
	.set _ZN7rocprim17ROCPRIM_400000_NS6detail17trampoline_kernelINS0_14default_configENS1_25partition_config_selectorILNS1_17partition_subalgoE8EsNS0_10empty_typeEbEEZZNS1_14partition_implILS5_8ELb0ES3_jN6thrust23THRUST_200600_302600_NS6detail15normal_iteratorINSA_10device_ptrIsEEEEPS6_PKS6_NS0_5tupleIJSF_S6_EEENSJ_IJSG_SG_EEENS0_18inequality_wrapperI22is_equal_div_10_uniqueIsEEEPmJS6_EEE10hipError_tPvRmT3_T4_T5_T6_T7_T9_mT8_P12ihipStream_tbDpT10_ENKUlT_T0_E_clISt17integral_constantIbLb0EES19_IbLb1EEEEDaS15_S16_EUlS15_E_NS1_11comp_targetILNS1_3genE10ELNS1_11target_archE1200ELNS1_3gpuE4ELNS1_3repE0EEENS1_30default_config_static_selectorELNS0_4arch9wavefront6targetE1EEEvT1_.num_named_barrier, 0
	.set _ZN7rocprim17ROCPRIM_400000_NS6detail17trampoline_kernelINS0_14default_configENS1_25partition_config_selectorILNS1_17partition_subalgoE8EsNS0_10empty_typeEbEEZZNS1_14partition_implILS5_8ELb0ES3_jN6thrust23THRUST_200600_302600_NS6detail15normal_iteratorINSA_10device_ptrIsEEEEPS6_PKS6_NS0_5tupleIJSF_S6_EEENSJ_IJSG_SG_EEENS0_18inequality_wrapperI22is_equal_div_10_uniqueIsEEEPmJS6_EEE10hipError_tPvRmT3_T4_T5_T6_T7_T9_mT8_P12ihipStream_tbDpT10_ENKUlT_T0_E_clISt17integral_constantIbLb0EES19_IbLb1EEEEDaS15_S16_EUlS15_E_NS1_11comp_targetILNS1_3genE10ELNS1_11target_archE1200ELNS1_3gpuE4ELNS1_3repE0EEENS1_30default_config_static_selectorELNS0_4arch9wavefront6targetE1EEEvT1_.private_seg_size, 0
	.set _ZN7rocprim17ROCPRIM_400000_NS6detail17trampoline_kernelINS0_14default_configENS1_25partition_config_selectorILNS1_17partition_subalgoE8EsNS0_10empty_typeEbEEZZNS1_14partition_implILS5_8ELb0ES3_jN6thrust23THRUST_200600_302600_NS6detail15normal_iteratorINSA_10device_ptrIsEEEEPS6_PKS6_NS0_5tupleIJSF_S6_EEENSJ_IJSG_SG_EEENS0_18inequality_wrapperI22is_equal_div_10_uniqueIsEEEPmJS6_EEE10hipError_tPvRmT3_T4_T5_T6_T7_T9_mT8_P12ihipStream_tbDpT10_ENKUlT_T0_E_clISt17integral_constantIbLb0EES19_IbLb1EEEEDaS15_S16_EUlS15_E_NS1_11comp_targetILNS1_3genE10ELNS1_11target_archE1200ELNS1_3gpuE4ELNS1_3repE0EEENS1_30default_config_static_selectorELNS0_4arch9wavefront6targetE1EEEvT1_.uses_vcc, 0
	.set _ZN7rocprim17ROCPRIM_400000_NS6detail17trampoline_kernelINS0_14default_configENS1_25partition_config_selectorILNS1_17partition_subalgoE8EsNS0_10empty_typeEbEEZZNS1_14partition_implILS5_8ELb0ES3_jN6thrust23THRUST_200600_302600_NS6detail15normal_iteratorINSA_10device_ptrIsEEEEPS6_PKS6_NS0_5tupleIJSF_S6_EEENSJ_IJSG_SG_EEENS0_18inequality_wrapperI22is_equal_div_10_uniqueIsEEEPmJS6_EEE10hipError_tPvRmT3_T4_T5_T6_T7_T9_mT8_P12ihipStream_tbDpT10_ENKUlT_T0_E_clISt17integral_constantIbLb0EES19_IbLb1EEEEDaS15_S16_EUlS15_E_NS1_11comp_targetILNS1_3genE10ELNS1_11target_archE1200ELNS1_3gpuE4ELNS1_3repE0EEENS1_30default_config_static_selectorELNS0_4arch9wavefront6targetE1EEEvT1_.uses_flat_scratch, 0
	.set _ZN7rocprim17ROCPRIM_400000_NS6detail17trampoline_kernelINS0_14default_configENS1_25partition_config_selectorILNS1_17partition_subalgoE8EsNS0_10empty_typeEbEEZZNS1_14partition_implILS5_8ELb0ES3_jN6thrust23THRUST_200600_302600_NS6detail15normal_iteratorINSA_10device_ptrIsEEEEPS6_PKS6_NS0_5tupleIJSF_S6_EEENSJ_IJSG_SG_EEENS0_18inequality_wrapperI22is_equal_div_10_uniqueIsEEEPmJS6_EEE10hipError_tPvRmT3_T4_T5_T6_T7_T9_mT8_P12ihipStream_tbDpT10_ENKUlT_T0_E_clISt17integral_constantIbLb0EES19_IbLb1EEEEDaS15_S16_EUlS15_E_NS1_11comp_targetILNS1_3genE10ELNS1_11target_archE1200ELNS1_3gpuE4ELNS1_3repE0EEENS1_30default_config_static_selectorELNS0_4arch9wavefront6targetE1EEEvT1_.has_dyn_sized_stack, 0
	.set _ZN7rocprim17ROCPRIM_400000_NS6detail17trampoline_kernelINS0_14default_configENS1_25partition_config_selectorILNS1_17partition_subalgoE8EsNS0_10empty_typeEbEEZZNS1_14partition_implILS5_8ELb0ES3_jN6thrust23THRUST_200600_302600_NS6detail15normal_iteratorINSA_10device_ptrIsEEEEPS6_PKS6_NS0_5tupleIJSF_S6_EEENSJ_IJSG_SG_EEENS0_18inequality_wrapperI22is_equal_div_10_uniqueIsEEEPmJS6_EEE10hipError_tPvRmT3_T4_T5_T6_T7_T9_mT8_P12ihipStream_tbDpT10_ENKUlT_T0_E_clISt17integral_constantIbLb0EES19_IbLb1EEEEDaS15_S16_EUlS15_E_NS1_11comp_targetILNS1_3genE10ELNS1_11target_archE1200ELNS1_3gpuE4ELNS1_3repE0EEENS1_30default_config_static_selectorELNS0_4arch9wavefront6targetE1EEEvT1_.has_recursion, 0
	.set _ZN7rocprim17ROCPRIM_400000_NS6detail17trampoline_kernelINS0_14default_configENS1_25partition_config_selectorILNS1_17partition_subalgoE8EsNS0_10empty_typeEbEEZZNS1_14partition_implILS5_8ELb0ES3_jN6thrust23THRUST_200600_302600_NS6detail15normal_iteratorINSA_10device_ptrIsEEEEPS6_PKS6_NS0_5tupleIJSF_S6_EEENSJ_IJSG_SG_EEENS0_18inequality_wrapperI22is_equal_div_10_uniqueIsEEEPmJS6_EEE10hipError_tPvRmT3_T4_T5_T6_T7_T9_mT8_P12ihipStream_tbDpT10_ENKUlT_T0_E_clISt17integral_constantIbLb0EES19_IbLb1EEEEDaS15_S16_EUlS15_E_NS1_11comp_targetILNS1_3genE10ELNS1_11target_archE1200ELNS1_3gpuE4ELNS1_3repE0EEENS1_30default_config_static_selectorELNS0_4arch9wavefront6targetE1EEEvT1_.has_indirect_call, 0
	.section	.AMDGPU.csdata,"",@progbits
; Kernel info:
; codeLenInByte = 0
; TotalNumSgprs: 4
; NumVgprs: 0
; ScratchSize: 0
; MemoryBound: 0
; FloatMode: 240
; IeeeMode: 1
; LDSByteSize: 0 bytes/workgroup (compile time only)
; SGPRBlocks: 0
; VGPRBlocks: 0
; NumSGPRsForWavesPerEU: 4
; NumVGPRsForWavesPerEU: 1
; Occupancy: 10
; WaveLimiterHint : 0
; COMPUTE_PGM_RSRC2:SCRATCH_EN: 0
; COMPUTE_PGM_RSRC2:USER_SGPR: 6
; COMPUTE_PGM_RSRC2:TRAP_HANDLER: 0
; COMPUTE_PGM_RSRC2:TGID_X_EN: 1
; COMPUTE_PGM_RSRC2:TGID_Y_EN: 0
; COMPUTE_PGM_RSRC2:TGID_Z_EN: 0
; COMPUTE_PGM_RSRC2:TIDIG_COMP_CNT: 0
	.section	.text._ZN7rocprim17ROCPRIM_400000_NS6detail17trampoline_kernelINS0_14default_configENS1_25partition_config_selectorILNS1_17partition_subalgoE8EsNS0_10empty_typeEbEEZZNS1_14partition_implILS5_8ELb0ES3_jN6thrust23THRUST_200600_302600_NS6detail15normal_iteratorINSA_10device_ptrIsEEEEPS6_PKS6_NS0_5tupleIJSF_S6_EEENSJ_IJSG_SG_EEENS0_18inequality_wrapperI22is_equal_div_10_uniqueIsEEEPmJS6_EEE10hipError_tPvRmT3_T4_T5_T6_T7_T9_mT8_P12ihipStream_tbDpT10_ENKUlT_T0_E_clISt17integral_constantIbLb0EES19_IbLb1EEEEDaS15_S16_EUlS15_E_NS1_11comp_targetILNS1_3genE9ELNS1_11target_archE1100ELNS1_3gpuE3ELNS1_3repE0EEENS1_30default_config_static_selectorELNS0_4arch9wavefront6targetE1EEEvT1_,"axG",@progbits,_ZN7rocprim17ROCPRIM_400000_NS6detail17trampoline_kernelINS0_14default_configENS1_25partition_config_selectorILNS1_17partition_subalgoE8EsNS0_10empty_typeEbEEZZNS1_14partition_implILS5_8ELb0ES3_jN6thrust23THRUST_200600_302600_NS6detail15normal_iteratorINSA_10device_ptrIsEEEEPS6_PKS6_NS0_5tupleIJSF_S6_EEENSJ_IJSG_SG_EEENS0_18inequality_wrapperI22is_equal_div_10_uniqueIsEEEPmJS6_EEE10hipError_tPvRmT3_T4_T5_T6_T7_T9_mT8_P12ihipStream_tbDpT10_ENKUlT_T0_E_clISt17integral_constantIbLb0EES19_IbLb1EEEEDaS15_S16_EUlS15_E_NS1_11comp_targetILNS1_3genE9ELNS1_11target_archE1100ELNS1_3gpuE3ELNS1_3repE0EEENS1_30default_config_static_selectorELNS0_4arch9wavefront6targetE1EEEvT1_,comdat
	.protected	_ZN7rocprim17ROCPRIM_400000_NS6detail17trampoline_kernelINS0_14default_configENS1_25partition_config_selectorILNS1_17partition_subalgoE8EsNS0_10empty_typeEbEEZZNS1_14partition_implILS5_8ELb0ES3_jN6thrust23THRUST_200600_302600_NS6detail15normal_iteratorINSA_10device_ptrIsEEEEPS6_PKS6_NS0_5tupleIJSF_S6_EEENSJ_IJSG_SG_EEENS0_18inequality_wrapperI22is_equal_div_10_uniqueIsEEEPmJS6_EEE10hipError_tPvRmT3_T4_T5_T6_T7_T9_mT8_P12ihipStream_tbDpT10_ENKUlT_T0_E_clISt17integral_constantIbLb0EES19_IbLb1EEEEDaS15_S16_EUlS15_E_NS1_11comp_targetILNS1_3genE9ELNS1_11target_archE1100ELNS1_3gpuE3ELNS1_3repE0EEENS1_30default_config_static_selectorELNS0_4arch9wavefront6targetE1EEEvT1_ ; -- Begin function _ZN7rocprim17ROCPRIM_400000_NS6detail17trampoline_kernelINS0_14default_configENS1_25partition_config_selectorILNS1_17partition_subalgoE8EsNS0_10empty_typeEbEEZZNS1_14partition_implILS5_8ELb0ES3_jN6thrust23THRUST_200600_302600_NS6detail15normal_iteratorINSA_10device_ptrIsEEEEPS6_PKS6_NS0_5tupleIJSF_S6_EEENSJ_IJSG_SG_EEENS0_18inequality_wrapperI22is_equal_div_10_uniqueIsEEEPmJS6_EEE10hipError_tPvRmT3_T4_T5_T6_T7_T9_mT8_P12ihipStream_tbDpT10_ENKUlT_T0_E_clISt17integral_constantIbLb0EES19_IbLb1EEEEDaS15_S16_EUlS15_E_NS1_11comp_targetILNS1_3genE9ELNS1_11target_archE1100ELNS1_3gpuE3ELNS1_3repE0EEENS1_30default_config_static_selectorELNS0_4arch9wavefront6targetE1EEEvT1_
	.globl	_ZN7rocprim17ROCPRIM_400000_NS6detail17trampoline_kernelINS0_14default_configENS1_25partition_config_selectorILNS1_17partition_subalgoE8EsNS0_10empty_typeEbEEZZNS1_14partition_implILS5_8ELb0ES3_jN6thrust23THRUST_200600_302600_NS6detail15normal_iteratorINSA_10device_ptrIsEEEEPS6_PKS6_NS0_5tupleIJSF_S6_EEENSJ_IJSG_SG_EEENS0_18inequality_wrapperI22is_equal_div_10_uniqueIsEEEPmJS6_EEE10hipError_tPvRmT3_T4_T5_T6_T7_T9_mT8_P12ihipStream_tbDpT10_ENKUlT_T0_E_clISt17integral_constantIbLb0EES19_IbLb1EEEEDaS15_S16_EUlS15_E_NS1_11comp_targetILNS1_3genE9ELNS1_11target_archE1100ELNS1_3gpuE3ELNS1_3repE0EEENS1_30default_config_static_selectorELNS0_4arch9wavefront6targetE1EEEvT1_
	.p2align	8
	.type	_ZN7rocprim17ROCPRIM_400000_NS6detail17trampoline_kernelINS0_14default_configENS1_25partition_config_selectorILNS1_17partition_subalgoE8EsNS0_10empty_typeEbEEZZNS1_14partition_implILS5_8ELb0ES3_jN6thrust23THRUST_200600_302600_NS6detail15normal_iteratorINSA_10device_ptrIsEEEEPS6_PKS6_NS0_5tupleIJSF_S6_EEENSJ_IJSG_SG_EEENS0_18inequality_wrapperI22is_equal_div_10_uniqueIsEEEPmJS6_EEE10hipError_tPvRmT3_T4_T5_T6_T7_T9_mT8_P12ihipStream_tbDpT10_ENKUlT_T0_E_clISt17integral_constantIbLb0EES19_IbLb1EEEEDaS15_S16_EUlS15_E_NS1_11comp_targetILNS1_3genE9ELNS1_11target_archE1100ELNS1_3gpuE3ELNS1_3repE0EEENS1_30default_config_static_selectorELNS0_4arch9wavefront6targetE1EEEvT1_,@function
_ZN7rocprim17ROCPRIM_400000_NS6detail17trampoline_kernelINS0_14default_configENS1_25partition_config_selectorILNS1_17partition_subalgoE8EsNS0_10empty_typeEbEEZZNS1_14partition_implILS5_8ELb0ES3_jN6thrust23THRUST_200600_302600_NS6detail15normal_iteratorINSA_10device_ptrIsEEEEPS6_PKS6_NS0_5tupleIJSF_S6_EEENSJ_IJSG_SG_EEENS0_18inequality_wrapperI22is_equal_div_10_uniqueIsEEEPmJS6_EEE10hipError_tPvRmT3_T4_T5_T6_T7_T9_mT8_P12ihipStream_tbDpT10_ENKUlT_T0_E_clISt17integral_constantIbLb0EES19_IbLb1EEEEDaS15_S16_EUlS15_E_NS1_11comp_targetILNS1_3genE9ELNS1_11target_archE1100ELNS1_3gpuE3ELNS1_3repE0EEENS1_30default_config_static_selectorELNS0_4arch9wavefront6targetE1EEEvT1_: ; @_ZN7rocprim17ROCPRIM_400000_NS6detail17trampoline_kernelINS0_14default_configENS1_25partition_config_selectorILNS1_17partition_subalgoE8EsNS0_10empty_typeEbEEZZNS1_14partition_implILS5_8ELb0ES3_jN6thrust23THRUST_200600_302600_NS6detail15normal_iteratorINSA_10device_ptrIsEEEEPS6_PKS6_NS0_5tupleIJSF_S6_EEENSJ_IJSG_SG_EEENS0_18inequality_wrapperI22is_equal_div_10_uniqueIsEEEPmJS6_EEE10hipError_tPvRmT3_T4_T5_T6_T7_T9_mT8_P12ihipStream_tbDpT10_ENKUlT_T0_E_clISt17integral_constantIbLb0EES19_IbLb1EEEEDaS15_S16_EUlS15_E_NS1_11comp_targetILNS1_3genE9ELNS1_11target_archE1100ELNS1_3gpuE3ELNS1_3repE0EEENS1_30default_config_static_selectorELNS0_4arch9wavefront6targetE1EEEvT1_
; %bb.0:
	.section	.rodata,"a",@progbits
	.p2align	6, 0x0
	.amdhsa_kernel _ZN7rocprim17ROCPRIM_400000_NS6detail17trampoline_kernelINS0_14default_configENS1_25partition_config_selectorILNS1_17partition_subalgoE8EsNS0_10empty_typeEbEEZZNS1_14partition_implILS5_8ELb0ES3_jN6thrust23THRUST_200600_302600_NS6detail15normal_iteratorINSA_10device_ptrIsEEEEPS6_PKS6_NS0_5tupleIJSF_S6_EEENSJ_IJSG_SG_EEENS0_18inequality_wrapperI22is_equal_div_10_uniqueIsEEEPmJS6_EEE10hipError_tPvRmT3_T4_T5_T6_T7_T9_mT8_P12ihipStream_tbDpT10_ENKUlT_T0_E_clISt17integral_constantIbLb0EES19_IbLb1EEEEDaS15_S16_EUlS15_E_NS1_11comp_targetILNS1_3genE9ELNS1_11target_archE1100ELNS1_3gpuE3ELNS1_3repE0EEENS1_30default_config_static_selectorELNS0_4arch9wavefront6targetE1EEEvT1_
		.amdhsa_group_segment_fixed_size 0
		.amdhsa_private_segment_fixed_size 0
		.amdhsa_kernarg_size 128
		.amdhsa_user_sgpr_count 6
		.amdhsa_user_sgpr_private_segment_buffer 1
		.amdhsa_user_sgpr_dispatch_ptr 0
		.amdhsa_user_sgpr_queue_ptr 0
		.amdhsa_user_sgpr_kernarg_segment_ptr 1
		.amdhsa_user_sgpr_dispatch_id 0
		.amdhsa_user_sgpr_flat_scratch_init 0
		.amdhsa_user_sgpr_private_segment_size 0
		.amdhsa_uses_dynamic_stack 0
		.amdhsa_system_sgpr_private_segment_wavefront_offset 0
		.amdhsa_system_sgpr_workgroup_id_x 1
		.amdhsa_system_sgpr_workgroup_id_y 0
		.amdhsa_system_sgpr_workgroup_id_z 0
		.amdhsa_system_sgpr_workgroup_info 0
		.amdhsa_system_vgpr_workitem_id 0
		.amdhsa_next_free_vgpr 1
		.amdhsa_next_free_sgpr 0
		.amdhsa_reserve_vcc 0
		.amdhsa_reserve_flat_scratch 0
		.amdhsa_float_round_mode_32 0
		.amdhsa_float_round_mode_16_64 0
		.amdhsa_float_denorm_mode_32 3
		.amdhsa_float_denorm_mode_16_64 3
		.amdhsa_dx10_clamp 1
		.amdhsa_ieee_mode 1
		.amdhsa_fp16_overflow 0
		.amdhsa_exception_fp_ieee_invalid_op 0
		.amdhsa_exception_fp_denorm_src 0
		.amdhsa_exception_fp_ieee_div_zero 0
		.amdhsa_exception_fp_ieee_overflow 0
		.amdhsa_exception_fp_ieee_underflow 0
		.amdhsa_exception_fp_ieee_inexact 0
		.amdhsa_exception_int_div_zero 0
	.end_amdhsa_kernel
	.section	.text._ZN7rocprim17ROCPRIM_400000_NS6detail17trampoline_kernelINS0_14default_configENS1_25partition_config_selectorILNS1_17partition_subalgoE8EsNS0_10empty_typeEbEEZZNS1_14partition_implILS5_8ELb0ES3_jN6thrust23THRUST_200600_302600_NS6detail15normal_iteratorINSA_10device_ptrIsEEEEPS6_PKS6_NS0_5tupleIJSF_S6_EEENSJ_IJSG_SG_EEENS0_18inequality_wrapperI22is_equal_div_10_uniqueIsEEEPmJS6_EEE10hipError_tPvRmT3_T4_T5_T6_T7_T9_mT8_P12ihipStream_tbDpT10_ENKUlT_T0_E_clISt17integral_constantIbLb0EES19_IbLb1EEEEDaS15_S16_EUlS15_E_NS1_11comp_targetILNS1_3genE9ELNS1_11target_archE1100ELNS1_3gpuE3ELNS1_3repE0EEENS1_30default_config_static_selectorELNS0_4arch9wavefront6targetE1EEEvT1_,"axG",@progbits,_ZN7rocprim17ROCPRIM_400000_NS6detail17trampoline_kernelINS0_14default_configENS1_25partition_config_selectorILNS1_17partition_subalgoE8EsNS0_10empty_typeEbEEZZNS1_14partition_implILS5_8ELb0ES3_jN6thrust23THRUST_200600_302600_NS6detail15normal_iteratorINSA_10device_ptrIsEEEEPS6_PKS6_NS0_5tupleIJSF_S6_EEENSJ_IJSG_SG_EEENS0_18inequality_wrapperI22is_equal_div_10_uniqueIsEEEPmJS6_EEE10hipError_tPvRmT3_T4_T5_T6_T7_T9_mT8_P12ihipStream_tbDpT10_ENKUlT_T0_E_clISt17integral_constantIbLb0EES19_IbLb1EEEEDaS15_S16_EUlS15_E_NS1_11comp_targetILNS1_3genE9ELNS1_11target_archE1100ELNS1_3gpuE3ELNS1_3repE0EEENS1_30default_config_static_selectorELNS0_4arch9wavefront6targetE1EEEvT1_,comdat
.Lfunc_end531:
	.size	_ZN7rocprim17ROCPRIM_400000_NS6detail17trampoline_kernelINS0_14default_configENS1_25partition_config_selectorILNS1_17partition_subalgoE8EsNS0_10empty_typeEbEEZZNS1_14partition_implILS5_8ELb0ES3_jN6thrust23THRUST_200600_302600_NS6detail15normal_iteratorINSA_10device_ptrIsEEEEPS6_PKS6_NS0_5tupleIJSF_S6_EEENSJ_IJSG_SG_EEENS0_18inequality_wrapperI22is_equal_div_10_uniqueIsEEEPmJS6_EEE10hipError_tPvRmT3_T4_T5_T6_T7_T9_mT8_P12ihipStream_tbDpT10_ENKUlT_T0_E_clISt17integral_constantIbLb0EES19_IbLb1EEEEDaS15_S16_EUlS15_E_NS1_11comp_targetILNS1_3genE9ELNS1_11target_archE1100ELNS1_3gpuE3ELNS1_3repE0EEENS1_30default_config_static_selectorELNS0_4arch9wavefront6targetE1EEEvT1_, .Lfunc_end531-_ZN7rocprim17ROCPRIM_400000_NS6detail17trampoline_kernelINS0_14default_configENS1_25partition_config_selectorILNS1_17partition_subalgoE8EsNS0_10empty_typeEbEEZZNS1_14partition_implILS5_8ELb0ES3_jN6thrust23THRUST_200600_302600_NS6detail15normal_iteratorINSA_10device_ptrIsEEEEPS6_PKS6_NS0_5tupleIJSF_S6_EEENSJ_IJSG_SG_EEENS0_18inequality_wrapperI22is_equal_div_10_uniqueIsEEEPmJS6_EEE10hipError_tPvRmT3_T4_T5_T6_T7_T9_mT8_P12ihipStream_tbDpT10_ENKUlT_T0_E_clISt17integral_constantIbLb0EES19_IbLb1EEEEDaS15_S16_EUlS15_E_NS1_11comp_targetILNS1_3genE9ELNS1_11target_archE1100ELNS1_3gpuE3ELNS1_3repE0EEENS1_30default_config_static_selectorELNS0_4arch9wavefront6targetE1EEEvT1_
                                        ; -- End function
	.set _ZN7rocprim17ROCPRIM_400000_NS6detail17trampoline_kernelINS0_14default_configENS1_25partition_config_selectorILNS1_17partition_subalgoE8EsNS0_10empty_typeEbEEZZNS1_14partition_implILS5_8ELb0ES3_jN6thrust23THRUST_200600_302600_NS6detail15normal_iteratorINSA_10device_ptrIsEEEEPS6_PKS6_NS0_5tupleIJSF_S6_EEENSJ_IJSG_SG_EEENS0_18inequality_wrapperI22is_equal_div_10_uniqueIsEEEPmJS6_EEE10hipError_tPvRmT3_T4_T5_T6_T7_T9_mT8_P12ihipStream_tbDpT10_ENKUlT_T0_E_clISt17integral_constantIbLb0EES19_IbLb1EEEEDaS15_S16_EUlS15_E_NS1_11comp_targetILNS1_3genE9ELNS1_11target_archE1100ELNS1_3gpuE3ELNS1_3repE0EEENS1_30default_config_static_selectorELNS0_4arch9wavefront6targetE1EEEvT1_.num_vgpr, 0
	.set _ZN7rocprim17ROCPRIM_400000_NS6detail17trampoline_kernelINS0_14default_configENS1_25partition_config_selectorILNS1_17partition_subalgoE8EsNS0_10empty_typeEbEEZZNS1_14partition_implILS5_8ELb0ES3_jN6thrust23THRUST_200600_302600_NS6detail15normal_iteratorINSA_10device_ptrIsEEEEPS6_PKS6_NS0_5tupleIJSF_S6_EEENSJ_IJSG_SG_EEENS0_18inequality_wrapperI22is_equal_div_10_uniqueIsEEEPmJS6_EEE10hipError_tPvRmT3_T4_T5_T6_T7_T9_mT8_P12ihipStream_tbDpT10_ENKUlT_T0_E_clISt17integral_constantIbLb0EES19_IbLb1EEEEDaS15_S16_EUlS15_E_NS1_11comp_targetILNS1_3genE9ELNS1_11target_archE1100ELNS1_3gpuE3ELNS1_3repE0EEENS1_30default_config_static_selectorELNS0_4arch9wavefront6targetE1EEEvT1_.num_agpr, 0
	.set _ZN7rocprim17ROCPRIM_400000_NS6detail17trampoline_kernelINS0_14default_configENS1_25partition_config_selectorILNS1_17partition_subalgoE8EsNS0_10empty_typeEbEEZZNS1_14partition_implILS5_8ELb0ES3_jN6thrust23THRUST_200600_302600_NS6detail15normal_iteratorINSA_10device_ptrIsEEEEPS6_PKS6_NS0_5tupleIJSF_S6_EEENSJ_IJSG_SG_EEENS0_18inequality_wrapperI22is_equal_div_10_uniqueIsEEEPmJS6_EEE10hipError_tPvRmT3_T4_T5_T6_T7_T9_mT8_P12ihipStream_tbDpT10_ENKUlT_T0_E_clISt17integral_constantIbLb0EES19_IbLb1EEEEDaS15_S16_EUlS15_E_NS1_11comp_targetILNS1_3genE9ELNS1_11target_archE1100ELNS1_3gpuE3ELNS1_3repE0EEENS1_30default_config_static_selectorELNS0_4arch9wavefront6targetE1EEEvT1_.numbered_sgpr, 0
	.set _ZN7rocprim17ROCPRIM_400000_NS6detail17trampoline_kernelINS0_14default_configENS1_25partition_config_selectorILNS1_17partition_subalgoE8EsNS0_10empty_typeEbEEZZNS1_14partition_implILS5_8ELb0ES3_jN6thrust23THRUST_200600_302600_NS6detail15normal_iteratorINSA_10device_ptrIsEEEEPS6_PKS6_NS0_5tupleIJSF_S6_EEENSJ_IJSG_SG_EEENS0_18inequality_wrapperI22is_equal_div_10_uniqueIsEEEPmJS6_EEE10hipError_tPvRmT3_T4_T5_T6_T7_T9_mT8_P12ihipStream_tbDpT10_ENKUlT_T0_E_clISt17integral_constantIbLb0EES19_IbLb1EEEEDaS15_S16_EUlS15_E_NS1_11comp_targetILNS1_3genE9ELNS1_11target_archE1100ELNS1_3gpuE3ELNS1_3repE0EEENS1_30default_config_static_selectorELNS0_4arch9wavefront6targetE1EEEvT1_.num_named_barrier, 0
	.set _ZN7rocprim17ROCPRIM_400000_NS6detail17trampoline_kernelINS0_14default_configENS1_25partition_config_selectorILNS1_17partition_subalgoE8EsNS0_10empty_typeEbEEZZNS1_14partition_implILS5_8ELb0ES3_jN6thrust23THRUST_200600_302600_NS6detail15normal_iteratorINSA_10device_ptrIsEEEEPS6_PKS6_NS0_5tupleIJSF_S6_EEENSJ_IJSG_SG_EEENS0_18inequality_wrapperI22is_equal_div_10_uniqueIsEEEPmJS6_EEE10hipError_tPvRmT3_T4_T5_T6_T7_T9_mT8_P12ihipStream_tbDpT10_ENKUlT_T0_E_clISt17integral_constantIbLb0EES19_IbLb1EEEEDaS15_S16_EUlS15_E_NS1_11comp_targetILNS1_3genE9ELNS1_11target_archE1100ELNS1_3gpuE3ELNS1_3repE0EEENS1_30default_config_static_selectorELNS0_4arch9wavefront6targetE1EEEvT1_.private_seg_size, 0
	.set _ZN7rocprim17ROCPRIM_400000_NS6detail17trampoline_kernelINS0_14default_configENS1_25partition_config_selectorILNS1_17partition_subalgoE8EsNS0_10empty_typeEbEEZZNS1_14partition_implILS5_8ELb0ES3_jN6thrust23THRUST_200600_302600_NS6detail15normal_iteratorINSA_10device_ptrIsEEEEPS6_PKS6_NS0_5tupleIJSF_S6_EEENSJ_IJSG_SG_EEENS0_18inequality_wrapperI22is_equal_div_10_uniqueIsEEEPmJS6_EEE10hipError_tPvRmT3_T4_T5_T6_T7_T9_mT8_P12ihipStream_tbDpT10_ENKUlT_T0_E_clISt17integral_constantIbLb0EES19_IbLb1EEEEDaS15_S16_EUlS15_E_NS1_11comp_targetILNS1_3genE9ELNS1_11target_archE1100ELNS1_3gpuE3ELNS1_3repE0EEENS1_30default_config_static_selectorELNS0_4arch9wavefront6targetE1EEEvT1_.uses_vcc, 0
	.set _ZN7rocprim17ROCPRIM_400000_NS6detail17trampoline_kernelINS0_14default_configENS1_25partition_config_selectorILNS1_17partition_subalgoE8EsNS0_10empty_typeEbEEZZNS1_14partition_implILS5_8ELb0ES3_jN6thrust23THRUST_200600_302600_NS6detail15normal_iteratorINSA_10device_ptrIsEEEEPS6_PKS6_NS0_5tupleIJSF_S6_EEENSJ_IJSG_SG_EEENS0_18inequality_wrapperI22is_equal_div_10_uniqueIsEEEPmJS6_EEE10hipError_tPvRmT3_T4_T5_T6_T7_T9_mT8_P12ihipStream_tbDpT10_ENKUlT_T0_E_clISt17integral_constantIbLb0EES19_IbLb1EEEEDaS15_S16_EUlS15_E_NS1_11comp_targetILNS1_3genE9ELNS1_11target_archE1100ELNS1_3gpuE3ELNS1_3repE0EEENS1_30default_config_static_selectorELNS0_4arch9wavefront6targetE1EEEvT1_.uses_flat_scratch, 0
	.set _ZN7rocprim17ROCPRIM_400000_NS6detail17trampoline_kernelINS0_14default_configENS1_25partition_config_selectorILNS1_17partition_subalgoE8EsNS0_10empty_typeEbEEZZNS1_14partition_implILS5_8ELb0ES3_jN6thrust23THRUST_200600_302600_NS6detail15normal_iteratorINSA_10device_ptrIsEEEEPS6_PKS6_NS0_5tupleIJSF_S6_EEENSJ_IJSG_SG_EEENS0_18inequality_wrapperI22is_equal_div_10_uniqueIsEEEPmJS6_EEE10hipError_tPvRmT3_T4_T5_T6_T7_T9_mT8_P12ihipStream_tbDpT10_ENKUlT_T0_E_clISt17integral_constantIbLb0EES19_IbLb1EEEEDaS15_S16_EUlS15_E_NS1_11comp_targetILNS1_3genE9ELNS1_11target_archE1100ELNS1_3gpuE3ELNS1_3repE0EEENS1_30default_config_static_selectorELNS0_4arch9wavefront6targetE1EEEvT1_.has_dyn_sized_stack, 0
	.set _ZN7rocprim17ROCPRIM_400000_NS6detail17trampoline_kernelINS0_14default_configENS1_25partition_config_selectorILNS1_17partition_subalgoE8EsNS0_10empty_typeEbEEZZNS1_14partition_implILS5_8ELb0ES3_jN6thrust23THRUST_200600_302600_NS6detail15normal_iteratorINSA_10device_ptrIsEEEEPS6_PKS6_NS0_5tupleIJSF_S6_EEENSJ_IJSG_SG_EEENS0_18inequality_wrapperI22is_equal_div_10_uniqueIsEEEPmJS6_EEE10hipError_tPvRmT3_T4_T5_T6_T7_T9_mT8_P12ihipStream_tbDpT10_ENKUlT_T0_E_clISt17integral_constantIbLb0EES19_IbLb1EEEEDaS15_S16_EUlS15_E_NS1_11comp_targetILNS1_3genE9ELNS1_11target_archE1100ELNS1_3gpuE3ELNS1_3repE0EEENS1_30default_config_static_selectorELNS0_4arch9wavefront6targetE1EEEvT1_.has_recursion, 0
	.set _ZN7rocprim17ROCPRIM_400000_NS6detail17trampoline_kernelINS0_14default_configENS1_25partition_config_selectorILNS1_17partition_subalgoE8EsNS0_10empty_typeEbEEZZNS1_14partition_implILS5_8ELb0ES3_jN6thrust23THRUST_200600_302600_NS6detail15normal_iteratorINSA_10device_ptrIsEEEEPS6_PKS6_NS0_5tupleIJSF_S6_EEENSJ_IJSG_SG_EEENS0_18inequality_wrapperI22is_equal_div_10_uniqueIsEEEPmJS6_EEE10hipError_tPvRmT3_T4_T5_T6_T7_T9_mT8_P12ihipStream_tbDpT10_ENKUlT_T0_E_clISt17integral_constantIbLb0EES19_IbLb1EEEEDaS15_S16_EUlS15_E_NS1_11comp_targetILNS1_3genE9ELNS1_11target_archE1100ELNS1_3gpuE3ELNS1_3repE0EEENS1_30default_config_static_selectorELNS0_4arch9wavefront6targetE1EEEvT1_.has_indirect_call, 0
	.section	.AMDGPU.csdata,"",@progbits
; Kernel info:
; codeLenInByte = 0
; TotalNumSgprs: 4
; NumVgprs: 0
; ScratchSize: 0
; MemoryBound: 0
; FloatMode: 240
; IeeeMode: 1
; LDSByteSize: 0 bytes/workgroup (compile time only)
; SGPRBlocks: 0
; VGPRBlocks: 0
; NumSGPRsForWavesPerEU: 4
; NumVGPRsForWavesPerEU: 1
; Occupancy: 10
; WaveLimiterHint : 0
; COMPUTE_PGM_RSRC2:SCRATCH_EN: 0
; COMPUTE_PGM_RSRC2:USER_SGPR: 6
; COMPUTE_PGM_RSRC2:TRAP_HANDLER: 0
; COMPUTE_PGM_RSRC2:TGID_X_EN: 1
; COMPUTE_PGM_RSRC2:TGID_Y_EN: 0
; COMPUTE_PGM_RSRC2:TGID_Z_EN: 0
; COMPUTE_PGM_RSRC2:TIDIG_COMP_CNT: 0
	.section	.text._ZN7rocprim17ROCPRIM_400000_NS6detail17trampoline_kernelINS0_14default_configENS1_25partition_config_selectorILNS1_17partition_subalgoE8EsNS0_10empty_typeEbEEZZNS1_14partition_implILS5_8ELb0ES3_jN6thrust23THRUST_200600_302600_NS6detail15normal_iteratorINSA_10device_ptrIsEEEEPS6_PKS6_NS0_5tupleIJSF_S6_EEENSJ_IJSG_SG_EEENS0_18inequality_wrapperI22is_equal_div_10_uniqueIsEEEPmJS6_EEE10hipError_tPvRmT3_T4_T5_T6_T7_T9_mT8_P12ihipStream_tbDpT10_ENKUlT_T0_E_clISt17integral_constantIbLb0EES19_IbLb1EEEEDaS15_S16_EUlS15_E_NS1_11comp_targetILNS1_3genE8ELNS1_11target_archE1030ELNS1_3gpuE2ELNS1_3repE0EEENS1_30default_config_static_selectorELNS0_4arch9wavefront6targetE1EEEvT1_,"axG",@progbits,_ZN7rocprim17ROCPRIM_400000_NS6detail17trampoline_kernelINS0_14default_configENS1_25partition_config_selectorILNS1_17partition_subalgoE8EsNS0_10empty_typeEbEEZZNS1_14partition_implILS5_8ELb0ES3_jN6thrust23THRUST_200600_302600_NS6detail15normal_iteratorINSA_10device_ptrIsEEEEPS6_PKS6_NS0_5tupleIJSF_S6_EEENSJ_IJSG_SG_EEENS0_18inequality_wrapperI22is_equal_div_10_uniqueIsEEEPmJS6_EEE10hipError_tPvRmT3_T4_T5_T6_T7_T9_mT8_P12ihipStream_tbDpT10_ENKUlT_T0_E_clISt17integral_constantIbLb0EES19_IbLb1EEEEDaS15_S16_EUlS15_E_NS1_11comp_targetILNS1_3genE8ELNS1_11target_archE1030ELNS1_3gpuE2ELNS1_3repE0EEENS1_30default_config_static_selectorELNS0_4arch9wavefront6targetE1EEEvT1_,comdat
	.protected	_ZN7rocprim17ROCPRIM_400000_NS6detail17trampoline_kernelINS0_14default_configENS1_25partition_config_selectorILNS1_17partition_subalgoE8EsNS0_10empty_typeEbEEZZNS1_14partition_implILS5_8ELb0ES3_jN6thrust23THRUST_200600_302600_NS6detail15normal_iteratorINSA_10device_ptrIsEEEEPS6_PKS6_NS0_5tupleIJSF_S6_EEENSJ_IJSG_SG_EEENS0_18inequality_wrapperI22is_equal_div_10_uniqueIsEEEPmJS6_EEE10hipError_tPvRmT3_T4_T5_T6_T7_T9_mT8_P12ihipStream_tbDpT10_ENKUlT_T0_E_clISt17integral_constantIbLb0EES19_IbLb1EEEEDaS15_S16_EUlS15_E_NS1_11comp_targetILNS1_3genE8ELNS1_11target_archE1030ELNS1_3gpuE2ELNS1_3repE0EEENS1_30default_config_static_selectorELNS0_4arch9wavefront6targetE1EEEvT1_ ; -- Begin function _ZN7rocprim17ROCPRIM_400000_NS6detail17trampoline_kernelINS0_14default_configENS1_25partition_config_selectorILNS1_17partition_subalgoE8EsNS0_10empty_typeEbEEZZNS1_14partition_implILS5_8ELb0ES3_jN6thrust23THRUST_200600_302600_NS6detail15normal_iteratorINSA_10device_ptrIsEEEEPS6_PKS6_NS0_5tupleIJSF_S6_EEENSJ_IJSG_SG_EEENS0_18inequality_wrapperI22is_equal_div_10_uniqueIsEEEPmJS6_EEE10hipError_tPvRmT3_T4_T5_T6_T7_T9_mT8_P12ihipStream_tbDpT10_ENKUlT_T0_E_clISt17integral_constantIbLb0EES19_IbLb1EEEEDaS15_S16_EUlS15_E_NS1_11comp_targetILNS1_3genE8ELNS1_11target_archE1030ELNS1_3gpuE2ELNS1_3repE0EEENS1_30default_config_static_selectorELNS0_4arch9wavefront6targetE1EEEvT1_
	.globl	_ZN7rocprim17ROCPRIM_400000_NS6detail17trampoline_kernelINS0_14default_configENS1_25partition_config_selectorILNS1_17partition_subalgoE8EsNS0_10empty_typeEbEEZZNS1_14partition_implILS5_8ELb0ES3_jN6thrust23THRUST_200600_302600_NS6detail15normal_iteratorINSA_10device_ptrIsEEEEPS6_PKS6_NS0_5tupleIJSF_S6_EEENSJ_IJSG_SG_EEENS0_18inequality_wrapperI22is_equal_div_10_uniqueIsEEEPmJS6_EEE10hipError_tPvRmT3_T4_T5_T6_T7_T9_mT8_P12ihipStream_tbDpT10_ENKUlT_T0_E_clISt17integral_constantIbLb0EES19_IbLb1EEEEDaS15_S16_EUlS15_E_NS1_11comp_targetILNS1_3genE8ELNS1_11target_archE1030ELNS1_3gpuE2ELNS1_3repE0EEENS1_30default_config_static_selectorELNS0_4arch9wavefront6targetE1EEEvT1_
	.p2align	8
	.type	_ZN7rocprim17ROCPRIM_400000_NS6detail17trampoline_kernelINS0_14default_configENS1_25partition_config_selectorILNS1_17partition_subalgoE8EsNS0_10empty_typeEbEEZZNS1_14partition_implILS5_8ELb0ES3_jN6thrust23THRUST_200600_302600_NS6detail15normal_iteratorINSA_10device_ptrIsEEEEPS6_PKS6_NS0_5tupleIJSF_S6_EEENSJ_IJSG_SG_EEENS0_18inequality_wrapperI22is_equal_div_10_uniqueIsEEEPmJS6_EEE10hipError_tPvRmT3_T4_T5_T6_T7_T9_mT8_P12ihipStream_tbDpT10_ENKUlT_T0_E_clISt17integral_constantIbLb0EES19_IbLb1EEEEDaS15_S16_EUlS15_E_NS1_11comp_targetILNS1_3genE8ELNS1_11target_archE1030ELNS1_3gpuE2ELNS1_3repE0EEENS1_30default_config_static_selectorELNS0_4arch9wavefront6targetE1EEEvT1_,@function
_ZN7rocprim17ROCPRIM_400000_NS6detail17trampoline_kernelINS0_14default_configENS1_25partition_config_selectorILNS1_17partition_subalgoE8EsNS0_10empty_typeEbEEZZNS1_14partition_implILS5_8ELb0ES3_jN6thrust23THRUST_200600_302600_NS6detail15normal_iteratorINSA_10device_ptrIsEEEEPS6_PKS6_NS0_5tupleIJSF_S6_EEENSJ_IJSG_SG_EEENS0_18inequality_wrapperI22is_equal_div_10_uniqueIsEEEPmJS6_EEE10hipError_tPvRmT3_T4_T5_T6_T7_T9_mT8_P12ihipStream_tbDpT10_ENKUlT_T0_E_clISt17integral_constantIbLb0EES19_IbLb1EEEEDaS15_S16_EUlS15_E_NS1_11comp_targetILNS1_3genE8ELNS1_11target_archE1030ELNS1_3gpuE2ELNS1_3repE0EEENS1_30default_config_static_selectorELNS0_4arch9wavefront6targetE1EEEvT1_: ; @_ZN7rocprim17ROCPRIM_400000_NS6detail17trampoline_kernelINS0_14default_configENS1_25partition_config_selectorILNS1_17partition_subalgoE8EsNS0_10empty_typeEbEEZZNS1_14partition_implILS5_8ELb0ES3_jN6thrust23THRUST_200600_302600_NS6detail15normal_iteratorINSA_10device_ptrIsEEEEPS6_PKS6_NS0_5tupleIJSF_S6_EEENSJ_IJSG_SG_EEENS0_18inequality_wrapperI22is_equal_div_10_uniqueIsEEEPmJS6_EEE10hipError_tPvRmT3_T4_T5_T6_T7_T9_mT8_P12ihipStream_tbDpT10_ENKUlT_T0_E_clISt17integral_constantIbLb0EES19_IbLb1EEEEDaS15_S16_EUlS15_E_NS1_11comp_targetILNS1_3genE8ELNS1_11target_archE1030ELNS1_3gpuE2ELNS1_3repE0EEENS1_30default_config_static_selectorELNS0_4arch9wavefront6targetE1EEEvT1_
; %bb.0:
	.section	.rodata,"a",@progbits
	.p2align	6, 0x0
	.amdhsa_kernel _ZN7rocprim17ROCPRIM_400000_NS6detail17trampoline_kernelINS0_14default_configENS1_25partition_config_selectorILNS1_17partition_subalgoE8EsNS0_10empty_typeEbEEZZNS1_14partition_implILS5_8ELb0ES3_jN6thrust23THRUST_200600_302600_NS6detail15normal_iteratorINSA_10device_ptrIsEEEEPS6_PKS6_NS0_5tupleIJSF_S6_EEENSJ_IJSG_SG_EEENS0_18inequality_wrapperI22is_equal_div_10_uniqueIsEEEPmJS6_EEE10hipError_tPvRmT3_T4_T5_T6_T7_T9_mT8_P12ihipStream_tbDpT10_ENKUlT_T0_E_clISt17integral_constantIbLb0EES19_IbLb1EEEEDaS15_S16_EUlS15_E_NS1_11comp_targetILNS1_3genE8ELNS1_11target_archE1030ELNS1_3gpuE2ELNS1_3repE0EEENS1_30default_config_static_selectorELNS0_4arch9wavefront6targetE1EEEvT1_
		.amdhsa_group_segment_fixed_size 0
		.amdhsa_private_segment_fixed_size 0
		.amdhsa_kernarg_size 128
		.amdhsa_user_sgpr_count 6
		.amdhsa_user_sgpr_private_segment_buffer 1
		.amdhsa_user_sgpr_dispatch_ptr 0
		.amdhsa_user_sgpr_queue_ptr 0
		.amdhsa_user_sgpr_kernarg_segment_ptr 1
		.amdhsa_user_sgpr_dispatch_id 0
		.amdhsa_user_sgpr_flat_scratch_init 0
		.amdhsa_user_sgpr_private_segment_size 0
		.amdhsa_uses_dynamic_stack 0
		.amdhsa_system_sgpr_private_segment_wavefront_offset 0
		.amdhsa_system_sgpr_workgroup_id_x 1
		.amdhsa_system_sgpr_workgroup_id_y 0
		.amdhsa_system_sgpr_workgroup_id_z 0
		.amdhsa_system_sgpr_workgroup_info 0
		.amdhsa_system_vgpr_workitem_id 0
		.amdhsa_next_free_vgpr 1
		.amdhsa_next_free_sgpr 0
		.amdhsa_reserve_vcc 0
		.amdhsa_reserve_flat_scratch 0
		.amdhsa_float_round_mode_32 0
		.amdhsa_float_round_mode_16_64 0
		.amdhsa_float_denorm_mode_32 3
		.amdhsa_float_denorm_mode_16_64 3
		.amdhsa_dx10_clamp 1
		.amdhsa_ieee_mode 1
		.amdhsa_fp16_overflow 0
		.amdhsa_exception_fp_ieee_invalid_op 0
		.amdhsa_exception_fp_denorm_src 0
		.amdhsa_exception_fp_ieee_div_zero 0
		.amdhsa_exception_fp_ieee_overflow 0
		.amdhsa_exception_fp_ieee_underflow 0
		.amdhsa_exception_fp_ieee_inexact 0
		.amdhsa_exception_int_div_zero 0
	.end_amdhsa_kernel
	.section	.text._ZN7rocprim17ROCPRIM_400000_NS6detail17trampoline_kernelINS0_14default_configENS1_25partition_config_selectorILNS1_17partition_subalgoE8EsNS0_10empty_typeEbEEZZNS1_14partition_implILS5_8ELb0ES3_jN6thrust23THRUST_200600_302600_NS6detail15normal_iteratorINSA_10device_ptrIsEEEEPS6_PKS6_NS0_5tupleIJSF_S6_EEENSJ_IJSG_SG_EEENS0_18inequality_wrapperI22is_equal_div_10_uniqueIsEEEPmJS6_EEE10hipError_tPvRmT3_T4_T5_T6_T7_T9_mT8_P12ihipStream_tbDpT10_ENKUlT_T0_E_clISt17integral_constantIbLb0EES19_IbLb1EEEEDaS15_S16_EUlS15_E_NS1_11comp_targetILNS1_3genE8ELNS1_11target_archE1030ELNS1_3gpuE2ELNS1_3repE0EEENS1_30default_config_static_selectorELNS0_4arch9wavefront6targetE1EEEvT1_,"axG",@progbits,_ZN7rocprim17ROCPRIM_400000_NS6detail17trampoline_kernelINS0_14default_configENS1_25partition_config_selectorILNS1_17partition_subalgoE8EsNS0_10empty_typeEbEEZZNS1_14partition_implILS5_8ELb0ES3_jN6thrust23THRUST_200600_302600_NS6detail15normal_iteratorINSA_10device_ptrIsEEEEPS6_PKS6_NS0_5tupleIJSF_S6_EEENSJ_IJSG_SG_EEENS0_18inequality_wrapperI22is_equal_div_10_uniqueIsEEEPmJS6_EEE10hipError_tPvRmT3_T4_T5_T6_T7_T9_mT8_P12ihipStream_tbDpT10_ENKUlT_T0_E_clISt17integral_constantIbLb0EES19_IbLb1EEEEDaS15_S16_EUlS15_E_NS1_11comp_targetILNS1_3genE8ELNS1_11target_archE1030ELNS1_3gpuE2ELNS1_3repE0EEENS1_30default_config_static_selectorELNS0_4arch9wavefront6targetE1EEEvT1_,comdat
.Lfunc_end532:
	.size	_ZN7rocprim17ROCPRIM_400000_NS6detail17trampoline_kernelINS0_14default_configENS1_25partition_config_selectorILNS1_17partition_subalgoE8EsNS0_10empty_typeEbEEZZNS1_14partition_implILS5_8ELb0ES3_jN6thrust23THRUST_200600_302600_NS6detail15normal_iteratorINSA_10device_ptrIsEEEEPS6_PKS6_NS0_5tupleIJSF_S6_EEENSJ_IJSG_SG_EEENS0_18inequality_wrapperI22is_equal_div_10_uniqueIsEEEPmJS6_EEE10hipError_tPvRmT3_T4_T5_T6_T7_T9_mT8_P12ihipStream_tbDpT10_ENKUlT_T0_E_clISt17integral_constantIbLb0EES19_IbLb1EEEEDaS15_S16_EUlS15_E_NS1_11comp_targetILNS1_3genE8ELNS1_11target_archE1030ELNS1_3gpuE2ELNS1_3repE0EEENS1_30default_config_static_selectorELNS0_4arch9wavefront6targetE1EEEvT1_, .Lfunc_end532-_ZN7rocprim17ROCPRIM_400000_NS6detail17trampoline_kernelINS0_14default_configENS1_25partition_config_selectorILNS1_17partition_subalgoE8EsNS0_10empty_typeEbEEZZNS1_14partition_implILS5_8ELb0ES3_jN6thrust23THRUST_200600_302600_NS6detail15normal_iteratorINSA_10device_ptrIsEEEEPS6_PKS6_NS0_5tupleIJSF_S6_EEENSJ_IJSG_SG_EEENS0_18inequality_wrapperI22is_equal_div_10_uniqueIsEEEPmJS6_EEE10hipError_tPvRmT3_T4_T5_T6_T7_T9_mT8_P12ihipStream_tbDpT10_ENKUlT_T0_E_clISt17integral_constantIbLb0EES19_IbLb1EEEEDaS15_S16_EUlS15_E_NS1_11comp_targetILNS1_3genE8ELNS1_11target_archE1030ELNS1_3gpuE2ELNS1_3repE0EEENS1_30default_config_static_selectorELNS0_4arch9wavefront6targetE1EEEvT1_
                                        ; -- End function
	.set _ZN7rocprim17ROCPRIM_400000_NS6detail17trampoline_kernelINS0_14default_configENS1_25partition_config_selectorILNS1_17partition_subalgoE8EsNS0_10empty_typeEbEEZZNS1_14partition_implILS5_8ELb0ES3_jN6thrust23THRUST_200600_302600_NS6detail15normal_iteratorINSA_10device_ptrIsEEEEPS6_PKS6_NS0_5tupleIJSF_S6_EEENSJ_IJSG_SG_EEENS0_18inequality_wrapperI22is_equal_div_10_uniqueIsEEEPmJS6_EEE10hipError_tPvRmT3_T4_T5_T6_T7_T9_mT8_P12ihipStream_tbDpT10_ENKUlT_T0_E_clISt17integral_constantIbLb0EES19_IbLb1EEEEDaS15_S16_EUlS15_E_NS1_11comp_targetILNS1_3genE8ELNS1_11target_archE1030ELNS1_3gpuE2ELNS1_3repE0EEENS1_30default_config_static_selectorELNS0_4arch9wavefront6targetE1EEEvT1_.num_vgpr, 0
	.set _ZN7rocprim17ROCPRIM_400000_NS6detail17trampoline_kernelINS0_14default_configENS1_25partition_config_selectorILNS1_17partition_subalgoE8EsNS0_10empty_typeEbEEZZNS1_14partition_implILS5_8ELb0ES3_jN6thrust23THRUST_200600_302600_NS6detail15normal_iteratorINSA_10device_ptrIsEEEEPS6_PKS6_NS0_5tupleIJSF_S6_EEENSJ_IJSG_SG_EEENS0_18inequality_wrapperI22is_equal_div_10_uniqueIsEEEPmJS6_EEE10hipError_tPvRmT3_T4_T5_T6_T7_T9_mT8_P12ihipStream_tbDpT10_ENKUlT_T0_E_clISt17integral_constantIbLb0EES19_IbLb1EEEEDaS15_S16_EUlS15_E_NS1_11comp_targetILNS1_3genE8ELNS1_11target_archE1030ELNS1_3gpuE2ELNS1_3repE0EEENS1_30default_config_static_selectorELNS0_4arch9wavefront6targetE1EEEvT1_.num_agpr, 0
	.set _ZN7rocprim17ROCPRIM_400000_NS6detail17trampoline_kernelINS0_14default_configENS1_25partition_config_selectorILNS1_17partition_subalgoE8EsNS0_10empty_typeEbEEZZNS1_14partition_implILS5_8ELb0ES3_jN6thrust23THRUST_200600_302600_NS6detail15normal_iteratorINSA_10device_ptrIsEEEEPS6_PKS6_NS0_5tupleIJSF_S6_EEENSJ_IJSG_SG_EEENS0_18inequality_wrapperI22is_equal_div_10_uniqueIsEEEPmJS6_EEE10hipError_tPvRmT3_T4_T5_T6_T7_T9_mT8_P12ihipStream_tbDpT10_ENKUlT_T0_E_clISt17integral_constantIbLb0EES19_IbLb1EEEEDaS15_S16_EUlS15_E_NS1_11comp_targetILNS1_3genE8ELNS1_11target_archE1030ELNS1_3gpuE2ELNS1_3repE0EEENS1_30default_config_static_selectorELNS0_4arch9wavefront6targetE1EEEvT1_.numbered_sgpr, 0
	.set _ZN7rocprim17ROCPRIM_400000_NS6detail17trampoline_kernelINS0_14default_configENS1_25partition_config_selectorILNS1_17partition_subalgoE8EsNS0_10empty_typeEbEEZZNS1_14partition_implILS5_8ELb0ES3_jN6thrust23THRUST_200600_302600_NS6detail15normal_iteratorINSA_10device_ptrIsEEEEPS6_PKS6_NS0_5tupleIJSF_S6_EEENSJ_IJSG_SG_EEENS0_18inequality_wrapperI22is_equal_div_10_uniqueIsEEEPmJS6_EEE10hipError_tPvRmT3_T4_T5_T6_T7_T9_mT8_P12ihipStream_tbDpT10_ENKUlT_T0_E_clISt17integral_constantIbLb0EES19_IbLb1EEEEDaS15_S16_EUlS15_E_NS1_11comp_targetILNS1_3genE8ELNS1_11target_archE1030ELNS1_3gpuE2ELNS1_3repE0EEENS1_30default_config_static_selectorELNS0_4arch9wavefront6targetE1EEEvT1_.num_named_barrier, 0
	.set _ZN7rocprim17ROCPRIM_400000_NS6detail17trampoline_kernelINS0_14default_configENS1_25partition_config_selectorILNS1_17partition_subalgoE8EsNS0_10empty_typeEbEEZZNS1_14partition_implILS5_8ELb0ES3_jN6thrust23THRUST_200600_302600_NS6detail15normal_iteratorINSA_10device_ptrIsEEEEPS6_PKS6_NS0_5tupleIJSF_S6_EEENSJ_IJSG_SG_EEENS0_18inequality_wrapperI22is_equal_div_10_uniqueIsEEEPmJS6_EEE10hipError_tPvRmT3_T4_T5_T6_T7_T9_mT8_P12ihipStream_tbDpT10_ENKUlT_T0_E_clISt17integral_constantIbLb0EES19_IbLb1EEEEDaS15_S16_EUlS15_E_NS1_11comp_targetILNS1_3genE8ELNS1_11target_archE1030ELNS1_3gpuE2ELNS1_3repE0EEENS1_30default_config_static_selectorELNS0_4arch9wavefront6targetE1EEEvT1_.private_seg_size, 0
	.set _ZN7rocprim17ROCPRIM_400000_NS6detail17trampoline_kernelINS0_14default_configENS1_25partition_config_selectorILNS1_17partition_subalgoE8EsNS0_10empty_typeEbEEZZNS1_14partition_implILS5_8ELb0ES3_jN6thrust23THRUST_200600_302600_NS6detail15normal_iteratorINSA_10device_ptrIsEEEEPS6_PKS6_NS0_5tupleIJSF_S6_EEENSJ_IJSG_SG_EEENS0_18inequality_wrapperI22is_equal_div_10_uniqueIsEEEPmJS6_EEE10hipError_tPvRmT3_T4_T5_T6_T7_T9_mT8_P12ihipStream_tbDpT10_ENKUlT_T0_E_clISt17integral_constantIbLb0EES19_IbLb1EEEEDaS15_S16_EUlS15_E_NS1_11comp_targetILNS1_3genE8ELNS1_11target_archE1030ELNS1_3gpuE2ELNS1_3repE0EEENS1_30default_config_static_selectorELNS0_4arch9wavefront6targetE1EEEvT1_.uses_vcc, 0
	.set _ZN7rocprim17ROCPRIM_400000_NS6detail17trampoline_kernelINS0_14default_configENS1_25partition_config_selectorILNS1_17partition_subalgoE8EsNS0_10empty_typeEbEEZZNS1_14partition_implILS5_8ELb0ES3_jN6thrust23THRUST_200600_302600_NS6detail15normal_iteratorINSA_10device_ptrIsEEEEPS6_PKS6_NS0_5tupleIJSF_S6_EEENSJ_IJSG_SG_EEENS0_18inequality_wrapperI22is_equal_div_10_uniqueIsEEEPmJS6_EEE10hipError_tPvRmT3_T4_T5_T6_T7_T9_mT8_P12ihipStream_tbDpT10_ENKUlT_T0_E_clISt17integral_constantIbLb0EES19_IbLb1EEEEDaS15_S16_EUlS15_E_NS1_11comp_targetILNS1_3genE8ELNS1_11target_archE1030ELNS1_3gpuE2ELNS1_3repE0EEENS1_30default_config_static_selectorELNS0_4arch9wavefront6targetE1EEEvT1_.uses_flat_scratch, 0
	.set _ZN7rocprim17ROCPRIM_400000_NS6detail17trampoline_kernelINS0_14default_configENS1_25partition_config_selectorILNS1_17partition_subalgoE8EsNS0_10empty_typeEbEEZZNS1_14partition_implILS5_8ELb0ES3_jN6thrust23THRUST_200600_302600_NS6detail15normal_iteratorINSA_10device_ptrIsEEEEPS6_PKS6_NS0_5tupleIJSF_S6_EEENSJ_IJSG_SG_EEENS0_18inequality_wrapperI22is_equal_div_10_uniqueIsEEEPmJS6_EEE10hipError_tPvRmT3_T4_T5_T6_T7_T9_mT8_P12ihipStream_tbDpT10_ENKUlT_T0_E_clISt17integral_constantIbLb0EES19_IbLb1EEEEDaS15_S16_EUlS15_E_NS1_11comp_targetILNS1_3genE8ELNS1_11target_archE1030ELNS1_3gpuE2ELNS1_3repE0EEENS1_30default_config_static_selectorELNS0_4arch9wavefront6targetE1EEEvT1_.has_dyn_sized_stack, 0
	.set _ZN7rocprim17ROCPRIM_400000_NS6detail17trampoline_kernelINS0_14default_configENS1_25partition_config_selectorILNS1_17partition_subalgoE8EsNS0_10empty_typeEbEEZZNS1_14partition_implILS5_8ELb0ES3_jN6thrust23THRUST_200600_302600_NS6detail15normal_iteratorINSA_10device_ptrIsEEEEPS6_PKS6_NS0_5tupleIJSF_S6_EEENSJ_IJSG_SG_EEENS0_18inequality_wrapperI22is_equal_div_10_uniqueIsEEEPmJS6_EEE10hipError_tPvRmT3_T4_T5_T6_T7_T9_mT8_P12ihipStream_tbDpT10_ENKUlT_T0_E_clISt17integral_constantIbLb0EES19_IbLb1EEEEDaS15_S16_EUlS15_E_NS1_11comp_targetILNS1_3genE8ELNS1_11target_archE1030ELNS1_3gpuE2ELNS1_3repE0EEENS1_30default_config_static_selectorELNS0_4arch9wavefront6targetE1EEEvT1_.has_recursion, 0
	.set _ZN7rocprim17ROCPRIM_400000_NS6detail17trampoline_kernelINS0_14default_configENS1_25partition_config_selectorILNS1_17partition_subalgoE8EsNS0_10empty_typeEbEEZZNS1_14partition_implILS5_8ELb0ES3_jN6thrust23THRUST_200600_302600_NS6detail15normal_iteratorINSA_10device_ptrIsEEEEPS6_PKS6_NS0_5tupleIJSF_S6_EEENSJ_IJSG_SG_EEENS0_18inequality_wrapperI22is_equal_div_10_uniqueIsEEEPmJS6_EEE10hipError_tPvRmT3_T4_T5_T6_T7_T9_mT8_P12ihipStream_tbDpT10_ENKUlT_T0_E_clISt17integral_constantIbLb0EES19_IbLb1EEEEDaS15_S16_EUlS15_E_NS1_11comp_targetILNS1_3genE8ELNS1_11target_archE1030ELNS1_3gpuE2ELNS1_3repE0EEENS1_30default_config_static_selectorELNS0_4arch9wavefront6targetE1EEEvT1_.has_indirect_call, 0
	.section	.AMDGPU.csdata,"",@progbits
; Kernel info:
; codeLenInByte = 0
; TotalNumSgprs: 4
; NumVgprs: 0
; ScratchSize: 0
; MemoryBound: 0
; FloatMode: 240
; IeeeMode: 1
; LDSByteSize: 0 bytes/workgroup (compile time only)
; SGPRBlocks: 0
; VGPRBlocks: 0
; NumSGPRsForWavesPerEU: 4
; NumVGPRsForWavesPerEU: 1
; Occupancy: 10
; WaveLimiterHint : 0
; COMPUTE_PGM_RSRC2:SCRATCH_EN: 0
; COMPUTE_PGM_RSRC2:USER_SGPR: 6
; COMPUTE_PGM_RSRC2:TRAP_HANDLER: 0
; COMPUTE_PGM_RSRC2:TGID_X_EN: 1
; COMPUTE_PGM_RSRC2:TGID_Y_EN: 0
; COMPUTE_PGM_RSRC2:TGID_Z_EN: 0
; COMPUTE_PGM_RSRC2:TIDIG_COMP_CNT: 0
	.section	.text._ZN7rocprim17ROCPRIM_400000_NS6detail17trampoline_kernelINS0_14default_configENS1_25partition_config_selectorILNS1_17partition_subalgoE8EyNS0_10empty_typeEbEEZZNS1_14partition_implILS5_8ELb0ES3_jN6thrust23THRUST_200600_302600_NS6detail15normal_iteratorINSA_10device_ptrIyEEEEPS6_PKS6_NS0_5tupleIJNSA_16discard_iteratorINSA_11use_defaultEEES6_EEENSJ_IJSG_SG_EEENS0_18inequality_wrapperINSA_8equal_toIyEEEEPmJS6_EEE10hipError_tPvRmT3_T4_T5_T6_T7_T9_mT8_P12ihipStream_tbDpT10_ENKUlT_T0_E_clISt17integral_constantIbLb0EES1D_EEDaS18_S19_EUlS18_E_NS1_11comp_targetILNS1_3genE0ELNS1_11target_archE4294967295ELNS1_3gpuE0ELNS1_3repE0EEENS1_30default_config_static_selectorELNS0_4arch9wavefront6targetE1EEEvT1_,"axG",@progbits,_ZN7rocprim17ROCPRIM_400000_NS6detail17trampoline_kernelINS0_14default_configENS1_25partition_config_selectorILNS1_17partition_subalgoE8EyNS0_10empty_typeEbEEZZNS1_14partition_implILS5_8ELb0ES3_jN6thrust23THRUST_200600_302600_NS6detail15normal_iteratorINSA_10device_ptrIyEEEEPS6_PKS6_NS0_5tupleIJNSA_16discard_iteratorINSA_11use_defaultEEES6_EEENSJ_IJSG_SG_EEENS0_18inequality_wrapperINSA_8equal_toIyEEEEPmJS6_EEE10hipError_tPvRmT3_T4_T5_T6_T7_T9_mT8_P12ihipStream_tbDpT10_ENKUlT_T0_E_clISt17integral_constantIbLb0EES1D_EEDaS18_S19_EUlS18_E_NS1_11comp_targetILNS1_3genE0ELNS1_11target_archE4294967295ELNS1_3gpuE0ELNS1_3repE0EEENS1_30default_config_static_selectorELNS0_4arch9wavefront6targetE1EEEvT1_,comdat
	.protected	_ZN7rocprim17ROCPRIM_400000_NS6detail17trampoline_kernelINS0_14default_configENS1_25partition_config_selectorILNS1_17partition_subalgoE8EyNS0_10empty_typeEbEEZZNS1_14partition_implILS5_8ELb0ES3_jN6thrust23THRUST_200600_302600_NS6detail15normal_iteratorINSA_10device_ptrIyEEEEPS6_PKS6_NS0_5tupleIJNSA_16discard_iteratorINSA_11use_defaultEEES6_EEENSJ_IJSG_SG_EEENS0_18inequality_wrapperINSA_8equal_toIyEEEEPmJS6_EEE10hipError_tPvRmT3_T4_T5_T6_T7_T9_mT8_P12ihipStream_tbDpT10_ENKUlT_T0_E_clISt17integral_constantIbLb0EES1D_EEDaS18_S19_EUlS18_E_NS1_11comp_targetILNS1_3genE0ELNS1_11target_archE4294967295ELNS1_3gpuE0ELNS1_3repE0EEENS1_30default_config_static_selectorELNS0_4arch9wavefront6targetE1EEEvT1_ ; -- Begin function _ZN7rocprim17ROCPRIM_400000_NS6detail17trampoline_kernelINS0_14default_configENS1_25partition_config_selectorILNS1_17partition_subalgoE8EyNS0_10empty_typeEbEEZZNS1_14partition_implILS5_8ELb0ES3_jN6thrust23THRUST_200600_302600_NS6detail15normal_iteratorINSA_10device_ptrIyEEEEPS6_PKS6_NS0_5tupleIJNSA_16discard_iteratorINSA_11use_defaultEEES6_EEENSJ_IJSG_SG_EEENS0_18inequality_wrapperINSA_8equal_toIyEEEEPmJS6_EEE10hipError_tPvRmT3_T4_T5_T6_T7_T9_mT8_P12ihipStream_tbDpT10_ENKUlT_T0_E_clISt17integral_constantIbLb0EES1D_EEDaS18_S19_EUlS18_E_NS1_11comp_targetILNS1_3genE0ELNS1_11target_archE4294967295ELNS1_3gpuE0ELNS1_3repE0EEENS1_30default_config_static_selectorELNS0_4arch9wavefront6targetE1EEEvT1_
	.globl	_ZN7rocprim17ROCPRIM_400000_NS6detail17trampoline_kernelINS0_14default_configENS1_25partition_config_selectorILNS1_17partition_subalgoE8EyNS0_10empty_typeEbEEZZNS1_14partition_implILS5_8ELb0ES3_jN6thrust23THRUST_200600_302600_NS6detail15normal_iteratorINSA_10device_ptrIyEEEEPS6_PKS6_NS0_5tupleIJNSA_16discard_iteratorINSA_11use_defaultEEES6_EEENSJ_IJSG_SG_EEENS0_18inequality_wrapperINSA_8equal_toIyEEEEPmJS6_EEE10hipError_tPvRmT3_T4_T5_T6_T7_T9_mT8_P12ihipStream_tbDpT10_ENKUlT_T0_E_clISt17integral_constantIbLb0EES1D_EEDaS18_S19_EUlS18_E_NS1_11comp_targetILNS1_3genE0ELNS1_11target_archE4294967295ELNS1_3gpuE0ELNS1_3repE0EEENS1_30default_config_static_selectorELNS0_4arch9wavefront6targetE1EEEvT1_
	.p2align	8
	.type	_ZN7rocprim17ROCPRIM_400000_NS6detail17trampoline_kernelINS0_14default_configENS1_25partition_config_selectorILNS1_17partition_subalgoE8EyNS0_10empty_typeEbEEZZNS1_14partition_implILS5_8ELb0ES3_jN6thrust23THRUST_200600_302600_NS6detail15normal_iteratorINSA_10device_ptrIyEEEEPS6_PKS6_NS0_5tupleIJNSA_16discard_iteratorINSA_11use_defaultEEES6_EEENSJ_IJSG_SG_EEENS0_18inequality_wrapperINSA_8equal_toIyEEEEPmJS6_EEE10hipError_tPvRmT3_T4_T5_T6_T7_T9_mT8_P12ihipStream_tbDpT10_ENKUlT_T0_E_clISt17integral_constantIbLb0EES1D_EEDaS18_S19_EUlS18_E_NS1_11comp_targetILNS1_3genE0ELNS1_11target_archE4294967295ELNS1_3gpuE0ELNS1_3repE0EEENS1_30default_config_static_selectorELNS0_4arch9wavefront6targetE1EEEvT1_,@function
_ZN7rocprim17ROCPRIM_400000_NS6detail17trampoline_kernelINS0_14default_configENS1_25partition_config_selectorILNS1_17partition_subalgoE8EyNS0_10empty_typeEbEEZZNS1_14partition_implILS5_8ELb0ES3_jN6thrust23THRUST_200600_302600_NS6detail15normal_iteratorINSA_10device_ptrIyEEEEPS6_PKS6_NS0_5tupleIJNSA_16discard_iteratorINSA_11use_defaultEEES6_EEENSJ_IJSG_SG_EEENS0_18inequality_wrapperINSA_8equal_toIyEEEEPmJS6_EEE10hipError_tPvRmT3_T4_T5_T6_T7_T9_mT8_P12ihipStream_tbDpT10_ENKUlT_T0_E_clISt17integral_constantIbLb0EES1D_EEDaS18_S19_EUlS18_E_NS1_11comp_targetILNS1_3genE0ELNS1_11target_archE4294967295ELNS1_3gpuE0ELNS1_3repE0EEENS1_30default_config_static_selectorELNS0_4arch9wavefront6targetE1EEEvT1_: ; @_ZN7rocprim17ROCPRIM_400000_NS6detail17trampoline_kernelINS0_14default_configENS1_25partition_config_selectorILNS1_17partition_subalgoE8EyNS0_10empty_typeEbEEZZNS1_14partition_implILS5_8ELb0ES3_jN6thrust23THRUST_200600_302600_NS6detail15normal_iteratorINSA_10device_ptrIyEEEEPS6_PKS6_NS0_5tupleIJNSA_16discard_iteratorINSA_11use_defaultEEES6_EEENSJ_IJSG_SG_EEENS0_18inequality_wrapperINSA_8equal_toIyEEEEPmJS6_EEE10hipError_tPvRmT3_T4_T5_T6_T7_T9_mT8_P12ihipStream_tbDpT10_ENKUlT_T0_E_clISt17integral_constantIbLb0EES1D_EEDaS18_S19_EUlS18_E_NS1_11comp_targetILNS1_3genE0ELNS1_11target_archE4294967295ELNS1_3gpuE0ELNS1_3repE0EEENS1_30default_config_static_selectorELNS0_4arch9wavefront6targetE1EEEvT1_
; %bb.0:
	.section	.rodata,"a",@progbits
	.p2align	6, 0x0
	.amdhsa_kernel _ZN7rocprim17ROCPRIM_400000_NS6detail17trampoline_kernelINS0_14default_configENS1_25partition_config_selectorILNS1_17partition_subalgoE8EyNS0_10empty_typeEbEEZZNS1_14partition_implILS5_8ELb0ES3_jN6thrust23THRUST_200600_302600_NS6detail15normal_iteratorINSA_10device_ptrIyEEEEPS6_PKS6_NS0_5tupleIJNSA_16discard_iteratorINSA_11use_defaultEEES6_EEENSJ_IJSG_SG_EEENS0_18inequality_wrapperINSA_8equal_toIyEEEEPmJS6_EEE10hipError_tPvRmT3_T4_T5_T6_T7_T9_mT8_P12ihipStream_tbDpT10_ENKUlT_T0_E_clISt17integral_constantIbLb0EES1D_EEDaS18_S19_EUlS18_E_NS1_11comp_targetILNS1_3genE0ELNS1_11target_archE4294967295ELNS1_3gpuE0ELNS1_3repE0EEENS1_30default_config_static_selectorELNS0_4arch9wavefront6targetE1EEEvT1_
		.amdhsa_group_segment_fixed_size 0
		.amdhsa_private_segment_fixed_size 0
		.amdhsa_kernarg_size 120
		.amdhsa_user_sgpr_count 6
		.amdhsa_user_sgpr_private_segment_buffer 1
		.amdhsa_user_sgpr_dispatch_ptr 0
		.amdhsa_user_sgpr_queue_ptr 0
		.amdhsa_user_sgpr_kernarg_segment_ptr 1
		.amdhsa_user_sgpr_dispatch_id 0
		.amdhsa_user_sgpr_flat_scratch_init 0
		.amdhsa_user_sgpr_private_segment_size 0
		.amdhsa_uses_dynamic_stack 0
		.amdhsa_system_sgpr_private_segment_wavefront_offset 0
		.amdhsa_system_sgpr_workgroup_id_x 1
		.amdhsa_system_sgpr_workgroup_id_y 0
		.amdhsa_system_sgpr_workgroup_id_z 0
		.amdhsa_system_sgpr_workgroup_info 0
		.amdhsa_system_vgpr_workitem_id 0
		.amdhsa_next_free_vgpr 1
		.amdhsa_next_free_sgpr 0
		.amdhsa_reserve_vcc 0
		.amdhsa_reserve_flat_scratch 0
		.amdhsa_float_round_mode_32 0
		.amdhsa_float_round_mode_16_64 0
		.amdhsa_float_denorm_mode_32 3
		.amdhsa_float_denorm_mode_16_64 3
		.amdhsa_dx10_clamp 1
		.amdhsa_ieee_mode 1
		.amdhsa_fp16_overflow 0
		.amdhsa_exception_fp_ieee_invalid_op 0
		.amdhsa_exception_fp_denorm_src 0
		.amdhsa_exception_fp_ieee_div_zero 0
		.amdhsa_exception_fp_ieee_overflow 0
		.amdhsa_exception_fp_ieee_underflow 0
		.amdhsa_exception_fp_ieee_inexact 0
		.amdhsa_exception_int_div_zero 0
	.end_amdhsa_kernel
	.section	.text._ZN7rocprim17ROCPRIM_400000_NS6detail17trampoline_kernelINS0_14default_configENS1_25partition_config_selectorILNS1_17partition_subalgoE8EyNS0_10empty_typeEbEEZZNS1_14partition_implILS5_8ELb0ES3_jN6thrust23THRUST_200600_302600_NS6detail15normal_iteratorINSA_10device_ptrIyEEEEPS6_PKS6_NS0_5tupleIJNSA_16discard_iteratorINSA_11use_defaultEEES6_EEENSJ_IJSG_SG_EEENS0_18inequality_wrapperINSA_8equal_toIyEEEEPmJS6_EEE10hipError_tPvRmT3_T4_T5_T6_T7_T9_mT8_P12ihipStream_tbDpT10_ENKUlT_T0_E_clISt17integral_constantIbLb0EES1D_EEDaS18_S19_EUlS18_E_NS1_11comp_targetILNS1_3genE0ELNS1_11target_archE4294967295ELNS1_3gpuE0ELNS1_3repE0EEENS1_30default_config_static_selectorELNS0_4arch9wavefront6targetE1EEEvT1_,"axG",@progbits,_ZN7rocprim17ROCPRIM_400000_NS6detail17trampoline_kernelINS0_14default_configENS1_25partition_config_selectorILNS1_17partition_subalgoE8EyNS0_10empty_typeEbEEZZNS1_14partition_implILS5_8ELb0ES3_jN6thrust23THRUST_200600_302600_NS6detail15normal_iteratorINSA_10device_ptrIyEEEEPS6_PKS6_NS0_5tupleIJNSA_16discard_iteratorINSA_11use_defaultEEES6_EEENSJ_IJSG_SG_EEENS0_18inequality_wrapperINSA_8equal_toIyEEEEPmJS6_EEE10hipError_tPvRmT3_T4_T5_T6_T7_T9_mT8_P12ihipStream_tbDpT10_ENKUlT_T0_E_clISt17integral_constantIbLb0EES1D_EEDaS18_S19_EUlS18_E_NS1_11comp_targetILNS1_3genE0ELNS1_11target_archE4294967295ELNS1_3gpuE0ELNS1_3repE0EEENS1_30default_config_static_selectorELNS0_4arch9wavefront6targetE1EEEvT1_,comdat
.Lfunc_end533:
	.size	_ZN7rocprim17ROCPRIM_400000_NS6detail17trampoline_kernelINS0_14default_configENS1_25partition_config_selectorILNS1_17partition_subalgoE8EyNS0_10empty_typeEbEEZZNS1_14partition_implILS5_8ELb0ES3_jN6thrust23THRUST_200600_302600_NS6detail15normal_iteratorINSA_10device_ptrIyEEEEPS6_PKS6_NS0_5tupleIJNSA_16discard_iteratorINSA_11use_defaultEEES6_EEENSJ_IJSG_SG_EEENS0_18inequality_wrapperINSA_8equal_toIyEEEEPmJS6_EEE10hipError_tPvRmT3_T4_T5_T6_T7_T9_mT8_P12ihipStream_tbDpT10_ENKUlT_T0_E_clISt17integral_constantIbLb0EES1D_EEDaS18_S19_EUlS18_E_NS1_11comp_targetILNS1_3genE0ELNS1_11target_archE4294967295ELNS1_3gpuE0ELNS1_3repE0EEENS1_30default_config_static_selectorELNS0_4arch9wavefront6targetE1EEEvT1_, .Lfunc_end533-_ZN7rocprim17ROCPRIM_400000_NS6detail17trampoline_kernelINS0_14default_configENS1_25partition_config_selectorILNS1_17partition_subalgoE8EyNS0_10empty_typeEbEEZZNS1_14partition_implILS5_8ELb0ES3_jN6thrust23THRUST_200600_302600_NS6detail15normal_iteratorINSA_10device_ptrIyEEEEPS6_PKS6_NS0_5tupleIJNSA_16discard_iteratorINSA_11use_defaultEEES6_EEENSJ_IJSG_SG_EEENS0_18inequality_wrapperINSA_8equal_toIyEEEEPmJS6_EEE10hipError_tPvRmT3_T4_T5_T6_T7_T9_mT8_P12ihipStream_tbDpT10_ENKUlT_T0_E_clISt17integral_constantIbLb0EES1D_EEDaS18_S19_EUlS18_E_NS1_11comp_targetILNS1_3genE0ELNS1_11target_archE4294967295ELNS1_3gpuE0ELNS1_3repE0EEENS1_30default_config_static_selectorELNS0_4arch9wavefront6targetE1EEEvT1_
                                        ; -- End function
	.set _ZN7rocprim17ROCPRIM_400000_NS6detail17trampoline_kernelINS0_14default_configENS1_25partition_config_selectorILNS1_17partition_subalgoE8EyNS0_10empty_typeEbEEZZNS1_14partition_implILS5_8ELb0ES3_jN6thrust23THRUST_200600_302600_NS6detail15normal_iteratorINSA_10device_ptrIyEEEEPS6_PKS6_NS0_5tupleIJNSA_16discard_iteratorINSA_11use_defaultEEES6_EEENSJ_IJSG_SG_EEENS0_18inequality_wrapperINSA_8equal_toIyEEEEPmJS6_EEE10hipError_tPvRmT3_T4_T5_T6_T7_T9_mT8_P12ihipStream_tbDpT10_ENKUlT_T0_E_clISt17integral_constantIbLb0EES1D_EEDaS18_S19_EUlS18_E_NS1_11comp_targetILNS1_3genE0ELNS1_11target_archE4294967295ELNS1_3gpuE0ELNS1_3repE0EEENS1_30default_config_static_selectorELNS0_4arch9wavefront6targetE1EEEvT1_.num_vgpr, 0
	.set _ZN7rocprim17ROCPRIM_400000_NS6detail17trampoline_kernelINS0_14default_configENS1_25partition_config_selectorILNS1_17partition_subalgoE8EyNS0_10empty_typeEbEEZZNS1_14partition_implILS5_8ELb0ES3_jN6thrust23THRUST_200600_302600_NS6detail15normal_iteratorINSA_10device_ptrIyEEEEPS6_PKS6_NS0_5tupleIJNSA_16discard_iteratorINSA_11use_defaultEEES6_EEENSJ_IJSG_SG_EEENS0_18inequality_wrapperINSA_8equal_toIyEEEEPmJS6_EEE10hipError_tPvRmT3_T4_T5_T6_T7_T9_mT8_P12ihipStream_tbDpT10_ENKUlT_T0_E_clISt17integral_constantIbLb0EES1D_EEDaS18_S19_EUlS18_E_NS1_11comp_targetILNS1_3genE0ELNS1_11target_archE4294967295ELNS1_3gpuE0ELNS1_3repE0EEENS1_30default_config_static_selectorELNS0_4arch9wavefront6targetE1EEEvT1_.num_agpr, 0
	.set _ZN7rocprim17ROCPRIM_400000_NS6detail17trampoline_kernelINS0_14default_configENS1_25partition_config_selectorILNS1_17partition_subalgoE8EyNS0_10empty_typeEbEEZZNS1_14partition_implILS5_8ELb0ES3_jN6thrust23THRUST_200600_302600_NS6detail15normal_iteratorINSA_10device_ptrIyEEEEPS6_PKS6_NS0_5tupleIJNSA_16discard_iteratorINSA_11use_defaultEEES6_EEENSJ_IJSG_SG_EEENS0_18inequality_wrapperINSA_8equal_toIyEEEEPmJS6_EEE10hipError_tPvRmT3_T4_T5_T6_T7_T9_mT8_P12ihipStream_tbDpT10_ENKUlT_T0_E_clISt17integral_constantIbLb0EES1D_EEDaS18_S19_EUlS18_E_NS1_11comp_targetILNS1_3genE0ELNS1_11target_archE4294967295ELNS1_3gpuE0ELNS1_3repE0EEENS1_30default_config_static_selectorELNS0_4arch9wavefront6targetE1EEEvT1_.numbered_sgpr, 0
	.set _ZN7rocprim17ROCPRIM_400000_NS6detail17trampoline_kernelINS0_14default_configENS1_25partition_config_selectorILNS1_17partition_subalgoE8EyNS0_10empty_typeEbEEZZNS1_14partition_implILS5_8ELb0ES3_jN6thrust23THRUST_200600_302600_NS6detail15normal_iteratorINSA_10device_ptrIyEEEEPS6_PKS6_NS0_5tupleIJNSA_16discard_iteratorINSA_11use_defaultEEES6_EEENSJ_IJSG_SG_EEENS0_18inequality_wrapperINSA_8equal_toIyEEEEPmJS6_EEE10hipError_tPvRmT3_T4_T5_T6_T7_T9_mT8_P12ihipStream_tbDpT10_ENKUlT_T0_E_clISt17integral_constantIbLb0EES1D_EEDaS18_S19_EUlS18_E_NS1_11comp_targetILNS1_3genE0ELNS1_11target_archE4294967295ELNS1_3gpuE0ELNS1_3repE0EEENS1_30default_config_static_selectorELNS0_4arch9wavefront6targetE1EEEvT1_.num_named_barrier, 0
	.set _ZN7rocprim17ROCPRIM_400000_NS6detail17trampoline_kernelINS0_14default_configENS1_25partition_config_selectorILNS1_17partition_subalgoE8EyNS0_10empty_typeEbEEZZNS1_14partition_implILS5_8ELb0ES3_jN6thrust23THRUST_200600_302600_NS6detail15normal_iteratorINSA_10device_ptrIyEEEEPS6_PKS6_NS0_5tupleIJNSA_16discard_iteratorINSA_11use_defaultEEES6_EEENSJ_IJSG_SG_EEENS0_18inequality_wrapperINSA_8equal_toIyEEEEPmJS6_EEE10hipError_tPvRmT3_T4_T5_T6_T7_T9_mT8_P12ihipStream_tbDpT10_ENKUlT_T0_E_clISt17integral_constantIbLb0EES1D_EEDaS18_S19_EUlS18_E_NS1_11comp_targetILNS1_3genE0ELNS1_11target_archE4294967295ELNS1_3gpuE0ELNS1_3repE0EEENS1_30default_config_static_selectorELNS0_4arch9wavefront6targetE1EEEvT1_.private_seg_size, 0
	.set _ZN7rocprim17ROCPRIM_400000_NS6detail17trampoline_kernelINS0_14default_configENS1_25partition_config_selectorILNS1_17partition_subalgoE8EyNS0_10empty_typeEbEEZZNS1_14partition_implILS5_8ELb0ES3_jN6thrust23THRUST_200600_302600_NS6detail15normal_iteratorINSA_10device_ptrIyEEEEPS6_PKS6_NS0_5tupleIJNSA_16discard_iteratorINSA_11use_defaultEEES6_EEENSJ_IJSG_SG_EEENS0_18inequality_wrapperINSA_8equal_toIyEEEEPmJS6_EEE10hipError_tPvRmT3_T4_T5_T6_T7_T9_mT8_P12ihipStream_tbDpT10_ENKUlT_T0_E_clISt17integral_constantIbLb0EES1D_EEDaS18_S19_EUlS18_E_NS1_11comp_targetILNS1_3genE0ELNS1_11target_archE4294967295ELNS1_3gpuE0ELNS1_3repE0EEENS1_30default_config_static_selectorELNS0_4arch9wavefront6targetE1EEEvT1_.uses_vcc, 0
	.set _ZN7rocprim17ROCPRIM_400000_NS6detail17trampoline_kernelINS0_14default_configENS1_25partition_config_selectorILNS1_17partition_subalgoE8EyNS0_10empty_typeEbEEZZNS1_14partition_implILS5_8ELb0ES3_jN6thrust23THRUST_200600_302600_NS6detail15normal_iteratorINSA_10device_ptrIyEEEEPS6_PKS6_NS0_5tupleIJNSA_16discard_iteratorINSA_11use_defaultEEES6_EEENSJ_IJSG_SG_EEENS0_18inequality_wrapperINSA_8equal_toIyEEEEPmJS6_EEE10hipError_tPvRmT3_T4_T5_T6_T7_T9_mT8_P12ihipStream_tbDpT10_ENKUlT_T0_E_clISt17integral_constantIbLb0EES1D_EEDaS18_S19_EUlS18_E_NS1_11comp_targetILNS1_3genE0ELNS1_11target_archE4294967295ELNS1_3gpuE0ELNS1_3repE0EEENS1_30default_config_static_selectorELNS0_4arch9wavefront6targetE1EEEvT1_.uses_flat_scratch, 0
	.set _ZN7rocprim17ROCPRIM_400000_NS6detail17trampoline_kernelINS0_14default_configENS1_25partition_config_selectorILNS1_17partition_subalgoE8EyNS0_10empty_typeEbEEZZNS1_14partition_implILS5_8ELb0ES3_jN6thrust23THRUST_200600_302600_NS6detail15normal_iteratorINSA_10device_ptrIyEEEEPS6_PKS6_NS0_5tupleIJNSA_16discard_iteratorINSA_11use_defaultEEES6_EEENSJ_IJSG_SG_EEENS0_18inequality_wrapperINSA_8equal_toIyEEEEPmJS6_EEE10hipError_tPvRmT3_T4_T5_T6_T7_T9_mT8_P12ihipStream_tbDpT10_ENKUlT_T0_E_clISt17integral_constantIbLb0EES1D_EEDaS18_S19_EUlS18_E_NS1_11comp_targetILNS1_3genE0ELNS1_11target_archE4294967295ELNS1_3gpuE0ELNS1_3repE0EEENS1_30default_config_static_selectorELNS0_4arch9wavefront6targetE1EEEvT1_.has_dyn_sized_stack, 0
	.set _ZN7rocprim17ROCPRIM_400000_NS6detail17trampoline_kernelINS0_14default_configENS1_25partition_config_selectorILNS1_17partition_subalgoE8EyNS0_10empty_typeEbEEZZNS1_14partition_implILS5_8ELb0ES3_jN6thrust23THRUST_200600_302600_NS6detail15normal_iteratorINSA_10device_ptrIyEEEEPS6_PKS6_NS0_5tupleIJNSA_16discard_iteratorINSA_11use_defaultEEES6_EEENSJ_IJSG_SG_EEENS0_18inequality_wrapperINSA_8equal_toIyEEEEPmJS6_EEE10hipError_tPvRmT3_T4_T5_T6_T7_T9_mT8_P12ihipStream_tbDpT10_ENKUlT_T0_E_clISt17integral_constantIbLb0EES1D_EEDaS18_S19_EUlS18_E_NS1_11comp_targetILNS1_3genE0ELNS1_11target_archE4294967295ELNS1_3gpuE0ELNS1_3repE0EEENS1_30default_config_static_selectorELNS0_4arch9wavefront6targetE1EEEvT1_.has_recursion, 0
	.set _ZN7rocprim17ROCPRIM_400000_NS6detail17trampoline_kernelINS0_14default_configENS1_25partition_config_selectorILNS1_17partition_subalgoE8EyNS0_10empty_typeEbEEZZNS1_14partition_implILS5_8ELb0ES3_jN6thrust23THRUST_200600_302600_NS6detail15normal_iteratorINSA_10device_ptrIyEEEEPS6_PKS6_NS0_5tupleIJNSA_16discard_iteratorINSA_11use_defaultEEES6_EEENSJ_IJSG_SG_EEENS0_18inequality_wrapperINSA_8equal_toIyEEEEPmJS6_EEE10hipError_tPvRmT3_T4_T5_T6_T7_T9_mT8_P12ihipStream_tbDpT10_ENKUlT_T0_E_clISt17integral_constantIbLb0EES1D_EEDaS18_S19_EUlS18_E_NS1_11comp_targetILNS1_3genE0ELNS1_11target_archE4294967295ELNS1_3gpuE0ELNS1_3repE0EEENS1_30default_config_static_selectorELNS0_4arch9wavefront6targetE1EEEvT1_.has_indirect_call, 0
	.section	.AMDGPU.csdata,"",@progbits
; Kernel info:
; codeLenInByte = 0
; TotalNumSgprs: 4
; NumVgprs: 0
; ScratchSize: 0
; MemoryBound: 0
; FloatMode: 240
; IeeeMode: 1
; LDSByteSize: 0 bytes/workgroup (compile time only)
; SGPRBlocks: 0
; VGPRBlocks: 0
; NumSGPRsForWavesPerEU: 4
; NumVGPRsForWavesPerEU: 1
; Occupancy: 10
; WaveLimiterHint : 0
; COMPUTE_PGM_RSRC2:SCRATCH_EN: 0
; COMPUTE_PGM_RSRC2:USER_SGPR: 6
; COMPUTE_PGM_RSRC2:TRAP_HANDLER: 0
; COMPUTE_PGM_RSRC2:TGID_X_EN: 1
; COMPUTE_PGM_RSRC2:TGID_Y_EN: 0
; COMPUTE_PGM_RSRC2:TGID_Z_EN: 0
; COMPUTE_PGM_RSRC2:TIDIG_COMP_CNT: 0
	.section	.text._ZN7rocprim17ROCPRIM_400000_NS6detail17trampoline_kernelINS0_14default_configENS1_25partition_config_selectorILNS1_17partition_subalgoE8EyNS0_10empty_typeEbEEZZNS1_14partition_implILS5_8ELb0ES3_jN6thrust23THRUST_200600_302600_NS6detail15normal_iteratorINSA_10device_ptrIyEEEEPS6_PKS6_NS0_5tupleIJNSA_16discard_iteratorINSA_11use_defaultEEES6_EEENSJ_IJSG_SG_EEENS0_18inequality_wrapperINSA_8equal_toIyEEEEPmJS6_EEE10hipError_tPvRmT3_T4_T5_T6_T7_T9_mT8_P12ihipStream_tbDpT10_ENKUlT_T0_E_clISt17integral_constantIbLb0EES1D_EEDaS18_S19_EUlS18_E_NS1_11comp_targetILNS1_3genE5ELNS1_11target_archE942ELNS1_3gpuE9ELNS1_3repE0EEENS1_30default_config_static_selectorELNS0_4arch9wavefront6targetE1EEEvT1_,"axG",@progbits,_ZN7rocprim17ROCPRIM_400000_NS6detail17trampoline_kernelINS0_14default_configENS1_25partition_config_selectorILNS1_17partition_subalgoE8EyNS0_10empty_typeEbEEZZNS1_14partition_implILS5_8ELb0ES3_jN6thrust23THRUST_200600_302600_NS6detail15normal_iteratorINSA_10device_ptrIyEEEEPS6_PKS6_NS0_5tupleIJNSA_16discard_iteratorINSA_11use_defaultEEES6_EEENSJ_IJSG_SG_EEENS0_18inequality_wrapperINSA_8equal_toIyEEEEPmJS6_EEE10hipError_tPvRmT3_T4_T5_T6_T7_T9_mT8_P12ihipStream_tbDpT10_ENKUlT_T0_E_clISt17integral_constantIbLb0EES1D_EEDaS18_S19_EUlS18_E_NS1_11comp_targetILNS1_3genE5ELNS1_11target_archE942ELNS1_3gpuE9ELNS1_3repE0EEENS1_30default_config_static_selectorELNS0_4arch9wavefront6targetE1EEEvT1_,comdat
	.protected	_ZN7rocprim17ROCPRIM_400000_NS6detail17trampoline_kernelINS0_14default_configENS1_25partition_config_selectorILNS1_17partition_subalgoE8EyNS0_10empty_typeEbEEZZNS1_14partition_implILS5_8ELb0ES3_jN6thrust23THRUST_200600_302600_NS6detail15normal_iteratorINSA_10device_ptrIyEEEEPS6_PKS6_NS0_5tupleIJNSA_16discard_iteratorINSA_11use_defaultEEES6_EEENSJ_IJSG_SG_EEENS0_18inequality_wrapperINSA_8equal_toIyEEEEPmJS6_EEE10hipError_tPvRmT3_T4_T5_T6_T7_T9_mT8_P12ihipStream_tbDpT10_ENKUlT_T0_E_clISt17integral_constantIbLb0EES1D_EEDaS18_S19_EUlS18_E_NS1_11comp_targetILNS1_3genE5ELNS1_11target_archE942ELNS1_3gpuE9ELNS1_3repE0EEENS1_30default_config_static_selectorELNS0_4arch9wavefront6targetE1EEEvT1_ ; -- Begin function _ZN7rocprim17ROCPRIM_400000_NS6detail17trampoline_kernelINS0_14default_configENS1_25partition_config_selectorILNS1_17partition_subalgoE8EyNS0_10empty_typeEbEEZZNS1_14partition_implILS5_8ELb0ES3_jN6thrust23THRUST_200600_302600_NS6detail15normal_iteratorINSA_10device_ptrIyEEEEPS6_PKS6_NS0_5tupleIJNSA_16discard_iteratorINSA_11use_defaultEEES6_EEENSJ_IJSG_SG_EEENS0_18inequality_wrapperINSA_8equal_toIyEEEEPmJS6_EEE10hipError_tPvRmT3_T4_T5_T6_T7_T9_mT8_P12ihipStream_tbDpT10_ENKUlT_T0_E_clISt17integral_constantIbLb0EES1D_EEDaS18_S19_EUlS18_E_NS1_11comp_targetILNS1_3genE5ELNS1_11target_archE942ELNS1_3gpuE9ELNS1_3repE0EEENS1_30default_config_static_selectorELNS0_4arch9wavefront6targetE1EEEvT1_
	.globl	_ZN7rocprim17ROCPRIM_400000_NS6detail17trampoline_kernelINS0_14default_configENS1_25partition_config_selectorILNS1_17partition_subalgoE8EyNS0_10empty_typeEbEEZZNS1_14partition_implILS5_8ELb0ES3_jN6thrust23THRUST_200600_302600_NS6detail15normal_iteratorINSA_10device_ptrIyEEEEPS6_PKS6_NS0_5tupleIJNSA_16discard_iteratorINSA_11use_defaultEEES6_EEENSJ_IJSG_SG_EEENS0_18inequality_wrapperINSA_8equal_toIyEEEEPmJS6_EEE10hipError_tPvRmT3_T4_T5_T6_T7_T9_mT8_P12ihipStream_tbDpT10_ENKUlT_T0_E_clISt17integral_constantIbLb0EES1D_EEDaS18_S19_EUlS18_E_NS1_11comp_targetILNS1_3genE5ELNS1_11target_archE942ELNS1_3gpuE9ELNS1_3repE0EEENS1_30default_config_static_selectorELNS0_4arch9wavefront6targetE1EEEvT1_
	.p2align	8
	.type	_ZN7rocprim17ROCPRIM_400000_NS6detail17trampoline_kernelINS0_14default_configENS1_25partition_config_selectorILNS1_17partition_subalgoE8EyNS0_10empty_typeEbEEZZNS1_14partition_implILS5_8ELb0ES3_jN6thrust23THRUST_200600_302600_NS6detail15normal_iteratorINSA_10device_ptrIyEEEEPS6_PKS6_NS0_5tupleIJNSA_16discard_iteratorINSA_11use_defaultEEES6_EEENSJ_IJSG_SG_EEENS0_18inequality_wrapperINSA_8equal_toIyEEEEPmJS6_EEE10hipError_tPvRmT3_T4_T5_T6_T7_T9_mT8_P12ihipStream_tbDpT10_ENKUlT_T0_E_clISt17integral_constantIbLb0EES1D_EEDaS18_S19_EUlS18_E_NS1_11comp_targetILNS1_3genE5ELNS1_11target_archE942ELNS1_3gpuE9ELNS1_3repE0EEENS1_30default_config_static_selectorELNS0_4arch9wavefront6targetE1EEEvT1_,@function
_ZN7rocprim17ROCPRIM_400000_NS6detail17trampoline_kernelINS0_14default_configENS1_25partition_config_selectorILNS1_17partition_subalgoE8EyNS0_10empty_typeEbEEZZNS1_14partition_implILS5_8ELb0ES3_jN6thrust23THRUST_200600_302600_NS6detail15normal_iteratorINSA_10device_ptrIyEEEEPS6_PKS6_NS0_5tupleIJNSA_16discard_iteratorINSA_11use_defaultEEES6_EEENSJ_IJSG_SG_EEENS0_18inequality_wrapperINSA_8equal_toIyEEEEPmJS6_EEE10hipError_tPvRmT3_T4_T5_T6_T7_T9_mT8_P12ihipStream_tbDpT10_ENKUlT_T0_E_clISt17integral_constantIbLb0EES1D_EEDaS18_S19_EUlS18_E_NS1_11comp_targetILNS1_3genE5ELNS1_11target_archE942ELNS1_3gpuE9ELNS1_3repE0EEENS1_30default_config_static_selectorELNS0_4arch9wavefront6targetE1EEEvT1_: ; @_ZN7rocprim17ROCPRIM_400000_NS6detail17trampoline_kernelINS0_14default_configENS1_25partition_config_selectorILNS1_17partition_subalgoE8EyNS0_10empty_typeEbEEZZNS1_14partition_implILS5_8ELb0ES3_jN6thrust23THRUST_200600_302600_NS6detail15normal_iteratorINSA_10device_ptrIyEEEEPS6_PKS6_NS0_5tupleIJNSA_16discard_iteratorINSA_11use_defaultEEES6_EEENSJ_IJSG_SG_EEENS0_18inequality_wrapperINSA_8equal_toIyEEEEPmJS6_EEE10hipError_tPvRmT3_T4_T5_T6_T7_T9_mT8_P12ihipStream_tbDpT10_ENKUlT_T0_E_clISt17integral_constantIbLb0EES1D_EEDaS18_S19_EUlS18_E_NS1_11comp_targetILNS1_3genE5ELNS1_11target_archE942ELNS1_3gpuE9ELNS1_3repE0EEENS1_30default_config_static_selectorELNS0_4arch9wavefront6targetE1EEEvT1_
; %bb.0:
	.section	.rodata,"a",@progbits
	.p2align	6, 0x0
	.amdhsa_kernel _ZN7rocprim17ROCPRIM_400000_NS6detail17trampoline_kernelINS0_14default_configENS1_25partition_config_selectorILNS1_17partition_subalgoE8EyNS0_10empty_typeEbEEZZNS1_14partition_implILS5_8ELb0ES3_jN6thrust23THRUST_200600_302600_NS6detail15normal_iteratorINSA_10device_ptrIyEEEEPS6_PKS6_NS0_5tupleIJNSA_16discard_iteratorINSA_11use_defaultEEES6_EEENSJ_IJSG_SG_EEENS0_18inequality_wrapperINSA_8equal_toIyEEEEPmJS6_EEE10hipError_tPvRmT3_T4_T5_T6_T7_T9_mT8_P12ihipStream_tbDpT10_ENKUlT_T0_E_clISt17integral_constantIbLb0EES1D_EEDaS18_S19_EUlS18_E_NS1_11comp_targetILNS1_3genE5ELNS1_11target_archE942ELNS1_3gpuE9ELNS1_3repE0EEENS1_30default_config_static_selectorELNS0_4arch9wavefront6targetE1EEEvT1_
		.amdhsa_group_segment_fixed_size 0
		.amdhsa_private_segment_fixed_size 0
		.amdhsa_kernarg_size 120
		.amdhsa_user_sgpr_count 6
		.amdhsa_user_sgpr_private_segment_buffer 1
		.amdhsa_user_sgpr_dispatch_ptr 0
		.amdhsa_user_sgpr_queue_ptr 0
		.amdhsa_user_sgpr_kernarg_segment_ptr 1
		.amdhsa_user_sgpr_dispatch_id 0
		.amdhsa_user_sgpr_flat_scratch_init 0
		.amdhsa_user_sgpr_private_segment_size 0
		.amdhsa_uses_dynamic_stack 0
		.amdhsa_system_sgpr_private_segment_wavefront_offset 0
		.amdhsa_system_sgpr_workgroup_id_x 1
		.amdhsa_system_sgpr_workgroup_id_y 0
		.amdhsa_system_sgpr_workgroup_id_z 0
		.amdhsa_system_sgpr_workgroup_info 0
		.amdhsa_system_vgpr_workitem_id 0
		.amdhsa_next_free_vgpr 1
		.amdhsa_next_free_sgpr 0
		.amdhsa_reserve_vcc 0
		.amdhsa_reserve_flat_scratch 0
		.amdhsa_float_round_mode_32 0
		.amdhsa_float_round_mode_16_64 0
		.amdhsa_float_denorm_mode_32 3
		.amdhsa_float_denorm_mode_16_64 3
		.amdhsa_dx10_clamp 1
		.amdhsa_ieee_mode 1
		.amdhsa_fp16_overflow 0
		.amdhsa_exception_fp_ieee_invalid_op 0
		.amdhsa_exception_fp_denorm_src 0
		.amdhsa_exception_fp_ieee_div_zero 0
		.amdhsa_exception_fp_ieee_overflow 0
		.amdhsa_exception_fp_ieee_underflow 0
		.amdhsa_exception_fp_ieee_inexact 0
		.amdhsa_exception_int_div_zero 0
	.end_amdhsa_kernel
	.section	.text._ZN7rocprim17ROCPRIM_400000_NS6detail17trampoline_kernelINS0_14default_configENS1_25partition_config_selectorILNS1_17partition_subalgoE8EyNS0_10empty_typeEbEEZZNS1_14partition_implILS5_8ELb0ES3_jN6thrust23THRUST_200600_302600_NS6detail15normal_iteratorINSA_10device_ptrIyEEEEPS6_PKS6_NS0_5tupleIJNSA_16discard_iteratorINSA_11use_defaultEEES6_EEENSJ_IJSG_SG_EEENS0_18inequality_wrapperINSA_8equal_toIyEEEEPmJS6_EEE10hipError_tPvRmT3_T4_T5_T6_T7_T9_mT8_P12ihipStream_tbDpT10_ENKUlT_T0_E_clISt17integral_constantIbLb0EES1D_EEDaS18_S19_EUlS18_E_NS1_11comp_targetILNS1_3genE5ELNS1_11target_archE942ELNS1_3gpuE9ELNS1_3repE0EEENS1_30default_config_static_selectorELNS0_4arch9wavefront6targetE1EEEvT1_,"axG",@progbits,_ZN7rocprim17ROCPRIM_400000_NS6detail17trampoline_kernelINS0_14default_configENS1_25partition_config_selectorILNS1_17partition_subalgoE8EyNS0_10empty_typeEbEEZZNS1_14partition_implILS5_8ELb0ES3_jN6thrust23THRUST_200600_302600_NS6detail15normal_iteratorINSA_10device_ptrIyEEEEPS6_PKS6_NS0_5tupleIJNSA_16discard_iteratorINSA_11use_defaultEEES6_EEENSJ_IJSG_SG_EEENS0_18inequality_wrapperINSA_8equal_toIyEEEEPmJS6_EEE10hipError_tPvRmT3_T4_T5_T6_T7_T9_mT8_P12ihipStream_tbDpT10_ENKUlT_T0_E_clISt17integral_constantIbLb0EES1D_EEDaS18_S19_EUlS18_E_NS1_11comp_targetILNS1_3genE5ELNS1_11target_archE942ELNS1_3gpuE9ELNS1_3repE0EEENS1_30default_config_static_selectorELNS0_4arch9wavefront6targetE1EEEvT1_,comdat
.Lfunc_end534:
	.size	_ZN7rocprim17ROCPRIM_400000_NS6detail17trampoline_kernelINS0_14default_configENS1_25partition_config_selectorILNS1_17partition_subalgoE8EyNS0_10empty_typeEbEEZZNS1_14partition_implILS5_8ELb0ES3_jN6thrust23THRUST_200600_302600_NS6detail15normal_iteratorINSA_10device_ptrIyEEEEPS6_PKS6_NS0_5tupleIJNSA_16discard_iteratorINSA_11use_defaultEEES6_EEENSJ_IJSG_SG_EEENS0_18inequality_wrapperINSA_8equal_toIyEEEEPmJS6_EEE10hipError_tPvRmT3_T4_T5_T6_T7_T9_mT8_P12ihipStream_tbDpT10_ENKUlT_T0_E_clISt17integral_constantIbLb0EES1D_EEDaS18_S19_EUlS18_E_NS1_11comp_targetILNS1_3genE5ELNS1_11target_archE942ELNS1_3gpuE9ELNS1_3repE0EEENS1_30default_config_static_selectorELNS0_4arch9wavefront6targetE1EEEvT1_, .Lfunc_end534-_ZN7rocprim17ROCPRIM_400000_NS6detail17trampoline_kernelINS0_14default_configENS1_25partition_config_selectorILNS1_17partition_subalgoE8EyNS0_10empty_typeEbEEZZNS1_14partition_implILS5_8ELb0ES3_jN6thrust23THRUST_200600_302600_NS6detail15normal_iteratorINSA_10device_ptrIyEEEEPS6_PKS6_NS0_5tupleIJNSA_16discard_iteratorINSA_11use_defaultEEES6_EEENSJ_IJSG_SG_EEENS0_18inequality_wrapperINSA_8equal_toIyEEEEPmJS6_EEE10hipError_tPvRmT3_T4_T5_T6_T7_T9_mT8_P12ihipStream_tbDpT10_ENKUlT_T0_E_clISt17integral_constantIbLb0EES1D_EEDaS18_S19_EUlS18_E_NS1_11comp_targetILNS1_3genE5ELNS1_11target_archE942ELNS1_3gpuE9ELNS1_3repE0EEENS1_30default_config_static_selectorELNS0_4arch9wavefront6targetE1EEEvT1_
                                        ; -- End function
	.set _ZN7rocprim17ROCPRIM_400000_NS6detail17trampoline_kernelINS0_14default_configENS1_25partition_config_selectorILNS1_17partition_subalgoE8EyNS0_10empty_typeEbEEZZNS1_14partition_implILS5_8ELb0ES3_jN6thrust23THRUST_200600_302600_NS6detail15normal_iteratorINSA_10device_ptrIyEEEEPS6_PKS6_NS0_5tupleIJNSA_16discard_iteratorINSA_11use_defaultEEES6_EEENSJ_IJSG_SG_EEENS0_18inequality_wrapperINSA_8equal_toIyEEEEPmJS6_EEE10hipError_tPvRmT3_T4_T5_T6_T7_T9_mT8_P12ihipStream_tbDpT10_ENKUlT_T0_E_clISt17integral_constantIbLb0EES1D_EEDaS18_S19_EUlS18_E_NS1_11comp_targetILNS1_3genE5ELNS1_11target_archE942ELNS1_3gpuE9ELNS1_3repE0EEENS1_30default_config_static_selectorELNS0_4arch9wavefront6targetE1EEEvT1_.num_vgpr, 0
	.set _ZN7rocprim17ROCPRIM_400000_NS6detail17trampoline_kernelINS0_14default_configENS1_25partition_config_selectorILNS1_17partition_subalgoE8EyNS0_10empty_typeEbEEZZNS1_14partition_implILS5_8ELb0ES3_jN6thrust23THRUST_200600_302600_NS6detail15normal_iteratorINSA_10device_ptrIyEEEEPS6_PKS6_NS0_5tupleIJNSA_16discard_iteratorINSA_11use_defaultEEES6_EEENSJ_IJSG_SG_EEENS0_18inequality_wrapperINSA_8equal_toIyEEEEPmJS6_EEE10hipError_tPvRmT3_T4_T5_T6_T7_T9_mT8_P12ihipStream_tbDpT10_ENKUlT_T0_E_clISt17integral_constantIbLb0EES1D_EEDaS18_S19_EUlS18_E_NS1_11comp_targetILNS1_3genE5ELNS1_11target_archE942ELNS1_3gpuE9ELNS1_3repE0EEENS1_30default_config_static_selectorELNS0_4arch9wavefront6targetE1EEEvT1_.num_agpr, 0
	.set _ZN7rocprim17ROCPRIM_400000_NS6detail17trampoline_kernelINS0_14default_configENS1_25partition_config_selectorILNS1_17partition_subalgoE8EyNS0_10empty_typeEbEEZZNS1_14partition_implILS5_8ELb0ES3_jN6thrust23THRUST_200600_302600_NS6detail15normal_iteratorINSA_10device_ptrIyEEEEPS6_PKS6_NS0_5tupleIJNSA_16discard_iteratorINSA_11use_defaultEEES6_EEENSJ_IJSG_SG_EEENS0_18inequality_wrapperINSA_8equal_toIyEEEEPmJS6_EEE10hipError_tPvRmT3_T4_T5_T6_T7_T9_mT8_P12ihipStream_tbDpT10_ENKUlT_T0_E_clISt17integral_constantIbLb0EES1D_EEDaS18_S19_EUlS18_E_NS1_11comp_targetILNS1_3genE5ELNS1_11target_archE942ELNS1_3gpuE9ELNS1_3repE0EEENS1_30default_config_static_selectorELNS0_4arch9wavefront6targetE1EEEvT1_.numbered_sgpr, 0
	.set _ZN7rocprim17ROCPRIM_400000_NS6detail17trampoline_kernelINS0_14default_configENS1_25partition_config_selectorILNS1_17partition_subalgoE8EyNS0_10empty_typeEbEEZZNS1_14partition_implILS5_8ELb0ES3_jN6thrust23THRUST_200600_302600_NS6detail15normal_iteratorINSA_10device_ptrIyEEEEPS6_PKS6_NS0_5tupleIJNSA_16discard_iteratorINSA_11use_defaultEEES6_EEENSJ_IJSG_SG_EEENS0_18inequality_wrapperINSA_8equal_toIyEEEEPmJS6_EEE10hipError_tPvRmT3_T4_T5_T6_T7_T9_mT8_P12ihipStream_tbDpT10_ENKUlT_T0_E_clISt17integral_constantIbLb0EES1D_EEDaS18_S19_EUlS18_E_NS1_11comp_targetILNS1_3genE5ELNS1_11target_archE942ELNS1_3gpuE9ELNS1_3repE0EEENS1_30default_config_static_selectorELNS0_4arch9wavefront6targetE1EEEvT1_.num_named_barrier, 0
	.set _ZN7rocprim17ROCPRIM_400000_NS6detail17trampoline_kernelINS0_14default_configENS1_25partition_config_selectorILNS1_17partition_subalgoE8EyNS0_10empty_typeEbEEZZNS1_14partition_implILS5_8ELb0ES3_jN6thrust23THRUST_200600_302600_NS6detail15normal_iteratorINSA_10device_ptrIyEEEEPS6_PKS6_NS0_5tupleIJNSA_16discard_iteratorINSA_11use_defaultEEES6_EEENSJ_IJSG_SG_EEENS0_18inequality_wrapperINSA_8equal_toIyEEEEPmJS6_EEE10hipError_tPvRmT3_T4_T5_T6_T7_T9_mT8_P12ihipStream_tbDpT10_ENKUlT_T0_E_clISt17integral_constantIbLb0EES1D_EEDaS18_S19_EUlS18_E_NS1_11comp_targetILNS1_3genE5ELNS1_11target_archE942ELNS1_3gpuE9ELNS1_3repE0EEENS1_30default_config_static_selectorELNS0_4arch9wavefront6targetE1EEEvT1_.private_seg_size, 0
	.set _ZN7rocprim17ROCPRIM_400000_NS6detail17trampoline_kernelINS0_14default_configENS1_25partition_config_selectorILNS1_17partition_subalgoE8EyNS0_10empty_typeEbEEZZNS1_14partition_implILS5_8ELb0ES3_jN6thrust23THRUST_200600_302600_NS6detail15normal_iteratorINSA_10device_ptrIyEEEEPS6_PKS6_NS0_5tupleIJNSA_16discard_iteratorINSA_11use_defaultEEES6_EEENSJ_IJSG_SG_EEENS0_18inequality_wrapperINSA_8equal_toIyEEEEPmJS6_EEE10hipError_tPvRmT3_T4_T5_T6_T7_T9_mT8_P12ihipStream_tbDpT10_ENKUlT_T0_E_clISt17integral_constantIbLb0EES1D_EEDaS18_S19_EUlS18_E_NS1_11comp_targetILNS1_3genE5ELNS1_11target_archE942ELNS1_3gpuE9ELNS1_3repE0EEENS1_30default_config_static_selectorELNS0_4arch9wavefront6targetE1EEEvT1_.uses_vcc, 0
	.set _ZN7rocprim17ROCPRIM_400000_NS6detail17trampoline_kernelINS0_14default_configENS1_25partition_config_selectorILNS1_17partition_subalgoE8EyNS0_10empty_typeEbEEZZNS1_14partition_implILS5_8ELb0ES3_jN6thrust23THRUST_200600_302600_NS6detail15normal_iteratorINSA_10device_ptrIyEEEEPS6_PKS6_NS0_5tupleIJNSA_16discard_iteratorINSA_11use_defaultEEES6_EEENSJ_IJSG_SG_EEENS0_18inequality_wrapperINSA_8equal_toIyEEEEPmJS6_EEE10hipError_tPvRmT3_T4_T5_T6_T7_T9_mT8_P12ihipStream_tbDpT10_ENKUlT_T0_E_clISt17integral_constantIbLb0EES1D_EEDaS18_S19_EUlS18_E_NS1_11comp_targetILNS1_3genE5ELNS1_11target_archE942ELNS1_3gpuE9ELNS1_3repE0EEENS1_30default_config_static_selectorELNS0_4arch9wavefront6targetE1EEEvT1_.uses_flat_scratch, 0
	.set _ZN7rocprim17ROCPRIM_400000_NS6detail17trampoline_kernelINS0_14default_configENS1_25partition_config_selectorILNS1_17partition_subalgoE8EyNS0_10empty_typeEbEEZZNS1_14partition_implILS5_8ELb0ES3_jN6thrust23THRUST_200600_302600_NS6detail15normal_iteratorINSA_10device_ptrIyEEEEPS6_PKS6_NS0_5tupleIJNSA_16discard_iteratorINSA_11use_defaultEEES6_EEENSJ_IJSG_SG_EEENS0_18inequality_wrapperINSA_8equal_toIyEEEEPmJS6_EEE10hipError_tPvRmT3_T4_T5_T6_T7_T9_mT8_P12ihipStream_tbDpT10_ENKUlT_T0_E_clISt17integral_constantIbLb0EES1D_EEDaS18_S19_EUlS18_E_NS1_11comp_targetILNS1_3genE5ELNS1_11target_archE942ELNS1_3gpuE9ELNS1_3repE0EEENS1_30default_config_static_selectorELNS0_4arch9wavefront6targetE1EEEvT1_.has_dyn_sized_stack, 0
	.set _ZN7rocprim17ROCPRIM_400000_NS6detail17trampoline_kernelINS0_14default_configENS1_25partition_config_selectorILNS1_17partition_subalgoE8EyNS0_10empty_typeEbEEZZNS1_14partition_implILS5_8ELb0ES3_jN6thrust23THRUST_200600_302600_NS6detail15normal_iteratorINSA_10device_ptrIyEEEEPS6_PKS6_NS0_5tupleIJNSA_16discard_iteratorINSA_11use_defaultEEES6_EEENSJ_IJSG_SG_EEENS0_18inequality_wrapperINSA_8equal_toIyEEEEPmJS6_EEE10hipError_tPvRmT3_T4_T5_T6_T7_T9_mT8_P12ihipStream_tbDpT10_ENKUlT_T0_E_clISt17integral_constantIbLb0EES1D_EEDaS18_S19_EUlS18_E_NS1_11comp_targetILNS1_3genE5ELNS1_11target_archE942ELNS1_3gpuE9ELNS1_3repE0EEENS1_30default_config_static_selectorELNS0_4arch9wavefront6targetE1EEEvT1_.has_recursion, 0
	.set _ZN7rocprim17ROCPRIM_400000_NS6detail17trampoline_kernelINS0_14default_configENS1_25partition_config_selectorILNS1_17partition_subalgoE8EyNS0_10empty_typeEbEEZZNS1_14partition_implILS5_8ELb0ES3_jN6thrust23THRUST_200600_302600_NS6detail15normal_iteratorINSA_10device_ptrIyEEEEPS6_PKS6_NS0_5tupleIJNSA_16discard_iteratorINSA_11use_defaultEEES6_EEENSJ_IJSG_SG_EEENS0_18inequality_wrapperINSA_8equal_toIyEEEEPmJS6_EEE10hipError_tPvRmT3_T4_T5_T6_T7_T9_mT8_P12ihipStream_tbDpT10_ENKUlT_T0_E_clISt17integral_constantIbLb0EES1D_EEDaS18_S19_EUlS18_E_NS1_11comp_targetILNS1_3genE5ELNS1_11target_archE942ELNS1_3gpuE9ELNS1_3repE0EEENS1_30default_config_static_selectorELNS0_4arch9wavefront6targetE1EEEvT1_.has_indirect_call, 0
	.section	.AMDGPU.csdata,"",@progbits
; Kernel info:
; codeLenInByte = 0
; TotalNumSgprs: 4
; NumVgprs: 0
; ScratchSize: 0
; MemoryBound: 0
; FloatMode: 240
; IeeeMode: 1
; LDSByteSize: 0 bytes/workgroup (compile time only)
; SGPRBlocks: 0
; VGPRBlocks: 0
; NumSGPRsForWavesPerEU: 4
; NumVGPRsForWavesPerEU: 1
; Occupancy: 10
; WaveLimiterHint : 0
; COMPUTE_PGM_RSRC2:SCRATCH_EN: 0
; COMPUTE_PGM_RSRC2:USER_SGPR: 6
; COMPUTE_PGM_RSRC2:TRAP_HANDLER: 0
; COMPUTE_PGM_RSRC2:TGID_X_EN: 1
; COMPUTE_PGM_RSRC2:TGID_Y_EN: 0
; COMPUTE_PGM_RSRC2:TGID_Z_EN: 0
; COMPUTE_PGM_RSRC2:TIDIG_COMP_CNT: 0
	.section	.text._ZN7rocprim17ROCPRIM_400000_NS6detail17trampoline_kernelINS0_14default_configENS1_25partition_config_selectorILNS1_17partition_subalgoE8EyNS0_10empty_typeEbEEZZNS1_14partition_implILS5_8ELb0ES3_jN6thrust23THRUST_200600_302600_NS6detail15normal_iteratorINSA_10device_ptrIyEEEEPS6_PKS6_NS0_5tupleIJNSA_16discard_iteratorINSA_11use_defaultEEES6_EEENSJ_IJSG_SG_EEENS0_18inequality_wrapperINSA_8equal_toIyEEEEPmJS6_EEE10hipError_tPvRmT3_T4_T5_T6_T7_T9_mT8_P12ihipStream_tbDpT10_ENKUlT_T0_E_clISt17integral_constantIbLb0EES1D_EEDaS18_S19_EUlS18_E_NS1_11comp_targetILNS1_3genE4ELNS1_11target_archE910ELNS1_3gpuE8ELNS1_3repE0EEENS1_30default_config_static_selectorELNS0_4arch9wavefront6targetE1EEEvT1_,"axG",@progbits,_ZN7rocprim17ROCPRIM_400000_NS6detail17trampoline_kernelINS0_14default_configENS1_25partition_config_selectorILNS1_17partition_subalgoE8EyNS0_10empty_typeEbEEZZNS1_14partition_implILS5_8ELb0ES3_jN6thrust23THRUST_200600_302600_NS6detail15normal_iteratorINSA_10device_ptrIyEEEEPS6_PKS6_NS0_5tupleIJNSA_16discard_iteratorINSA_11use_defaultEEES6_EEENSJ_IJSG_SG_EEENS0_18inequality_wrapperINSA_8equal_toIyEEEEPmJS6_EEE10hipError_tPvRmT3_T4_T5_T6_T7_T9_mT8_P12ihipStream_tbDpT10_ENKUlT_T0_E_clISt17integral_constantIbLb0EES1D_EEDaS18_S19_EUlS18_E_NS1_11comp_targetILNS1_3genE4ELNS1_11target_archE910ELNS1_3gpuE8ELNS1_3repE0EEENS1_30default_config_static_selectorELNS0_4arch9wavefront6targetE1EEEvT1_,comdat
	.protected	_ZN7rocprim17ROCPRIM_400000_NS6detail17trampoline_kernelINS0_14default_configENS1_25partition_config_selectorILNS1_17partition_subalgoE8EyNS0_10empty_typeEbEEZZNS1_14partition_implILS5_8ELb0ES3_jN6thrust23THRUST_200600_302600_NS6detail15normal_iteratorINSA_10device_ptrIyEEEEPS6_PKS6_NS0_5tupleIJNSA_16discard_iteratorINSA_11use_defaultEEES6_EEENSJ_IJSG_SG_EEENS0_18inequality_wrapperINSA_8equal_toIyEEEEPmJS6_EEE10hipError_tPvRmT3_T4_T5_T6_T7_T9_mT8_P12ihipStream_tbDpT10_ENKUlT_T0_E_clISt17integral_constantIbLb0EES1D_EEDaS18_S19_EUlS18_E_NS1_11comp_targetILNS1_3genE4ELNS1_11target_archE910ELNS1_3gpuE8ELNS1_3repE0EEENS1_30default_config_static_selectorELNS0_4arch9wavefront6targetE1EEEvT1_ ; -- Begin function _ZN7rocprim17ROCPRIM_400000_NS6detail17trampoline_kernelINS0_14default_configENS1_25partition_config_selectorILNS1_17partition_subalgoE8EyNS0_10empty_typeEbEEZZNS1_14partition_implILS5_8ELb0ES3_jN6thrust23THRUST_200600_302600_NS6detail15normal_iteratorINSA_10device_ptrIyEEEEPS6_PKS6_NS0_5tupleIJNSA_16discard_iteratorINSA_11use_defaultEEES6_EEENSJ_IJSG_SG_EEENS0_18inequality_wrapperINSA_8equal_toIyEEEEPmJS6_EEE10hipError_tPvRmT3_T4_T5_T6_T7_T9_mT8_P12ihipStream_tbDpT10_ENKUlT_T0_E_clISt17integral_constantIbLb0EES1D_EEDaS18_S19_EUlS18_E_NS1_11comp_targetILNS1_3genE4ELNS1_11target_archE910ELNS1_3gpuE8ELNS1_3repE0EEENS1_30default_config_static_selectorELNS0_4arch9wavefront6targetE1EEEvT1_
	.globl	_ZN7rocprim17ROCPRIM_400000_NS6detail17trampoline_kernelINS0_14default_configENS1_25partition_config_selectorILNS1_17partition_subalgoE8EyNS0_10empty_typeEbEEZZNS1_14partition_implILS5_8ELb0ES3_jN6thrust23THRUST_200600_302600_NS6detail15normal_iteratorINSA_10device_ptrIyEEEEPS6_PKS6_NS0_5tupleIJNSA_16discard_iteratorINSA_11use_defaultEEES6_EEENSJ_IJSG_SG_EEENS0_18inequality_wrapperINSA_8equal_toIyEEEEPmJS6_EEE10hipError_tPvRmT3_T4_T5_T6_T7_T9_mT8_P12ihipStream_tbDpT10_ENKUlT_T0_E_clISt17integral_constantIbLb0EES1D_EEDaS18_S19_EUlS18_E_NS1_11comp_targetILNS1_3genE4ELNS1_11target_archE910ELNS1_3gpuE8ELNS1_3repE0EEENS1_30default_config_static_selectorELNS0_4arch9wavefront6targetE1EEEvT1_
	.p2align	8
	.type	_ZN7rocprim17ROCPRIM_400000_NS6detail17trampoline_kernelINS0_14default_configENS1_25partition_config_selectorILNS1_17partition_subalgoE8EyNS0_10empty_typeEbEEZZNS1_14partition_implILS5_8ELb0ES3_jN6thrust23THRUST_200600_302600_NS6detail15normal_iteratorINSA_10device_ptrIyEEEEPS6_PKS6_NS0_5tupleIJNSA_16discard_iteratorINSA_11use_defaultEEES6_EEENSJ_IJSG_SG_EEENS0_18inequality_wrapperINSA_8equal_toIyEEEEPmJS6_EEE10hipError_tPvRmT3_T4_T5_T6_T7_T9_mT8_P12ihipStream_tbDpT10_ENKUlT_T0_E_clISt17integral_constantIbLb0EES1D_EEDaS18_S19_EUlS18_E_NS1_11comp_targetILNS1_3genE4ELNS1_11target_archE910ELNS1_3gpuE8ELNS1_3repE0EEENS1_30default_config_static_selectorELNS0_4arch9wavefront6targetE1EEEvT1_,@function
_ZN7rocprim17ROCPRIM_400000_NS6detail17trampoline_kernelINS0_14default_configENS1_25partition_config_selectorILNS1_17partition_subalgoE8EyNS0_10empty_typeEbEEZZNS1_14partition_implILS5_8ELb0ES3_jN6thrust23THRUST_200600_302600_NS6detail15normal_iteratorINSA_10device_ptrIyEEEEPS6_PKS6_NS0_5tupleIJNSA_16discard_iteratorINSA_11use_defaultEEES6_EEENSJ_IJSG_SG_EEENS0_18inequality_wrapperINSA_8equal_toIyEEEEPmJS6_EEE10hipError_tPvRmT3_T4_T5_T6_T7_T9_mT8_P12ihipStream_tbDpT10_ENKUlT_T0_E_clISt17integral_constantIbLb0EES1D_EEDaS18_S19_EUlS18_E_NS1_11comp_targetILNS1_3genE4ELNS1_11target_archE910ELNS1_3gpuE8ELNS1_3repE0EEENS1_30default_config_static_selectorELNS0_4arch9wavefront6targetE1EEEvT1_: ; @_ZN7rocprim17ROCPRIM_400000_NS6detail17trampoline_kernelINS0_14default_configENS1_25partition_config_selectorILNS1_17partition_subalgoE8EyNS0_10empty_typeEbEEZZNS1_14partition_implILS5_8ELb0ES3_jN6thrust23THRUST_200600_302600_NS6detail15normal_iteratorINSA_10device_ptrIyEEEEPS6_PKS6_NS0_5tupleIJNSA_16discard_iteratorINSA_11use_defaultEEES6_EEENSJ_IJSG_SG_EEENS0_18inequality_wrapperINSA_8equal_toIyEEEEPmJS6_EEE10hipError_tPvRmT3_T4_T5_T6_T7_T9_mT8_P12ihipStream_tbDpT10_ENKUlT_T0_E_clISt17integral_constantIbLb0EES1D_EEDaS18_S19_EUlS18_E_NS1_11comp_targetILNS1_3genE4ELNS1_11target_archE910ELNS1_3gpuE8ELNS1_3repE0EEENS1_30default_config_static_selectorELNS0_4arch9wavefront6targetE1EEEvT1_
; %bb.0:
	.section	.rodata,"a",@progbits
	.p2align	6, 0x0
	.amdhsa_kernel _ZN7rocprim17ROCPRIM_400000_NS6detail17trampoline_kernelINS0_14default_configENS1_25partition_config_selectorILNS1_17partition_subalgoE8EyNS0_10empty_typeEbEEZZNS1_14partition_implILS5_8ELb0ES3_jN6thrust23THRUST_200600_302600_NS6detail15normal_iteratorINSA_10device_ptrIyEEEEPS6_PKS6_NS0_5tupleIJNSA_16discard_iteratorINSA_11use_defaultEEES6_EEENSJ_IJSG_SG_EEENS0_18inequality_wrapperINSA_8equal_toIyEEEEPmJS6_EEE10hipError_tPvRmT3_T4_T5_T6_T7_T9_mT8_P12ihipStream_tbDpT10_ENKUlT_T0_E_clISt17integral_constantIbLb0EES1D_EEDaS18_S19_EUlS18_E_NS1_11comp_targetILNS1_3genE4ELNS1_11target_archE910ELNS1_3gpuE8ELNS1_3repE0EEENS1_30default_config_static_selectorELNS0_4arch9wavefront6targetE1EEEvT1_
		.amdhsa_group_segment_fixed_size 0
		.amdhsa_private_segment_fixed_size 0
		.amdhsa_kernarg_size 120
		.amdhsa_user_sgpr_count 6
		.amdhsa_user_sgpr_private_segment_buffer 1
		.amdhsa_user_sgpr_dispatch_ptr 0
		.amdhsa_user_sgpr_queue_ptr 0
		.amdhsa_user_sgpr_kernarg_segment_ptr 1
		.amdhsa_user_sgpr_dispatch_id 0
		.amdhsa_user_sgpr_flat_scratch_init 0
		.amdhsa_user_sgpr_private_segment_size 0
		.amdhsa_uses_dynamic_stack 0
		.amdhsa_system_sgpr_private_segment_wavefront_offset 0
		.amdhsa_system_sgpr_workgroup_id_x 1
		.amdhsa_system_sgpr_workgroup_id_y 0
		.amdhsa_system_sgpr_workgroup_id_z 0
		.amdhsa_system_sgpr_workgroup_info 0
		.amdhsa_system_vgpr_workitem_id 0
		.amdhsa_next_free_vgpr 1
		.amdhsa_next_free_sgpr 0
		.amdhsa_reserve_vcc 0
		.amdhsa_reserve_flat_scratch 0
		.amdhsa_float_round_mode_32 0
		.amdhsa_float_round_mode_16_64 0
		.amdhsa_float_denorm_mode_32 3
		.amdhsa_float_denorm_mode_16_64 3
		.amdhsa_dx10_clamp 1
		.amdhsa_ieee_mode 1
		.amdhsa_fp16_overflow 0
		.amdhsa_exception_fp_ieee_invalid_op 0
		.amdhsa_exception_fp_denorm_src 0
		.amdhsa_exception_fp_ieee_div_zero 0
		.amdhsa_exception_fp_ieee_overflow 0
		.amdhsa_exception_fp_ieee_underflow 0
		.amdhsa_exception_fp_ieee_inexact 0
		.amdhsa_exception_int_div_zero 0
	.end_amdhsa_kernel
	.section	.text._ZN7rocprim17ROCPRIM_400000_NS6detail17trampoline_kernelINS0_14default_configENS1_25partition_config_selectorILNS1_17partition_subalgoE8EyNS0_10empty_typeEbEEZZNS1_14partition_implILS5_8ELb0ES3_jN6thrust23THRUST_200600_302600_NS6detail15normal_iteratorINSA_10device_ptrIyEEEEPS6_PKS6_NS0_5tupleIJNSA_16discard_iteratorINSA_11use_defaultEEES6_EEENSJ_IJSG_SG_EEENS0_18inequality_wrapperINSA_8equal_toIyEEEEPmJS6_EEE10hipError_tPvRmT3_T4_T5_T6_T7_T9_mT8_P12ihipStream_tbDpT10_ENKUlT_T0_E_clISt17integral_constantIbLb0EES1D_EEDaS18_S19_EUlS18_E_NS1_11comp_targetILNS1_3genE4ELNS1_11target_archE910ELNS1_3gpuE8ELNS1_3repE0EEENS1_30default_config_static_selectorELNS0_4arch9wavefront6targetE1EEEvT1_,"axG",@progbits,_ZN7rocprim17ROCPRIM_400000_NS6detail17trampoline_kernelINS0_14default_configENS1_25partition_config_selectorILNS1_17partition_subalgoE8EyNS0_10empty_typeEbEEZZNS1_14partition_implILS5_8ELb0ES3_jN6thrust23THRUST_200600_302600_NS6detail15normal_iteratorINSA_10device_ptrIyEEEEPS6_PKS6_NS0_5tupleIJNSA_16discard_iteratorINSA_11use_defaultEEES6_EEENSJ_IJSG_SG_EEENS0_18inequality_wrapperINSA_8equal_toIyEEEEPmJS6_EEE10hipError_tPvRmT3_T4_T5_T6_T7_T9_mT8_P12ihipStream_tbDpT10_ENKUlT_T0_E_clISt17integral_constantIbLb0EES1D_EEDaS18_S19_EUlS18_E_NS1_11comp_targetILNS1_3genE4ELNS1_11target_archE910ELNS1_3gpuE8ELNS1_3repE0EEENS1_30default_config_static_selectorELNS0_4arch9wavefront6targetE1EEEvT1_,comdat
.Lfunc_end535:
	.size	_ZN7rocprim17ROCPRIM_400000_NS6detail17trampoline_kernelINS0_14default_configENS1_25partition_config_selectorILNS1_17partition_subalgoE8EyNS0_10empty_typeEbEEZZNS1_14partition_implILS5_8ELb0ES3_jN6thrust23THRUST_200600_302600_NS6detail15normal_iteratorINSA_10device_ptrIyEEEEPS6_PKS6_NS0_5tupleIJNSA_16discard_iteratorINSA_11use_defaultEEES6_EEENSJ_IJSG_SG_EEENS0_18inequality_wrapperINSA_8equal_toIyEEEEPmJS6_EEE10hipError_tPvRmT3_T4_T5_T6_T7_T9_mT8_P12ihipStream_tbDpT10_ENKUlT_T0_E_clISt17integral_constantIbLb0EES1D_EEDaS18_S19_EUlS18_E_NS1_11comp_targetILNS1_3genE4ELNS1_11target_archE910ELNS1_3gpuE8ELNS1_3repE0EEENS1_30default_config_static_selectorELNS0_4arch9wavefront6targetE1EEEvT1_, .Lfunc_end535-_ZN7rocprim17ROCPRIM_400000_NS6detail17trampoline_kernelINS0_14default_configENS1_25partition_config_selectorILNS1_17partition_subalgoE8EyNS0_10empty_typeEbEEZZNS1_14partition_implILS5_8ELb0ES3_jN6thrust23THRUST_200600_302600_NS6detail15normal_iteratorINSA_10device_ptrIyEEEEPS6_PKS6_NS0_5tupleIJNSA_16discard_iteratorINSA_11use_defaultEEES6_EEENSJ_IJSG_SG_EEENS0_18inequality_wrapperINSA_8equal_toIyEEEEPmJS6_EEE10hipError_tPvRmT3_T4_T5_T6_T7_T9_mT8_P12ihipStream_tbDpT10_ENKUlT_T0_E_clISt17integral_constantIbLb0EES1D_EEDaS18_S19_EUlS18_E_NS1_11comp_targetILNS1_3genE4ELNS1_11target_archE910ELNS1_3gpuE8ELNS1_3repE0EEENS1_30default_config_static_selectorELNS0_4arch9wavefront6targetE1EEEvT1_
                                        ; -- End function
	.set _ZN7rocprim17ROCPRIM_400000_NS6detail17trampoline_kernelINS0_14default_configENS1_25partition_config_selectorILNS1_17partition_subalgoE8EyNS0_10empty_typeEbEEZZNS1_14partition_implILS5_8ELb0ES3_jN6thrust23THRUST_200600_302600_NS6detail15normal_iteratorINSA_10device_ptrIyEEEEPS6_PKS6_NS0_5tupleIJNSA_16discard_iteratorINSA_11use_defaultEEES6_EEENSJ_IJSG_SG_EEENS0_18inequality_wrapperINSA_8equal_toIyEEEEPmJS6_EEE10hipError_tPvRmT3_T4_T5_T6_T7_T9_mT8_P12ihipStream_tbDpT10_ENKUlT_T0_E_clISt17integral_constantIbLb0EES1D_EEDaS18_S19_EUlS18_E_NS1_11comp_targetILNS1_3genE4ELNS1_11target_archE910ELNS1_3gpuE8ELNS1_3repE0EEENS1_30default_config_static_selectorELNS0_4arch9wavefront6targetE1EEEvT1_.num_vgpr, 0
	.set _ZN7rocprim17ROCPRIM_400000_NS6detail17trampoline_kernelINS0_14default_configENS1_25partition_config_selectorILNS1_17partition_subalgoE8EyNS0_10empty_typeEbEEZZNS1_14partition_implILS5_8ELb0ES3_jN6thrust23THRUST_200600_302600_NS6detail15normal_iteratorINSA_10device_ptrIyEEEEPS6_PKS6_NS0_5tupleIJNSA_16discard_iteratorINSA_11use_defaultEEES6_EEENSJ_IJSG_SG_EEENS0_18inequality_wrapperINSA_8equal_toIyEEEEPmJS6_EEE10hipError_tPvRmT3_T4_T5_T6_T7_T9_mT8_P12ihipStream_tbDpT10_ENKUlT_T0_E_clISt17integral_constantIbLb0EES1D_EEDaS18_S19_EUlS18_E_NS1_11comp_targetILNS1_3genE4ELNS1_11target_archE910ELNS1_3gpuE8ELNS1_3repE0EEENS1_30default_config_static_selectorELNS0_4arch9wavefront6targetE1EEEvT1_.num_agpr, 0
	.set _ZN7rocprim17ROCPRIM_400000_NS6detail17trampoline_kernelINS0_14default_configENS1_25partition_config_selectorILNS1_17partition_subalgoE8EyNS0_10empty_typeEbEEZZNS1_14partition_implILS5_8ELb0ES3_jN6thrust23THRUST_200600_302600_NS6detail15normal_iteratorINSA_10device_ptrIyEEEEPS6_PKS6_NS0_5tupleIJNSA_16discard_iteratorINSA_11use_defaultEEES6_EEENSJ_IJSG_SG_EEENS0_18inequality_wrapperINSA_8equal_toIyEEEEPmJS6_EEE10hipError_tPvRmT3_T4_T5_T6_T7_T9_mT8_P12ihipStream_tbDpT10_ENKUlT_T0_E_clISt17integral_constantIbLb0EES1D_EEDaS18_S19_EUlS18_E_NS1_11comp_targetILNS1_3genE4ELNS1_11target_archE910ELNS1_3gpuE8ELNS1_3repE0EEENS1_30default_config_static_selectorELNS0_4arch9wavefront6targetE1EEEvT1_.numbered_sgpr, 0
	.set _ZN7rocprim17ROCPRIM_400000_NS6detail17trampoline_kernelINS0_14default_configENS1_25partition_config_selectorILNS1_17partition_subalgoE8EyNS0_10empty_typeEbEEZZNS1_14partition_implILS5_8ELb0ES3_jN6thrust23THRUST_200600_302600_NS6detail15normal_iteratorINSA_10device_ptrIyEEEEPS6_PKS6_NS0_5tupleIJNSA_16discard_iteratorINSA_11use_defaultEEES6_EEENSJ_IJSG_SG_EEENS0_18inequality_wrapperINSA_8equal_toIyEEEEPmJS6_EEE10hipError_tPvRmT3_T4_T5_T6_T7_T9_mT8_P12ihipStream_tbDpT10_ENKUlT_T0_E_clISt17integral_constantIbLb0EES1D_EEDaS18_S19_EUlS18_E_NS1_11comp_targetILNS1_3genE4ELNS1_11target_archE910ELNS1_3gpuE8ELNS1_3repE0EEENS1_30default_config_static_selectorELNS0_4arch9wavefront6targetE1EEEvT1_.num_named_barrier, 0
	.set _ZN7rocprim17ROCPRIM_400000_NS6detail17trampoline_kernelINS0_14default_configENS1_25partition_config_selectorILNS1_17partition_subalgoE8EyNS0_10empty_typeEbEEZZNS1_14partition_implILS5_8ELb0ES3_jN6thrust23THRUST_200600_302600_NS6detail15normal_iteratorINSA_10device_ptrIyEEEEPS6_PKS6_NS0_5tupleIJNSA_16discard_iteratorINSA_11use_defaultEEES6_EEENSJ_IJSG_SG_EEENS0_18inequality_wrapperINSA_8equal_toIyEEEEPmJS6_EEE10hipError_tPvRmT3_T4_T5_T6_T7_T9_mT8_P12ihipStream_tbDpT10_ENKUlT_T0_E_clISt17integral_constantIbLb0EES1D_EEDaS18_S19_EUlS18_E_NS1_11comp_targetILNS1_3genE4ELNS1_11target_archE910ELNS1_3gpuE8ELNS1_3repE0EEENS1_30default_config_static_selectorELNS0_4arch9wavefront6targetE1EEEvT1_.private_seg_size, 0
	.set _ZN7rocprim17ROCPRIM_400000_NS6detail17trampoline_kernelINS0_14default_configENS1_25partition_config_selectorILNS1_17partition_subalgoE8EyNS0_10empty_typeEbEEZZNS1_14partition_implILS5_8ELb0ES3_jN6thrust23THRUST_200600_302600_NS6detail15normal_iteratorINSA_10device_ptrIyEEEEPS6_PKS6_NS0_5tupleIJNSA_16discard_iteratorINSA_11use_defaultEEES6_EEENSJ_IJSG_SG_EEENS0_18inequality_wrapperINSA_8equal_toIyEEEEPmJS6_EEE10hipError_tPvRmT3_T4_T5_T6_T7_T9_mT8_P12ihipStream_tbDpT10_ENKUlT_T0_E_clISt17integral_constantIbLb0EES1D_EEDaS18_S19_EUlS18_E_NS1_11comp_targetILNS1_3genE4ELNS1_11target_archE910ELNS1_3gpuE8ELNS1_3repE0EEENS1_30default_config_static_selectorELNS0_4arch9wavefront6targetE1EEEvT1_.uses_vcc, 0
	.set _ZN7rocprim17ROCPRIM_400000_NS6detail17trampoline_kernelINS0_14default_configENS1_25partition_config_selectorILNS1_17partition_subalgoE8EyNS0_10empty_typeEbEEZZNS1_14partition_implILS5_8ELb0ES3_jN6thrust23THRUST_200600_302600_NS6detail15normal_iteratorINSA_10device_ptrIyEEEEPS6_PKS6_NS0_5tupleIJNSA_16discard_iteratorINSA_11use_defaultEEES6_EEENSJ_IJSG_SG_EEENS0_18inequality_wrapperINSA_8equal_toIyEEEEPmJS6_EEE10hipError_tPvRmT3_T4_T5_T6_T7_T9_mT8_P12ihipStream_tbDpT10_ENKUlT_T0_E_clISt17integral_constantIbLb0EES1D_EEDaS18_S19_EUlS18_E_NS1_11comp_targetILNS1_3genE4ELNS1_11target_archE910ELNS1_3gpuE8ELNS1_3repE0EEENS1_30default_config_static_selectorELNS0_4arch9wavefront6targetE1EEEvT1_.uses_flat_scratch, 0
	.set _ZN7rocprim17ROCPRIM_400000_NS6detail17trampoline_kernelINS0_14default_configENS1_25partition_config_selectorILNS1_17partition_subalgoE8EyNS0_10empty_typeEbEEZZNS1_14partition_implILS5_8ELb0ES3_jN6thrust23THRUST_200600_302600_NS6detail15normal_iteratorINSA_10device_ptrIyEEEEPS6_PKS6_NS0_5tupleIJNSA_16discard_iteratorINSA_11use_defaultEEES6_EEENSJ_IJSG_SG_EEENS0_18inequality_wrapperINSA_8equal_toIyEEEEPmJS6_EEE10hipError_tPvRmT3_T4_T5_T6_T7_T9_mT8_P12ihipStream_tbDpT10_ENKUlT_T0_E_clISt17integral_constantIbLb0EES1D_EEDaS18_S19_EUlS18_E_NS1_11comp_targetILNS1_3genE4ELNS1_11target_archE910ELNS1_3gpuE8ELNS1_3repE0EEENS1_30default_config_static_selectorELNS0_4arch9wavefront6targetE1EEEvT1_.has_dyn_sized_stack, 0
	.set _ZN7rocprim17ROCPRIM_400000_NS6detail17trampoline_kernelINS0_14default_configENS1_25partition_config_selectorILNS1_17partition_subalgoE8EyNS0_10empty_typeEbEEZZNS1_14partition_implILS5_8ELb0ES3_jN6thrust23THRUST_200600_302600_NS6detail15normal_iteratorINSA_10device_ptrIyEEEEPS6_PKS6_NS0_5tupleIJNSA_16discard_iteratorINSA_11use_defaultEEES6_EEENSJ_IJSG_SG_EEENS0_18inequality_wrapperINSA_8equal_toIyEEEEPmJS6_EEE10hipError_tPvRmT3_T4_T5_T6_T7_T9_mT8_P12ihipStream_tbDpT10_ENKUlT_T0_E_clISt17integral_constantIbLb0EES1D_EEDaS18_S19_EUlS18_E_NS1_11comp_targetILNS1_3genE4ELNS1_11target_archE910ELNS1_3gpuE8ELNS1_3repE0EEENS1_30default_config_static_selectorELNS0_4arch9wavefront6targetE1EEEvT1_.has_recursion, 0
	.set _ZN7rocprim17ROCPRIM_400000_NS6detail17trampoline_kernelINS0_14default_configENS1_25partition_config_selectorILNS1_17partition_subalgoE8EyNS0_10empty_typeEbEEZZNS1_14partition_implILS5_8ELb0ES3_jN6thrust23THRUST_200600_302600_NS6detail15normal_iteratorINSA_10device_ptrIyEEEEPS6_PKS6_NS0_5tupleIJNSA_16discard_iteratorINSA_11use_defaultEEES6_EEENSJ_IJSG_SG_EEENS0_18inequality_wrapperINSA_8equal_toIyEEEEPmJS6_EEE10hipError_tPvRmT3_T4_T5_T6_T7_T9_mT8_P12ihipStream_tbDpT10_ENKUlT_T0_E_clISt17integral_constantIbLb0EES1D_EEDaS18_S19_EUlS18_E_NS1_11comp_targetILNS1_3genE4ELNS1_11target_archE910ELNS1_3gpuE8ELNS1_3repE0EEENS1_30default_config_static_selectorELNS0_4arch9wavefront6targetE1EEEvT1_.has_indirect_call, 0
	.section	.AMDGPU.csdata,"",@progbits
; Kernel info:
; codeLenInByte = 0
; TotalNumSgprs: 4
; NumVgprs: 0
; ScratchSize: 0
; MemoryBound: 0
; FloatMode: 240
; IeeeMode: 1
; LDSByteSize: 0 bytes/workgroup (compile time only)
; SGPRBlocks: 0
; VGPRBlocks: 0
; NumSGPRsForWavesPerEU: 4
; NumVGPRsForWavesPerEU: 1
; Occupancy: 10
; WaveLimiterHint : 0
; COMPUTE_PGM_RSRC2:SCRATCH_EN: 0
; COMPUTE_PGM_RSRC2:USER_SGPR: 6
; COMPUTE_PGM_RSRC2:TRAP_HANDLER: 0
; COMPUTE_PGM_RSRC2:TGID_X_EN: 1
; COMPUTE_PGM_RSRC2:TGID_Y_EN: 0
; COMPUTE_PGM_RSRC2:TGID_Z_EN: 0
; COMPUTE_PGM_RSRC2:TIDIG_COMP_CNT: 0
	.section	.text._ZN7rocprim17ROCPRIM_400000_NS6detail17trampoline_kernelINS0_14default_configENS1_25partition_config_selectorILNS1_17partition_subalgoE8EyNS0_10empty_typeEbEEZZNS1_14partition_implILS5_8ELb0ES3_jN6thrust23THRUST_200600_302600_NS6detail15normal_iteratorINSA_10device_ptrIyEEEEPS6_PKS6_NS0_5tupleIJNSA_16discard_iteratorINSA_11use_defaultEEES6_EEENSJ_IJSG_SG_EEENS0_18inequality_wrapperINSA_8equal_toIyEEEEPmJS6_EEE10hipError_tPvRmT3_T4_T5_T6_T7_T9_mT8_P12ihipStream_tbDpT10_ENKUlT_T0_E_clISt17integral_constantIbLb0EES1D_EEDaS18_S19_EUlS18_E_NS1_11comp_targetILNS1_3genE3ELNS1_11target_archE908ELNS1_3gpuE7ELNS1_3repE0EEENS1_30default_config_static_selectorELNS0_4arch9wavefront6targetE1EEEvT1_,"axG",@progbits,_ZN7rocprim17ROCPRIM_400000_NS6detail17trampoline_kernelINS0_14default_configENS1_25partition_config_selectorILNS1_17partition_subalgoE8EyNS0_10empty_typeEbEEZZNS1_14partition_implILS5_8ELb0ES3_jN6thrust23THRUST_200600_302600_NS6detail15normal_iteratorINSA_10device_ptrIyEEEEPS6_PKS6_NS0_5tupleIJNSA_16discard_iteratorINSA_11use_defaultEEES6_EEENSJ_IJSG_SG_EEENS0_18inequality_wrapperINSA_8equal_toIyEEEEPmJS6_EEE10hipError_tPvRmT3_T4_T5_T6_T7_T9_mT8_P12ihipStream_tbDpT10_ENKUlT_T0_E_clISt17integral_constantIbLb0EES1D_EEDaS18_S19_EUlS18_E_NS1_11comp_targetILNS1_3genE3ELNS1_11target_archE908ELNS1_3gpuE7ELNS1_3repE0EEENS1_30default_config_static_selectorELNS0_4arch9wavefront6targetE1EEEvT1_,comdat
	.protected	_ZN7rocprim17ROCPRIM_400000_NS6detail17trampoline_kernelINS0_14default_configENS1_25partition_config_selectorILNS1_17partition_subalgoE8EyNS0_10empty_typeEbEEZZNS1_14partition_implILS5_8ELb0ES3_jN6thrust23THRUST_200600_302600_NS6detail15normal_iteratorINSA_10device_ptrIyEEEEPS6_PKS6_NS0_5tupleIJNSA_16discard_iteratorINSA_11use_defaultEEES6_EEENSJ_IJSG_SG_EEENS0_18inequality_wrapperINSA_8equal_toIyEEEEPmJS6_EEE10hipError_tPvRmT3_T4_T5_T6_T7_T9_mT8_P12ihipStream_tbDpT10_ENKUlT_T0_E_clISt17integral_constantIbLb0EES1D_EEDaS18_S19_EUlS18_E_NS1_11comp_targetILNS1_3genE3ELNS1_11target_archE908ELNS1_3gpuE7ELNS1_3repE0EEENS1_30default_config_static_selectorELNS0_4arch9wavefront6targetE1EEEvT1_ ; -- Begin function _ZN7rocprim17ROCPRIM_400000_NS6detail17trampoline_kernelINS0_14default_configENS1_25partition_config_selectorILNS1_17partition_subalgoE8EyNS0_10empty_typeEbEEZZNS1_14partition_implILS5_8ELb0ES3_jN6thrust23THRUST_200600_302600_NS6detail15normal_iteratorINSA_10device_ptrIyEEEEPS6_PKS6_NS0_5tupleIJNSA_16discard_iteratorINSA_11use_defaultEEES6_EEENSJ_IJSG_SG_EEENS0_18inequality_wrapperINSA_8equal_toIyEEEEPmJS6_EEE10hipError_tPvRmT3_T4_T5_T6_T7_T9_mT8_P12ihipStream_tbDpT10_ENKUlT_T0_E_clISt17integral_constantIbLb0EES1D_EEDaS18_S19_EUlS18_E_NS1_11comp_targetILNS1_3genE3ELNS1_11target_archE908ELNS1_3gpuE7ELNS1_3repE0EEENS1_30default_config_static_selectorELNS0_4arch9wavefront6targetE1EEEvT1_
	.globl	_ZN7rocprim17ROCPRIM_400000_NS6detail17trampoline_kernelINS0_14default_configENS1_25partition_config_selectorILNS1_17partition_subalgoE8EyNS0_10empty_typeEbEEZZNS1_14partition_implILS5_8ELb0ES3_jN6thrust23THRUST_200600_302600_NS6detail15normal_iteratorINSA_10device_ptrIyEEEEPS6_PKS6_NS0_5tupleIJNSA_16discard_iteratorINSA_11use_defaultEEES6_EEENSJ_IJSG_SG_EEENS0_18inequality_wrapperINSA_8equal_toIyEEEEPmJS6_EEE10hipError_tPvRmT3_T4_T5_T6_T7_T9_mT8_P12ihipStream_tbDpT10_ENKUlT_T0_E_clISt17integral_constantIbLb0EES1D_EEDaS18_S19_EUlS18_E_NS1_11comp_targetILNS1_3genE3ELNS1_11target_archE908ELNS1_3gpuE7ELNS1_3repE0EEENS1_30default_config_static_selectorELNS0_4arch9wavefront6targetE1EEEvT1_
	.p2align	8
	.type	_ZN7rocprim17ROCPRIM_400000_NS6detail17trampoline_kernelINS0_14default_configENS1_25partition_config_selectorILNS1_17partition_subalgoE8EyNS0_10empty_typeEbEEZZNS1_14partition_implILS5_8ELb0ES3_jN6thrust23THRUST_200600_302600_NS6detail15normal_iteratorINSA_10device_ptrIyEEEEPS6_PKS6_NS0_5tupleIJNSA_16discard_iteratorINSA_11use_defaultEEES6_EEENSJ_IJSG_SG_EEENS0_18inequality_wrapperINSA_8equal_toIyEEEEPmJS6_EEE10hipError_tPvRmT3_T4_T5_T6_T7_T9_mT8_P12ihipStream_tbDpT10_ENKUlT_T0_E_clISt17integral_constantIbLb0EES1D_EEDaS18_S19_EUlS18_E_NS1_11comp_targetILNS1_3genE3ELNS1_11target_archE908ELNS1_3gpuE7ELNS1_3repE0EEENS1_30default_config_static_selectorELNS0_4arch9wavefront6targetE1EEEvT1_,@function
_ZN7rocprim17ROCPRIM_400000_NS6detail17trampoline_kernelINS0_14default_configENS1_25partition_config_selectorILNS1_17partition_subalgoE8EyNS0_10empty_typeEbEEZZNS1_14partition_implILS5_8ELb0ES3_jN6thrust23THRUST_200600_302600_NS6detail15normal_iteratorINSA_10device_ptrIyEEEEPS6_PKS6_NS0_5tupleIJNSA_16discard_iteratorINSA_11use_defaultEEES6_EEENSJ_IJSG_SG_EEENS0_18inequality_wrapperINSA_8equal_toIyEEEEPmJS6_EEE10hipError_tPvRmT3_T4_T5_T6_T7_T9_mT8_P12ihipStream_tbDpT10_ENKUlT_T0_E_clISt17integral_constantIbLb0EES1D_EEDaS18_S19_EUlS18_E_NS1_11comp_targetILNS1_3genE3ELNS1_11target_archE908ELNS1_3gpuE7ELNS1_3repE0EEENS1_30default_config_static_selectorELNS0_4arch9wavefront6targetE1EEEvT1_: ; @_ZN7rocprim17ROCPRIM_400000_NS6detail17trampoline_kernelINS0_14default_configENS1_25partition_config_selectorILNS1_17partition_subalgoE8EyNS0_10empty_typeEbEEZZNS1_14partition_implILS5_8ELb0ES3_jN6thrust23THRUST_200600_302600_NS6detail15normal_iteratorINSA_10device_ptrIyEEEEPS6_PKS6_NS0_5tupleIJNSA_16discard_iteratorINSA_11use_defaultEEES6_EEENSJ_IJSG_SG_EEENS0_18inequality_wrapperINSA_8equal_toIyEEEEPmJS6_EEE10hipError_tPvRmT3_T4_T5_T6_T7_T9_mT8_P12ihipStream_tbDpT10_ENKUlT_T0_E_clISt17integral_constantIbLb0EES1D_EEDaS18_S19_EUlS18_E_NS1_11comp_targetILNS1_3genE3ELNS1_11target_archE908ELNS1_3gpuE7ELNS1_3repE0EEENS1_30default_config_static_selectorELNS0_4arch9wavefront6targetE1EEEvT1_
; %bb.0:
	.section	.rodata,"a",@progbits
	.p2align	6, 0x0
	.amdhsa_kernel _ZN7rocprim17ROCPRIM_400000_NS6detail17trampoline_kernelINS0_14default_configENS1_25partition_config_selectorILNS1_17partition_subalgoE8EyNS0_10empty_typeEbEEZZNS1_14partition_implILS5_8ELb0ES3_jN6thrust23THRUST_200600_302600_NS6detail15normal_iteratorINSA_10device_ptrIyEEEEPS6_PKS6_NS0_5tupleIJNSA_16discard_iteratorINSA_11use_defaultEEES6_EEENSJ_IJSG_SG_EEENS0_18inequality_wrapperINSA_8equal_toIyEEEEPmJS6_EEE10hipError_tPvRmT3_T4_T5_T6_T7_T9_mT8_P12ihipStream_tbDpT10_ENKUlT_T0_E_clISt17integral_constantIbLb0EES1D_EEDaS18_S19_EUlS18_E_NS1_11comp_targetILNS1_3genE3ELNS1_11target_archE908ELNS1_3gpuE7ELNS1_3repE0EEENS1_30default_config_static_selectorELNS0_4arch9wavefront6targetE1EEEvT1_
		.amdhsa_group_segment_fixed_size 0
		.amdhsa_private_segment_fixed_size 0
		.amdhsa_kernarg_size 120
		.amdhsa_user_sgpr_count 6
		.amdhsa_user_sgpr_private_segment_buffer 1
		.amdhsa_user_sgpr_dispatch_ptr 0
		.amdhsa_user_sgpr_queue_ptr 0
		.amdhsa_user_sgpr_kernarg_segment_ptr 1
		.amdhsa_user_sgpr_dispatch_id 0
		.amdhsa_user_sgpr_flat_scratch_init 0
		.amdhsa_user_sgpr_private_segment_size 0
		.amdhsa_uses_dynamic_stack 0
		.amdhsa_system_sgpr_private_segment_wavefront_offset 0
		.amdhsa_system_sgpr_workgroup_id_x 1
		.amdhsa_system_sgpr_workgroup_id_y 0
		.amdhsa_system_sgpr_workgroup_id_z 0
		.amdhsa_system_sgpr_workgroup_info 0
		.amdhsa_system_vgpr_workitem_id 0
		.amdhsa_next_free_vgpr 1
		.amdhsa_next_free_sgpr 0
		.amdhsa_reserve_vcc 0
		.amdhsa_reserve_flat_scratch 0
		.amdhsa_float_round_mode_32 0
		.amdhsa_float_round_mode_16_64 0
		.amdhsa_float_denorm_mode_32 3
		.amdhsa_float_denorm_mode_16_64 3
		.amdhsa_dx10_clamp 1
		.amdhsa_ieee_mode 1
		.amdhsa_fp16_overflow 0
		.amdhsa_exception_fp_ieee_invalid_op 0
		.amdhsa_exception_fp_denorm_src 0
		.amdhsa_exception_fp_ieee_div_zero 0
		.amdhsa_exception_fp_ieee_overflow 0
		.amdhsa_exception_fp_ieee_underflow 0
		.amdhsa_exception_fp_ieee_inexact 0
		.amdhsa_exception_int_div_zero 0
	.end_amdhsa_kernel
	.section	.text._ZN7rocprim17ROCPRIM_400000_NS6detail17trampoline_kernelINS0_14default_configENS1_25partition_config_selectorILNS1_17partition_subalgoE8EyNS0_10empty_typeEbEEZZNS1_14partition_implILS5_8ELb0ES3_jN6thrust23THRUST_200600_302600_NS6detail15normal_iteratorINSA_10device_ptrIyEEEEPS6_PKS6_NS0_5tupleIJNSA_16discard_iteratorINSA_11use_defaultEEES6_EEENSJ_IJSG_SG_EEENS0_18inequality_wrapperINSA_8equal_toIyEEEEPmJS6_EEE10hipError_tPvRmT3_T4_T5_T6_T7_T9_mT8_P12ihipStream_tbDpT10_ENKUlT_T0_E_clISt17integral_constantIbLb0EES1D_EEDaS18_S19_EUlS18_E_NS1_11comp_targetILNS1_3genE3ELNS1_11target_archE908ELNS1_3gpuE7ELNS1_3repE0EEENS1_30default_config_static_selectorELNS0_4arch9wavefront6targetE1EEEvT1_,"axG",@progbits,_ZN7rocprim17ROCPRIM_400000_NS6detail17trampoline_kernelINS0_14default_configENS1_25partition_config_selectorILNS1_17partition_subalgoE8EyNS0_10empty_typeEbEEZZNS1_14partition_implILS5_8ELb0ES3_jN6thrust23THRUST_200600_302600_NS6detail15normal_iteratorINSA_10device_ptrIyEEEEPS6_PKS6_NS0_5tupleIJNSA_16discard_iteratorINSA_11use_defaultEEES6_EEENSJ_IJSG_SG_EEENS0_18inequality_wrapperINSA_8equal_toIyEEEEPmJS6_EEE10hipError_tPvRmT3_T4_T5_T6_T7_T9_mT8_P12ihipStream_tbDpT10_ENKUlT_T0_E_clISt17integral_constantIbLb0EES1D_EEDaS18_S19_EUlS18_E_NS1_11comp_targetILNS1_3genE3ELNS1_11target_archE908ELNS1_3gpuE7ELNS1_3repE0EEENS1_30default_config_static_selectorELNS0_4arch9wavefront6targetE1EEEvT1_,comdat
.Lfunc_end536:
	.size	_ZN7rocprim17ROCPRIM_400000_NS6detail17trampoline_kernelINS0_14default_configENS1_25partition_config_selectorILNS1_17partition_subalgoE8EyNS0_10empty_typeEbEEZZNS1_14partition_implILS5_8ELb0ES3_jN6thrust23THRUST_200600_302600_NS6detail15normal_iteratorINSA_10device_ptrIyEEEEPS6_PKS6_NS0_5tupleIJNSA_16discard_iteratorINSA_11use_defaultEEES6_EEENSJ_IJSG_SG_EEENS0_18inequality_wrapperINSA_8equal_toIyEEEEPmJS6_EEE10hipError_tPvRmT3_T4_T5_T6_T7_T9_mT8_P12ihipStream_tbDpT10_ENKUlT_T0_E_clISt17integral_constantIbLb0EES1D_EEDaS18_S19_EUlS18_E_NS1_11comp_targetILNS1_3genE3ELNS1_11target_archE908ELNS1_3gpuE7ELNS1_3repE0EEENS1_30default_config_static_selectorELNS0_4arch9wavefront6targetE1EEEvT1_, .Lfunc_end536-_ZN7rocprim17ROCPRIM_400000_NS6detail17trampoline_kernelINS0_14default_configENS1_25partition_config_selectorILNS1_17partition_subalgoE8EyNS0_10empty_typeEbEEZZNS1_14partition_implILS5_8ELb0ES3_jN6thrust23THRUST_200600_302600_NS6detail15normal_iteratorINSA_10device_ptrIyEEEEPS6_PKS6_NS0_5tupleIJNSA_16discard_iteratorINSA_11use_defaultEEES6_EEENSJ_IJSG_SG_EEENS0_18inequality_wrapperINSA_8equal_toIyEEEEPmJS6_EEE10hipError_tPvRmT3_T4_T5_T6_T7_T9_mT8_P12ihipStream_tbDpT10_ENKUlT_T0_E_clISt17integral_constantIbLb0EES1D_EEDaS18_S19_EUlS18_E_NS1_11comp_targetILNS1_3genE3ELNS1_11target_archE908ELNS1_3gpuE7ELNS1_3repE0EEENS1_30default_config_static_selectorELNS0_4arch9wavefront6targetE1EEEvT1_
                                        ; -- End function
	.set _ZN7rocprim17ROCPRIM_400000_NS6detail17trampoline_kernelINS0_14default_configENS1_25partition_config_selectorILNS1_17partition_subalgoE8EyNS0_10empty_typeEbEEZZNS1_14partition_implILS5_8ELb0ES3_jN6thrust23THRUST_200600_302600_NS6detail15normal_iteratorINSA_10device_ptrIyEEEEPS6_PKS6_NS0_5tupleIJNSA_16discard_iteratorINSA_11use_defaultEEES6_EEENSJ_IJSG_SG_EEENS0_18inequality_wrapperINSA_8equal_toIyEEEEPmJS6_EEE10hipError_tPvRmT3_T4_T5_T6_T7_T9_mT8_P12ihipStream_tbDpT10_ENKUlT_T0_E_clISt17integral_constantIbLb0EES1D_EEDaS18_S19_EUlS18_E_NS1_11comp_targetILNS1_3genE3ELNS1_11target_archE908ELNS1_3gpuE7ELNS1_3repE0EEENS1_30default_config_static_selectorELNS0_4arch9wavefront6targetE1EEEvT1_.num_vgpr, 0
	.set _ZN7rocprim17ROCPRIM_400000_NS6detail17trampoline_kernelINS0_14default_configENS1_25partition_config_selectorILNS1_17partition_subalgoE8EyNS0_10empty_typeEbEEZZNS1_14partition_implILS5_8ELb0ES3_jN6thrust23THRUST_200600_302600_NS6detail15normal_iteratorINSA_10device_ptrIyEEEEPS6_PKS6_NS0_5tupleIJNSA_16discard_iteratorINSA_11use_defaultEEES6_EEENSJ_IJSG_SG_EEENS0_18inequality_wrapperINSA_8equal_toIyEEEEPmJS6_EEE10hipError_tPvRmT3_T4_T5_T6_T7_T9_mT8_P12ihipStream_tbDpT10_ENKUlT_T0_E_clISt17integral_constantIbLb0EES1D_EEDaS18_S19_EUlS18_E_NS1_11comp_targetILNS1_3genE3ELNS1_11target_archE908ELNS1_3gpuE7ELNS1_3repE0EEENS1_30default_config_static_selectorELNS0_4arch9wavefront6targetE1EEEvT1_.num_agpr, 0
	.set _ZN7rocprim17ROCPRIM_400000_NS6detail17trampoline_kernelINS0_14default_configENS1_25partition_config_selectorILNS1_17partition_subalgoE8EyNS0_10empty_typeEbEEZZNS1_14partition_implILS5_8ELb0ES3_jN6thrust23THRUST_200600_302600_NS6detail15normal_iteratorINSA_10device_ptrIyEEEEPS6_PKS6_NS0_5tupleIJNSA_16discard_iteratorINSA_11use_defaultEEES6_EEENSJ_IJSG_SG_EEENS0_18inequality_wrapperINSA_8equal_toIyEEEEPmJS6_EEE10hipError_tPvRmT3_T4_T5_T6_T7_T9_mT8_P12ihipStream_tbDpT10_ENKUlT_T0_E_clISt17integral_constantIbLb0EES1D_EEDaS18_S19_EUlS18_E_NS1_11comp_targetILNS1_3genE3ELNS1_11target_archE908ELNS1_3gpuE7ELNS1_3repE0EEENS1_30default_config_static_selectorELNS0_4arch9wavefront6targetE1EEEvT1_.numbered_sgpr, 0
	.set _ZN7rocprim17ROCPRIM_400000_NS6detail17trampoline_kernelINS0_14default_configENS1_25partition_config_selectorILNS1_17partition_subalgoE8EyNS0_10empty_typeEbEEZZNS1_14partition_implILS5_8ELb0ES3_jN6thrust23THRUST_200600_302600_NS6detail15normal_iteratorINSA_10device_ptrIyEEEEPS6_PKS6_NS0_5tupleIJNSA_16discard_iteratorINSA_11use_defaultEEES6_EEENSJ_IJSG_SG_EEENS0_18inequality_wrapperINSA_8equal_toIyEEEEPmJS6_EEE10hipError_tPvRmT3_T4_T5_T6_T7_T9_mT8_P12ihipStream_tbDpT10_ENKUlT_T0_E_clISt17integral_constantIbLb0EES1D_EEDaS18_S19_EUlS18_E_NS1_11comp_targetILNS1_3genE3ELNS1_11target_archE908ELNS1_3gpuE7ELNS1_3repE0EEENS1_30default_config_static_selectorELNS0_4arch9wavefront6targetE1EEEvT1_.num_named_barrier, 0
	.set _ZN7rocprim17ROCPRIM_400000_NS6detail17trampoline_kernelINS0_14default_configENS1_25partition_config_selectorILNS1_17partition_subalgoE8EyNS0_10empty_typeEbEEZZNS1_14partition_implILS5_8ELb0ES3_jN6thrust23THRUST_200600_302600_NS6detail15normal_iteratorINSA_10device_ptrIyEEEEPS6_PKS6_NS0_5tupleIJNSA_16discard_iteratorINSA_11use_defaultEEES6_EEENSJ_IJSG_SG_EEENS0_18inequality_wrapperINSA_8equal_toIyEEEEPmJS6_EEE10hipError_tPvRmT3_T4_T5_T6_T7_T9_mT8_P12ihipStream_tbDpT10_ENKUlT_T0_E_clISt17integral_constantIbLb0EES1D_EEDaS18_S19_EUlS18_E_NS1_11comp_targetILNS1_3genE3ELNS1_11target_archE908ELNS1_3gpuE7ELNS1_3repE0EEENS1_30default_config_static_selectorELNS0_4arch9wavefront6targetE1EEEvT1_.private_seg_size, 0
	.set _ZN7rocprim17ROCPRIM_400000_NS6detail17trampoline_kernelINS0_14default_configENS1_25partition_config_selectorILNS1_17partition_subalgoE8EyNS0_10empty_typeEbEEZZNS1_14partition_implILS5_8ELb0ES3_jN6thrust23THRUST_200600_302600_NS6detail15normal_iteratorINSA_10device_ptrIyEEEEPS6_PKS6_NS0_5tupleIJNSA_16discard_iteratorINSA_11use_defaultEEES6_EEENSJ_IJSG_SG_EEENS0_18inequality_wrapperINSA_8equal_toIyEEEEPmJS6_EEE10hipError_tPvRmT3_T4_T5_T6_T7_T9_mT8_P12ihipStream_tbDpT10_ENKUlT_T0_E_clISt17integral_constantIbLb0EES1D_EEDaS18_S19_EUlS18_E_NS1_11comp_targetILNS1_3genE3ELNS1_11target_archE908ELNS1_3gpuE7ELNS1_3repE0EEENS1_30default_config_static_selectorELNS0_4arch9wavefront6targetE1EEEvT1_.uses_vcc, 0
	.set _ZN7rocprim17ROCPRIM_400000_NS6detail17trampoline_kernelINS0_14default_configENS1_25partition_config_selectorILNS1_17partition_subalgoE8EyNS0_10empty_typeEbEEZZNS1_14partition_implILS5_8ELb0ES3_jN6thrust23THRUST_200600_302600_NS6detail15normal_iteratorINSA_10device_ptrIyEEEEPS6_PKS6_NS0_5tupleIJNSA_16discard_iteratorINSA_11use_defaultEEES6_EEENSJ_IJSG_SG_EEENS0_18inequality_wrapperINSA_8equal_toIyEEEEPmJS6_EEE10hipError_tPvRmT3_T4_T5_T6_T7_T9_mT8_P12ihipStream_tbDpT10_ENKUlT_T0_E_clISt17integral_constantIbLb0EES1D_EEDaS18_S19_EUlS18_E_NS1_11comp_targetILNS1_3genE3ELNS1_11target_archE908ELNS1_3gpuE7ELNS1_3repE0EEENS1_30default_config_static_selectorELNS0_4arch9wavefront6targetE1EEEvT1_.uses_flat_scratch, 0
	.set _ZN7rocprim17ROCPRIM_400000_NS6detail17trampoline_kernelINS0_14default_configENS1_25partition_config_selectorILNS1_17partition_subalgoE8EyNS0_10empty_typeEbEEZZNS1_14partition_implILS5_8ELb0ES3_jN6thrust23THRUST_200600_302600_NS6detail15normal_iteratorINSA_10device_ptrIyEEEEPS6_PKS6_NS0_5tupleIJNSA_16discard_iteratorINSA_11use_defaultEEES6_EEENSJ_IJSG_SG_EEENS0_18inequality_wrapperINSA_8equal_toIyEEEEPmJS6_EEE10hipError_tPvRmT3_T4_T5_T6_T7_T9_mT8_P12ihipStream_tbDpT10_ENKUlT_T0_E_clISt17integral_constantIbLb0EES1D_EEDaS18_S19_EUlS18_E_NS1_11comp_targetILNS1_3genE3ELNS1_11target_archE908ELNS1_3gpuE7ELNS1_3repE0EEENS1_30default_config_static_selectorELNS0_4arch9wavefront6targetE1EEEvT1_.has_dyn_sized_stack, 0
	.set _ZN7rocprim17ROCPRIM_400000_NS6detail17trampoline_kernelINS0_14default_configENS1_25partition_config_selectorILNS1_17partition_subalgoE8EyNS0_10empty_typeEbEEZZNS1_14partition_implILS5_8ELb0ES3_jN6thrust23THRUST_200600_302600_NS6detail15normal_iteratorINSA_10device_ptrIyEEEEPS6_PKS6_NS0_5tupleIJNSA_16discard_iteratorINSA_11use_defaultEEES6_EEENSJ_IJSG_SG_EEENS0_18inequality_wrapperINSA_8equal_toIyEEEEPmJS6_EEE10hipError_tPvRmT3_T4_T5_T6_T7_T9_mT8_P12ihipStream_tbDpT10_ENKUlT_T0_E_clISt17integral_constantIbLb0EES1D_EEDaS18_S19_EUlS18_E_NS1_11comp_targetILNS1_3genE3ELNS1_11target_archE908ELNS1_3gpuE7ELNS1_3repE0EEENS1_30default_config_static_selectorELNS0_4arch9wavefront6targetE1EEEvT1_.has_recursion, 0
	.set _ZN7rocprim17ROCPRIM_400000_NS6detail17trampoline_kernelINS0_14default_configENS1_25partition_config_selectorILNS1_17partition_subalgoE8EyNS0_10empty_typeEbEEZZNS1_14partition_implILS5_8ELb0ES3_jN6thrust23THRUST_200600_302600_NS6detail15normal_iteratorINSA_10device_ptrIyEEEEPS6_PKS6_NS0_5tupleIJNSA_16discard_iteratorINSA_11use_defaultEEES6_EEENSJ_IJSG_SG_EEENS0_18inequality_wrapperINSA_8equal_toIyEEEEPmJS6_EEE10hipError_tPvRmT3_T4_T5_T6_T7_T9_mT8_P12ihipStream_tbDpT10_ENKUlT_T0_E_clISt17integral_constantIbLb0EES1D_EEDaS18_S19_EUlS18_E_NS1_11comp_targetILNS1_3genE3ELNS1_11target_archE908ELNS1_3gpuE7ELNS1_3repE0EEENS1_30default_config_static_selectorELNS0_4arch9wavefront6targetE1EEEvT1_.has_indirect_call, 0
	.section	.AMDGPU.csdata,"",@progbits
; Kernel info:
; codeLenInByte = 0
; TotalNumSgprs: 4
; NumVgprs: 0
; ScratchSize: 0
; MemoryBound: 0
; FloatMode: 240
; IeeeMode: 1
; LDSByteSize: 0 bytes/workgroup (compile time only)
; SGPRBlocks: 0
; VGPRBlocks: 0
; NumSGPRsForWavesPerEU: 4
; NumVGPRsForWavesPerEU: 1
; Occupancy: 10
; WaveLimiterHint : 0
; COMPUTE_PGM_RSRC2:SCRATCH_EN: 0
; COMPUTE_PGM_RSRC2:USER_SGPR: 6
; COMPUTE_PGM_RSRC2:TRAP_HANDLER: 0
; COMPUTE_PGM_RSRC2:TGID_X_EN: 1
; COMPUTE_PGM_RSRC2:TGID_Y_EN: 0
; COMPUTE_PGM_RSRC2:TGID_Z_EN: 0
; COMPUTE_PGM_RSRC2:TIDIG_COMP_CNT: 0
	.section	.text._ZN7rocprim17ROCPRIM_400000_NS6detail17trampoline_kernelINS0_14default_configENS1_25partition_config_selectorILNS1_17partition_subalgoE8EyNS0_10empty_typeEbEEZZNS1_14partition_implILS5_8ELb0ES3_jN6thrust23THRUST_200600_302600_NS6detail15normal_iteratorINSA_10device_ptrIyEEEEPS6_PKS6_NS0_5tupleIJNSA_16discard_iteratorINSA_11use_defaultEEES6_EEENSJ_IJSG_SG_EEENS0_18inequality_wrapperINSA_8equal_toIyEEEEPmJS6_EEE10hipError_tPvRmT3_T4_T5_T6_T7_T9_mT8_P12ihipStream_tbDpT10_ENKUlT_T0_E_clISt17integral_constantIbLb0EES1D_EEDaS18_S19_EUlS18_E_NS1_11comp_targetILNS1_3genE2ELNS1_11target_archE906ELNS1_3gpuE6ELNS1_3repE0EEENS1_30default_config_static_selectorELNS0_4arch9wavefront6targetE1EEEvT1_,"axG",@progbits,_ZN7rocprim17ROCPRIM_400000_NS6detail17trampoline_kernelINS0_14default_configENS1_25partition_config_selectorILNS1_17partition_subalgoE8EyNS0_10empty_typeEbEEZZNS1_14partition_implILS5_8ELb0ES3_jN6thrust23THRUST_200600_302600_NS6detail15normal_iteratorINSA_10device_ptrIyEEEEPS6_PKS6_NS0_5tupleIJNSA_16discard_iteratorINSA_11use_defaultEEES6_EEENSJ_IJSG_SG_EEENS0_18inequality_wrapperINSA_8equal_toIyEEEEPmJS6_EEE10hipError_tPvRmT3_T4_T5_T6_T7_T9_mT8_P12ihipStream_tbDpT10_ENKUlT_T0_E_clISt17integral_constantIbLb0EES1D_EEDaS18_S19_EUlS18_E_NS1_11comp_targetILNS1_3genE2ELNS1_11target_archE906ELNS1_3gpuE6ELNS1_3repE0EEENS1_30default_config_static_selectorELNS0_4arch9wavefront6targetE1EEEvT1_,comdat
	.protected	_ZN7rocprim17ROCPRIM_400000_NS6detail17trampoline_kernelINS0_14default_configENS1_25partition_config_selectorILNS1_17partition_subalgoE8EyNS0_10empty_typeEbEEZZNS1_14partition_implILS5_8ELb0ES3_jN6thrust23THRUST_200600_302600_NS6detail15normal_iteratorINSA_10device_ptrIyEEEEPS6_PKS6_NS0_5tupleIJNSA_16discard_iteratorINSA_11use_defaultEEES6_EEENSJ_IJSG_SG_EEENS0_18inequality_wrapperINSA_8equal_toIyEEEEPmJS6_EEE10hipError_tPvRmT3_T4_T5_T6_T7_T9_mT8_P12ihipStream_tbDpT10_ENKUlT_T0_E_clISt17integral_constantIbLb0EES1D_EEDaS18_S19_EUlS18_E_NS1_11comp_targetILNS1_3genE2ELNS1_11target_archE906ELNS1_3gpuE6ELNS1_3repE0EEENS1_30default_config_static_selectorELNS0_4arch9wavefront6targetE1EEEvT1_ ; -- Begin function _ZN7rocprim17ROCPRIM_400000_NS6detail17trampoline_kernelINS0_14default_configENS1_25partition_config_selectorILNS1_17partition_subalgoE8EyNS0_10empty_typeEbEEZZNS1_14partition_implILS5_8ELb0ES3_jN6thrust23THRUST_200600_302600_NS6detail15normal_iteratorINSA_10device_ptrIyEEEEPS6_PKS6_NS0_5tupleIJNSA_16discard_iteratorINSA_11use_defaultEEES6_EEENSJ_IJSG_SG_EEENS0_18inequality_wrapperINSA_8equal_toIyEEEEPmJS6_EEE10hipError_tPvRmT3_T4_T5_T6_T7_T9_mT8_P12ihipStream_tbDpT10_ENKUlT_T0_E_clISt17integral_constantIbLb0EES1D_EEDaS18_S19_EUlS18_E_NS1_11comp_targetILNS1_3genE2ELNS1_11target_archE906ELNS1_3gpuE6ELNS1_3repE0EEENS1_30default_config_static_selectorELNS0_4arch9wavefront6targetE1EEEvT1_
	.globl	_ZN7rocprim17ROCPRIM_400000_NS6detail17trampoline_kernelINS0_14default_configENS1_25partition_config_selectorILNS1_17partition_subalgoE8EyNS0_10empty_typeEbEEZZNS1_14partition_implILS5_8ELb0ES3_jN6thrust23THRUST_200600_302600_NS6detail15normal_iteratorINSA_10device_ptrIyEEEEPS6_PKS6_NS0_5tupleIJNSA_16discard_iteratorINSA_11use_defaultEEES6_EEENSJ_IJSG_SG_EEENS0_18inequality_wrapperINSA_8equal_toIyEEEEPmJS6_EEE10hipError_tPvRmT3_T4_T5_T6_T7_T9_mT8_P12ihipStream_tbDpT10_ENKUlT_T0_E_clISt17integral_constantIbLb0EES1D_EEDaS18_S19_EUlS18_E_NS1_11comp_targetILNS1_3genE2ELNS1_11target_archE906ELNS1_3gpuE6ELNS1_3repE0EEENS1_30default_config_static_selectorELNS0_4arch9wavefront6targetE1EEEvT1_
	.p2align	8
	.type	_ZN7rocprim17ROCPRIM_400000_NS6detail17trampoline_kernelINS0_14default_configENS1_25partition_config_selectorILNS1_17partition_subalgoE8EyNS0_10empty_typeEbEEZZNS1_14partition_implILS5_8ELb0ES3_jN6thrust23THRUST_200600_302600_NS6detail15normal_iteratorINSA_10device_ptrIyEEEEPS6_PKS6_NS0_5tupleIJNSA_16discard_iteratorINSA_11use_defaultEEES6_EEENSJ_IJSG_SG_EEENS0_18inequality_wrapperINSA_8equal_toIyEEEEPmJS6_EEE10hipError_tPvRmT3_T4_T5_T6_T7_T9_mT8_P12ihipStream_tbDpT10_ENKUlT_T0_E_clISt17integral_constantIbLb0EES1D_EEDaS18_S19_EUlS18_E_NS1_11comp_targetILNS1_3genE2ELNS1_11target_archE906ELNS1_3gpuE6ELNS1_3repE0EEENS1_30default_config_static_selectorELNS0_4arch9wavefront6targetE1EEEvT1_,@function
_ZN7rocprim17ROCPRIM_400000_NS6detail17trampoline_kernelINS0_14default_configENS1_25partition_config_selectorILNS1_17partition_subalgoE8EyNS0_10empty_typeEbEEZZNS1_14partition_implILS5_8ELb0ES3_jN6thrust23THRUST_200600_302600_NS6detail15normal_iteratorINSA_10device_ptrIyEEEEPS6_PKS6_NS0_5tupleIJNSA_16discard_iteratorINSA_11use_defaultEEES6_EEENSJ_IJSG_SG_EEENS0_18inequality_wrapperINSA_8equal_toIyEEEEPmJS6_EEE10hipError_tPvRmT3_T4_T5_T6_T7_T9_mT8_P12ihipStream_tbDpT10_ENKUlT_T0_E_clISt17integral_constantIbLb0EES1D_EEDaS18_S19_EUlS18_E_NS1_11comp_targetILNS1_3genE2ELNS1_11target_archE906ELNS1_3gpuE6ELNS1_3repE0EEENS1_30default_config_static_selectorELNS0_4arch9wavefront6targetE1EEEvT1_: ; @_ZN7rocprim17ROCPRIM_400000_NS6detail17trampoline_kernelINS0_14default_configENS1_25partition_config_selectorILNS1_17partition_subalgoE8EyNS0_10empty_typeEbEEZZNS1_14partition_implILS5_8ELb0ES3_jN6thrust23THRUST_200600_302600_NS6detail15normal_iteratorINSA_10device_ptrIyEEEEPS6_PKS6_NS0_5tupleIJNSA_16discard_iteratorINSA_11use_defaultEEES6_EEENSJ_IJSG_SG_EEENS0_18inequality_wrapperINSA_8equal_toIyEEEEPmJS6_EEE10hipError_tPvRmT3_T4_T5_T6_T7_T9_mT8_P12ihipStream_tbDpT10_ENKUlT_T0_E_clISt17integral_constantIbLb0EES1D_EEDaS18_S19_EUlS18_E_NS1_11comp_targetILNS1_3genE2ELNS1_11target_archE906ELNS1_3gpuE6ELNS1_3repE0EEENS1_30default_config_static_selectorELNS0_4arch9wavefront6targetE1EEEvT1_
; %bb.0:
	s_load_dwordx4 s[0:3], s[4:5], 0x8
	s_load_dwordx4 s[20:23], s[4:5], 0x48
	s_load_dwordx2 s[8:9], s[4:5], 0x58
	s_load_dword s7, s[4:5], 0x70
	v_lshlrev_b32_e32 v20, 3, v0
	s_waitcnt lgkmcnt(0)
	s_lshl_b64 s[10:11], s[2:3], 3
	s_add_u32 s12, s0, s10
	s_addc_u32 s13, s1, s11
	s_mul_i32 s0, s7, 0x700
	s_add_i32 s1, s0, s2
	s_add_i32 s14, s7, -1
	s_sub_i32 s7, s8, s1
	s_add_u32 s0, s2, s0
	s_addc_u32 s1, s3, 0
	v_mov_b32_e32 v2, s1
	v_mov_b32_e32 v1, s0
	v_cmp_le_u64_e32 vcc, s[8:9], v[1:2]
	s_cmp_eq_u32 s6, s14
	s_load_dwordx2 s[22:23], s[22:23], 0x0
	s_cselect_b64 s[24:25], -1, 0
	s_mul_i32 s10, s6, 0x700
	s_mov_b32 s11, 0
	s_and_b64 s[16:17], s[24:25], vcc
	s_xor_b64 s[8:9], s[16:17], -1
	s_lshl_b64 s[10:11], s[10:11], 3
	s_add_u32 s10, s12, s10
	s_mov_b64 s[0:1], -1
	s_addc_u32 s11, s13, s11
	s_and_b64 vcc, exec, s[8:9]
	s_cbranch_vccz .LBB537_2
; %bb.1:
	v_mov_b32_e32 v2, s11
	v_add_co_u32_e32 v1, vcc, s10, v20
	v_addc_co_u32_e32 v2, vcc, 0, v2, vcc
	v_add_co_u32_e32 v3, vcc, 0x1000, v1
	v_addc_co_u32_e32 v4, vcc, 0, v2, vcc
	flat_load_dwordx2 v[5:6], v[1:2]
	flat_load_dwordx2 v[7:8], v[1:2] offset:2048
	flat_load_dwordx2 v[9:10], v[3:4]
	flat_load_dwordx2 v[11:12], v[3:4] offset:2048
	v_add_co_u32_e32 v3, vcc, 0x2000, v1
	v_addc_co_u32_e32 v4, vcc, 0, v2, vcc
	v_add_co_u32_e32 v1, vcc, 0x3000, v1
	v_addc_co_u32_e32 v2, vcc, 0, v2, vcc
	flat_load_dwordx2 v[13:14], v[3:4]
	flat_load_dwordx2 v[15:16], v[3:4] offset:2048
	flat_load_dwordx2 v[17:18], v[1:2]
	s_mov_b64 s[0:1], 0
	s_waitcnt vmcnt(0) lgkmcnt(0)
	ds_write2st64_b64 v20, v[5:6], v[7:8] offset1:4
	ds_write2st64_b64 v20, v[9:10], v[11:12] offset0:8 offset1:12
	ds_write2st64_b64 v20, v[13:14], v[15:16] offset0:16 offset1:20
	ds_write_b64 v20, v[17:18] offset:12288
	s_waitcnt lgkmcnt(0)
	s_barrier
.LBB537_2:
	s_andn2_b64 vcc, exec, s[0:1]
	s_addk_i32 s7, 0x700
	s_cbranch_vccnz .LBB537_18
; %bb.3:
	v_mov_b32_e32 v1, 0
	v_cmp_gt_u32_e32 vcc, s7, v0
	v_mov_b32_e32 v2, v1
	v_mov_b32_e32 v3, v1
	;; [unrolled: 1-line block ×13, first 2 shown]
	s_and_saveexec_b64 s[0:1], vcc
	s_cbranch_execz .LBB537_5
; %bb.4:
	v_mov_b32_e32 v3, s11
	v_add_co_u32_e32 v2, vcc, s10, v20
	v_addc_co_u32_e32 v3, vcc, 0, v3, vcc
	flat_load_dwordx2 v[2:3], v[2:3]
	v_mov_b32_e32 v4, v1
	v_mov_b32_e32 v5, v1
	;; [unrolled: 1-line block ×12, first 2 shown]
	s_waitcnt vmcnt(0) lgkmcnt(0)
	v_mov_b32_e32 v1, v2
	v_mov_b32_e32 v2, v3
	;; [unrolled: 1-line block ×16, first 2 shown]
.LBB537_5:
	s_or_b64 exec, exec, s[0:1]
	v_or_b32_e32 v15, 0x100, v0
	v_cmp_gt_u32_e32 vcc, s7, v15
	s_and_saveexec_b64 s[0:1], vcc
	s_cbranch_execz .LBB537_7
; %bb.6:
	v_mov_b32_e32 v4, s11
	v_add_co_u32_e32 v3, vcc, s10, v20
	v_addc_co_u32_e32 v4, vcc, 0, v4, vcc
	flat_load_dwordx2 v[3:4], v[3:4] offset:2048
.LBB537_7:
	s_or_b64 exec, exec, s[0:1]
	v_or_b32_e32 v15, 0x200, v0
	v_cmp_gt_u32_e32 vcc, s7, v15
	s_and_saveexec_b64 s[0:1], vcc
	s_cbranch_execz .LBB537_9
; %bb.8:
	v_lshlrev_b32_e32 v5, 3, v15
	v_mov_b32_e32 v6, s11
	v_add_co_u32_e32 v5, vcc, s10, v5
	v_addc_co_u32_e32 v6, vcc, 0, v6, vcc
	flat_load_dwordx2 v[5:6], v[5:6]
.LBB537_9:
	s_or_b64 exec, exec, s[0:1]
	v_or_b32_e32 v15, 0x300, v0
	v_cmp_gt_u32_e32 vcc, s7, v15
	s_and_saveexec_b64 s[0:1], vcc
	s_cbranch_execz .LBB537_11
; %bb.10:
	v_lshlrev_b32_e32 v7, 3, v15
	v_mov_b32_e32 v8, s11
	v_add_co_u32_e32 v7, vcc, s10, v7
	v_addc_co_u32_e32 v8, vcc, 0, v8, vcc
	flat_load_dwordx2 v[7:8], v[7:8]
.LBB537_11:
	;; [unrolled: 12-line block ×5, first 2 shown]
	s_or_b64 exec, exec, s[0:1]
	s_waitcnt vmcnt(0) lgkmcnt(0)
	ds_write2st64_b64 v20, v[1:2], v[3:4] offset1:4
	ds_write2st64_b64 v20, v[5:6], v[7:8] offset0:8 offset1:12
	ds_write2st64_b64 v20, v[9:10], v[11:12] offset0:16 offset1:20
	ds_write_b64 v20, v[13:14] offset:12288
	s_waitcnt lgkmcnt(0)
	s_barrier
.LBB537_18:
	v_mul_u32_u24_e32 v19, 7, v0
	v_lshlrev_b32_e32 v21, 3, v19
	s_waitcnt lgkmcnt(0)
	ds_read2_b64 v[9:12], v21 offset1:1
	ds_read2_b64 v[5:8], v21 offset0:2 offset1:3
	ds_read2_b64 v[1:4], v21 offset0:4 offset1:5
	ds_read_b64 v[13:14], v21 offset:48
	s_cmp_lg_u32 s6, 0
	s_cselect_b64 s[18:19], -1, 0
	s_cmp_lg_u64 s[2:3], 0
	s_cselect_b64 s[0:1], -1, 0
	s_or_b64 s[0:1], s[18:19], s[0:1]
	s_mov_b64 s[26:27], 0
	s_and_b64 vcc, exec, s[0:1]
	s_waitcnt lgkmcnt(0)
	s_barrier
	s_cbranch_vccz .LBB537_23
; %bb.19:
	v_mov_b32_e32 v16, s11
	v_add_co_u32_e64 v15, vcc, -8, s10
	v_addc_co_u32_e32 v16, vcc, -1, v16, vcc
	flat_load_dwordx2 v[15:16], v[15:16]
	s_and_b64 vcc, exec, s[8:9]
	ds_write_b64 v20, v[13:14]
	s_cbranch_vccz .LBB537_24
; %bb.20:
	s_waitcnt vmcnt(0) lgkmcnt(0)
	v_mov_b32_e32 v18, v16
	v_cmp_ne_u32_e32 vcc, 0, v0
	v_mov_b32_e32 v17, v15
	s_barrier
	s_and_saveexec_b64 s[0:1], vcc
; %bb.21:
	v_add_u32_e32 v17, -8, v20
	ds_read_b64 v[17:18], v17
; %bb.22:
	s_or_b64 exec, exec, s[0:1]
	v_cmp_ne_u64_e32 vcc, v[3:4], v[13:14]
	s_waitcnt lgkmcnt(0)
	v_cmp_ne_u64_e64 s[28:29], v[17:18], v[9:10]
	v_cndmask_b32_e64 v25, 0, 1, vcc
	v_cmp_ne_u64_e32 vcc, v[1:2], v[3:4]
	v_cndmask_b32_e64 v26, 0, 1, vcc
	v_cmp_ne_u64_e32 vcc, v[7:8], v[1:2]
	v_cndmask_b32_e64 v27, 0, 1, vcc
	v_cmp_ne_u64_e32 vcc, v[5:6], v[7:8]
	v_cndmask_b32_e64 v28, 0, 1, vcc
	v_cmp_ne_u64_e32 vcc, v[11:12], v[5:6]
	v_cndmask_b32_e64 v29, 0, 1, vcc
	v_cmp_ne_u64_e32 vcc, v[9:10], v[11:12]
	v_cndmask_b32_e64 v30, 0, 1, vcc
	s_branch .LBB537_28
.LBB537_23:
                                        ; implicit-def: $sgpr28_sgpr29
                                        ; implicit-def: $vgpr25
                                        ; implicit-def: $vgpr26
                                        ; implicit-def: $vgpr27
                                        ; implicit-def: $vgpr28
                                        ; implicit-def: $vgpr29
                                        ; implicit-def: $vgpr30
	s_branch .LBB537_29
.LBB537_24:
                                        ; implicit-def: $sgpr28_sgpr29
                                        ; implicit-def: $vgpr25
                                        ; implicit-def: $vgpr26
                                        ; implicit-def: $vgpr27
                                        ; implicit-def: $vgpr28
                                        ; implicit-def: $vgpr29
                                        ; implicit-def: $vgpr30
	s_cbranch_execz .LBB537_28
; %bb.25:
	v_cmp_ne_u32_e32 vcc, 0, v0
	s_waitcnt vmcnt(0) lgkmcnt(0)
	s_barrier
	s_and_saveexec_b64 s[0:1], vcc
; %bb.26:
	v_add_u32_e32 v15, -8, v20
	ds_read_b64 v[15:16], v15
; %bb.27:
	s_or_b64 exec, exec, s[0:1]
	v_add_u32_e32 v17, 6, v19
	v_cmp_ne_u64_e32 vcc, v[3:4], v[13:14]
	v_cmp_gt_u32_e64 s[0:1], s7, v17
	s_and_b64 s[0:1], s[0:1], vcc
	v_add_u32_e32 v17, 5, v19
	v_cmp_ne_u64_e32 vcc, v[1:2], v[3:4]
	v_cndmask_b32_e64 v25, 0, 1, s[0:1]
	v_cmp_gt_u32_e64 s[0:1], s7, v17
	s_and_b64 s[0:1], s[0:1], vcc
	v_add_u32_e32 v17, 4, v19
	v_cmp_ne_u64_e32 vcc, v[7:8], v[1:2]
	v_cndmask_b32_e64 v26, 0, 1, s[0:1]
	;; [unrolled: 5-line block ×5, first 2 shown]
	v_cmp_gt_u32_e64 s[0:1], s7, v17
	s_and_b64 s[0:1], s[0:1], vcc
	s_waitcnt lgkmcnt(0)
	v_cmp_ne_u64_e32 vcc, v[15:16], v[9:10]
	v_cndmask_b32_e64 v30, 0, 1, s[0:1]
	v_cmp_gt_u32_e64 s[0:1], s7, v19
	s_and_b64 s[28:29], s[0:1], vcc
.LBB537_28:
	s_mov_b64 s[26:27], -1
	s_cbranch_execnz .LBB537_37
.LBB537_29:
	s_movk_i32 s0, 0xffd0
	s_waitcnt vmcnt(0) lgkmcnt(0)
	v_mad_i32_i24 v15, v0, s0, v21
	s_and_b64 vcc, exec, s[8:9]
	v_cmp_ne_u64_e64 s[0:1], v[3:4], v[13:14]
	v_cmp_ne_u64_e64 s[2:3], v[1:2], v[3:4]
	;; [unrolled: 1-line block ×6, first 2 shown]
	ds_write_b64 v15, v[13:14]
	s_cbranch_vccz .LBB537_33
; %bb.30:
	v_cmp_ne_u32_e32 vcc, 0, v0
	s_waitcnt lgkmcnt(0)
	s_barrier
                                        ; implicit-def: $sgpr28_sgpr29
	s_and_saveexec_b64 s[30:31], vcc
	s_xor_b64 s[30:31], exec, s[30:31]
	s_cbranch_execz .LBB537_32
; %bb.31:
	v_add_u32_e32 v16, -8, v15
	ds_read_b64 v[16:17], v16
	s_or_b64 s[26:27], s[26:27], exec
	s_waitcnt lgkmcnt(0)
	v_cmp_ne_u64_e64 s[28:29], v[16:17], v[9:10]
.LBB537_32:
	s_or_b64 exec, exec, s[30:31]
	v_cndmask_b32_e64 v25, 0, 1, s[0:1]
	v_cndmask_b32_e64 v26, 0, 1, s[2:3]
	;; [unrolled: 1-line block ×6, first 2 shown]
	s_branch .LBB537_37
.LBB537_33:
                                        ; implicit-def: $sgpr28_sgpr29
                                        ; implicit-def: $vgpr25
                                        ; implicit-def: $vgpr26
                                        ; implicit-def: $vgpr27
                                        ; implicit-def: $vgpr28
                                        ; implicit-def: $vgpr29
                                        ; implicit-def: $vgpr30
	s_cbranch_execz .LBB537_37
; %bb.34:
	v_add_u32_e32 v16, 6, v19
	v_cmp_ne_u64_e32 vcc, v[3:4], v[13:14]
	v_cmp_gt_u32_e64 s[0:1], s7, v16
	s_and_b64 s[2:3], s[0:1], vcc
	v_add_u32_e32 v16, 5, v19
	v_cmp_ne_u64_e32 vcc, v[1:2], v[3:4]
	v_cmp_gt_u32_e64 s[0:1], s7, v16
	s_and_b64 s[8:9], s[0:1], vcc
	;; [unrolled: 4-line block ×6, first 2 shown]
	v_cmp_ne_u32_e32 vcc, 0, v0
	s_waitcnt lgkmcnt(0)
	s_barrier
                                        ; implicit-def: $sgpr28_sgpr29
	s_and_saveexec_b64 s[34:35], vcc
	s_cbranch_execz .LBB537_36
; %bb.35:
	v_add_u32_e32 v15, -8, v15
	ds_read_b64 v[15:16], v15
	v_cmp_gt_u32_e64 s[0:1], s7, v19
	s_or_b64 s[26:27], s[26:27], exec
	s_waitcnt lgkmcnt(0)
	v_cmp_ne_u64_e32 vcc, v[15:16], v[9:10]
	s_and_b64 s[28:29], s[0:1], vcc
.LBB537_36:
	s_or_b64 exec, exec, s[34:35]
	v_cndmask_b32_e64 v25, 0, 1, s[2:3]
	v_cndmask_b32_e64 v26, 0, 1, s[8:9]
	;; [unrolled: 1-line block ×6, first 2 shown]
.LBB537_37:
	v_mov_b32_e32 v32, 1
	s_and_saveexec_b64 s[0:1], s[26:27]
; %bb.38:
	v_cndmask_b32_e64 v32, 0, 1, s[28:29]
; %bb.39:
	s_or_b64 exec, exec, s[0:1]
	s_load_dwordx2 s[26:27], s[4:5], 0x68
	s_andn2_b64 vcc, exec, s[16:17]
	s_cbranch_vccnz .LBB537_41
; %bb.40:
	v_cmp_gt_u32_e32 vcc, s7, v19
	s_waitcnt vmcnt(0) lgkmcnt(0)
	v_add_u32_e32 v15, 1, v19
	v_cndmask_b32_e32 v32, 0, v32, vcc
	v_cmp_gt_u32_e32 vcc, s7, v15
	v_add_u32_e32 v15, 2, v19
	v_cndmask_b32_e32 v30, 0, v30, vcc
	v_cmp_gt_u32_e32 vcc, s7, v15
	v_add_u32_e32 v15, 3, v19
	v_cndmask_b32_e32 v29, 0, v29, vcc
	v_cmp_gt_u32_e32 vcc, s7, v15
	v_add_u32_e32 v15, 4, v19
	v_cndmask_b32_e32 v28, 0, v28, vcc
	v_cmp_gt_u32_e32 vcc, s7, v15
	v_add_u32_e32 v15, 5, v19
	v_cndmask_b32_e32 v27, 0, v27, vcc
	v_cmp_gt_u32_e32 vcc, s7, v15
	v_add_u32_e32 v15, 6, v19
	v_cndmask_b32_e32 v26, 0, v26, vcc
	v_cmp_gt_u32_e32 vcc, s7, v15
	v_cndmask_b32_e32 v25, 0, v25, vcc
.LBB537_41:
	v_and_b32_e32 v37, 0xffff, v32
	v_and_b32_e32 v36, 0xff, v30
	;; [unrolled: 1-line block ×5, first 2 shown]
	s_waitcnt vmcnt(0) lgkmcnt(0)
	v_add3_u32 v16, v36, v37, v35
	v_and_b32_e32 v31, 0xff, v26
	v_and_b32_e32 v15, 0xff, v25
	v_add3_u32 v16, v16, v34, v33
	v_add3_u32 v40, v16, v31, v15
	v_mbcnt_lo_u32_b32 v15, -1, 0
	v_mbcnt_hi_u32_b32 v38, -1, v15
	v_and_b32_e32 v15, 15, v38
	v_cmp_eq_u32_e64 s[12:13], 0, v15
	v_cmp_lt_u32_e64 s[10:11], 1, v15
	v_cmp_lt_u32_e64 s[8:9], 3, v15
	v_cmp_lt_u32_e64 s[16:17], 7, v15
	v_and_b32_e32 v15, 16, v38
	v_cmp_eq_u32_e64 s[4:5], 0, v15
	v_or_b32_e32 v15, 63, v0
	v_cmp_lt_u32_e64 s[0:1], 31, v38
	v_lshrrev_b32_e32 v39, 6, v0
	v_cmp_eq_u32_e64 s[2:3], v0, v15
	s_and_b64 vcc, exec, s[18:19]
	s_barrier
	s_cbranch_vccz .LBB537_63
; %bb.42:
	v_mov_b32_dpp v15, v40 row_shr:1 row_mask:0xf bank_mask:0xf
	v_cndmask_b32_e64 v15, v15, 0, s[12:13]
	v_add_u32_e32 v15, v15, v40
	s_nop 1
	v_mov_b32_dpp v16, v15 row_shr:2 row_mask:0xf bank_mask:0xf
	v_cndmask_b32_e64 v16, 0, v16, s[10:11]
	v_add_u32_e32 v15, v15, v16
	s_nop 1
	;; [unrolled: 4-line block ×4, first 2 shown]
	v_mov_b32_dpp v16, v15 row_bcast:15 row_mask:0xf bank_mask:0xf
	v_cndmask_b32_e64 v16, v16, 0, s[4:5]
	v_add_u32_e32 v15, v15, v16
	s_nop 1
	v_mov_b32_dpp v16, v15 row_bcast:31 row_mask:0xf bank_mask:0xf
	v_cndmask_b32_e64 v16, 0, v16, s[0:1]
	v_add_u32_e32 v15, v15, v16
	s_and_saveexec_b64 s[14:15], s[2:3]
; %bb.43:
	v_lshlrev_b32_e32 v16, 2, v39
	ds_write_b32 v16, v15
; %bb.44:
	s_or_b64 exec, exec, s[14:15]
	v_cmp_gt_u32_e32 vcc, 4, v0
	s_waitcnt lgkmcnt(0)
	s_barrier
	s_and_saveexec_b64 s[14:15], vcc
	s_cbranch_execz .LBB537_46
; %bb.45:
	v_lshlrev_b32_e32 v16, 2, v0
	ds_read_b32 v17, v16
	v_and_b32_e32 v18, 3, v38
	v_cmp_ne_u32_e32 vcc, 0, v18
	s_waitcnt lgkmcnt(0)
	v_mov_b32_dpp v19, v17 row_shr:1 row_mask:0xf bank_mask:0xf
	v_cndmask_b32_e32 v19, 0, v19, vcc
	v_add_u32_e32 v17, v19, v17
	v_cmp_lt_u32_e32 vcc, 1, v18
	s_nop 0
	v_mov_b32_dpp v19, v17 row_shr:2 row_mask:0xf bank_mask:0xf
	v_cndmask_b32_e32 v18, 0, v19, vcc
	v_add_u32_e32 v17, v17, v18
	ds_write_b32 v16, v17
.LBB537_46:
	s_or_b64 exec, exec, s[14:15]
	v_cmp_gt_u32_e32 vcc, 64, v0
	v_cmp_lt_u32_e64 s[14:15], 63, v0
	s_waitcnt lgkmcnt(0)
	s_barrier
                                        ; implicit-def: $vgpr41
	s_and_saveexec_b64 s[18:19], s[14:15]
	s_cbranch_execz .LBB537_48
; %bb.47:
	v_lshl_add_u32 v16, v39, 2, -4
	ds_read_b32 v41, v16
	s_waitcnt lgkmcnt(0)
	v_add_u32_e32 v15, v41, v15
.LBB537_48:
	s_or_b64 exec, exec, s[18:19]
	v_subrev_co_u32_e64 v16, s[14:15], 1, v38
	v_and_b32_e32 v17, 64, v38
	v_cmp_lt_i32_e64 s[18:19], v16, v17
	v_cndmask_b32_e64 v16, v16, v38, s[18:19]
	v_lshlrev_b32_e32 v16, 2, v16
	ds_bpermute_b32 v42, v16, v15
	s_and_saveexec_b64 s[18:19], vcc
	s_cbranch_execz .LBB537_68
; %bb.49:
	v_mov_b32_e32 v21, 0
	ds_read_b32 v15, v21 offset:12
	s_and_saveexec_b64 s[28:29], s[14:15]
	s_cbranch_execz .LBB537_51
; %bb.50:
	s_add_i32 s30, s6, 64
	s_mov_b32 s31, 0
	s_lshl_b64 s[30:31], s[30:31], 3
	s_add_u32 s30, s26, s30
	v_mov_b32_e32 v16, 1
	s_addc_u32 s31, s27, s31
	s_waitcnt lgkmcnt(0)
	global_store_dwordx2 v21, v[15:16], s[30:31]
.LBB537_51:
	s_or_b64 exec, exec, s[28:29]
	v_xad_u32 v17, v38, -1, s6
	v_add_u32_e32 v20, 64, v17
	v_lshlrev_b64 v[18:19], 3, v[20:21]
	v_mov_b32_e32 v16, s27
	v_add_co_u32_e32 v22, vcc, s26, v18
	v_addc_co_u32_e32 v23, vcc, v16, v19, vcc
	global_load_dwordx2 v[19:20], v[22:23], off glc
	s_waitcnt vmcnt(0)
	v_cmp_eq_u16_sdwa s[30:31], v20, v21 src0_sel:BYTE_0 src1_sel:DWORD
	s_and_saveexec_b64 s[28:29], s[30:31]
	s_cbranch_execz .LBB537_55
; %bb.52:
	s_mov_b64 s[30:31], 0
	v_mov_b32_e32 v16, 0
.LBB537_53:                             ; =>This Inner Loop Header: Depth=1
	global_load_dwordx2 v[19:20], v[22:23], off glc
	s_waitcnt vmcnt(0)
	v_cmp_ne_u16_sdwa s[34:35], v20, v16 src0_sel:BYTE_0 src1_sel:DWORD
	s_or_b64 s[30:31], s[34:35], s[30:31]
	s_andn2_b64 exec, exec, s[30:31]
	s_cbranch_execnz .LBB537_53
; %bb.54:
	s_or_b64 exec, exec, s[30:31]
.LBB537_55:
	s_or_b64 exec, exec, s[28:29]
	v_and_b32_e32 v44, 63, v38
	v_mov_b32_e32 v43, 2
	v_lshlrev_b64 v[21:22], v38, -1
	v_cmp_ne_u32_e32 vcc, 63, v44
	v_cmp_eq_u16_sdwa s[28:29], v20, v43 src0_sel:BYTE_0 src1_sel:DWORD
	v_addc_co_u32_e32 v23, vcc, 0, v38, vcc
	v_and_b32_e32 v16, s29, v22
	v_lshlrev_b32_e32 v45, 2, v23
	v_or_b32_e32 v16, 0x80000000, v16
	ds_bpermute_b32 v23, v45, v19
	v_and_b32_e32 v18, s28, v21
	v_ffbl_b32_e32 v16, v16
	v_add_u32_e32 v16, 32, v16
	v_ffbl_b32_e32 v18, v18
	v_min_u32_e32 v16, v18, v16
	v_cmp_lt_u32_e32 vcc, v44, v16
	s_waitcnt lgkmcnt(0)
	v_cndmask_b32_e32 v18, 0, v23, vcc
	v_cmp_gt_u32_e32 vcc, 62, v44
	v_add_u32_e32 v18, v18, v19
	v_cndmask_b32_e64 v19, 0, 2, vcc
	v_add_lshl_u32 v46, v19, v38, 2
	ds_bpermute_b32 v19, v46, v18
	v_add_u32_e32 v47, 2, v44
	v_cmp_le_u32_e32 vcc, v47, v16
	v_add_u32_e32 v49, 4, v44
	v_add_u32_e32 v51, 8, v44
	s_waitcnt lgkmcnt(0)
	v_cndmask_b32_e32 v19, 0, v19, vcc
	v_cmp_gt_u32_e32 vcc, 60, v44
	v_add_u32_e32 v18, v18, v19
	v_cndmask_b32_e64 v19, 0, 4, vcc
	v_add_lshl_u32 v48, v19, v38, 2
	ds_bpermute_b32 v19, v48, v18
	v_cmp_le_u32_e32 vcc, v49, v16
	v_add_u32_e32 v53, 16, v44
	v_add_u32_e32 v55, 32, v44
	s_waitcnt lgkmcnt(0)
	v_cndmask_b32_e32 v19, 0, v19, vcc
	v_cmp_gt_u32_e32 vcc, 56, v44
	v_add_u32_e32 v18, v18, v19
	v_cndmask_b32_e64 v19, 0, 8, vcc
	v_add_lshl_u32 v50, v19, v38, 2
	ds_bpermute_b32 v19, v50, v18
	v_cmp_le_u32_e32 vcc, v51, v16
	s_waitcnt lgkmcnt(0)
	v_cndmask_b32_e32 v19, 0, v19, vcc
	v_cmp_gt_u32_e32 vcc, 48, v44
	v_add_u32_e32 v18, v18, v19
	v_cndmask_b32_e64 v19, 0, 16, vcc
	v_add_lshl_u32 v52, v19, v38, 2
	ds_bpermute_b32 v19, v52, v18
	v_cmp_le_u32_e32 vcc, v53, v16
	s_waitcnt lgkmcnt(0)
	v_cndmask_b32_e32 v19, 0, v19, vcc
	v_add_u32_e32 v18, v18, v19
	v_mov_b32_e32 v19, 0x80
	v_lshl_or_b32 v54, v38, 2, v19
	ds_bpermute_b32 v19, v54, v18
	v_cmp_le_u32_e32 vcc, v55, v16
	s_waitcnt lgkmcnt(0)
	v_cndmask_b32_e32 v16, 0, v19, vcc
	v_add_u32_e32 v19, v18, v16
	v_mov_b32_e32 v18, 0
	s_branch .LBB537_58
.LBB537_56:                             ;   in Loop: Header=BB537_58 Depth=1
	s_or_b64 exec, exec, s[28:29]
	v_cmp_eq_u16_sdwa s[28:29], v20, v43 src0_sel:BYTE_0 src1_sel:DWORD
	v_and_b32_e32 v23, s29, v22
	v_or_b32_e32 v23, 0x80000000, v23
	ds_bpermute_b32 v56, v45, v19
	v_and_b32_e32 v24, s28, v21
	v_ffbl_b32_e32 v23, v23
	v_add_u32_e32 v23, 32, v23
	v_ffbl_b32_e32 v24, v24
	v_min_u32_e32 v23, v24, v23
	v_cmp_lt_u32_e32 vcc, v44, v23
	s_waitcnt lgkmcnt(0)
	v_cndmask_b32_e32 v24, 0, v56, vcc
	v_add_u32_e32 v19, v24, v19
	ds_bpermute_b32 v24, v46, v19
	v_cmp_le_u32_e32 vcc, v47, v23
	v_subrev_u32_e32 v17, 64, v17
	s_mov_b64 s[28:29], 0
	s_waitcnt lgkmcnt(0)
	v_cndmask_b32_e32 v24, 0, v24, vcc
	v_add_u32_e32 v19, v19, v24
	ds_bpermute_b32 v24, v48, v19
	v_cmp_le_u32_e32 vcc, v49, v23
	s_waitcnt lgkmcnt(0)
	v_cndmask_b32_e32 v24, 0, v24, vcc
	v_add_u32_e32 v19, v19, v24
	ds_bpermute_b32 v24, v50, v19
	v_cmp_le_u32_e32 vcc, v51, v23
	;; [unrolled: 5-line block ×4, first 2 shown]
	s_waitcnt lgkmcnt(0)
	v_cndmask_b32_e32 v23, 0, v24, vcc
	v_add3_u32 v19, v23, v16, v19
.LBB537_57:                             ;   in Loop: Header=BB537_58 Depth=1
	s_and_b64 vcc, exec, s[28:29]
	s_cbranch_vccnz .LBB537_64
.LBB537_58:                             ; =>This Loop Header: Depth=1
                                        ;     Child Loop BB537_61 Depth 2
	v_cmp_ne_u16_sdwa s[28:29], v20, v43 src0_sel:BYTE_0 src1_sel:DWORD
	v_mov_b32_e32 v16, v19
	s_cmp_lg_u64 s[28:29], exec
	s_mov_b64 s[28:29], -1
                                        ; implicit-def: $vgpr19
                                        ; implicit-def: $vgpr20
	s_cbranch_scc1 .LBB537_57
; %bb.59:                               ;   in Loop: Header=BB537_58 Depth=1
	v_lshlrev_b64 v[19:20], 3, v[17:18]
	v_mov_b32_e32 v24, s27
	v_add_co_u32_e32 v23, vcc, s26, v19
	v_addc_co_u32_e32 v24, vcc, v24, v20, vcc
	global_load_dwordx2 v[19:20], v[23:24], off glc
	s_waitcnt vmcnt(0)
	v_cmp_eq_u16_sdwa s[30:31], v20, v18 src0_sel:BYTE_0 src1_sel:DWORD
	s_and_saveexec_b64 s[28:29], s[30:31]
	s_cbranch_execz .LBB537_56
; %bb.60:                               ;   in Loop: Header=BB537_58 Depth=1
	s_mov_b64 s[30:31], 0
.LBB537_61:                             ;   Parent Loop BB537_58 Depth=1
                                        ; =>  This Inner Loop Header: Depth=2
	global_load_dwordx2 v[19:20], v[23:24], off glc
	s_waitcnt vmcnt(0)
	v_cmp_ne_u16_sdwa s[34:35], v20, v18 src0_sel:BYTE_0 src1_sel:DWORD
	s_or_b64 s[30:31], s[34:35], s[30:31]
	s_andn2_b64 exec, exec, s[30:31]
	s_cbranch_execnz .LBB537_61
; %bb.62:                               ;   in Loop: Header=BB537_58 Depth=1
	s_or_b64 exec, exec, s[30:31]
	s_branch .LBB537_56
.LBB537_63:
                                        ; implicit-def: $vgpr16
                                        ; implicit-def: $vgpr17
	s_cbranch_execnz .LBB537_69
	s_branch .LBB537_78
.LBB537_64:
	s_and_saveexec_b64 s[28:29], s[14:15]
	s_cbranch_execz .LBB537_66
; %bb.65:
	s_add_i32 s6, s6, 64
	s_mov_b32 s7, 0
	s_lshl_b64 s[6:7], s[6:7], 3
	s_add_u32 s6, s26, s6
	v_add_u32_e32 v17, v16, v15
	v_mov_b32_e32 v18, 2
	s_addc_u32 s7, s27, s7
	v_mov_b32_e32 v19, 0
	global_store_dwordx2 v19, v[17:18], s[6:7]
	ds_write_b64 v19, v[15:16] offset:14336
.LBB537_66:
	s_or_b64 exec, exec, s[28:29]
	v_cmp_eq_u32_e32 vcc, 0, v0
	s_and_b64 exec, exec, vcc
; %bb.67:
	v_mov_b32_e32 v15, 0
	ds_write_b32 v15, v16 offset:12
.LBB537_68:
	s_or_b64 exec, exec, s[18:19]
	v_mov_b32_e32 v15, 0
	s_waitcnt vmcnt(0) lgkmcnt(0)
	s_barrier
	ds_read_b32 v18, v15 offset:12
	s_waitcnt lgkmcnt(0)
	s_barrier
	ds_read_b64 v[15:16], v15 offset:14336
	v_cndmask_b32_e64 v17, v42, v41, s[14:15]
	v_cmp_ne_u32_e32 vcc, 0, v0
	v_cndmask_b32_e32 v17, 0, v17, vcc
	v_add_u32_e32 v17, v18, v17
	s_branch .LBB537_78
.LBB537_69:
	s_waitcnt lgkmcnt(0)
	v_mov_b32_dpp v15, v40 row_shr:1 row_mask:0xf bank_mask:0xf
	v_cndmask_b32_e64 v15, v15, 0, s[12:13]
	v_add_u32_e32 v15, v15, v40
	s_nop 1
	v_mov_b32_dpp v16, v15 row_shr:2 row_mask:0xf bank_mask:0xf
	v_cndmask_b32_e64 v16, 0, v16, s[10:11]
	v_add_u32_e32 v15, v15, v16
	s_nop 1
	;; [unrolled: 4-line block ×4, first 2 shown]
	v_mov_b32_dpp v16, v15 row_bcast:15 row_mask:0xf bank_mask:0xf
	v_cndmask_b32_e64 v16, v16, 0, s[4:5]
	v_add_u32_e32 v15, v15, v16
	s_nop 1
	v_mov_b32_dpp v16, v15 row_bcast:31 row_mask:0xf bank_mask:0xf
	v_cndmask_b32_e64 v16, 0, v16, s[0:1]
	v_add_u32_e32 v15, v15, v16
	s_and_saveexec_b64 s[0:1], s[2:3]
; %bb.70:
	v_lshlrev_b32_e32 v16, 2, v39
	ds_write_b32 v16, v15
; %bb.71:
	s_or_b64 exec, exec, s[0:1]
	v_cmp_gt_u32_e32 vcc, 4, v0
	s_waitcnt lgkmcnt(0)
	s_barrier
	s_and_saveexec_b64 s[0:1], vcc
	s_cbranch_execz .LBB537_73
; %bb.72:
	v_lshlrev_b32_e32 v16, 2, v0
	ds_read_b32 v17, v16
	v_and_b32_e32 v18, 3, v38
	v_cmp_ne_u32_e32 vcc, 0, v18
	s_waitcnt lgkmcnt(0)
	v_mov_b32_dpp v19, v17 row_shr:1 row_mask:0xf bank_mask:0xf
	v_cndmask_b32_e32 v19, 0, v19, vcc
	v_add_u32_e32 v17, v19, v17
	v_cmp_lt_u32_e32 vcc, 1, v18
	s_nop 0
	v_mov_b32_dpp v19, v17 row_shr:2 row_mask:0xf bank_mask:0xf
	v_cndmask_b32_e32 v18, 0, v19, vcc
	v_add_u32_e32 v17, v17, v18
	ds_write_b32 v16, v17
.LBB537_73:
	s_or_b64 exec, exec, s[0:1]
	v_cmp_lt_u32_e32 vcc, 63, v0
	v_mov_b32_e32 v16, 0
	v_mov_b32_e32 v17, 0
	s_waitcnt lgkmcnt(0)
	s_barrier
	s_and_saveexec_b64 s[0:1], vcc
; %bb.74:
	v_lshl_add_u32 v17, v39, 2, -4
	ds_read_b32 v17, v17
; %bb.75:
	s_or_b64 exec, exec, s[0:1]
	v_subrev_co_u32_e32 v18, vcc, 1, v38
	v_and_b32_e32 v19, 64, v38
	v_cmp_lt_i32_e64 s[0:1], v18, v19
	v_cndmask_b32_e64 v18, v18, v38, s[0:1]
	s_waitcnt lgkmcnt(0)
	v_add_u32_e32 v15, v17, v15
	v_lshlrev_b32_e32 v18, 2, v18
	ds_bpermute_b32 v18, v18, v15
	ds_read_b32 v15, v16 offset:12
	v_cmp_eq_u32_e64 s[0:1], 0, v0
	s_and_saveexec_b64 s[2:3], s[0:1]
	s_cbranch_execz .LBB537_77
; %bb.76:
	v_mov_b32_e32 v19, 0
	v_mov_b32_e32 v16, 2
	s_waitcnt lgkmcnt(0)
	global_store_dwordx2 v19, v[15:16], s[26:27] offset:512
.LBB537_77:
	s_or_b64 exec, exec, s[2:3]
	s_waitcnt lgkmcnt(1)
	v_cndmask_b32_e32 v16, v18, v17, vcc
	v_cndmask_b32_e64 v17, v16, 0, s[0:1]
	s_waitcnt vmcnt(0) lgkmcnt(0)
	s_barrier
	v_mov_b32_e32 v16, 0
.LBB537_78:
	s_movk_i32 s0, 0x101
	s_waitcnt lgkmcnt(0)
	v_cmp_gt_u32_e32 vcc, s0, v15
	s_cbranch_vccz .LBB537_81
; %bb.79:
	v_cmp_eq_u32_e32 vcc, 0, v0
	s_and_b64 s[0:1], vcc, s[24:25]
	s_and_saveexec_b64 s[2:3], s[0:1]
	s_cbranch_execnz .LBB537_96
.LBB537_80:
	s_endpgm
.LBB537_81:
	v_and_b32_e32 v18, 1, v32
	v_cmp_eq_u32_e32 vcc, 1, v18
	s_and_saveexec_b64 s[0:1], vcc
; %bb.82:
	v_sub_u32_e32 v18, v17, v16
	v_lshlrev_b32_e32 v18, 3, v18
	ds_write_b64 v18, v[9:10]
; %bb.83:
	s_or_b64 exec, exec, s[0:1]
	v_and_b32_e32 v10, 1, v30
	v_add_u32_e32 v9, v17, v37
	v_cmp_eq_u32_e32 vcc, 1, v10
	s_and_saveexec_b64 s[0:1], vcc
; %bb.84:
	v_sub_u32_e32 v10, v9, v16
	v_lshlrev_b32_e32 v10, 3, v10
	ds_write_b64 v10, v[11:12]
; %bb.85:
	s_or_b64 exec, exec, s[0:1]
	v_and_b32_e32 v10, 1, v29
	v_add_u32_e32 v9, v9, v36
	;; [unrolled: 10-line block ×5, first 2 shown]
	v_cmp_eq_u32_e32 vcc, 1, v2
	s_and_saveexec_b64 s[0:1], vcc
; %bb.92:
	v_sub_u32_e32 v2, v1, v16
	v_lshlrev_b32_e32 v2, 3, v2
	ds_write_b64 v2, v[3:4]
; %bb.93:
	s_or_b64 exec, exec, s[0:1]
	v_and_b32_e32 v2, 1, v25
	v_cmp_eq_u32_e32 vcc, 1, v2
	s_and_saveexec_b64 s[0:1], vcc
; %bb.94:
	v_sub_u32_e32 v2, v31, v16
	v_lshlrev_b32_e32 v1, 3, v1
	v_lshl_add_u32 v1, v2, 3, v1
	ds_write_b64 v1, v[13:14]
; %bb.95:
	s_or_b64 exec, exec, s[0:1]
	s_waitcnt lgkmcnt(0)
	s_barrier
	v_cmp_eq_u32_e32 vcc, 0, v0
	s_and_b64 s[0:1], vcc, s[24:25]
	s_and_saveexec_b64 s[2:3], s[0:1]
	s_cbranch_execz .LBB537_80
.LBB537_96:
	v_mov_b32_e32 v0, s23
	v_add_co_u32_e32 v1, vcc, s22, v15
	v_addc_co_u32_e32 v3, vcc, 0, v0, vcc
	v_add_co_u32_e32 v0, vcc, v1, v16
	v_mov_b32_e32 v2, 0
	v_addc_co_u32_e32 v1, vcc, 0, v3, vcc
	global_store_dwordx2 v2, v[0:1], s[20:21]
	s_endpgm
	.section	.rodata,"a",@progbits
	.p2align	6, 0x0
	.amdhsa_kernel _ZN7rocprim17ROCPRIM_400000_NS6detail17trampoline_kernelINS0_14default_configENS1_25partition_config_selectorILNS1_17partition_subalgoE8EyNS0_10empty_typeEbEEZZNS1_14partition_implILS5_8ELb0ES3_jN6thrust23THRUST_200600_302600_NS6detail15normal_iteratorINSA_10device_ptrIyEEEEPS6_PKS6_NS0_5tupleIJNSA_16discard_iteratorINSA_11use_defaultEEES6_EEENSJ_IJSG_SG_EEENS0_18inequality_wrapperINSA_8equal_toIyEEEEPmJS6_EEE10hipError_tPvRmT3_T4_T5_T6_T7_T9_mT8_P12ihipStream_tbDpT10_ENKUlT_T0_E_clISt17integral_constantIbLb0EES1D_EEDaS18_S19_EUlS18_E_NS1_11comp_targetILNS1_3genE2ELNS1_11target_archE906ELNS1_3gpuE6ELNS1_3repE0EEENS1_30default_config_static_selectorELNS0_4arch9wavefront6targetE1EEEvT1_
		.amdhsa_group_segment_fixed_size 14344
		.amdhsa_private_segment_fixed_size 0
		.amdhsa_kernarg_size 120
		.amdhsa_user_sgpr_count 6
		.amdhsa_user_sgpr_private_segment_buffer 1
		.amdhsa_user_sgpr_dispatch_ptr 0
		.amdhsa_user_sgpr_queue_ptr 0
		.amdhsa_user_sgpr_kernarg_segment_ptr 1
		.amdhsa_user_sgpr_dispatch_id 0
		.amdhsa_user_sgpr_flat_scratch_init 0
		.amdhsa_user_sgpr_private_segment_size 0
		.amdhsa_uses_dynamic_stack 0
		.amdhsa_system_sgpr_private_segment_wavefront_offset 0
		.amdhsa_system_sgpr_workgroup_id_x 1
		.amdhsa_system_sgpr_workgroup_id_y 0
		.amdhsa_system_sgpr_workgroup_id_z 0
		.amdhsa_system_sgpr_workgroup_info 0
		.amdhsa_system_vgpr_workitem_id 0
		.amdhsa_next_free_vgpr 57
		.amdhsa_next_free_sgpr 98
		.amdhsa_reserve_vcc 1
		.amdhsa_reserve_flat_scratch 0
		.amdhsa_float_round_mode_32 0
		.amdhsa_float_round_mode_16_64 0
		.amdhsa_float_denorm_mode_32 3
		.amdhsa_float_denorm_mode_16_64 3
		.amdhsa_dx10_clamp 1
		.amdhsa_ieee_mode 1
		.amdhsa_fp16_overflow 0
		.amdhsa_exception_fp_ieee_invalid_op 0
		.amdhsa_exception_fp_denorm_src 0
		.amdhsa_exception_fp_ieee_div_zero 0
		.amdhsa_exception_fp_ieee_overflow 0
		.amdhsa_exception_fp_ieee_underflow 0
		.amdhsa_exception_fp_ieee_inexact 0
		.amdhsa_exception_int_div_zero 0
	.end_amdhsa_kernel
	.section	.text._ZN7rocprim17ROCPRIM_400000_NS6detail17trampoline_kernelINS0_14default_configENS1_25partition_config_selectorILNS1_17partition_subalgoE8EyNS0_10empty_typeEbEEZZNS1_14partition_implILS5_8ELb0ES3_jN6thrust23THRUST_200600_302600_NS6detail15normal_iteratorINSA_10device_ptrIyEEEEPS6_PKS6_NS0_5tupleIJNSA_16discard_iteratorINSA_11use_defaultEEES6_EEENSJ_IJSG_SG_EEENS0_18inequality_wrapperINSA_8equal_toIyEEEEPmJS6_EEE10hipError_tPvRmT3_T4_T5_T6_T7_T9_mT8_P12ihipStream_tbDpT10_ENKUlT_T0_E_clISt17integral_constantIbLb0EES1D_EEDaS18_S19_EUlS18_E_NS1_11comp_targetILNS1_3genE2ELNS1_11target_archE906ELNS1_3gpuE6ELNS1_3repE0EEENS1_30default_config_static_selectorELNS0_4arch9wavefront6targetE1EEEvT1_,"axG",@progbits,_ZN7rocprim17ROCPRIM_400000_NS6detail17trampoline_kernelINS0_14default_configENS1_25partition_config_selectorILNS1_17partition_subalgoE8EyNS0_10empty_typeEbEEZZNS1_14partition_implILS5_8ELb0ES3_jN6thrust23THRUST_200600_302600_NS6detail15normal_iteratorINSA_10device_ptrIyEEEEPS6_PKS6_NS0_5tupleIJNSA_16discard_iteratorINSA_11use_defaultEEES6_EEENSJ_IJSG_SG_EEENS0_18inequality_wrapperINSA_8equal_toIyEEEEPmJS6_EEE10hipError_tPvRmT3_T4_T5_T6_T7_T9_mT8_P12ihipStream_tbDpT10_ENKUlT_T0_E_clISt17integral_constantIbLb0EES1D_EEDaS18_S19_EUlS18_E_NS1_11comp_targetILNS1_3genE2ELNS1_11target_archE906ELNS1_3gpuE6ELNS1_3repE0EEENS1_30default_config_static_selectorELNS0_4arch9wavefront6targetE1EEEvT1_,comdat
.Lfunc_end537:
	.size	_ZN7rocprim17ROCPRIM_400000_NS6detail17trampoline_kernelINS0_14default_configENS1_25partition_config_selectorILNS1_17partition_subalgoE8EyNS0_10empty_typeEbEEZZNS1_14partition_implILS5_8ELb0ES3_jN6thrust23THRUST_200600_302600_NS6detail15normal_iteratorINSA_10device_ptrIyEEEEPS6_PKS6_NS0_5tupleIJNSA_16discard_iteratorINSA_11use_defaultEEES6_EEENSJ_IJSG_SG_EEENS0_18inequality_wrapperINSA_8equal_toIyEEEEPmJS6_EEE10hipError_tPvRmT3_T4_T5_T6_T7_T9_mT8_P12ihipStream_tbDpT10_ENKUlT_T0_E_clISt17integral_constantIbLb0EES1D_EEDaS18_S19_EUlS18_E_NS1_11comp_targetILNS1_3genE2ELNS1_11target_archE906ELNS1_3gpuE6ELNS1_3repE0EEENS1_30default_config_static_selectorELNS0_4arch9wavefront6targetE1EEEvT1_, .Lfunc_end537-_ZN7rocprim17ROCPRIM_400000_NS6detail17trampoline_kernelINS0_14default_configENS1_25partition_config_selectorILNS1_17partition_subalgoE8EyNS0_10empty_typeEbEEZZNS1_14partition_implILS5_8ELb0ES3_jN6thrust23THRUST_200600_302600_NS6detail15normal_iteratorINSA_10device_ptrIyEEEEPS6_PKS6_NS0_5tupleIJNSA_16discard_iteratorINSA_11use_defaultEEES6_EEENSJ_IJSG_SG_EEENS0_18inequality_wrapperINSA_8equal_toIyEEEEPmJS6_EEE10hipError_tPvRmT3_T4_T5_T6_T7_T9_mT8_P12ihipStream_tbDpT10_ENKUlT_T0_E_clISt17integral_constantIbLb0EES1D_EEDaS18_S19_EUlS18_E_NS1_11comp_targetILNS1_3genE2ELNS1_11target_archE906ELNS1_3gpuE6ELNS1_3repE0EEENS1_30default_config_static_selectorELNS0_4arch9wavefront6targetE1EEEvT1_
                                        ; -- End function
	.set _ZN7rocprim17ROCPRIM_400000_NS6detail17trampoline_kernelINS0_14default_configENS1_25partition_config_selectorILNS1_17partition_subalgoE8EyNS0_10empty_typeEbEEZZNS1_14partition_implILS5_8ELb0ES3_jN6thrust23THRUST_200600_302600_NS6detail15normal_iteratorINSA_10device_ptrIyEEEEPS6_PKS6_NS0_5tupleIJNSA_16discard_iteratorINSA_11use_defaultEEES6_EEENSJ_IJSG_SG_EEENS0_18inequality_wrapperINSA_8equal_toIyEEEEPmJS6_EEE10hipError_tPvRmT3_T4_T5_T6_T7_T9_mT8_P12ihipStream_tbDpT10_ENKUlT_T0_E_clISt17integral_constantIbLb0EES1D_EEDaS18_S19_EUlS18_E_NS1_11comp_targetILNS1_3genE2ELNS1_11target_archE906ELNS1_3gpuE6ELNS1_3repE0EEENS1_30default_config_static_selectorELNS0_4arch9wavefront6targetE1EEEvT1_.num_vgpr, 57
	.set _ZN7rocprim17ROCPRIM_400000_NS6detail17trampoline_kernelINS0_14default_configENS1_25partition_config_selectorILNS1_17partition_subalgoE8EyNS0_10empty_typeEbEEZZNS1_14partition_implILS5_8ELb0ES3_jN6thrust23THRUST_200600_302600_NS6detail15normal_iteratorINSA_10device_ptrIyEEEEPS6_PKS6_NS0_5tupleIJNSA_16discard_iteratorINSA_11use_defaultEEES6_EEENSJ_IJSG_SG_EEENS0_18inequality_wrapperINSA_8equal_toIyEEEEPmJS6_EEE10hipError_tPvRmT3_T4_T5_T6_T7_T9_mT8_P12ihipStream_tbDpT10_ENKUlT_T0_E_clISt17integral_constantIbLb0EES1D_EEDaS18_S19_EUlS18_E_NS1_11comp_targetILNS1_3genE2ELNS1_11target_archE906ELNS1_3gpuE6ELNS1_3repE0EEENS1_30default_config_static_selectorELNS0_4arch9wavefront6targetE1EEEvT1_.num_agpr, 0
	.set _ZN7rocprim17ROCPRIM_400000_NS6detail17trampoline_kernelINS0_14default_configENS1_25partition_config_selectorILNS1_17partition_subalgoE8EyNS0_10empty_typeEbEEZZNS1_14partition_implILS5_8ELb0ES3_jN6thrust23THRUST_200600_302600_NS6detail15normal_iteratorINSA_10device_ptrIyEEEEPS6_PKS6_NS0_5tupleIJNSA_16discard_iteratorINSA_11use_defaultEEES6_EEENSJ_IJSG_SG_EEENS0_18inequality_wrapperINSA_8equal_toIyEEEEPmJS6_EEE10hipError_tPvRmT3_T4_T5_T6_T7_T9_mT8_P12ihipStream_tbDpT10_ENKUlT_T0_E_clISt17integral_constantIbLb0EES1D_EEDaS18_S19_EUlS18_E_NS1_11comp_targetILNS1_3genE2ELNS1_11target_archE906ELNS1_3gpuE6ELNS1_3repE0EEENS1_30default_config_static_selectorELNS0_4arch9wavefront6targetE1EEEvT1_.numbered_sgpr, 36
	.set _ZN7rocprim17ROCPRIM_400000_NS6detail17trampoline_kernelINS0_14default_configENS1_25partition_config_selectorILNS1_17partition_subalgoE8EyNS0_10empty_typeEbEEZZNS1_14partition_implILS5_8ELb0ES3_jN6thrust23THRUST_200600_302600_NS6detail15normal_iteratorINSA_10device_ptrIyEEEEPS6_PKS6_NS0_5tupleIJNSA_16discard_iteratorINSA_11use_defaultEEES6_EEENSJ_IJSG_SG_EEENS0_18inequality_wrapperINSA_8equal_toIyEEEEPmJS6_EEE10hipError_tPvRmT3_T4_T5_T6_T7_T9_mT8_P12ihipStream_tbDpT10_ENKUlT_T0_E_clISt17integral_constantIbLb0EES1D_EEDaS18_S19_EUlS18_E_NS1_11comp_targetILNS1_3genE2ELNS1_11target_archE906ELNS1_3gpuE6ELNS1_3repE0EEENS1_30default_config_static_selectorELNS0_4arch9wavefront6targetE1EEEvT1_.num_named_barrier, 0
	.set _ZN7rocprim17ROCPRIM_400000_NS6detail17trampoline_kernelINS0_14default_configENS1_25partition_config_selectorILNS1_17partition_subalgoE8EyNS0_10empty_typeEbEEZZNS1_14partition_implILS5_8ELb0ES3_jN6thrust23THRUST_200600_302600_NS6detail15normal_iteratorINSA_10device_ptrIyEEEEPS6_PKS6_NS0_5tupleIJNSA_16discard_iteratorINSA_11use_defaultEEES6_EEENSJ_IJSG_SG_EEENS0_18inequality_wrapperINSA_8equal_toIyEEEEPmJS6_EEE10hipError_tPvRmT3_T4_T5_T6_T7_T9_mT8_P12ihipStream_tbDpT10_ENKUlT_T0_E_clISt17integral_constantIbLb0EES1D_EEDaS18_S19_EUlS18_E_NS1_11comp_targetILNS1_3genE2ELNS1_11target_archE906ELNS1_3gpuE6ELNS1_3repE0EEENS1_30default_config_static_selectorELNS0_4arch9wavefront6targetE1EEEvT1_.private_seg_size, 0
	.set _ZN7rocprim17ROCPRIM_400000_NS6detail17trampoline_kernelINS0_14default_configENS1_25partition_config_selectorILNS1_17partition_subalgoE8EyNS0_10empty_typeEbEEZZNS1_14partition_implILS5_8ELb0ES3_jN6thrust23THRUST_200600_302600_NS6detail15normal_iteratorINSA_10device_ptrIyEEEEPS6_PKS6_NS0_5tupleIJNSA_16discard_iteratorINSA_11use_defaultEEES6_EEENSJ_IJSG_SG_EEENS0_18inequality_wrapperINSA_8equal_toIyEEEEPmJS6_EEE10hipError_tPvRmT3_T4_T5_T6_T7_T9_mT8_P12ihipStream_tbDpT10_ENKUlT_T0_E_clISt17integral_constantIbLb0EES1D_EEDaS18_S19_EUlS18_E_NS1_11comp_targetILNS1_3genE2ELNS1_11target_archE906ELNS1_3gpuE6ELNS1_3repE0EEENS1_30default_config_static_selectorELNS0_4arch9wavefront6targetE1EEEvT1_.uses_vcc, 1
	.set _ZN7rocprim17ROCPRIM_400000_NS6detail17trampoline_kernelINS0_14default_configENS1_25partition_config_selectorILNS1_17partition_subalgoE8EyNS0_10empty_typeEbEEZZNS1_14partition_implILS5_8ELb0ES3_jN6thrust23THRUST_200600_302600_NS6detail15normal_iteratorINSA_10device_ptrIyEEEEPS6_PKS6_NS0_5tupleIJNSA_16discard_iteratorINSA_11use_defaultEEES6_EEENSJ_IJSG_SG_EEENS0_18inequality_wrapperINSA_8equal_toIyEEEEPmJS6_EEE10hipError_tPvRmT3_T4_T5_T6_T7_T9_mT8_P12ihipStream_tbDpT10_ENKUlT_T0_E_clISt17integral_constantIbLb0EES1D_EEDaS18_S19_EUlS18_E_NS1_11comp_targetILNS1_3genE2ELNS1_11target_archE906ELNS1_3gpuE6ELNS1_3repE0EEENS1_30default_config_static_selectorELNS0_4arch9wavefront6targetE1EEEvT1_.uses_flat_scratch, 0
	.set _ZN7rocprim17ROCPRIM_400000_NS6detail17trampoline_kernelINS0_14default_configENS1_25partition_config_selectorILNS1_17partition_subalgoE8EyNS0_10empty_typeEbEEZZNS1_14partition_implILS5_8ELb0ES3_jN6thrust23THRUST_200600_302600_NS6detail15normal_iteratorINSA_10device_ptrIyEEEEPS6_PKS6_NS0_5tupleIJNSA_16discard_iteratorINSA_11use_defaultEEES6_EEENSJ_IJSG_SG_EEENS0_18inequality_wrapperINSA_8equal_toIyEEEEPmJS6_EEE10hipError_tPvRmT3_T4_T5_T6_T7_T9_mT8_P12ihipStream_tbDpT10_ENKUlT_T0_E_clISt17integral_constantIbLb0EES1D_EEDaS18_S19_EUlS18_E_NS1_11comp_targetILNS1_3genE2ELNS1_11target_archE906ELNS1_3gpuE6ELNS1_3repE0EEENS1_30default_config_static_selectorELNS0_4arch9wavefront6targetE1EEEvT1_.has_dyn_sized_stack, 0
	.set _ZN7rocprim17ROCPRIM_400000_NS6detail17trampoline_kernelINS0_14default_configENS1_25partition_config_selectorILNS1_17partition_subalgoE8EyNS0_10empty_typeEbEEZZNS1_14partition_implILS5_8ELb0ES3_jN6thrust23THRUST_200600_302600_NS6detail15normal_iteratorINSA_10device_ptrIyEEEEPS6_PKS6_NS0_5tupleIJNSA_16discard_iteratorINSA_11use_defaultEEES6_EEENSJ_IJSG_SG_EEENS0_18inequality_wrapperINSA_8equal_toIyEEEEPmJS6_EEE10hipError_tPvRmT3_T4_T5_T6_T7_T9_mT8_P12ihipStream_tbDpT10_ENKUlT_T0_E_clISt17integral_constantIbLb0EES1D_EEDaS18_S19_EUlS18_E_NS1_11comp_targetILNS1_3genE2ELNS1_11target_archE906ELNS1_3gpuE6ELNS1_3repE0EEENS1_30default_config_static_selectorELNS0_4arch9wavefront6targetE1EEEvT1_.has_recursion, 0
	.set _ZN7rocprim17ROCPRIM_400000_NS6detail17trampoline_kernelINS0_14default_configENS1_25partition_config_selectorILNS1_17partition_subalgoE8EyNS0_10empty_typeEbEEZZNS1_14partition_implILS5_8ELb0ES3_jN6thrust23THRUST_200600_302600_NS6detail15normal_iteratorINSA_10device_ptrIyEEEEPS6_PKS6_NS0_5tupleIJNSA_16discard_iteratorINSA_11use_defaultEEES6_EEENSJ_IJSG_SG_EEENS0_18inequality_wrapperINSA_8equal_toIyEEEEPmJS6_EEE10hipError_tPvRmT3_T4_T5_T6_T7_T9_mT8_P12ihipStream_tbDpT10_ENKUlT_T0_E_clISt17integral_constantIbLb0EES1D_EEDaS18_S19_EUlS18_E_NS1_11comp_targetILNS1_3genE2ELNS1_11target_archE906ELNS1_3gpuE6ELNS1_3repE0EEENS1_30default_config_static_selectorELNS0_4arch9wavefront6targetE1EEEvT1_.has_indirect_call, 0
	.section	.AMDGPU.csdata,"",@progbits
; Kernel info:
; codeLenInByte = 4176
; TotalNumSgprs: 40
; NumVgprs: 57
; ScratchSize: 0
; MemoryBound: 0
; FloatMode: 240
; IeeeMode: 1
; LDSByteSize: 14344 bytes/workgroup (compile time only)
; SGPRBlocks: 12
; VGPRBlocks: 14
; NumSGPRsForWavesPerEU: 102
; NumVGPRsForWavesPerEU: 57
; Occupancy: 4
; WaveLimiterHint : 1
; COMPUTE_PGM_RSRC2:SCRATCH_EN: 0
; COMPUTE_PGM_RSRC2:USER_SGPR: 6
; COMPUTE_PGM_RSRC2:TRAP_HANDLER: 0
; COMPUTE_PGM_RSRC2:TGID_X_EN: 1
; COMPUTE_PGM_RSRC2:TGID_Y_EN: 0
; COMPUTE_PGM_RSRC2:TGID_Z_EN: 0
; COMPUTE_PGM_RSRC2:TIDIG_COMP_CNT: 0
	.section	.text._ZN7rocprim17ROCPRIM_400000_NS6detail17trampoline_kernelINS0_14default_configENS1_25partition_config_selectorILNS1_17partition_subalgoE8EyNS0_10empty_typeEbEEZZNS1_14partition_implILS5_8ELb0ES3_jN6thrust23THRUST_200600_302600_NS6detail15normal_iteratorINSA_10device_ptrIyEEEEPS6_PKS6_NS0_5tupleIJNSA_16discard_iteratorINSA_11use_defaultEEES6_EEENSJ_IJSG_SG_EEENS0_18inequality_wrapperINSA_8equal_toIyEEEEPmJS6_EEE10hipError_tPvRmT3_T4_T5_T6_T7_T9_mT8_P12ihipStream_tbDpT10_ENKUlT_T0_E_clISt17integral_constantIbLb0EES1D_EEDaS18_S19_EUlS18_E_NS1_11comp_targetILNS1_3genE10ELNS1_11target_archE1200ELNS1_3gpuE4ELNS1_3repE0EEENS1_30default_config_static_selectorELNS0_4arch9wavefront6targetE1EEEvT1_,"axG",@progbits,_ZN7rocprim17ROCPRIM_400000_NS6detail17trampoline_kernelINS0_14default_configENS1_25partition_config_selectorILNS1_17partition_subalgoE8EyNS0_10empty_typeEbEEZZNS1_14partition_implILS5_8ELb0ES3_jN6thrust23THRUST_200600_302600_NS6detail15normal_iteratorINSA_10device_ptrIyEEEEPS6_PKS6_NS0_5tupleIJNSA_16discard_iteratorINSA_11use_defaultEEES6_EEENSJ_IJSG_SG_EEENS0_18inequality_wrapperINSA_8equal_toIyEEEEPmJS6_EEE10hipError_tPvRmT3_T4_T5_T6_T7_T9_mT8_P12ihipStream_tbDpT10_ENKUlT_T0_E_clISt17integral_constantIbLb0EES1D_EEDaS18_S19_EUlS18_E_NS1_11comp_targetILNS1_3genE10ELNS1_11target_archE1200ELNS1_3gpuE4ELNS1_3repE0EEENS1_30default_config_static_selectorELNS0_4arch9wavefront6targetE1EEEvT1_,comdat
	.protected	_ZN7rocprim17ROCPRIM_400000_NS6detail17trampoline_kernelINS0_14default_configENS1_25partition_config_selectorILNS1_17partition_subalgoE8EyNS0_10empty_typeEbEEZZNS1_14partition_implILS5_8ELb0ES3_jN6thrust23THRUST_200600_302600_NS6detail15normal_iteratorINSA_10device_ptrIyEEEEPS6_PKS6_NS0_5tupleIJNSA_16discard_iteratorINSA_11use_defaultEEES6_EEENSJ_IJSG_SG_EEENS0_18inequality_wrapperINSA_8equal_toIyEEEEPmJS6_EEE10hipError_tPvRmT3_T4_T5_T6_T7_T9_mT8_P12ihipStream_tbDpT10_ENKUlT_T0_E_clISt17integral_constantIbLb0EES1D_EEDaS18_S19_EUlS18_E_NS1_11comp_targetILNS1_3genE10ELNS1_11target_archE1200ELNS1_3gpuE4ELNS1_3repE0EEENS1_30default_config_static_selectorELNS0_4arch9wavefront6targetE1EEEvT1_ ; -- Begin function _ZN7rocprim17ROCPRIM_400000_NS6detail17trampoline_kernelINS0_14default_configENS1_25partition_config_selectorILNS1_17partition_subalgoE8EyNS0_10empty_typeEbEEZZNS1_14partition_implILS5_8ELb0ES3_jN6thrust23THRUST_200600_302600_NS6detail15normal_iteratorINSA_10device_ptrIyEEEEPS6_PKS6_NS0_5tupleIJNSA_16discard_iteratorINSA_11use_defaultEEES6_EEENSJ_IJSG_SG_EEENS0_18inequality_wrapperINSA_8equal_toIyEEEEPmJS6_EEE10hipError_tPvRmT3_T4_T5_T6_T7_T9_mT8_P12ihipStream_tbDpT10_ENKUlT_T0_E_clISt17integral_constantIbLb0EES1D_EEDaS18_S19_EUlS18_E_NS1_11comp_targetILNS1_3genE10ELNS1_11target_archE1200ELNS1_3gpuE4ELNS1_3repE0EEENS1_30default_config_static_selectorELNS0_4arch9wavefront6targetE1EEEvT1_
	.globl	_ZN7rocprim17ROCPRIM_400000_NS6detail17trampoline_kernelINS0_14default_configENS1_25partition_config_selectorILNS1_17partition_subalgoE8EyNS0_10empty_typeEbEEZZNS1_14partition_implILS5_8ELb0ES3_jN6thrust23THRUST_200600_302600_NS6detail15normal_iteratorINSA_10device_ptrIyEEEEPS6_PKS6_NS0_5tupleIJNSA_16discard_iteratorINSA_11use_defaultEEES6_EEENSJ_IJSG_SG_EEENS0_18inequality_wrapperINSA_8equal_toIyEEEEPmJS6_EEE10hipError_tPvRmT3_T4_T5_T6_T7_T9_mT8_P12ihipStream_tbDpT10_ENKUlT_T0_E_clISt17integral_constantIbLb0EES1D_EEDaS18_S19_EUlS18_E_NS1_11comp_targetILNS1_3genE10ELNS1_11target_archE1200ELNS1_3gpuE4ELNS1_3repE0EEENS1_30default_config_static_selectorELNS0_4arch9wavefront6targetE1EEEvT1_
	.p2align	8
	.type	_ZN7rocprim17ROCPRIM_400000_NS6detail17trampoline_kernelINS0_14default_configENS1_25partition_config_selectorILNS1_17partition_subalgoE8EyNS0_10empty_typeEbEEZZNS1_14partition_implILS5_8ELb0ES3_jN6thrust23THRUST_200600_302600_NS6detail15normal_iteratorINSA_10device_ptrIyEEEEPS6_PKS6_NS0_5tupleIJNSA_16discard_iteratorINSA_11use_defaultEEES6_EEENSJ_IJSG_SG_EEENS0_18inequality_wrapperINSA_8equal_toIyEEEEPmJS6_EEE10hipError_tPvRmT3_T4_T5_T6_T7_T9_mT8_P12ihipStream_tbDpT10_ENKUlT_T0_E_clISt17integral_constantIbLb0EES1D_EEDaS18_S19_EUlS18_E_NS1_11comp_targetILNS1_3genE10ELNS1_11target_archE1200ELNS1_3gpuE4ELNS1_3repE0EEENS1_30default_config_static_selectorELNS0_4arch9wavefront6targetE1EEEvT1_,@function
_ZN7rocprim17ROCPRIM_400000_NS6detail17trampoline_kernelINS0_14default_configENS1_25partition_config_selectorILNS1_17partition_subalgoE8EyNS0_10empty_typeEbEEZZNS1_14partition_implILS5_8ELb0ES3_jN6thrust23THRUST_200600_302600_NS6detail15normal_iteratorINSA_10device_ptrIyEEEEPS6_PKS6_NS0_5tupleIJNSA_16discard_iteratorINSA_11use_defaultEEES6_EEENSJ_IJSG_SG_EEENS0_18inequality_wrapperINSA_8equal_toIyEEEEPmJS6_EEE10hipError_tPvRmT3_T4_T5_T6_T7_T9_mT8_P12ihipStream_tbDpT10_ENKUlT_T0_E_clISt17integral_constantIbLb0EES1D_EEDaS18_S19_EUlS18_E_NS1_11comp_targetILNS1_3genE10ELNS1_11target_archE1200ELNS1_3gpuE4ELNS1_3repE0EEENS1_30default_config_static_selectorELNS0_4arch9wavefront6targetE1EEEvT1_: ; @_ZN7rocprim17ROCPRIM_400000_NS6detail17trampoline_kernelINS0_14default_configENS1_25partition_config_selectorILNS1_17partition_subalgoE8EyNS0_10empty_typeEbEEZZNS1_14partition_implILS5_8ELb0ES3_jN6thrust23THRUST_200600_302600_NS6detail15normal_iteratorINSA_10device_ptrIyEEEEPS6_PKS6_NS0_5tupleIJNSA_16discard_iteratorINSA_11use_defaultEEES6_EEENSJ_IJSG_SG_EEENS0_18inequality_wrapperINSA_8equal_toIyEEEEPmJS6_EEE10hipError_tPvRmT3_T4_T5_T6_T7_T9_mT8_P12ihipStream_tbDpT10_ENKUlT_T0_E_clISt17integral_constantIbLb0EES1D_EEDaS18_S19_EUlS18_E_NS1_11comp_targetILNS1_3genE10ELNS1_11target_archE1200ELNS1_3gpuE4ELNS1_3repE0EEENS1_30default_config_static_selectorELNS0_4arch9wavefront6targetE1EEEvT1_
; %bb.0:
	.section	.rodata,"a",@progbits
	.p2align	6, 0x0
	.amdhsa_kernel _ZN7rocprim17ROCPRIM_400000_NS6detail17trampoline_kernelINS0_14default_configENS1_25partition_config_selectorILNS1_17partition_subalgoE8EyNS0_10empty_typeEbEEZZNS1_14partition_implILS5_8ELb0ES3_jN6thrust23THRUST_200600_302600_NS6detail15normal_iteratorINSA_10device_ptrIyEEEEPS6_PKS6_NS0_5tupleIJNSA_16discard_iteratorINSA_11use_defaultEEES6_EEENSJ_IJSG_SG_EEENS0_18inequality_wrapperINSA_8equal_toIyEEEEPmJS6_EEE10hipError_tPvRmT3_T4_T5_T6_T7_T9_mT8_P12ihipStream_tbDpT10_ENKUlT_T0_E_clISt17integral_constantIbLb0EES1D_EEDaS18_S19_EUlS18_E_NS1_11comp_targetILNS1_3genE10ELNS1_11target_archE1200ELNS1_3gpuE4ELNS1_3repE0EEENS1_30default_config_static_selectorELNS0_4arch9wavefront6targetE1EEEvT1_
		.amdhsa_group_segment_fixed_size 0
		.amdhsa_private_segment_fixed_size 0
		.amdhsa_kernarg_size 120
		.amdhsa_user_sgpr_count 6
		.amdhsa_user_sgpr_private_segment_buffer 1
		.amdhsa_user_sgpr_dispatch_ptr 0
		.amdhsa_user_sgpr_queue_ptr 0
		.amdhsa_user_sgpr_kernarg_segment_ptr 1
		.amdhsa_user_sgpr_dispatch_id 0
		.amdhsa_user_sgpr_flat_scratch_init 0
		.amdhsa_user_sgpr_private_segment_size 0
		.amdhsa_uses_dynamic_stack 0
		.amdhsa_system_sgpr_private_segment_wavefront_offset 0
		.amdhsa_system_sgpr_workgroup_id_x 1
		.amdhsa_system_sgpr_workgroup_id_y 0
		.amdhsa_system_sgpr_workgroup_id_z 0
		.amdhsa_system_sgpr_workgroup_info 0
		.amdhsa_system_vgpr_workitem_id 0
		.amdhsa_next_free_vgpr 1
		.amdhsa_next_free_sgpr 0
		.amdhsa_reserve_vcc 0
		.amdhsa_reserve_flat_scratch 0
		.amdhsa_float_round_mode_32 0
		.amdhsa_float_round_mode_16_64 0
		.amdhsa_float_denorm_mode_32 3
		.amdhsa_float_denorm_mode_16_64 3
		.amdhsa_dx10_clamp 1
		.amdhsa_ieee_mode 1
		.amdhsa_fp16_overflow 0
		.amdhsa_exception_fp_ieee_invalid_op 0
		.amdhsa_exception_fp_denorm_src 0
		.amdhsa_exception_fp_ieee_div_zero 0
		.amdhsa_exception_fp_ieee_overflow 0
		.amdhsa_exception_fp_ieee_underflow 0
		.amdhsa_exception_fp_ieee_inexact 0
		.amdhsa_exception_int_div_zero 0
	.end_amdhsa_kernel
	.section	.text._ZN7rocprim17ROCPRIM_400000_NS6detail17trampoline_kernelINS0_14default_configENS1_25partition_config_selectorILNS1_17partition_subalgoE8EyNS0_10empty_typeEbEEZZNS1_14partition_implILS5_8ELb0ES3_jN6thrust23THRUST_200600_302600_NS6detail15normal_iteratorINSA_10device_ptrIyEEEEPS6_PKS6_NS0_5tupleIJNSA_16discard_iteratorINSA_11use_defaultEEES6_EEENSJ_IJSG_SG_EEENS0_18inequality_wrapperINSA_8equal_toIyEEEEPmJS6_EEE10hipError_tPvRmT3_T4_T5_T6_T7_T9_mT8_P12ihipStream_tbDpT10_ENKUlT_T0_E_clISt17integral_constantIbLb0EES1D_EEDaS18_S19_EUlS18_E_NS1_11comp_targetILNS1_3genE10ELNS1_11target_archE1200ELNS1_3gpuE4ELNS1_3repE0EEENS1_30default_config_static_selectorELNS0_4arch9wavefront6targetE1EEEvT1_,"axG",@progbits,_ZN7rocprim17ROCPRIM_400000_NS6detail17trampoline_kernelINS0_14default_configENS1_25partition_config_selectorILNS1_17partition_subalgoE8EyNS0_10empty_typeEbEEZZNS1_14partition_implILS5_8ELb0ES3_jN6thrust23THRUST_200600_302600_NS6detail15normal_iteratorINSA_10device_ptrIyEEEEPS6_PKS6_NS0_5tupleIJNSA_16discard_iteratorINSA_11use_defaultEEES6_EEENSJ_IJSG_SG_EEENS0_18inequality_wrapperINSA_8equal_toIyEEEEPmJS6_EEE10hipError_tPvRmT3_T4_T5_T6_T7_T9_mT8_P12ihipStream_tbDpT10_ENKUlT_T0_E_clISt17integral_constantIbLb0EES1D_EEDaS18_S19_EUlS18_E_NS1_11comp_targetILNS1_3genE10ELNS1_11target_archE1200ELNS1_3gpuE4ELNS1_3repE0EEENS1_30default_config_static_selectorELNS0_4arch9wavefront6targetE1EEEvT1_,comdat
.Lfunc_end538:
	.size	_ZN7rocprim17ROCPRIM_400000_NS6detail17trampoline_kernelINS0_14default_configENS1_25partition_config_selectorILNS1_17partition_subalgoE8EyNS0_10empty_typeEbEEZZNS1_14partition_implILS5_8ELb0ES3_jN6thrust23THRUST_200600_302600_NS6detail15normal_iteratorINSA_10device_ptrIyEEEEPS6_PKS6_NS0_5tupleIJNSA_16discard_iteratorINSA_11use_defaultEEES6_EEENSJ_IJSG_SG_EEENS0_18inequality_wrapperINSA_8equal_toIyEEEEPmJS6_EEE10hipError_tPvRmT3_T4_T5_T6_T7_T9_mT8_P12ihipStream_tbDpT10_ENKUlT_T0_E_clISt17integral_constantIbLb0EES1D_EEDaS18_S19_EUlS18_E_NS1_11comp_targetILNS1_3genE10ELNS1_11target_archE1200ELNS1_3gpuE4ELNS1_3repE0EEENS1_30default_config_static_selectorELNS0_4arch9wavefront6targetE1EEEvT1_, .Lfunc_end538-_ZN7rocprim17ROCPRIM_400000_NS6detail17trampoline_kernelINS0_14default_configENS1_25partition_config_selectorILNS1_17partition_subalgoE8EyNS0_10empty_typeEbEEZZNS1_14partition_implILS5_8ELb0ES3_jN6thrust23THRUST_200600_302600_NS6detail15normal_iteratorINSA_10device_ptrIyEEEEPS6_PKS6_NS0_5tupleIJNSA_16discard_iteratorINSA_11use_defaultEEES6_EEENSJ_IJSG_SG_EEENS0_18inequality_wrapperINSA_8equal_toIyEEEEPmJS6_EEE10hipError_tPvRmT3_T4_T5_T6_T7_T9_mT8_P12ihipStream_tbDpT10_ENKUlT_T0_E_clISt17integral_constantIbLb0EES1D_EEDaS18_S19_EUlS18_E_NS1_11comp_targetILNS1_3genE10ELNS1_11target_archE1200ELNS1_3gpuE4ELNS1_3repE0EEENS1_30default_config_static_selectorELNS0_4arch9wavefront6targetE1EEEvT1_
                                        ; -- End function
	.set _ZN7rocprim17ROCPRIM_400000_NS6detail17trampoline_kernelINS0_14default_configENS1_25partition_config_selectorILNS1_17partition_subalgoE8EyNS0_10empty_typeEbEEZZNS1_14partition_implILS5_8ELb0ES3_jN6thrust23THRUST_200600_302600_NS6detail15normal_iteratorINSA_10device_ptrIyEEEEPS6_PKS6_NS0_5tupleIJNSA_16discard_iteratorINSA_11use_defaultEEES6_EEENSJ_IJSG_SG_EEENS0_18inequality_wrapperINSA_8equal_toIyEEEEPmJS6_EEE10hipError_tPvRmT3_T4_T5_T6_T7_T9_mT8_P12ihipStream_tbDpT10_ENKUlT_T0_E_clISt17integral_constantIbLb0EES1D_EEDaS18_S19_EUlS18_E_NS1_11comp_targetILNS1_3genE10ELNS1_11target_archE1200ELNS1_3gpuE4ELNS1_3repE0EEENS1_30default_config_static_selectorELNS0_4arch9wavefront6targetE1EEEvT1_.num_vgpr, 0
	.set _ZN7rocprim17ROCPRIM_400000_NS6detail17trampoline_kernelINS0_14default_configENS1_25partition_config_selectorILNS1_17partition_subalgoE8EyNS0_10empty_typeEbEEZZNS1_14partition_implILS5_8ELb0ES3_jN6thrust23THRUST_200600_302600_NS6detail15normal_iteratorINSA_10device_ptrIyEEEEPS6_PKS6_NS0_5tupleIJNSA_16discard_iteratorINSA_11use_defaultEEES6_EEENSJ_IJSG_SG_EEENS0_18inequality_wrapperINSA_8equal_toIyEEEEPmJS6_EEE10hipError_tPvRmT3_T4_T5_T6_T7_T9_mT8_P12ihipStream_tbDpT10_ENKUlT_T0_E_clISt17integral_constantIbLb0EES1D_EEDaS18_S19_EUlS18_E_NS1_11comp_targetILNS1_3genE10ELNS1_11target_archE1200ELNS1_3gpuE4ELNS1_3repE0EEENS1_30default_config_static_selectorELNS0_4arch9wavefront6targetE1EEEvT1_.num_agpr, 0
	.set _ZN7rocprim17ROCPRIM_400000_NS6detail17trampoline_kernelINS0_14default_configENS1_25partition_config_selectorILNS1_17partition_subalgoE8EyNS0_10empty_typeEbEEZZNS1_14partition_implILS5_8ELb0ES3_jN6thrust23THRUST_200600_302600_NS6detail15normal_iteratorINSA_10device_ptrIyEEEEPS6_PKS6_NS0_5tupleIJNSA_16discard_iteratorINSA_11use_defaultEEES6_EEENSJ_IJSG_SG_EEENS0_18inequality_wrapperINSA_8equal_toIyEEEEPmJS6_EEE10hipError_tPvRmT3_T4_T5_T6_T7_T9_mT8_P12ihipStream_tbDpT10_ENKUlT_T0_E_clISt17integral_constantIbLb0EES1D_EEDaS18_S19_EUlS18_E_NS1_11comp_targetILNS1_3genE10ELNS1_11target_archE1200ELNS1_3gpuE4ELNS1_3repE0EEENS1_30default_config_static_selectorELNS0_4arch9wavefront6targetE1EEEvT1_.numbered_sgpr, 0
	.set _ZN7rocprim17ROCPRIM_400000_NS6detail17trampoline_kernelINS0_14default_configENS1_25partition_config_selectorILNS1_17partition_subalgoE8EyNS0_10empty_typeEbEEZZNS1_14partition_implILS5_8ELb0ES3_jN6thrust23THRUST_200600_302600_NS6detail15normal_iteratorINSA_10device_ptrIyEEEEPS6_PKS6_NS0_5tupleIJNSA_16discard_iteratorINSA_11use_defaultEEES6_EEENSJ_IJSG_SG_EEENS0_18inequality_wrapperINSA_8equal_toIyEEEEPmJS6_EEE10hipError_tPvRmT3_T4_T5_T6_T7_T9_mT8_P12ihipStream_tbDpT10_ENKUlT_T0_E_clISt17integral_constantIbLb0EES1D_EEDaS18_S19_EUlS18_E_NS1_11comp_targetILNS1_3genE10ELNS1_11target_archE1200ELNS1_3gpuE4ELNS1_3repE0EEENS1_30default_config_static_selectorELNS0_4arch9wavefront6targetE1EEEvT1_.num_named_barrier, 0
	.set _ZN7rocprim17ROCPRIM_400000_NS6detail17trampoline_kernelINS0_14default_configENS1_25partition_config_selectorILNS1_17partition_subalgoE8EyNS0_10empty_typeEbEEZZNS1_14partition_implILS5_8ELb0ES3_jN6thrust23THRUST_200600_302600_NS6detail15normal_iteratorINSA_10device_ptrIyEEEEPS6_PKS6_NS0_5tupleIJNSA_16discard_iteratorINSA_11use_defaultEEES6_EEENSJ_IJSG_SG_EEENS0_18inequality_wrapperINSA_8equal_toIyEEEEPmJS6_EEE10hipError_tPvRmT3_T4_T5_T6_T7_T9_mT8_P12ihipStream_tbDpT10_ENKUlT_T0_E_clISt17integral_constantIbLb0EES1D_EEDaS18_S19_EUlS18_E_NS1_11comp_targetILNS1_3genE10ELNS1_11target_archE1200ELNS1_3gpuE4ELNS1_3repE0EEENS1_30default_config_static_selectorELNS0_4arch9wavefront6targetE1EEEvT1_.private_seg_size, 0
	.set _ZN7rocprim17ROCPRIM_400000_NS6detail17trampoline_kernelINS0_14default_configENS1_25partition_config_selectorILNS1_17partition_subalgoE8EyNS0_10empty_typeEbEEZZNS1_14partition_implILS5_8ELb0ES3_jN6thrust23THRUST_200600_302600_NS6detail15normal_iteratorINSA_10device_ptrIyEEEEPS6_PKS6_NS0_5tupleIJNSA_16discard_iteratorINSA_11use_defaultEEES6_EEENSJ_IJSG_SG_EEENS0_18inequality_wrapperINSA_8equal_toIyEEEEPmJS6_EEE10hipError_tPvRmT3_T4_T5_T6_T7_T9_mT8_P12ihipStream_tbDpT10_ENKUlT_T0_E_clISt17integral_constantIbLb0EES1D_EEDaS18_S19_EUlS18_E_NS1_11comp_targetILNS1_3genE10ELNS1_11target_archE1200ELNS1_3gpuE4ELNS1_3repE0EEENS1_30default_config_static_selectorELNS0_4arch9wavefront6targetE1EEEvT1_.uses_vcc, 0
	.set _ZN7rocprim17ROCPRIM_400000_NS6detail17trampoline_kernelINS0_14default_configENS1_25partition_config_selectorILNS1_17partition_subalgoE8EyNS0_10empty_typeEbEEZZNS1_14partition_implILS5_8ELb0ES3_jN6thrust23THRUST_200600_302600_NS6detail15normal_iteratorINSA_10device_ptrIyEEEEPS6_PKS6_NS0_5tupleIJNSA_16discard_iteratorINSA_11use_defaultEEES6_EEENSJ_IJSG_SG_EEENS0_18inequality_wrapperINSA_8equal_toIyEEEEPmJS6_EEE10hipError_tPvRmT3_T4_T5_T6_T7_T9_mT8_P12ihipStream_tbDpT10_ENKUlT_T0_E_clISt17integral_constantIbLb0EES1D_EEDaS18_S19_EUlS18_E_NS1_11comp_targetILNS1_3genE10ELNS1_11target_archE1200ELNS1_3gpuE4ELNS1_3repE0EEENS1_30default_config_static_selectorELNS0_4arch9wavefront6targetE1EEEvT1_.uses_flat_scratch, 0
	.set _ZN7rocprim17ROCPRIM_400000_NS6detail17trampoline_kernelINS0_14default_configENS1_25partition_config_selectorILNS1_17partition_subalgoE8EyNS0_10empty_typeEbEEZZNS1_14partition_implILS5_8ELb0ES3_jN6thrust23THRUST_200600_302600_NS6detail15normal_iteratorINSA_10device_ptrIyEEEEPS6_PKS6_NS0_5tupleIJNSA_16discard_iteratorINSA_11use_defaultEEES6_EEENSJ_IJSG_SG_EEENS0_18inequality_wrapperINSA_8equal_toIyEEEEPmJS6_EEE10hipError_tPvRmT3_T4_T5_T6_T7_T9_mT8_P12ihipStream_tbDpT10_ENKUlT_T0_E_clISt17integral_constantIbLb0EES1D_EEDaS18_S19_EUlS18_E_NS1_11comp_targetILNS1_3genE10ELNS1_11target_archE1200ELNS1_3gpuE4ELNS1_3repE0EEENS1_30default_config_static_selectorELNS0_4arch9wavefront6targetE1EEEvT1_.has_dyn_sized_stack, 0
	.set _ZN7rocprim17ROCPRIM_400000_NS6detail17trampoline_kernelINS0_14default_configENS1_25partition_config_selectorILNS1_17partition_subalgoE8EyNS0_10empty_typeEbEEZZNS1_14partition_implILS5_8ELb0ES3_jN6thrust23THRUST_200600_302600_NS6detail15normal_iteratorINSA_10device_ptrIyEEEEPS6_PKS6_NS0_5tupleIJNSA_16discard_iteratorINSA_11use_defaultEEES6_EEENSJ_IJSG_SG_EEENS0_18inequality_wrapperINSA_8equal_toIyEEEEPmJS6_EEE10hipError_tPvRmT3_T4_T5_T6_T7_T9_mT8_P12ihipStream_tbDpT10_ENKUlT_T0_E_clISt17integral_constantIbLb0EES1D_EEDaS18_S19_EUlS18_E_NS1_11comp_targetILNS1_3genE10ELNS1_11target_archE1200ELNS1_3gpuE4ELNS1_3repE0EEENS1_30default_config_static_selectorELNS0_4arch9wavefront6targetE1EEEvT1_.has_recursion, 0
	.set _ZN7rocprim17ROCPRIM_400000_NS6detail17trampoline_kernelINS0_14default_configENS1_25partition_config_selectorILNS1_17partition_subalgoE8EyNS0_10empty_typeEbEEZZNS1_14partition_implILS5_8ELb0ES3_jN6thrust23THRUST_200600_302600_NS6detail15normal_iteratorINSA_10device_ptrIyEEEEPS6_PKS6_NS0_5tupleIJNSA_16discard_iteratorINSA_11use_defaultEEES6_EEENSJ_IJSG_SG_EEENS0_18inequality_wrapperINSA_8equal_toIyEEEEPmJS6_EEE10hipError_tPvRmT3_T4_T5_T6_T7_T9_mT8_P12ihipStream_tbDpT10_ENKUlT_T0_E_clISt17integral_constantIbLb0EES1D_EEDaS18_S19_EUlS18_E_NS1_11comp_targetILNS1_3genE10ELNS1_11target_archE1200ELNS1_3gpuE4ELNS1_3repE0EEENS1_30default_config_static_selectorELNS0_4arch9wavefront6targetE1EEEvT1_.has_indirect_call, 0
	.section	.AMDGPU.csdata,"",@progbits
; Kernel info:
; codeLenInByte = 0
; TotalNumSgprs: 4
; NumVgprs: 0
; ScratchSize: 0
; MemoryBound: 0
; FloatMode: 240
; IeeeMode: 1
; LDSByteSize: 0 bytes/workgroup (compile time only)
; SGPRBlocks: 0
; VGPRBlocks: 0
; NumSGPRsForWavesPerEU: 4
; NumVGPRsForWavesPerEU: 1
; Occupancy: 10
; WaveLimiterHint : 0
; COMPUTE_PGM_RSRC2:SCRATCH_EN: 0
; COMPUTE_PGM_RSRC2:USER_SGPR: 6
; COMPUTE_PGM_RSRC2:TRAP_HANDLER: 0
; COMPUTE_PGM_RSRC2:TGID_X_EN: 1
; COMPUTE_PGM_RSRC2:TGID_Y_EN: 0
; COMPUTE_PGM_RSRC2:TGID_Z_EN: 0
; COMPUTE_PGM_RSRC2:TIDIG_COMP_CNT: 0
	.section	.text._ZN7rocprim17ROCPRIM_400000_NS6detail17trampoline_kernelINS0_14default_configENS1_25partition_config_selectorILNS1_17partition_subalgoE8EyNS0_10empty_typeEbEEZZNS1_14partition_implILS5_8ELb0ES3_jN6thrust23THRUST_200600_302600_NS6detail15normal_iteratorINSA_10device_ptrIyEEEEPS6_PKS6_NS0_5tupleIJNSA_16discard_iteratorINSA_11use_defaultEEES6_EEENSJ_IJSG_SG_EEENS0_18inequality_wrapperINSA_8equal_toIyEEEEPmJS6_EEE10hipError_tPvRmT3_T4_T5_T6_T7_T9_mT8_P12ihipStream_tbDpT10_ENKUlT_T0_E_clISt17integral_constantIbLb0EES1D_EEDaS18_S19_EUlS18_E_NS1_11comp_targetILNS1_3genE9ELNS1_11target_archE1100ELNS1_3gpuE3ELNS1_3repE0EEENS1_30default_config_static_selectorELNS0_4arch9wavefront6targetE1EEEvT1_,"axG",@progbits,_ZN7rocprim17ROCPRIM_400000_NS6detail17trampoline_kernelINS0_14default_configENS1_25partition_config_selectorILNS1_17partition_subalgoE8EyNS0_10empty_typeEbEEZZNS1_14partition_implILS5_8ELb0ES3_jN6thrust23THRUST_200600_302600_NS6detail15normal_iteratorINSA_10device_ptrIyEEEEPS6_PKS6_NS0_5tupleIJNSA_16discard_iteratorINSA_11use_defaultEEES6_EEENSJ_IJSG_SG_EEENS0_18inequality_wrapperINSA_8equal_toIyEEEEPmJS6_EEE10hipError_tPvRmT3_T4_T5_T6_T7_T9_mT8_P12ihipStream_tbDpT10_ENKUlT_T0_E_clISt17integral_constantIbLb0EES1D_EEDaS18_S19_EUlS18_E_NS1_11comp_targetILNS1_3genE9ELNS1_11target_archE1100ELNS1_3gpuE3ELNS1_3repE0EEENS1_30default_config_static_selectorELNS0_4arch9wavefront6targetE1EEEvT1_,comdat
	.protected	_ZN7rocprim17ROCPRIM_400000_NS6detail17trampoline_kernelINS0_14default_configENS1_25partition_config_selectorILNS1_17partition_subalgoE8EyNS0_10empty_typeEbEEZZNS1_14partition_implILS5_8ELb0ES3_jN6thrust23THRUST_200600_302600_NS6detail15normal_iteratorINSA_10device_ptrIyEEEEPS6_PKS6_NS0_5tupleIJNSA_16discard_iteratorINSA_11use_defaultEEES6_EEENSJ_IJSG_SG_EEENS0_18inequality_wrapperINSA_8equal_toIyEEEEPmJS6_EEE10hipError_tPvRmT3_T4_T5_T6_T7_T9_mT8_P12ihipStream_tbDpT10_ENKUlT_T0_E_clISt17integral_constantIbLb0EES1D_EEDaS18_S19_EUlS18_E_NS1_11comp_targetILNS1_3genE9ELNS1_11target_archE1100ELNS1_3gpuE3ELNS1_3repE0EEENS1_30default_config_static_selectorELNS0_4arch9wavefront6targetE1EEEvT1_ ; -- Begin function _ZN7rocprim17ROCPRIM_400000_NS6detail17trampoline_kernelINS0_14default_configENS1_25partition_config_selectorILNS1_17partition_subalgoE8EyNS0_10empty_typeEbEEZZNS1_14partition_implILS5_8ELb0ES3_jN6thrust23THRUST_200600_302600_NS6detail15normal_iteratorINSA_10device_ptrIyEEEEPS6_PKS6_NS0_5tupleIJNSA_16discard_iteratorINSA_11use_defaultEEES6_EEENSJ_IJSG_SG_EEENS0_18inequality_wrapperINSA_8equal_toIyEEEEPmJS6_EEE10hipError_tPvRmT3_T4_T5_T6_T7_T9_mT8_P12ihipStream_tbDpT10_ENKUlT_T0_E_clISt17integral_constantIbLb0EES1D_EEDaS18_S19_EUlS18_E_NS1_11comp_targetILNS1_3genE9ELNS1_11target_archE1100ELNS1_3gpuE3ELNS1_3repE0EEENS1_30default_config_static_selectorELNS0_4arch9wavefront6targetE1EEEvT1_
	.globl	_ZN7rocprim17ROCPRIM_400000_NS6detail17trampoline_kernelINS0_14default_configENS1_25partition_config_selectorILNS1_17partition_subalgoE8EyNS0_10empty_typeEbEEZZNS1_14partition_implILS5_8ELb0ES3_jN6thrust23THRUST_200600_302600_NS6detail15normal_iteratorINSA_10device_ptrIyEEEEPS6_PKS6_NS0_5tupleIJNSA_16discard_iteratorINSA_11use_defaultEEES6_EEENSJ_IJSG_SG_EEENS0_18inequality_wrapperINSA_8equal_toIyEEEEPmJS6_EEE10hipError_tPvRmT3_T4_T5_T6_T7_T9_mT8_P12ihipStream_tbDpT10_ENKUlT_T0_E_clISt17integral_constantIbLb0EES1D_EEDaS18_S19_EUlS18_E_NS1_11comp_targetILNS1_3genE9ELNS1_11target_archE1100ELNS1_3gpuE3ELNS1_3repE0EEENS1_30default_config_static_selectorELNS0_4arch9wavefront6targetE1EEEvT1_
	.p2align	8
	.type	_ZN7rocprim17ROCPRIM_400000_NS6detail17trampoline_kernelINS0_14default_configENS1_25partition_config_selectorILNS1_17partition_subalgoE8EyNS0_10empty_typeEbEEZZNS1_14partition_implILS5_8ELb0ES3_jN6thrust23THRUST_200600_302600_NS6detail15normal_iteratorINSA_10device_ptrIyEEEEPS6_PKS6_NS0_5tupleIJNSA_16discard_iteratorINSA_11use_defaultEEES6_EEENSJ_IJSG_SG_EEENS0_18inequality_wrapperINSA_8equal_toIyEEEEPmJS6_EEE10hipError_tPvRmT3_T4_T5_T6_T7_T9_mT8_P12ihipStream_tbDpT10_ENKUlT_T0_E_clISt17integral_constantIbLb0EES1D_EEDaS18_S19_EUlS18_E_NS1_11comp_targetILNS1_3genE9ELNS1_11target_archE1100ELNS1_3gpuE3ELNS1_3repE0EEENS1_30default_config_static_selectorELNS0_4arch9wavefront6targetE1EEEvT1_,@function
_ZN7rocprim17ROCPRIM_400000_NS6detail17trampoline_kernelINS0_14default_configENS1_25partition_config_selectorILNS1_17partition_subalgoE8EyNS0_10empty_typeEbEEZZNS1_14partition_implILS5_8ELb0ES3_jN6thrust23THRUST_200600_302600_NS6detail15normal_iteratorINSA_10device_ptrIyEEEEPS6_PKS6_NS0_5tupleIJNSA_16discard_iteratorINSA_11use_defaultEEES6_EEENSJ_IJSG_SG_EEENS0_18inequality_wrapperINSA_8equal_toIyEEEEPmJS6_EEE10hipError_tPvRmT3_T4_T5_T6_T7_T9_mT8_P12ihipStream_tbDpT10_ENKUlT_T0_E_clISt17integral_constantIbLb0EES1D_EEDaS18_S19_EUlS18_E_NS1_11comp_targetILNS1_3genE9ELNS1_11target_archE1100ELNS1_3gpuE3ELNS1_3repE0EEENS1_30default_config_static_selectorELNS0_4arch9wavefront6targetE1EEEvT1_: ; @_ZN7rocprim17ROCPRIM_400000_NS6detail17trampoline_kernelINS0_14default_configENS1_25partition_config_selectorILNS1_17partition_subalgoE8EyNS0_10empty_typeEbEEZZNS1_14partition_implILS5_8ELb0ES3_jN6thrust23THRUST_200600_302600_NS6detail15normal_iteratorINSA_10device_ptrIyEEEEPS6_PKS6_NS0_5tupleIJNSA_16discard_iteratorINSA_11use_defaultEEES6_EEENSJ_IJSG_SG_EEENS0_18inequality_wrapperINSA_8equal_toIyEEEEPmJS6_EEE10hipError_tPvRmT3_T4_T5_T6_T7_T9_mT8_P12ihipStream_tbDpT10_ENKUlT_T0_E_clISt17integral_constantIbLb0EES1D_EEDaS18_S19_EUlS18_E_NS1_11comp_targetILNS1_3genE9ELNS1_11target_archE1100ELNS1_3gpuE3ELNS1_3repE0EEENS1_30default_config_static_selectorELNS0_4arch9wavefront6targetE1EEEvT1_
; %bb.0:
	.section	.rodata,"a",@progbits
	.p2align	6, 0x0
	.amdhsa_kernel _ZN7rocprim17ROCPRIM_400000_NS6detail17trampoline_kernelINS0_14default_configENS1_25partition_config_selectorILNS1_17partition_subalgoE8EyNS0_10empty_typeEbEEZZNS1_14partition_implILS5_8ELb0ES3_jN6thrust23THRUST_200600_302600_NS6detail15normal_iteratorINSA_10device_ptrIyEEEEPS6_PKS6_NS0_5tupleIJNSA_16discard_iteratorINSA_11use_defaultEEES6_EEENSJ_IJSG_SG_EEENS0_18inequality_wrapperINSA_8equal_toIyEEEEPmJS6_EEE10hipError_tPvRmT3_T4_T5_T6_T7_T9_mT8_P12ihipStream_tbDpT10_ENKUlT_T0_E_clISt17integral_constantIbLb0EES1D_EEDaS18_S19_EUlS18_E_NS1_11comp_targetILNS1_3genE9ELNS1_11target_archE1100ELNS1_3gpuE3ELNS1_3repE0EEENS1_30default_config_static_selectorELNS0_4arch9wavefront6targetE1EEEvT1_
		.amdhsa_group_segment_fixed_size 0
		.amdhsa_private_segment_fixed_size 0
		.amdhsa_kernarg_size 120
		.amdhsa_user_sgpr_count 6
		.amdhsa_user_sgpr_private_segment_buffer 1
		.amdhsa_user_sgpr_dispatch_ptr 0
		.amdhsa_user_sgpr_queue_ptr 0
		.amdhsa_user_sgpr_kernarg_segment_ptr 1
		.amdhsa_user_sgpr_dispatch_id 0
		.amdhsa_user_sgpr_flat_scratch_init 0
		.amdhsa_user_sgpr_private_segment_size 0
		.amdhsa_uses_dynamic_stack 0
		.amdhsa_system_sgpr_private_segment_wavefront_offset 0
		.amdhsa_system_sgpr_workgroup_id_x 1
		.amdhsa_system_sgpr_workgroup_id_y 0
		.amdhsa_system_sgpr_workgroup_id_z 0
		.amdhsa_system_sgpr_workgroup_info 0
		.amdhsa_system_vgpr_workitem_id 0
		.amdhsa_next_free_vgpr 1
		.amdhsa_next_free_sgpr 0
		.amdhsa_reserve_vcc 0
		.amdhsa_reserve_flat_scratch 0
		.amdhsa_float_round_mode_32 0
		.amdhsa_float_round_mode_16_64 0
		.amdhsa_float_denorm_mode_32 3
		.amdhsa_float_denorm_mode_16_64 3
		.amdhsa_dx10_clamp 1
		.amdhsa_ieee_mode 1
		.amdhsa_fp16_overflow 0
		.amdhsa_exception_fp_ieee_invalid_op 0
		.amdhsa_exception_fp_denorm_src 0
		.amdhsa_exception_fp_ieee_div_zero 0
		.amdhsa_exception_fp_ieee_overflow 0
		.amdhsa_exception_fp_ieee_underflow 0
		.amdhsa_exception_fp_ieee_inexact 0
		.amdhsa_exception_int_div_zero 0
	.end_amdhsa_kernel
	.section	.text._ZN7rocprim17ROCPRIM_400000_NS6detail17trampoline_kernelINS0_14default_configENS1_25partition_config_selectorILNS1_17partition_subalgoE8EyNS0_10empty_typeEbEEZZNS1_14partition_implILS5_8ELb0ES3_jN6thrust23THRUST_200600_302600_NS6detail15normal_iteratorINSA_10device_ptrIyEEEEPS6_PKS6_NS0_5tupleIJNSA_16discard_iteratorINSA_11use_defaultEEES6_EEENSJ_IJSG_SG_EEENS0_18inequality_wrapperINSA_8equal_toIyEEEEPmJS6_EEE10hipError_tPvRmT3_T4_T5_T6_T7_T9_mT8_P12ihipStream_tbDpT10_ENKUlT_T0_E_clISt17integral_constantIbLb0EES1D_EEDaS18_S19_EUlS18_E_NS1_11comp_targetILNS1_3genE9ELNS1_11target_archE1100ELNS1_3gpuE3ELNS1_3repE0EEENS1_30default_config_static_selectorELNS0_4arch9wavefront6targetE1EEEvT1_,"axG",@progbits,_ZN7rocprim17ROCPRIM_400000_NS6detail17trampoline_kernelINS0_14default_configENS1_25partition_config_selectorILNS1_17partition_subalgoE8EyNS0_10empty_typeEbEEZZNS1_14partition_implILS5_8ELb0ES3_jN6thrust23THRUST_200600_302600_NS6detail15normal_iteratorINSA_10device_ptrIyEEEEPS6_PKS6_NS0_5tupleIJNSA_16discard_iteratorINSA_11use_defaultEEES6_EEENSJ_IJSG_SG_EEENS0_18inequality_wrapperINSA_8equal_toIyEEEEPmJS6_EEE10hipError_tPvRmT3_T4_T5_T6_T7_T9_mT8_P12ihipStream_tbDpT10_ENKUlT_T0_E_clISt17integral_constantIbLb0EES1D_EEDaS18_S19_EUlS18_E_NS1_11comp_targetILNS1_3genE9ELNS1_11target_archE1100ELNS1_3gpuE3ELNS1_3repE0EEENS1_30default_config_static_selectorELNS0_4arch9wavefront6targetE1EEEvT1_,comdat
.Lfunc_end539:
	.size	_ZN7rocprim17ROCPRIM_400000_NS6detail17trampoline_kernelINS0_14default_configENS1_25partition_config_selectorILNS1_17partition_subalgoE8EyNS0_10empty_typeEbEEZZNS1_14partition_implILS5_8ELb0ES3_jN6thrust23THRUST_200600_302600_NS6detail15normal_iteratorINSA_10device_ptrIyEEEEPS6_PKS6_NS0_5tupleIJNSA_16discard_iteratorINSA_11use_defaultEEES6_EEENSJ_IJSG_SG_EEENS0_18inequality_wrapperINSA_8equal_toIyEEEEPmJS6_EEE10hipError_tPvRmT3_T4_T5_T6_T7_T9_mT8_P12ihipStream_tbDpT10_ENKUlT_T0_E_clISt17integral_constantIbLb0EES1D_EEDaS18_S19_EUlS18_E_NS1_11comp_targetILNS1_3genE9ELNS1_11target_archE1100ELNS1_3gpuE3ELNS1_3repE0EEENS1_30default_config_static_selectorELNS0_4arch9wavefront6targetE1EEEvT1_, .Lfunc_end539-_ZN7rocprim17ROCPRIM_400000_NS6detail17trampoline_kernelINS0_14default_configENS1_25partition_config_selectorILNS1_17partition_subalgoE8EyNS0_10empty_typeEbEEZZNS1_14partition_implILS5_8ELb0ES3_jN6thrust23THRUST_200600_302600_NS6detail15normal_iteratorINSA_10device_ptrIyEEEEPS6_PKS6_NS0_5tupleIJNSA_16discard_iteratorINSA_11use_defaultEEES6_EEENSJ_IJSG_SG_EEENS0_18inequality_wrapperINSA_8equal_toIyEEEEPmJS6_EEE10hipError_tPvRmT3_T4_T5_T6_T7_T9_mT8_P12ihipStream_tbDpT10_ENKUlT_T0_E_clISt17integral_constantIbLb0EES1D_EEDaS18_S19_EUlS18_E_NS1_11comp_targetILNS1_3genE9ELNS1_11target_archE1100ELNS1_3gpuE3ELNS1_3repE0EEENS1_30default_config_static_selectorELNS0_4arch9wavefront6targetE1EEEvT1_
                                        ; -- End function
	.set _ZN7rocprim17ROCPRIM_400000_NS6detail17trampoline_kernelINS0_14default_configENS1_25partition_config_selectorILNS1_17partition_subalgoE8EyNS0_10empty_typeEbEEZZNS1_14partition_implILS5_8ELb0ES3_jN6thrust23THRUST_200600_302600_NS6detail15normal_iteratorINSA_10device_ptrIyEEEEPS6_PKS6_NS0_5tupleIJNSA_16discard_iteratorINSA_11use_defaultEEES6_EEENSJ_IJSG_SG_EEENS0_18inequality_wrapperINSA_8equal_toIyEEEEPmJS6_EEE10hipError_tPvRmT3_T4_T5_T6_T7_T9_mT8_P12ihipStream_tbDpT10_ENKUlT_T0_E_clISt17integral_constantIbLb0EES1D_EEDaS18_S19_EUlS18_E_NS1_11comp_targetILNS1_3genE9ELNS1_11target_archE1100ELNS1_3gpuE3ELNS1_3repE0EEENS1_30default_config_static_selectorELNS0_4arch9wavefront6targetE1EEEvT1_.num_vgpr, 0
	.set _ZN7rocprim17ROCPRIM_400000_NS6detail17trampoline_kernelINS0_14default_configENS1_25partition_config_selectorILNS1_17partition_subalgoE8EyNS0_10empty_typeEbEEZZNS1_14partition_implILS5_8ELb0ES3_jN6thrust23THRUST_200600_302600_NS6detail15normal_iteratorINSA_10device_ptrIyEEEEPS6_PKS6_NS0_5tupleIJNSA_16discard_iteratorINSA_11use_defaultEEES6_EEENSJ_IJSG_SG_EEENS0_18inequality_wrapperINSA_8equal_toIyEEEEPmJS6_EEE10hipError_tPvRmT3_T4_T5_T6_T7_T9_mT8_P12ihipStream_tbDpT10_ENKUlT_T0_E_clISt17integral_constantIbLb0EES1D_EEDaS18_S19_EUlS18_E_NS1_11comp_targetILNS1_3genE9ELNS1_11target_archE1100ELNS1_3gpuE3ELNS1_3repE0EEENS1_30default_config_static_selectorELNS0_4arch9wavefront6targetE1EEEvT1_.num_agpr, 0
	.set _ZN7rocprim17ROCPRIM_400000_NS6detail17trampoline_kernelINS0_14default_configENS1_25partition_config_selectorILNS1_17partition_subalgoE8EyNS0_10empty_typeEbEEZZNS1_14partition_implILS5_8ELb0ES3_jN6thrust23THRUST_200600_302600_NS6detail15normal_iteratorINSA_10device_ptrIyEEEEPS6_PKS6_NS0_5tupleIJNSA_16discard_iteratorINSA_11use_defaultEEES6_EEENSJ_IJSG_SG_EEENS0_18inequality_wrapperINSA_8equal_toIyEEEEPmJS6_EEE10hipError_tPvRmT3_T4_T5_T6_T7_T9_mT8_P12ihipStream_tbDpT10_ENKUlT_T0_E_clISt17integral_constantIbLb0EES1D_EEDaS18_S19_EUlS18_E_NS1_11comp_targetILNS1_3genE9ELNS1_11target_archE1100ELNS1_3gpuE3ELNS1_3repE0EEENS1_30default_config_static_selectorELNS0_4arch9wavefront6targetE1EEEvT1_.numbered_sgpr, 0
	.set _ZN7rocprim17ROCPRIM_400000_NS6detail17trampoline_kernelINS0_14default_configENS1_25partition_config_selectorILNS1_17partition_subalgoE8EyNS0_10empty_typeEbEEZZNS1_14partition_implILS5_8ELb0ES3_jN6thrust23THRUST_200600_302600_NS6detail15normal_iteratorINSA_10device_ptrIyEEEEPS6_PKS6_NS0_5tupleIJNSA_16discard_iteratorINSA_11use_defaultEEES6_EEENSJ_IJSG_SG_EEENS0_18inequality_wrapperINSA_8equal_toIyEEEEPmJS6_EEE10hipError_tPvRmT3_T4_T5_T6_T7_T9_mT8_P12ihipStream_tbDpT10_ENKUlT_T0_E_clISt17integral_constantIbLb0EES1D_EEDaS18_S19_EUlS18_E_NS1_11comp_targetILNS1_3genE9ELNS1_11target_archE1100ELNS1_3gpuE3ELNS1_3repE0EEENS1_30default_config_static_selectorELNS0_4arch9wavefront6targetE1EEEvT1_.num_named_barrier, 0
	.set _ZN7rocprim17ROCPRIM_400000_NS6detail17trampoline_kernelINS0_14default_configENS1_25partition_config_selectorILNS1_17partition_subalgoE8EyNS0_10empty_typeEbEEZZNS1_14partition_implILS5_8ELb0ES3_jN6thrust23THRUST_200600_302600_NS6detail15normal_iteratorINSA_10device_ptrIyEEEEPS6_PKS6_NS0_5tupleIJNSA_16discard_iteratorINSA_11use_defaultEEES6_EEENSJ_IJSG_SG_EEENS0_18inequality_wrapperINSA_8equal_toIyEEEEPmJS6_EEE10hipError_tPvRmT3_T4_T5_T6_T7_T9_mT8_P12ihipStream_tbDpT10_ENKUlT_T0_E_clISt17integral_constantIbLb0EES1D_EEDaS18_S19_EUlS18_E_NS1_11comp_targetILNS1_3genE9ELNS1_11target_archE1100ELNS1_3gpuE3ELNS1_3repE0EEENS1_30default_config_static_selectorELNS0_4arch9wavefront6targetE1EEEvT1_.private_seg_size, 0
	.set _ZN7rocprim17ROCPRIM_400000_NS6detail17trampoline_kernelINS0_14default_configENS1_25partition_config_selectorILNS1_17partition_subalgoE8EyNS0_10empty_typeEbEEZZNS1_14partition_implILS5_8ELb0ES3_jN6thrust23THRUST_200600_302600_NS6detail15normal_iteratorINSA_10device_ptrIyEEEEPS6_PKS6_NS0_5tupleIJNSA_16discard_iteratorINSA_11use_defaultEEES6_EEENSJ_IJSG_SG_EEENS0_18inequality_wrapperINSA_8equal_toIyEEEEPmJS6_EEE10hipError_tPvRmT3_T4_T5_T6_T7_T9_mT8_P12ihipStream_tbDpT10_ENKUlT_T0_E_clISt17integral_constantIbLb0EES1D_EEDaS18_S19_EUlS18_E_NS1_11comp_targetILNS1_3genE9ELNS1_11target_archE1100ELNS1_3gpuE3ELNS1_3repE0EEENS1_30default_config_static_selectorELNS0_4arch9wavefront6targetE1EEEvT1_.uses_vcc, 0
	.set _ZN7rocprim17ROCPRIM_400000_NS6detail17trampoline_kernelINS0_14default_configENS1_25partition_config_selectorILNS1_17partition_subalgoE8EyNS0_10empty_typeEbEEZZNS1_14partition_implILS5_8ELb0ES3_jN6thrust23THRUST_200600_302600_NS6detail15normal_iteratorINSA_10device_ptrIyEEEEPS6_PKS6_NS0_5tupleIJNSA_16discard_iteratorINSA_11use_defaultEEES6_EEENSJ_IJSG_SG_EEENS0_18inequality_wrapperINSA_8equal_toIyEEEEPmJS6_EEE10hipError_tPvRmT3_T4_T5_T6_T7_T9_mT8_P12ihipStream_tbDpT10_ENKUlT_T0_E_clISt17integral_constantIbLb0EES1D_EEDaS18_S19_EUlS18_E_NS1_11comp_targetILNS1_3genE9ELNS1_11target_archE1100ELNS1_3gpuE3ELNS1_3repE0EEENS1_30default_config_static_selectorELNS0_4arch9wavefront6targetE1EEEvT1_.uses_flat_scratch, 0
	.set _ZN7rocprim17ROCPRIM_400000_NS6detail17trampoline_kernelINS0_14default_configENS1_25partition_config_selectorILNS1_17partition_subalgoE8EyNS0_10empty_typeEbEEZZNS1_14partition_implILS5_8ELb0ES3_jN6thrust23THRUST_200600_302600_NS6detail15normal_iteratorINSA_10device_ptrIyEEEEPS6_PKS6_NS0_5tupleIJNSA_16discard_iteratorINSA_11use_defaultEEES6_EEENSJ_IJSG_SG_EEENS0_18inequality_wrapperINSA_8equal_toIyEEEEPmJS6_EEE10hipError_tPvRmT3_T4_T5_T6_T7_T9_mT8_P12ihipStream_tbDpT10_ENKUlT_T0_E_clISt17integral_constantIbLb0EES1D_EEDaS18_S19_EUlS18_E_NS1_11comp_targetILNS1_3genE9ELNS1_11target_archE1100ELNS1_3gpuE3ELNS1_3repE0EEENS1_30default_config_static_selectorELNS0_4arch9wavefront6targetE1EEEvT1_.has_dyn_sized_stack, 0
	.set _ZN7rocprim17ROCPRIM_400000_NS6detail17trampoline_kernelINS0_14default_configENS1_25partition_config_selectorILNS1_17partition_subalgoE8EyNS0_10empty_typeEbEEZZNS1_14partition_implILS5_8ELb0ES3_jN6thrust23THRUST_200600_302600_NS6detail15normal_iteratorINSA_10device_ptrIyEEEEPS6_PKS6_NS0_5tupleIJNSA_16discard_iteratorINSA_11use_defaultEEES6_EEENSJ_IJSG_SG_EEENS0_18inequality_wrapperINSA_8equal_toIyEEEEPmJS6_EEE10hipError_tPvRmT3_T4_T5_T6_T7_T9_mT8_P12ihipStream_tbDpT10_ENKUlT_T0_E_clISt17integral_constantIbLb0EES1D_EEDaS18_S19_EUlS18_E_NS1_11comp_targetILNS1_3genE9ELNS1_11target_archE1100ELNS1_3gpuE3ELNS1_3repE0EEENS1_30default_config_static_selectorELNS0_4arch9wavefront6targetE1EEEvT1_.has_recursion, 0
	.set _ZN7rocprim17ROCPRIM_400000_NS6detail17trampoline_kernelINS0_14default_configENS1_25partition_config_selectorILNS1_17partition_subalgoE8EyNS0_10empty_typeEbEEZZNS1_14partition_implILS5_8ELb0ES3_jN6thrust23THRUST_200600_302600_NS6detail15normal_iteratorINSA_10device_ptrIyEEEEPS6_PKS6_NS0_5tupleIJNSA_16discard_iteratorINSA_11use_defaultEEES6_EEENSJ_IJSG_SG_EEENS0_18inequality_wrapperINSA_8equal_toIyEEEEPmJS6_EEE10hipError_tPvRmT3_T4_T5_T6_T7_T9_mT8_P12ihipStream_tbDpT10_ENKUlT_T0_E_clISt17integral_constantIbLb0EES1D_EEDaS18_S19_EUlS18_E_NS1_11comp_targetILNS1_3genE9ELNS1_11target_archE1100ELNS1_3gpuE3ELNS1_3repE0EEENS1_30default_config_static_selectorELNS0_4arch9wavefront6targetE1EEEvT1_.has_indirect_call, 0
	.section	.AMDGPU.csdata,"",@progbits
; Kernel info:
; codeLenInByte = 0
; TotalNumSgprs: 4
; NumVgprs: 0
; ScratchSize: 0
; MemoryBound: 0
; FloatMode: 240
; IeeeMode: 1
; LDSByteSize: 0 bytes/workgroup (compile time only)
; SGPRBlocks: 0
; VGPRBlocks: 0
; NumSGPRsForWavesPerEU: 4
; NumVGPRsForWavesPerEU: 1
; Occupancy: 10
; WaveLimiterHint : 0
; COMPUTE_PGM_RSRC2:SCRATCH_EN: 0
; COMPUTE_PGM_RSRC2:USER_SGPR: 6
; COMPUTE_PGM_RSRC2:TRAP_HANDLER: 0
; COMPUTE_PGM_RSRC2:TGID_X_EN: 1
; COMPUTE_PGM_RSRC2:TGID_Y_EN: 0
; COMPUTE_PGM_RSRC2:TGID_Z_EN: 0
; COMPUTE_PGM_RSRC2:TIDIG_COMP_CNT: 0
	.section	.text._ZN7rocprim17ROCPRIM_400000_NS6detail17trampoline_kernelINS0_14default_configENS1_25partition_config_selectorILNS1_17partition_subalgoE8EyNS0_10empty_typeEbEEZZNS1_14partition_implILS5_8ELb0ES3_jN6thrust23THRUST_200600_302600_NS6detail15normal_iteratorINSA_10device_ptrIyEEEEPS6_PKS6_NS0_5tupleIJNSA_16discard_iteratorINSA_11use_defaultEEES6_EEENSJ_IJSG_SG_EEENS0_18inequality_wrapperINSA_8equal_toIyEEEEPmJS6_EEE10hipError_tPvRmT3_T4_T5_T6_T7_T9_mT8_P12ihipStream_tbDpT10_ENKUlT_T0_E_clISt17integral_constantIbLb0EES1D_EEDaS18_S19_EUlS18_E_NS1_11comp_targetILNS1_3genE8ELNS1_11target_archE1030ELNS1_3gpuE2ELNS1_3repE0EEENS1_30default_config_static_selectorELNS0_4arch9wavefront6targetE1EEEvT1_,"axG",@progbits,_ZN7rocprim17ROCPRIM_400000_NS6detail17trampoline_kernelINS0_14default_configENS1_25partition_config_selectorILNS1_17partition_subalgoE8EyNS0_10empty_typeEbEEZZNS1_14partition_implILS5_8ELb0ES3_jN6thrust23THRUST_200600_302600_NS6detail15normal_iteratorINSA_10device_ptrIyEEEEPS6_PKS6_NS0_5tupleIJNSA_16discard_iteratorINSA_11use_defaultEEES6_EEENSJ_IJSG_SG_EEENS0_18inequality_wrapperINSA_8equal_toIyEEEEPmJS6_EEE10hipError_tPvRmT3_T4_T5_T6_T7_T9_mT8_P12ihipStream_tbDpT10_ENKUlT_T0_E_clISt17integral_constantIbLb0EES1D_EEDaS18_S19_EUlS18_E_NS1_11comp_targetILNS1_3genE8ELNS1_11target_archE1030ELNS1_3gpuE2ELNS1_3repE0EEENS1_30default_config_static_selectorELNS0_4arch9wavefront6targetE1EEEvT1_,comdat
	.protected	_ZN7rocprim17ROCPRIM_400000_NS6detail17trampoline_kernelINS0_14default_configENS1_25partition_config_selectorILNS1_17partition_subalgoE8EyNS0_10empty_typeEbEEZZNS1_14partition_implILS5_8ELb0ES3_jN6thrust23THRUST_200600_302600_NS6detail15normal_iteratorINSA_10device_ptrIyEEEEPS6_PKS6_NS0_5tupleIJNSA_16discard_iteratorINSA_11use_defaultEEES6_EEENSJ_IJSG_SG_EEENS0_18inequality_wrapperINSA_8equal_toIyEEEEPmJS6_EEE10hipError_tPvRmT3_T4_T5_T6_T7_T9_mT8_P12ihipStream_tbDpT10_ENKUlT_T0_E_clISt17integral_constantIbLb0EES1D_EEDaS18_S19_EUlS18_E_NS1_11comp_targetILNS1_3genE8ELNS1_11target_archE1030ELNS1_3gpuE2ELNS1_3repE0EEENS1_30default_config_static_selectorELNS0_4arch9wavefront6targetE1EEEvT1_ ; -- Begin function _ZN7rocprim17ROCPRIM_400000_NS6detail17trampoline_kernelINS0_14default_configENS1_25partition_config_selectorILNS1_17partition_subalgoE8EyNS0_10empty_typeEbEEZZNS1_14partition_implILS5_8ELb0ES3_jN6thrust23THRUST_200600_302600_NS6detail15normal_iteratorINSA_10device_ptrIyEEEEPS6_PKS6_NS0_5tupleIJNSA_16discard_iteratorINSA_11use_defaultEEES6_EEENSJ_IJSG_SG_EEENS0_18inequality_wrapperINSA_8equal_toIyEEEEPmJS6_EEE10hipError_tPvRmT3_T4_T5_T6_T7_T9_mT8_P12ihipStream_tbDpT10_ENKUlT_T0_E_clISt17integral_constantIbLb0EES1D_EEDaS18_S19_EUlS18_E_NS1_11comp_targetILNS1_3genE8ELNS1_11target_archE1030ELNS1_3gpuE2ELNS1_3repE0EEENS1_30default_config_static_selectorELNS0_4arch9wavefront6targetE1EEEvT1_
	.globl	_ZN7rocprim17ROCPRIM_400000_NS6detail17trampoline_kernelINS0_14default_configENS1_25partition_config_selectorILNS1_17partition_subalgoE8EyNS0_10empty_typeEbEEZZNS1_14partition_implILS5_8ELb0ES3_jN6thrust23THRUST_200600_302600_NS6detail15normal_iteratorINSA_10device_ptrIyEEEEPS6_PKS6_NS0_5tupleIJNSA_16discard_iteratorINSA_11use_defaultEEES6_EEENSJ_IJSG_SG_EEENS0_18inequality_wrapperINSA_8equal_toIyEEEEPmJS6_EEE10hipError_tPvRmT3_T4_T5_T6_T7_T9_mT8_P12ihipStream_tbDpT10_ENKUlT_T0_E_clISt17integral_constantIbLb0EES1D_EEDaS18_S19_EUlS18_E_NS1_11comp_targetILNS1_3genE8ELNS1_11target_archE1030ELNS1_3gpuE2ELNS1_3repE0EEENS1_30default_config_static_selectorELNS0_4arch9wavefront6targetE1EEEvT1_
	.p2align	8
	.type	_ZN7rocprim17ROCPRIM_400000_NS6detail17trampoline_kernelINS0_14default_configENS1_25partition_config_selectorILNS1_17partition_subalgoE8EyNS0_10empty_typeEbEEZZNS1_14partition_implILS5_8ELb0ES3_jN6thrust23THRUST_200600_302600_NS6detail15normal_iteratorINSA_10device_ptrIyEEEEPS6_PKS6_NS0_5tupleIJNSA_16discard_iteratorINSA_11use_defaultEEES6_EEENSJ_IJSG_SG_EEENS0_18inequality_wrapperINSA_8equal_toIyEEEEPmJS6_EEE10hipError_tPvRmT3_T4_T5_T6_T7_T9_mT8_P12ihipStream_tbDpT10_ENKUlT_T0_E_clISt17integral_constantIbLb0EES1D_EEDaS18_S19_EUlS18_E_NS1_11comp_targetILNS1_3genE8ELNS1_11target_archE1030ELNS1_3gpuE2ELNS1_3repE0EEENS1_30default_config_static_selectorELNS0_4arch9wavefront6targetE1EEEvT1_,@function
_ZN7rocprim17ROCPRIM_400000_NS6detail17trampoline_kernelINS0_14default_configENS1_25partition_config_selectorILNS1_17partition_subalgoE8EyNS0_10empty_typeEbEEZZNS1_14partition_implILS5_8ELb0ES3_jN6thrust23THRUST_200600_302600_NS6detail15normal_iteratorINSA_10device_ptrIyEEEEPS6_PKS6_NS0_5tupleIJNSA_16discard_iteratorINSA_11use_defaultEEES6_EEENSJ_IJSG_SG_EEENS0_18inequality_wrapperINSA_8equal_toIyEEEEPmJS6_EEE10hipError_tPvRmT3_T4_T5_T6_T7_T9_mT8_P12ihipStream_tbDpT10_ENKUlT_T0_E_clISt17integral_constantIbLb0EES1D_EEDaS18_S19_EUlS18_E_NS1_11comp_targetILNS1_3genE8ELNS1_11target_archE1030ELNS1_3gpuE2ELNS1_3repE0EEENS1_30default_config_static_selectorELNS0_4arch9wavefront6targetE1EEEvT1_: ; @_ZN7rocprim17ROCPRIM_400000_NS6detail17trampoline_kernelINS0_14default_configENS1_25partition_config_selectorILNS1_17partition_subalgoE8EyNS0_10empty_typeEbEEZZNS1_14partition_implILS5_8ELb0ES3_jN6thrust23THRUST_200600_302600_NS6detail15normal_iteratorINSA_10device_ptrIyEEEEPS6_PKS6_NS0_5tupleIJNSA_16discard_iteratorINSA_11use_defaultEEES6_EEENSJ_IJSG_SG_EEENS0_18inequality_wrapperINSA_8equal_toIyEEEEPmJS6_EEE10hipError_tPvRmT3_T4_T5_T6_T7_T9_mT8_P12ihipStream_tbDpT10_ENKUlT_T0_E_clISt17integral_constantIbLb0EES1D_EEDaS18_S19_EUlS18_E_NS1_11comp_targetILNS1_3genE8ELNS1_11target_archE1030ELNS1_3gpuE2ELNS1_3repE0EEENS1_30default_config_static_selectorELNS0_4arch9wavefront6targetE1EEEvT1_
; %bb.0:
	.section	.rodata,"a",@progbits
	.p2align	6, 0x0
	.amdhsa_kernel _ZN7rocprim17ROCPRIM_400000_NS6detail17trampoline_kernelINS0_14default_configENS1_25partition_config_selectorILNS1_17partition_subalgoE8EyNS0_10empty_typeEbEEZZNS1_14partition_implILS5_8ELb0ES3_jN6thrust23THRUST_200600_302600_NS6detail15normal_iteratorINSA_10device_ptrIyEEEEPS6_PKS6_NS0_5tupleIJNSA_16discard_iteratorINSA_11use_defaultEEES6_EEENSJ_IJSG_SG_EEENS0_18inequality_wrapperINSA_8equal_toIyEEEEPmJS6_EEE10hipError_tPvRmT3_T4_T5_T6_T7_T9_mT8_P12ihipStream_tbDpT10_ENKUlT_T0_E_clISt17integral_constantIbLb0EES1D_EEDaS18_S19_EUlS18_E_NS1_11comp_targetILNS1_3genE8ELNS1_11target_archE1030ELNS1_3gpuE2ELNS1_3repE0EEENS1_30default_config_static_selectorELNS0_4arch9wavefront6targetE1EEEvT1_
		.amdhsa_group_segment_fixed_size 0
		.amdhsa_private_segment_fixed_size 0
		.amdhsa_kernarg_size 120
		.amdhsa_user_sgpr_count 6
		.amdhsa_user_sgpr_private_segment_buffer 1
		.amdhsa_user_sgpr_dispatch_ptr 0
		.amdhsa_user_sgpr_queue_ptr 0
		.amdhsa_user_sgpr_kernarg_segment_ptr 1
		.amdhsa_user_sgpr_dispatch_id 0
		.amdhsa_user_sgpr_flat_scratch_init 0
		.amdhsa_user_sgpr_private_segment_size 0
		.amdhsa_uses_dynamic_stack 0
		.amdhsa_system_sgpr_private_segment_wavefront_offset 0
		.amdhsa_system_sgpr_workgroup_id_x 1
		.amdhsa_system_sgpr_workgroup_id_y 0
		.amdhsa_system_sgpr_workgroup_id_z 0
		.amdhsa_system_sgpr_workgroup_info 0
		.amdhsa_system_vgpr_workitem_id 0
		.amdhsa_next_free_vgpr 1
		.amdhsa_next_free_sgpr 0
		.amdhsa_reserve_vcc 0
		.amdhsa_reserve_flat_scratch 0
		.amdhsa_float_round_mode_32 0
		.amdhsa_float_round_mode_16_64 0
		.amdhsa_float_denorm_mode_32 3
		.amdhsa_float_denorm_mode_16_64 3
		.amdhsa_dx10_clamp 1
		.amdhsa_ieee_mode 1
		.amdhsa_fp16_overflow 0
		.amdhsa_exception_fp_ieee_invalid_op 0
		.amdhsa_exception_fp_denorm_src 0
		.amdhsa_exception_fp_ieee_div_zero 0
		.amdhsa_exception_fp_ieee_overflow 0
		.amdhsa_exception_fp_ieee_underflow 0
		.amdhsa_exception_fp_ieee_inexact 0
		.amdhsa_exception_int_div_zero 0
	.end_amdhsa_kernel
	.section	.text._ZN7rocprim17ROCPRIM_400000_NS6detail17trampoline_kernelINS0_14default_configENS1_25partition_config_selectorILNS1_17partition_subalgoE8EyNS0_10empty_typeEbEEZZNS1_14partition_implILS5_8ELb0ES3_jN6thrust23THRUST_200600_302600_NS6detail15normal_iteratorINSA_10device_ptrIyEEEEPS6_PKS6_NS0_5tupleIJNSA_16discard_iteratorINSA_11use_defaultEEES6_EEENSJ_IJSG_SG_EEENS0_18inequality_wrapperINSA_8equal_toIyEEEEPmJS6_EEE10hipError_tPvRmT3_T4_T5_T6_T7_T9_mT8_P12ihipStream_tbDpT10_ENKUlT_T0_E_clISt17integral_constantIbLb0EES1D_EEDaS18_S19_EUlS18_E_NS1_11comp_targetILNS1_3genE8ELNS1_11target_archE1030ELNS1_3gpuE2ELNS1_3repE0EEENS1_30default_config_static_selectorELNS0_4arch9wavefront6targetE1EEEvT1_,"axG",@progbits,_ZN7rocprim17ROCPRIM_400000_NS6detail17trampoline_kernelINS0_14default_configENS1_25partition_config_selectorILNS1_17partition_subalgoE8EyNS0_10empty_typeEbEEZZNS1_14partition_implILS5_8ELb0ES3_jN6thrust23THRUST_200600_302600_NS6detail15normal_iteratorINSA_10device_ptrIyEEEEPS6_PKS6_NS0_5tupleIJNSA_16discard_iteratorINSA_11use_defaultEEES6_EEENSJ_IJSG_SG_EEENS0_18inequality_wrapperINSA_8equal_toIyEEEEPmJS6_EEE10hipError_tPvRmT3_T4_T5_T6_T7_T9_mT8_P12ihipStream_tbDpT10_ENKUlT_T0_E_clISt17integral_constantIbLb0EES1D_EEDaS18_S19_EUlS18_E_NS1_11comp_targetILNS1_3genE8ELNS1_11target_archE1030ELNS1_3gpuE2ELNS1_3repE0EEENS1_30default_config_static_selectorELNS0_4arch9wavefront6targetE1EEEvT1_,comdat
.Lfunc_end540:
	.size	_ZN7rocprim17ROCPRIM_400000_NS6detail17trampoline_kernelINS0_14default_configENS1_25partition_config_selectorILNS1_17partition_subalgoE8EyNS0_10empty_typeEbEEZZNS1_14partition_implILS5_8ELb0ES3_jN6thrust23THRUST_200600_302600_NS6detail15normal_iteratorINSA_10device_ptrIyEEEEPS6_PKS6_NS0_5tupleIJNSA_16discard_iteratorINSA_11use_defaultEEES6_EEENSJ_IJSG_SG_EEENS0_18inequality_wrapperINSA_8equal_toIyEEEEPmJS6_EEE10hipError_tPvRmT3_T4_T5_T6_T7_T9_mT8_P12ihipStream_tbDpT10_ENKUlT_T0_E_clISt17integral_constantIbLb0EES1D_EEDaS18_S19_EUlS18_E_NS1_11comp_targetILNS1_3genE8ELNS1_11target_archE1030ELNS1_3gpuE2ELNS1_3repE0EEENS1_30default_config_static_selectorELNS0_4arch9wavefront6targetE1EEEvT1_, .Lfunc_end540-_ZN7rocprim17ROCPRIM_400000_NS6detail17trampoline_kernelINS0_14default_configENS1_25partition_config_selectorILNS1_17partition_subalgoE8EyNS0_10empty_typeEbEEZZNS1_14partition_implILS5_8ELb0ES3_jN6thrust23THRUST_200600_302600_NS6detail15normal_iteratorINSA_10device_ptrIyEEEEPS6_PKS6_NS0_5tupleIJNSA_16discard_iteratorINSA_11use_defaultEEES6_EEENSJ_IJSG_SG_EEENS0_18inequality_wrapperINSA_8equal_toIyEEEEPmJS6_EEE10hipError_tPvRmT3_T4_T5_T6_T7_T9_mT8_P12ihipStream_tbDpT10_ENKUlT_T0_E_clISt17integral_constantIbLb0EES1D_EEDaS18_S19_EUlS18_E_NS1_11comp_targetILNS1_3genE8ELNS1_11target_archE1030ELNS1_3gpuE2ELNS1_3repE0EEENS1_30default_config_static_selectorELNS0_4arch9wavefront6targetE1EEEvT1_
                                        ; -- End function
	.set _ZN7rocprim17ROCPRIM_400000_NS6detail17trampoline_kernelINS0_14default_configENS1_25partition_config_selectorILNS1_17partition_subalgoE8EyNS0_10empty_typeEbEEZZNS1_14partition_implILS5_8ELb0ES3_jN6thrust23THRUST_200600_302600_NS6detail15normal_iteratorINSA_10device_ptrIyEEEEPS6_PKS6_NS0_5tupleIJNSA_16discard_iteratorINSA_11use_defaultEEES6_EEENSJ_IJSG_SG_EEENS0_18inequality_wrapperINSA_8equal_toIyEEEEPmJS6_EEE10hipError_tPvRmT3_T4_T5_T6_T7_T9_mT8_P12ihipStream_tbDpT10_ENKUlT_T0_E_clISt17integral_constantIbLb0EES1D_EEDaS18_S19_EUlS18_E_NS1_11comp_targetILNS1_3genE8ELNS1_11target_archE1030ELNS1_3gpuE2ELNS1_3repE0EEENS1_30default_config_static_selectorELNS0_4arch9wavefront6targetE1EEEvT1_.num_vgpr, 0
	.set _ZN7rocprim17ROCPRIM_400000_NS6detail17trampoline_kernelINS0_14default_configENS1_25partition_config_selectorILNS1_17partition_subalgoE8EyNS0_10empty_typeEbEEZZNS1_14partition_implILS5_8ELb0ES3_jN6thrust23THRUST_200600_302600_NS6detail15normal_iteratorINSA_10device_ptrIyEEEEPS6_PKS6_NS0_5tupleIJNSA_16discard_iteratorINSA_11use_defaultEEES6_EEENSJ_IJSG_SG_EEENS0_18inequality_wrapperINSA_8equal_toIyEEEEPmJS6_EEE10hipError_tPvRmT3_T4_T5_T6_T7_T9_mT8_P12ihipStream_tbDpT10_ENKUlT_T0_E_clISt17integral_constantIbLb0EES1D_EEDaS18_S19_EUlS18_E_NS1_11comp_targetILNS1_3genE8ELNS1_11target_archE1030ELNS1_3gpuE2ELNS1_3repE0EEENS1_30default_config_static_selectorELNS0_4arch9wavefront6targetE1EEEvT1_.num_agpr, 0
	.set _ZN7rocprim17ROCPRIM_400000_NS6detail17trampoline_kernelINS0_14default_configENS1_25partition_config_selectorILNS1_17partition_subalgoE8EyNS0_10empty_typeEbEEZZNS1_14partition_implILS5_8ELb0ES3_jN6thrust23THRUST_200600_302600_NS6detail15normal_iteratorINSA_10device_ptrIyEEEEPS6_PKS6_NS0_5tupleIJNSA_16discard_iteratorINSA_11use_defaultEEES6_EEENSJ_IJSG_SG_EEENS0_18inequality_wrapperINSA_8equal_toIyEEEEPmJS6_EEE10hipError_tPvRmT3_T4_T5_T6_T7_T9_mT8_P12ihipStream_tbDpT10_ENKUlT_T0_E_clISt17integral_constantIbLb0EES1D_EEDaS18_S19_EUlS18_E_NS1_11comp_targetILNS1_3genE8ELNS1_11target_archE1030ELNS1_3gpuE2ELNS1_3repE0EEENS1_30default_config_static_selectorELNS0_4arch9wavefront6targetE1EEEvT1_.numbered_sgpr, 0
	.set _ZN7rocprim17ROCPRIM_400000_NS6detail17trampoline_kernelINS0_14default_configENS1_25partition_config_selectorILNS1_17partition_subalgoE8EyNS0_10empty_typeEbEEZZNS1_14partition_implILS5_8ELb0ES3_jN6thrust23THRUST_200600_302600_NS6detail15normal_iteratorINSA_10device_ptrIyEEEEPS6_PKS6_NS0_5tupleIJNSA_16discard_iteratorINSA_11use_defaultEEES6_EEENSJ_IJSG_SG_EEENS0_18inequality_wrapperINSA_8equal_toIyEEEEPmJS6_EEE10hipError_tPvRmT3_T4_T5_T6_T7_T9_mT8_P12ihipStream_tbDpT10_ENKUlT_T0_E_clISt17integral_constantIbLb0EES1D_EEDaS18_S19_EUlS18_E_NS1_11comp_targetILNS1_3genE8ELNS1_11target_archE1030ELNS1_3gpuE2ELNS1_3repE0EEENS1_30default_config_static_selectorELNS0_4arch9wavefront6targetE1EEEvT1_.num_named_barrier, 0
	.set _ZN7rocprim17ROCPRIM_400000_NS6detail17trampoline_kernelINS0_14default_configENS1_25partition_config_selectorILNS1_17partition_subalgoE8EyNS0_10empty_typeEbEEZZNS1_14partition_implILS5_8ELb0ES3_jN6thrust23THRUST_200600_302600_NS6detail15normal_iteratorINSA_10device_ptrIyEEEEPS6_PKS6_NS0_5tupleIJNSA_16discard_iteratorINSA_11use_defaultEEES6_EEENSJ_IJSG_SG_EEENS0_18inequality_wrapperINSA_8equal_toIyEEEEPmJS6_EEE10hipError_tPvRmT3_T4_T5_T6_T7_T9_mT8_P12ihipStream_tbDpT10_ENKUlT_T0_E_clISt17integral_constantIbLb0EES1D_EEDaS18_S19_EUlS18_E_NS1_11comp_targetILNS1_3genE8ELNS1_11target_archE1030ELNS1_3gpuE2ELNS1_3repE0EEENS1_30default_config_static_selectorELNS0_4arch9wavefront6targetE1EEEvT1_.private_seg_size, 0
	.set _ZN7rocprim17ROCPRIM_400000_NS6detail17trampoline_kernelINS0_14default_configENS1_25partition_config_selectorILNS1_17partition_subalgoE8EyNS0_10empty_typeEbEEZZNS1_14partition_implILS5_8ELb0ES3_jN6thrust23THRUST_200600_302600_NS6detail15normal_iteratorINSA_10device_ptrIyEEEEPS6_PKS6_NS0_5tupleIJNSA_16discard_iteratorINSA_11use_defaultEEES6_EEENSJ_IJSG_SG_EEENS0_18inequality_wrapperINSA_8equal_toIyEEEEPmJS6_EEE10hipError_tPvRmT3_T4_T5_T6_T7_T9_mT8_P12ihipStream_tbDpT10_ENKUlT_T0_E_clISt17integral_constantIbLb0EES1D_EEDaS18_S19_EUlS18_E_NS1_11comp_targetILNS1_3genE8ELNS1_11target_archE1030ELNS1_3gpuE2ELNS1_3repE0EEENS1_30default_config_static_selectorELNS0_4arch9wavefront6targetE1EEEvT1_.uses_vcc, 0
	.set _ZN7rocprim17ROCPRIM_400000_NS6detail17trampoline_kernelINS0_14default_configENS1_25partition_config_selectorILNS1_17partition_subalgoE8EyNS0_10empty_typeEbEEZZNS1_14partition_implILS5_8ELb0ES3_jN6thrust23THRUST_200600_302600_NS6detail15normal_iteratorINSA_10device_ptrIyEEEEPS6_PKS6_NS0_5tupleIJNSA_16discard_iteratorINSA_11use_defaultEEES6_EEENSJ_IJSG_SG_EEENS0_18inequality_wrapperINSA_8equal_toIyEEEEPmJS6_EEE10hipError_tPvRmT3_T4_T5_T6_T7_T9_mT8_P12ihipStream_tbDpT10_ENKUlT_T0_E_clISt17integral_constantIbLb0EES1D_EEDaS18_S19_EUlS18_E_NS1_11comp_targetILNS1_3genE8ELNS1_11target_archE1030ELNS1_3gpuE2ELNS1_3repE0EEENS1_30default_config_static_selectorELNS0_4arch9wavefront6targetE1EEEvT1_.uses_flat_scratch, 0
	.set _ZN7rocprim17ROCPRIM_400000_NS6detail17trampoline_kernelINS0_14default_configENS1_25partition_config_selectorILNS1_17partition_subalgoE8EyNS0_10empty_typeEbEEZZNS1_14partition_implILS5_8ELb0ES3_jN6thrust23THRUST_200600_302600_NS6detail15normal_iteratorINSA_10device_ptrIyEEEEPS6_PKS6_NS0_5tupleIJNSA_16discard_iteratorINSA_11use_defaultEEES6_EEENSJ_IJSG_SG_EEENS0_18inequality_wrapperINSA_8equal_toIyEEEEPmJS6_EEE10hipError_tPvRmT3_T4_T5_T6_T7_T9_mT8_P12ihipStream_tbDpT10_ENKUlT_T0_E_clISt17integral_constantIbLb0EES1D_EEDaS18_S19_EUlS18_E_NS1_11comp_targetILNS1_3genE8ELNS1_11target_archE1030ELNS1_3gpuE2ELNS1_3repE0EEENS1_30default_config_static_selectorELNS0_4arch9wavefront6targetE1EEEvT1_.has_dyn_sized_stack, 0
	.set _ZN7rocprim17ROCPRIM_400000_NS6detail17trampoline_kernelINS0_14default_configENS1_25partition_config_selectorILNS1_17partition_subalgoE8EyNS0_10empty_typeEbEEZZNS1_14partition_implILS5_8ELb0ES3_jN6thrust23THRUST_200600_302600_NS6detail15normal_iteratorINSA_10device_ptrIyEEEEPS6_PKS6_NS0_5tupleIJNSA_16discard_iteratorINSA_11use_defaultEEES6_EEENSJ_IJSG_SG_EEENS0_18inequality_wrapperINSA_8equal_toIyEEEEPmJS6_EEE10hipError_tPvRmT3_T4_T5_T6_T7_T9_mT8_P12ihipStream_tbDpT10_ENKUlT_T0_E_clISt17integral_constantIbLb0EES1D_EEDaS18_S19_EUlS18_E_NS1_11comp_targetILNS1_3genE8ELNS1_11target_archE1030ELNS1_3gpuE2ELNS1_3repE0EEENS1_30default_config_static_selectorELNS0_4arch9wavefront6targetE1EEEvT1_.has_recursion, 0
	.set _ZN7rocprim17ROCPRIM_400000_NS6detail17trampoline_kernelINS0_14default_configENS1_25partition_config_selectorILNS1_17partition_subalgoE8EyNS0_10empty_typeEbEEZZNS1_14partition_implILS5_8ELb0ES3_jN6thrust23THRUST_200600_302600_NS6detail15normal_iteratorINSA_10device_ptrIyEEEEPS6_PKS6_NS0_5tupleIJNSA_16discard_iteratorINSA_11use_defaultEEES6_EEENSJ_IJSG_SG_EEENS0_18inequality_wrapperINSA_8equal_toIyEEEEPmJS6_EEE10hipError_tPvRmT3_T4_T5_T6_T7_T9_mT8_P12ihipStream_tbDpT10_ENKUlT_T0_E_clISt17integral_constantIbLb0EES1D_EEDaS18_S19_EUlS18_E_NS1_11comp_targetILNS1_3genE8ELNS1_11target_archE1030ELNS1_3gpuE2ELNS1_3repE0EEENS1_30default_config_static_selectorELNS0_4arch9wavefront6targetE1EEEvT1_.has_indirect_call, 0
	.section	.AMDGPU.csdata,"",@progbits
; Kernel info:
; codeLenInByte = 0
; TotalNumSgprs: 4
; NumVgprs: 0
; ScratchSize: 0
; MemoryBound: 0
; FloatMode: 240
; IeeeMode: 1
; LDSByteSize: 0 bytes/workgroup (compile time only)
; SGPRBlocks: 0
; VGPRBlocks: 0
; NumSGPRsForWavesPerEU: 4
; NumVGPRsForWavesPerEU: 1
; Occupancy: 10
; WaveLimiterHint : 0
; COMPUTE_PGM_RSRC2:SCRATCH_EN: 0
; COMPUTE_PGM_RSRC2:USER_SGPR: 6
; COMPUTE_PGM_RSRC2:TRAP_HANDLER: 0
; COMPUTE_PGM_RSRC2:TGID_X_EN: 1
; COMPUTE_PGM_RSRC2:TGID_Y_EN: 0
; COMPUTE_PGM_RSRC2:TGID_Z_EN: 0
; COMPUTE_PGM_RSRC2:TIDIG_COMP_CNT: 0
	.section	.text._ZN7rocprim17ROCPRIM_400000_NS6detail17trampoline_kernelINS0_14default_configENS1_25partition_config_selectorILNS1_17partition_subalgoE8EyNS0_10empty_typeEbEEZZNS1_14partition_implILS5_8ELb0ES3_jN6thrust23THRUST_200600_302600_NS6detail15normal_iteratorINSA_10device_ptrIyEEEEPS6_PKS6_NS0_5tupleIJNSA_16discard_iteratorINSA_11use_defaultEEES6_EEENSJ_IJSG_SG_EEENS0_18inequality_wrapperINSA_8equal_toIyEEEEPmJS6_EEE10hipError_tPvRmT3_T4_T5_T6_T7_T9_mT8_P12ihipStream_tbDpT10_ENKUlT_T0_E_clISt17integral_constantIbLb1EES1D_EEDaS18_S19_EUlS18_E_NS1_11comp_targetILNS1_3genE0ELNS1_11target_archE4294967295ELNS1_3gpuE0ELNS1_3repE0EEENS1_30default_config_static_selectorELNS0_4arch9wavefront6targetE1EEEvT1_,"axG",@progbits,_ZN7rocprim17ROCPRIM_400000_NS6detail17trampoline_kernelINS0_14default_configENS1_25partition_config_selectorILNS1_17partition_subalgoE8EyNS0_10empty_typeEbEEZZNS1_14partition_implILS5_8ELb0ES3_jN6thrust23THRUST_200600_302600_NS6detail15normal_iteratorINSA_10device_ptrIyEEEEPS6_PKS6_NS0_5tupleIJNSA_16discard_iteratorINSA_11use_defaultEEES6_EEENSJ_IJSG_SG_EEENS0_18inequality_wrapperINSA_8equal_toIyEEEEPmJS6_EEE10hipError_tPvRmT3_T4_T5_T6_T7_T9_mT8_P12ihipStream_tbDpT10_ENKUlT_T0_E_clISt17integral_constantIbLb1EES1D_EEDaS18_S19_EUlS18_E_NS1_11comp_targetILNS1_3genE0ELNS1_11target_archE4294967295ELNS1_3gpuE0ELNS1_3repE0EEENS1_30default_config_static_selectorELNS0_4arch9wavefront6targetE1EEEvT1_,comdat
	.protected	_ZN7rocprim17ROCPRIM_400000_NS6detail17trampoline_kernelINS0_14default_configENS1_25partition_config_selectorILNS1_17partition_subalgoE8EyNS0_10empty_typeEbEEZZNS1_14partition_implILS5_8ELb0ES3_jN6thrust23THRUST_200600_302600_NS6detail15normal_iteratorINSA_10device_ptrIyEEEEPS6_PKS6_NS0_5tupleIJNSA_16discard_iteratorINSA_11use_defaultEEES6_EEENSJ_IJSG_SG_EEENS0_18inequality_wrapperINSA_8equal_toIyEEEEPmJS6_EEE10hipError_tPvRmT3_T4_T5_T6_T7_T9_mT8_P12ihipStream_tbDpT10_ENKUlT_T0_E_clISt17integral_constantIbLb1EES1D_EEDaS18_S19_EUlS18_E_NS1_11comp_targetILNS1_3genE0ELNS1_11target_archE4294967295ELNS1_3gpuE0ELNS1_3repE0EEENS1_30default_config_static_selectorELNS0_4arch9wavefront6targetE1EEEvT1_ ; -- Begin function _ZN7rocprim17ROCPRIM_400000_NS6detail17trampoline_kernelINS0_14default_configENS1_25partition_config_selectorILNS1_17partition_subalgoE8EyNS0_10empty_typeEbEEZZNS1_14partition_implILS5_8ELb0ES3_jN6thrust23THRUST_200600_302600_NS6detail15normal_iteratorINSA_10device_ptrIyEEEEPS6_PKS6_NS0_5tupleIJNSA_16discard_iteratorINSA_11use_defaultEEES6_EEENSJ_IJSG_SG_EEENS0_18inequality_wrapperINSA_8equal_toIyEEEEPmJS6_EEE10hipError_tPvRmT3_T4_T5_T6_T7_T9_mT8_P12ihipStream_tbDpT10_ENKUlT_T0_E_clISt17integral_constantIbLb1EES1D_EEDaS18_S19_EUlS18_E_NS1_11comp_targetILNS1_3genE0ELNS1_11target_archE4294967295ELNS1_3gpuE0ELNS1_3repE0EEENS1_30default_config_static_selectorELNS0_4arch9wavefront6targetE1EEEvT1_
	.globl	_ZN7rocprim17ROCPRIM_400000_NS6detail17trampoline_kernelINS0_14default_configENS1_25partition_config_selectorILNS1_17partition_subalgoE8EyNS0_10empty_typeEbEEZZNS1_14partition_implILS5_8ELb0ES3_jN6thrust23THRUST_200600_302600_NS6detail15normal_iteratorINSA_10device_ptrIyEEEEPS6_PKS6_NS0_5tupleIJNSA_16discard_iteratorINSA_11use_defaultEEES6_EEENSJ_IJSG_SG_EEENS0_18inequality_wrapperINSA_8equal_toIyEEEEPmJS6_EEE10hipError_tPvRmT3_T4_T5_T6_T7_T9_mT8_P12ihipStream_tbDpT10_ENKUlT_T0_E_clISt17integral_constantIbLb1EES1D_EEDaS18_S19_EUlS18_E_NS1_11comp_targetILNS1_3genE0ELNS1_11target_archE4294967295ELNS1_3gpuE0ELNS1_3repE0EEENS1_30default_config_static_selectorELNS0_4arch9wavefront6targetE1EEEvT1_
	.p2align	8
	.type	_ZN7rocprim17ROCPRIM_400000_NS6detail17trampoline_kernelINS0_14default_configENS1_25partition_config_selectorILNS1_17partition_subalgoE8EyNS0_10empty_typeEbEEZZNS1_14partition_implILS5_8ELb0ES3_jN6thrust23THRUST_200600_302600_NS6detail15normal_iteratorINSA_10device_ptrIyEEEEPS6_PKS6_NS0_5tupleIJNSA_16discard_iteratorINSA_11use_defaultEEES6_EEENSJ_IJSG_SG_EEENS0_18inequality_wrapperINSA_8equal_toIyEEEEPmJS6_EEE10hipError_tPvRmT3_T4_T5_T6_T7_T9_mT8_P12ihipStream_tbDpT10_ENKUlT_T0_E_clISt17integral_constantIbLb1EES1D_EEDaS18_S19_EUlS18_E_NS1_11comp_targetILNS1_3genE0ELNS1_11target_archE4294967295ELNS1_3gpuE0ELNS1_3repE0EEENS1_30default_config_static_selectorELNS0_4arch9wavefront6targetE1EEEvT1_,@function
_ZN7rocprim17ROCPRIM_400000_NS6detail17trampoline_kernelINS0_14default_configENS1_25partition_config_selectorILNS1_17partition_subalgoE8EyNS0_10empty_typeEbEEZZNS1_14partition_implILS5_8ELb0ES3_jN6thrust23THRUST_200600_302600_NS6detail15normal_iteratorINSA_10device_ptrIyEEEEPS6_PKS6_NS0_5tupleIJNSA_16discard_iteratorINSA_11use_defaultEEES6_EEENSJ_IJSG_SG_EEENS0_18inequality_wrapperINSA_8equal_toIyEEEEPmJS6_EEE10hipError_tPvRmT3_T4_T5_T6_T7_T9_mT8_P12ihipStream_tbDpT10_ENKUlT_T0_E_clISt17integral_constantIbLb1EES1D_EEDaS18_S19_EUlS18_E_NS1_11comp_targetILNS1_3genE0ELNS1_11target_archE4294967295ELNS1_3gpuE0ELNS1_3repE0EEENS1_30default_config_static_selectorELNS0_4arch9wavefront6targetE1EEEvT1_: ; @_ZN7rocprim17ROCPRIM_400000_NS6detail17trampoline_kernelINS0_14default_configENS1_25partition_config_selectorILNS1_17partition_subalgoE8EyNS0_10empty_typeEbEEZZNS1_14partition_implILS5_8ELb0ES3_jN6thrust23THRUST_200600_302600_NS6detail15normal_iteratorINSA_10device_ptrIyEEEEPS6_PKS6_NS0_5tupleIJNSA_16discard_iteratorINSA_11use_defaultEEES6_EEENSJ_IJSG_SG_EEENS0_18inequality_wrapperINSA_8equal_toIyEEEEPmJS6_EEE10hipError_tPvRmT3_T4_T5_T6_T7_T9_mT8_P12ihipStream_tbDpT10_ENKUlT_T0_E_clISt17integral_constantIbLb1EES1D_EEDaS18_S19_EUlS18_E_NS1_11comp_targetILNS1_3genE0ELNS1_11target_archE4294967295ELNS1_3gpuE0ELNS1_3repE0EEENS1_30default_config_static_selectorELNS0_4arch9wavefront6targetE1EEEvT1_
; %bb.0:
	.section	.rodata,"a",@progbits
	.p2align	6, 0x0
	.amdhsa_kernel _ZN7rocprim17ROCPRIM_400000_NS6detail17trampoline_kernelINS0_14default_configENS1_25partition_config_selectorILNS1_17partition_subalgoE8EyNS0_10empty_typeEbEEZZNS1_14partition_implILS5_8ELb0ES3_jN6thrust23THRUST_200600_302600_NS6detail15normal_iteratorINSA_10device_ptrIyEEEEPS6_PKS6_NS0_5tupleIJNSA_16discard_iteratorINSA_11use_defaultEEES6_EEENSJ_IJSG_SG_EEENS0_18inequality_wrapperINSA_8equal_toIyEEEEPmJS6_EEE10hipError_tPvRmT3_T4_T5_T6_T7_T9_mT8_P12ihipStream_tbDpT10_ENKUlT_T0_E_clISt17integral_constantIbLb1EES1D_EEDaS18_S19_EUlS18_E_NS1_11comp_targetILNS1_3genE0ELNS1_11target_archE4294967295ELNS1_3gpuE0ELNS1_3repE0EEENS1_30default_config_static_selectorELNS0_4arch9wavefront6targetE1EEEvT1_
		.amdhsa_group_segment_fixed_size 0
		.amdhsa_private_segment_fixed_size 0
		.amdhsa_kernarg_size 136
		.amdhsa_user_sgpr_count 6
		.amdhsa_user_sgpr_private_segment_buffer 1
		.amdhsa_user_sgpr_dispatch_ptr 0
		.amdhsa_user_sgpr_queue_ptr 0
		.amdhsa_user_sgpr_kernarg_segment_ptr 1
		.amdhsa_user_sgpr_dispatch_id 0
		.amdhsa_user_sgpr_flat_scratch_init 0
		.amdhsa_user_sgpr_private_segment_size 0
		.amdhsa_uses_dynamic_stack 0
		.amdhsa_system_sgpr_private_segment_wavefront_offset 0
		.amdhsa_system_sgpr_workgroup_id_x 1
		.amdhsa_system_sgpr_workgroup_id_y 0
		.amdhsa_system_sgpr_workgroup_id_z 0
		.amdhsa_system_sgpr_workgroup_info 0
		.amdhsa_system_vgpr_workitem_id 0
		.amdhsa_next_free_vgpr 1
		.amdhsa_next_free_sgpr 0
		.amdhsa_reserve_vcc 0
		.amdhsa_reserve_flat_scratch 0
		.amdhsa_float_round_mode_32 0
		.amdhsa_float_round_mode_16_64 0
		.amdhsa_float_denorm_mode_32 3
		.amdhsa_float_denorm_mode_16_64 3
		.amdhsa_dx10_clamp 1
		.amdhsa_ieee_mode 1
		.amdhsa_fp16_overflow 0
		.amdhsa_exception_fp_ieee_invalid_op 0
		.amdhsa_exception_fp_denorm_src 0
		.amdhsa_exception_fp_ieee_div_zero 0
		.amdhsa_exception_fp_ieee_overflow 0
		.amdhsa_exception_fp_ieee_underflow 0
		.amdhsa_exception_fp_ieee_inexact 0
		.amdhsa_exception_int_div_zero 0
	.end_amdhsa_kernel
	.section	.text._ZN7rocprim17ROCPRIM_400000_NS6detail17trampoline_kernelINS0_14default_configENS1_25partition_config_selectorILNS1_17partition_subalgoE8EyNS0_10empty_typeEbEEZZNS1_14partition_implILS5_8ELb0ES3_jN6thrust23THRUST_200600_302600_NS6detail15normal_iteratorINSA_10device_ptrIyEEEEPS6_PKS6_NS0_5tupleIJNSA_16discard_iteratorINSA_11use_defaultEEES6_EEENSJ_IJSG_SG_EEENS0_18inequality_wrapperINSA_8equal_toIyEEEEPmJS6_EEE10hipError_tPvRmT3_T4_T5_T6_T7_T9_mT8_P12ihipStream_tbDpT10_ENKUlT_T0_E_clISt17integral_constantIbLb1EES1D_EEDaS18_S19_EUlS18_E_NS1_11comp_targetILNS1_3genE0ELNS1_11target_archE4294967295ELNS1_3gpuE0ELNS1_3repE0EEENS1_30default_config_static_selectorELNS0_4arch9wavefront6targetE1EEEvT1_,"axG",@progbits,_ZN7rocprim17ROCPRIM_400000_NS6detail17trampoline_kernelINS0_14default_configENS1_25partition_config_selectorILNS1_17partition_subalgoE8EyNS0_10empty_typeEbEEZZNS1_14partition_implILS5_8ELb0ES3_jN6thrust23THRUST_200600_302600_NS6detail15normal_iteratorINSA_10device_ptrIyEEEEPS6_PKS6_NS0_5tupleIJNSA_16discard_iteratorINSA_11use_defaultEEES6_EEENSJ_IJSG_SG_EEENS0_18inequality_wrapperINSA_8equal_toIyEEEEPmJS6_EEE10hipError_tPvRmT3_T4_T5_T6_T7_T9_mT8_P12ihipStream_tbDpT10_ENKUlT_T0_E_clISt17integral_constantIbLb1EES1D_EEDaS18_S19_EUlS18_E_NS1_11comp_targetILNS1_3genE0ELNS1_11target_archE4294967295ELNS1_3gpuE0ELNS1_3repE0EEENS1_30default_config_static_selectorELNS0_4arch9wavefront6targetE1EEEvT1_,comdat
.Lfunc_end541:
	.size	_ZN7rocprim17ROCPRIM_400000_NS6detail17trampoline_kernelINS0_14default_configENS1_25partition_config_selectorILNS1_17partition_subalgoE8EyNS0_10empty_typeEbEEZZNS1_14partition_implILS5_8ELb0ES3_jN6thrust23THRUST_200600_302600_NS6detail15normal_iteratorINSA_10device_ptrIyEEEEPS6_PKS6_NS0_5tupleIJNSA_16discard_iteratorINSA_11use_defaultEEES6_EEENSJ_IJSG_SG_EEENS0_18inequality_wrapperINSA_8equal_toIyEEEEPmJS6_EEE10hipError_tPvRmT3_T4_T5_T6_T7_T9_mT8_P12ihipStream_tbDpT10_ENKUlT_T0_E_clISt17integral_constantIbLb1EES1D_EEDaS18_S19_EUlS18_E_NS1_11comp_targetILNS1_3genE0ELNS1_11target_archE4294967295ELNS1_3gpuE0ELNS1_3repE0EEENS1_30default_config_static_selectorELNS0_4arch9wavefront6targetE1EEEvT1_, .Lfunc_end541-_ZN7rocprim17ROCPRIM_400000_NS6detail17trampoline_kernelINS0_14default_configENS1_25partition_config_selectorILNS1_17partition_subalgoE8EyNS0_10empty_typeEbEEZZNS1_14partition_implILS5_8ELb0ES3_jN6thrust23THRUST_200600_302600_NS6detail15normal_iteratorINSA_10device_ptrIyEEEEPS6_PKS6_NS0_5tupleIJNSA_16discard_iteratorINSA_11use_defaultEEES6_EEENSJ_IJSG_SG_EEENS0_18inequality_wrapperINSA_8equal_toIyEEEEPmJS6_EEE10hipError_tPvRmT3_T4_T5_T6_T7_T9_mT8_P12ihipStream_tbDpT10_ENKUlT_T0_E_clISt17integral_constantIbLb1EES1D_EEDaS18_S19_EUlS18_E_NS1_11comp_targetILNS1_3genE0ELNS1_11target_archE4294967295ELNS1_3gpuE0ELNS1_3repE0EEENS1_30default_config_static_selectorELNS0_4arch9wavefront6targetE1EEEvT1_
                                        ; -- End function
	.set _ZN7rocprim17ROCPRIM_400000_NS6detail17trampoline_kernelINS0_14default_configENS1_25partition_config_selectorILNS1_17partition_subalgoE8EyNS0_10empty_typeEbEEZZNS1_14partition_implILS5_8ELb0ES3_jN6thrust23THRUST_200600_302600_NS6detail15normal_iteratorINSA_10device_ptrIyEEEEPS6_PKS6_NS0_5tupleIJNSA_16discard_iteratorINSA_11use_defaultEEES6_EEENSJ_IJSG_SG_EEENS0_18inequality_wrapperINSA_8equal_toIyEEEEPmJS6_EEE10hipError_tPvRmT3_T4_T5_T6_T7_T9_mT8_P12ihipStream_tbDpT10_ENKUlT_T0_E_clISt17integral_constantIbLb1EES1D_EEDaS18_S19_EUlS18_E_NS1_11comp_targetILNS1_3genE0ELNS1_11target_archE4294967295ELNS1_3gpuE0ELNS1_3repE0EEENS1_30default_config_static_selectorELNS0_4arch9wavefront6targetE1EEEvT1_.num_vgpr, 0
	.set _ZN7rocprim17ROCPRIM_400000_NS6detail17trampoline_kernelINS0_14default_configENS1_25partition_config_selectorILNS1_17partition_subalgoE8EyNS0_10empty_typeEbEEZZNS1_14partition_implILS5_8ELb0ES3_jN6thrust23THRUST_200600_302600_NS6detail15normal_iteratorINSA_10device_ptrIyEEEEPS6_PKS6_NS0_5tupleIJNSA_16discard_iteratorINSA_11use_defaultEEES6_EEENSJ_IJSG_SG_EEENS0_18inequality_wrapperINSA_8equal_toIyEEEEPmJS6_EEE10hipError_tPvRmT3_T4_T5_T6_T7_T9_mT8_P12ihipStream_tbDpT10_ENKUlT_T0_E_clISt17integral_constantIbLb1EES1D_EEDaS18_S19_EUlS18_E_NS1_11comp_targetILNS1_3genE0ELNS1_11target_archE4294967295ELNS1_3gpuE0ELNS1_3repE0EEENS1_30default_config_static_selectorELNS0_4arch9wavefront6targetE1EEEvT1_.num_agpr, 0
	.set _ZN7rocprim17ROCPRIM_400000_NS6detail17trampoline_kernelINS0_14default_configENS1_25partition_config_selectorILNS1_17partition_subalgoE8EyNS0_10empty_typeEbEEZZNS1_14partition_implILS5_8ELb0ES3_jN6thrust23THRUST_200600_302600_NS6detail15normal_iteratorINSA_10device_ptrIyEEEEPS6_PKS6_NS0_5tupleIJNSA_16discard_iteratorINSA_11use_defaultEEES6_EEENSJ_IJSG_SG_EEENS0_18inequality_wrapperINSA_8equal_toIyEEEEPmJS6_EEE10hipError_tPvRmT3_T4_T5_T6_T7_T9_mT8_P12ihipStream_tbDpT10_ENKUlT_T0_E_clISt17integral_constantIbLb1EES1D_EEDaS18_S19_EUlS18_E_NS1_11comp_targetILNS1_3genE0ELNS1_11target_archE4294967295ELNS1_3gpuE0ELNS1_3repE0EEENS1_30default_config_static_selectorELNS0_4arch9wavefront6targetE1EEEvT1_.numbered_sgpr, 0
	.set _ZN7rocprim17ROCPRIM_400000_NS6detail17trampoline_kernelINS0_14default_configENS1_25partition_config_selectorILNS1_17partition_subalgoE8EyNS0_10empty_typeEbEEZZNS1_14partition_implILS5_8ELb0ES3_jN6thrust23THRUST_200600_302600_NS6detail15normal_iteratorINSA_10device_ptrIyEEEEPS6_PKS6_NS0_5tupleIJNSA_16discard_iteratorINSA_11use_defaultEEES6_EEENSJ_IJSG_SG_EEENS0_18inequality_wrapperINSA_8equal_toIyEEEEPmJS6_EEE10hipError_tPvRmT3_T4_T5_T6_T7_T9_mT8_P12ihipStream_tbDpT10_ENKUlT_T0_E_clISt17integral_constantIbLb1EES1D_EEDaS18_S19_EUlS18_E_NS1_11comp_targetILNS1_3genE0ELNS1_11target_archE4294967295ELNS1_3gpuE0ELNS1_3repE0EEENS1_30default_config_static_selectorELNS0_4arch9wavefront6targetE1EEEvT1_.num_named_barrier, 0
	.set _ZN7rocprim17ROCPRIM_400000_NS6detail17trampoline_kernelINS0_14default_configENS1_25partition_config_selectorILNS1_17partition_subalgoE8EyNS0_10empty_typeEbEEZZNS1_14partition_implILS5_8ELb0ES3_jN6thrust23THRUST_200600_302600_NS6detail15normal_iteratorINSA_10device_ptrIyEEEEPS6_PKS6_NS0_5tupleIJNSA_16discard_iteratorINSA_11use_defaultEEES6_EEENSJ_IJSG_SG_EEENS0_18inequality_wrapperINSA_8equal_toIyEEEEPmJS6_EEE10hipError_tPvRmT3_T4_T5_T6_T7_T9_mT8_P12ihipStream_tbDpT10_ENKUlT_T0_E_clISt17integral_constantIbLb1EES1D_EEDaS18_S19_EUlS18_E_NS1_11comp_targetILNS1_3genE0ELNS1_11target_archE4294967295ELNS1_3gpuE0ELNS1_3repE0EEENS1_30default_config_static_selectorELNS0_4arch9wavefront6targetE1EEEvT1_.private_seg_size, 0
	.set _ZN7rocprim17ROCPRIM_400000_NS6detail17trampoline_kernelINS0_14default_configENS1_25partition_config_selectorILNS1_17partition_subalgoE8EyNS0_10empty_typeEbEEZZNS1_14partition_implILS5_8ELb0ES3_jN6thrust23THRUST_200600_302600_NS6detail15normal_iteratorINSA_10device_ptrIyEEEEPS6_PKS6_NS0_5tupleIJNSA_16discard_iteratorINSA_11use_defaultEEES6_EEENSJ_IJSG_SG_EEENS0_18inequality_wrapperINSA_8equal_toIyEEEEPmJS6_EEE10hipError_tPvRmT3_T4_T5_T6_T7_T9_mT8_P12ihipStream_tbDpT10_ENKUlT_T0_E_clISt17integral_constantIbLb1EES1D_EEDaS18_S19_EUlS18_E_NS1_11comp_targetILNS1_3genE0ELNS1_11target_archE4294967295ELNS1_3gpuE0ELNS1_3repE0EEENS1_30default_config_static_selectorELNS0_4arch9wavefront6targetE1EEEvT1_.uses_vcc, 0
	.set _ZN7rocprim17ROCPRIM_400000_NS6detail17trampoline_kernelINS0_14default_configENS1_25partition_config_selectorILNS1_17partition_subalgoE8EyNS0_10empty_typeEbEEZZNS1_14partition_implILS5_8ELb0ES3_jN6thrust23THRUST_200600_302600_NS6detail15normal_iteratorINSA_10device_ptrIyEEEEPS6_PKS6_NS0_5tupleIJNSA_16discard_iteratorINSA_11use_defaultEEES6_EEENSJ_IJSG_SG_EEENS0_18inequality_wrapperINSA_8equal_toIyEEEEPmJS6_EEE10hipError_tPvRmT3_T4_T5_T6_T7_T9_mT8_P12ihipStream_tbDpT10_ENKUlT_T0_E_clISt17integral_constantIbLb1EES1D_EEDaS18_S19_EUlS18_E_NS1_11comp_targetILNS1_3genE0ELNS1_11target_archE4294967295ELNS1_3gpuE0ELNS1_3repE0EEENS1_30default_config_static_selectorELNS0_4arch9wavefront6targetE1EEEvT1_.uses_flat_scratch, 0
	.set _ZN7rocprim17ROCPRIM_400000_NS6detail17trampoline_kernelINS0_14default_configENS1_25partition_config_selectorILNS1_17partition_subalgoE8EyNS0_10empty_typeEbEEZZNS1_14partition_implILS5_8ELb0ES3_jN6thrust23THRUST_200600_302600_NS6detail15normal_iteratorINSA_10device_ptrIyEEEEPS6_PKS6_NS0_5tupleIJNSA_16discard_iteratorINSA_11use_defaultEEES6_EEENSJ_IJSG_SG_EEENS0_18inequality_wrapperINSA_8equal_toIyEEEEPmJS6_EEE10hipError_tPvRmT3_T4_T5_T6_T7_T9_mT8_P12ihipStream_tbDpT10_ENKUlT_T0_E_clISt17integral_constantIbLb1EES1D_EEDaS18_S19_EUlS18_E_NS1_11comp_targetILNS1_3genE0ELNS1_11target_archE4294967295ELNS1_3gpuE0ELNS1_3repE0EEENS1_30default_config_static_selectorELNS0_4arch9wavefront6targetE1EEEvT1_.has_dyn_sized_stack, 0
	.set _ZN7rocprim17ROCPRIM_400000_NS6detail17trampoline_kernelINS0_14default_configENS1_25partition_config_selectorILNS1_17partition_subalgoE8EyNS0_10empty_typeEbEEZZNS1_14partition_implILS5_8ELb0ES3_jN6thrust23THRUST_200600_302600_NS6detail15normal_iteratorINSA_10device_ptrIyEEEEPS6_PKS6_NS0_5tupleIJNSA_16discard_iteratorINSA_11use_defaultEEES6_EEENSJ_IJSG_SG_EEENS0_18inequality_wrapperINSA_8equal_toIyEEEEPmJS6_EEE10hipError_tPvRmT3_T4_T5_T6_T7_T9_mT8_P12ihipStream_tbDpT10_ENKUlT_T0_E_clISt17integral_constantIbLb1EES1D_EEDaS18_S19_EUlS18_E_NS1_11comp_targetILNS1_3genE0ELNS1_11target_archE4294967295ELNS1_3gpuE0ELNS1_3repE0EEENS1_30default_config_static_selectorELNS0_4arch9wavefront6targetE1EEEvT1_.has_recursion, 0
	.set _ZN7rocprim17ROCPRIM_400000_NS6detail17trampoline_kernelINS0_14default_configENS1_25partition_config_selectorILNS1_17partition_subalgoE8EyNS0_10empty_typeEbEEZZNS1_14partition_implILS5_8ELb0ES3_jN6thrust23THRUST_200600_302600_NS6detail15normal_iteratorINSA_10device_ptrIyEEEEPS6_PKS6_NS0_5tupleIJNSA_16discard_iteratorINSA_11use_defaultEEES6_EEENSJ_IJSG_SG_EEENS0_18inequality_wrapperINSA_8equal_toIyEEEEPmJS6_EEE10hipError_tPvRmT3_T4_T5_T6_T7_T9_mT8_P12ihipStream_tbDpT10_ENKUlT_T0_E_clISt17integral_constantIbLb1EES1D_EEDaS18_S19_EUlS18_E_NS1_11comp_targetILNS1_3genE0ELNS1_11target_archE4294967295ELNS1_3gpuE0ELNS1_3repE0EEENS1_30default_config_static_selectorELNS0_4arch9wavefront6targetE1EEEvT1_.has_indirect_call, 0
	.section	.AMDGPU.csdata,"",@progbits
; Kernel info:
; codeLenInByte = 0
; TotalNumSgprs: 4
; NumVgprs: 0
; ScratchSize: 0
; MemoryBound: 0
; FloatMode: 240
; IeeeMode: 1
; LDSByteSize: 0 bytes/workgroup (compile time only)
; SGPRBlocks: 0
; VGPRBlocks: 0
; NumSGPRsForWavesPerEU: 4
; NumVGPRsForWavesPerEU: 1
; Occupancy: 10
; WaveLimiterHint : 0
; COMPUTE_PGM_RSRC2:SCRATCH_EN: 0
; COMPUTE_PGM_RSRC2:USER_SGPR: 6
; COMPUTE_PGM_RSRC2:TRAP_HANDLER: 0
; COMPUTE_PGM_RSRC2:TGID_X_EN: 1
; COMPUTE_PGM_RSRC2:TGID_Y_EN: 0
; COMPUTE_PGM_RSRC2:TGID_Z_EN: 0
; COMPUTE_PGM_RSRC2:TIDIG_COMP_CNT: 0
	.section	.text._ZN7rocprim17ROCPRIM_400000_NS6detail17trampoline_kernelINS0_14default_configENS1_25partition_config_selectorILNS1_17partition_subalgoE8EyNS0_10empty_typeEbEEZZNS1_14partition_implILS5_8ELb0ES3_jN6thrust23THRUST_200600_302600_NS6detail15normal_iteratorINSA_10device_ptrIyEEEEPS6_PKS6_NS0_5tupleIJNSA_16discard_iteratorINSA_11use_defaultEEES6_EEENSJ_IJSG_SG_EEENS0_18inequality_wrapperINSA_8equal_toIyEEEEPmJS6_EEE10hipError_tPvRmT3_T4_T5_T6_T7_T9_mT8_P12ihipStream_tbDpT10_ENKUlT_T0_E_clISt17integral_constantIbLb1EES1D_EEDaS18_S19_EUlS18_E_NS1_11comp_targetILNS1_3genE5ELNS1_11target_archE942ELNS1_3gpuE9ELNS1_3repE0EEENS1_30default_config_static_selectorELNS0_4arch9wavefront6targetE1EEEvT1_,"axG",@progbits,_ZN7rocprim17ROCPRIM_400000_NS6detail17trampoline_kernelINS0_14default_configENS1_25partition_config_selectorILNS1_17partition_subalgoE8EyNS0_10empty_typeEbEEZZNS1_14partition_implILS5_8ELb0ES3_jN6thrust23THRUST_200600_302600_NS6detail15normal_iteratorINSA_10device_ptrIyEEEEPS6_PKS6_NS0_5tupleIJNSA_16discard_iteratorINSA_11use_defaultEEES6_EEENSJ_IJSG_SG_EEENS0_18inequality_wrapperINSA_8equal_toIyEEEEPmJS6_EEE10hipError_tPvRmT3_T4_T5_T6_T7_T9_mT8_P12ihipStream_tbDpT10_ENKUlT_T0_E_clISt17integral_constantIbLb1EES1D_EEDaS18_S19_EUlS18_E_NS1_11comp_targetILNS1_3genE5ELNS1_11target_archE942ELNS1_3gpuE9ELNS1_3repE0EEENS1_30default_config_static_selectorELNS0_4arch9wavefront6targetE1EEEvT1_,comdat
	.protected	_ZN7rocprim17ROCPRIM_400000_NS6detail17trampoline_kernelINS0_14default_configENS1_25partition_config_selectorILNS1_17partition_subalgoE8EyNS0_10empty_typeEbEEZZNS1_14partition_implILS5_8ELb0ES3_jN6thrust23THRUST_200600_302600_NS6detail15normal_iteratorINSA_10device_ptrIyEEEEPS6_PKS6_NS0_5tupleIJNSA_16discard_iteratorINSA_11use_defaultEEES6_EEENSJ_IJSG_SG_EEENS0_18inequality_wrapperINSA_8equal_toIyEEEEPmJS6_EEE10hipError_tPvRmT3_T4_T5_T6_T7_T9_mT8_P12ihipStream_tbDpT10_ENKUlT_T0_E_clISt17integral_constantIbLb1EES1D_EEDaS18_S19_EUlS18_E_NS1_11comp_targetILNS1_3genE5ELNS1_11target_archE942ELNS1_3gpuE9ELNS1_3repE0EEENS1_30default_config_static_selectorELNS0_4arch9wavefront6targetE1EEEvT1_ ; -- Begin function _ZN7rocprim17ROCPRIM_400000_NS6detail17trampoline_kernelINS0_14default_configENS1_25partition_config_selectorILNS1_17partition_subalgoE8EyNS0_10empty_typeEbEEZZNS1_14partition_implILS5_8ELb0ES3_jN6thrust23THRUST_200600_302600_NS6detail15normal_iteratorINSA_10device_ptrIyEEEEPS6_PKS6_NS0_5tupleIJNSA_16discard_iteratorINSA_11use_defaultEEES6_EEENSJ_IJSG_SG_EEENS0_18inequality_wrapperINSA_8equal_toIyEEEEPmJS6_EEE10hipError_tPvRmT3_T4_T5_T6_T7_T9_mT8_P12ihipStream_tbDpT10_ENKUlT_T0_E_clISt17integral_constantIbLb1EES1D_EEDaS18_S19_EUlS18_E_NS1_11comp_targetILNS1_3genE5ELNS1_11target_archE942ELNS1_3gpuE9ELNS1_3repE0EEENS1_30default_config_static_selectorELNS0_4arch9wavefront6targetE1EEEvT1_
	.globl	_ZN7rocprim17ROCPRIM_400000_NS6detail17trampoline_kernelINS0_14default_configENS1_25partition_config_selectorILNS1_17partition_subalgoE8EyNS0_10empty_typeEbEEZZNS1_14partition_implILS5_8ELb0ES3_jN6thrust23THRUST_200600_302600_NS6detail15normal_iteratorINSA_10device_ptrIyEEEEPS6_PKS6_NS0_5tupleIJNSA_16discard_iteratorINSA_11use_defaultEEES6_EEENSJ_IJSG_SG_EEENS0_18inequality_wrapperINSA_8equal_toIyEEEEPmJS6_EEE10hipError_tPvRmT3_T4_T5_T6_T7_T9_mT8_P12ihipStream_tbDpT10_ENKUlT_T0_E_clISt17integral_constantIbLb1EES1D_EEDaS18_S19_EUlS18_E_NS1_11comp_targetILNS1_3genE5ELNS1_11target_archE942ELNS1_3gpuE9ELNS1_3repE0EEENS1_30default_config_static_selectorELNS0_4arch9wavefront6targetE1EEEvT1_
	.p2align	8
	.type	_ZN7rocprim17ROCPRIM_400000_NS6detail17trampoline_kernelINS0_14default_configENS1_25partition_config_selectorILNS1_17partition_subalgoE8EyNS0_10empty_typeEbEEZZNS1_14partition_implILS5_8ELb0ES3_jN6thrust23THRUST_200600_302600_NS6detail15normal_iteratorINSA_10device_ptrIyEEEEPS6_PKS6_NS0_5tupleIJNSA_16discard_iteratorINSA_11use_defaultEEES6_EEENSJ_IJSG_SG_EEENS0_18inequality_wrapperINSA_8equal_toIyEEEEPmJS6_EEE10hipError_tPvRmT3_T4_T5_T6_T7_T9_mT8_P12ihipStream_tbDpT10_ENKUlT_T0_E_clISt17integral_constantIbLb1EES1D_EEDaS18_S19_EUlS18_E_NS1_11comp_targetILNS1_3genE5ELNS1_11target_archE942ELNS1_3gpuE9ELNS1_3repE0EEENS1_30default_config_static_selectorELNS0_4arch9wavefront6targetE1EEEvT1_,@function
_ZN7rocprim17ROCPRIM_400000_NS6detail17trampoline_kernelINS0_14default_configENS1_25partition_config_selectorILNS1_17partition_subalgoE8EyNS0_10empty_typeEbEEZZNS1_14partition_implILS5_8ELb0ES3_jN6thrust23THRUST_200600_302600_NS6detail15normal_iteratorINSA_10device_ptrIyEEEEPS6_PKS6_NS0_5tupleIJNSA_16discard_iteratorINSA_11use_defaultEEES6_EEENSJ_IJSG_SG_EEENS0_18inequality_wrapperINSA_8equal_toIyEEEEPmJS6_EEE10hipError_tPvRmT3_T4_T5_T6_T7_T9_mT8_P12ihipStream_tbDpT10_ENKUlT_T0_E_clISt17integral_constantIbLb1EES1D_EEDaS18_S19_EUlS18_E_NS1_11comp_targetILNS1_3genE5ELNS1_11target_archE942ELNS1_3gpuE9ELNS1_3repE0EEENS1_30default_config_static_selectorELNS0_4arch9wavefront6targetE1EEEvT1_: ; @_ZN7rocprim17ROCPRIM_400000_NS6detail17trampoline_kernelINS0_14default_configENS1_25partition_config_selectorILNS1_17partition_subalgoE8EyNS0_10empty_typeEbEEZZNS1_14partition_implILS5_8ELb0ES3_jN6thrust23THRUST_200600_302600_NS6detail15normal_iteratorINSA_10device_ptrIyEEEEPS6_PKS6_NS0_5tupleIJNSA_16discard_iteratorINSA_11use_defaultEEES6_EEENSJ_IJSG_SG_EEENS0_18inequality_wrapperINSA_8equal_toIyEEEEPmJS6_EEE10hipError_tPvRmT3_T4_T5_T6_T7_T9_mT8_P12ihipStream_tbDpT10_ENKUlT_T0_E_clISt17integral_constantIbLb1EES1D_EEDaS18_S19_EUlS18_E_NS1_11comp_targetILNS1_3genE5ELNS1_11target_archE942ELNS1_3gpuE9ELNS1_3repE0EEENS1_30default_config_static_selectorELNS0_4arch9wavefront6targetE1EEEvT1_
; %bb.0:
	.section	.rodata,"a",@progbits
	.p2align	6, 0x0
	.amdhsa_kernel _ZN7rocprim17ROCPRIM_400000_NS6detail17trampoline_kernelINS0_14default_configENS1_25partition_config_selectorILNS1_17partition_subalgoE8EyNS0_10empty_typeEbEEZZNS1_14partition_implILS5_8ELb0ES3_jN6thrust23THRUST_200600_302600_NS6detail15normal_iteratorINSA_10device_ptrIyEEEEPS6_PKS6_NS0_5tupleIJNSA_16discard_iteratorINSA_11use_defaultEEES6_EEENSJ_IJSG_SG_EEENS0_18inequality_wrapperINSA_8equal_toIyEEEEPmJS6_EEE10hipError_tPvRmT3_T4_T5_T6_T7_T9_mT8_P12ihipStream_tbDpT10_ENKUlT_T0_E_clISt17integral_constantIbLb1EES1D_EEDaS18_S19_EUlS18_E_NS1_11comp_targetILNS1_3genE5ELNS1_11target_archE942ELNS1_3gpuE9ELNS1_3repE0EEENS1_30default_config_static_selectorELNS0_4arch9wavefront6targetE1EEEvT1_
		.amdhsa_group_segment_fixed_size 0
		.amdhsa_private_segment_fixed_size 0
		.amdhsa_kernarg_size 136
		.amdhsa_user_sgpr_count 6
		.amdhsa_user_sgpr_private_segment_buffer 1
		.amdhsa_user_sgpr_dispatch_ptr 0
		.amdhsa_user_sgpr_queue_ptr 0
		.amdhsa_user_sgpr_kernarg_segment_ptr 1
		.amdhsa_user_sgpr_dispatch_id 0
		.amdhsa_user_sgpr_flat_scratch_init 0
		.amdhsa_user_sgpr_private_segment_size 0
		.amdhsa_uses_dynamic_stack 0
		.amdhsa_system_sgpr_private_segment_wavefront_offset 0
		.amdhsa_system_sgpr_workgroup_id_x 1
		.amdhsa_system_sgpr_workgroup_id_y 0
		.amdhsa_system_sgpr_workgroup_id_z 0
		.amdhsa_system_sgpr_workgroup_info 0
		.amdhsa_system_vgpr_workitem_id 0
		.amdhsa_next_free_vgpr 1
		.amdhsa_next_free_sgpr 0
		.amdhsa_reserve_vcc 0
		.amdhsa_reserve_flat_scratch 0
		.amdhsa_float_round_mode_32 0
		.amdhsa_float_round_mode_16_64 0
		.amdhsa_float_denorm_mode_32 3
		.amdhsa_float_denorm_mode_16_64 3
		.amdhsa_dx10_clamp 1
		.amdhsa_ieee_mode 1
		.amdhsa_fp16_overflow 0
		.amdhsa_exception_fp_ieee_invalid_op 0
		.amdhsa_exception_fp_denorm_src 0
		.amdhsa_exception_fp_ieee_div_zero 0
		.amdhsa_exception_fp_ieee_overflow 0
		.amdhsa_exception_fp_ieee_underflow 0
		.amdhsa_exception_fp_ieee_inexact 0
		.amdhsa_exception_int_div_zero 0
	.end_amdhsa_kernel
	.section	.text._ZN7rocprim17ROCPRIM_400000_NS6detail17trampoline_kernelINS0_14default_configENS1_25partition_config_selectorILNS1_17partition_subalgoE8EyNS0_10empty_typeEbEEZZNS1_14partition_implILS5_8ELb0ES3_jN6thrust23THRUST_200600_302600_NS6detail15normal_iteratorINSA_10device_ptrIyEEEEPS6_PKS6_NS0_5tupleIJNSA_16discard_iteratorINSA_11use_defaultEEES6_EEENSJ_IJSG_SG_EEENS0_18inequality_wrapperINSA_8equal_toIyEEEEPmJS6_EEE10hipError_tPvRmT3_T4_T5_T6_T7_T9_mT8_P12ihipStream_tbDpT10_ENKUlT_T0_E_clISt17integral_constantIbLb1EES1D_EEDaS18_S19_EUlS18_E_NS1_11comp_targetILNS1_3genE5ELNS1_11target_archE942ELNS1_3gpuE9ELNS1_3repE0EEENS1_30default_config_static_selectorELNS0_4arch9wavefront6targetE1EEEvT1_,"axG",@progbits,_ZN7rocprim17ROCPRIM_400000_NS6detail17trampoline_kernelINS0_14default_configENS1_25partition_config_selectorILNS1_17partition_subalgoE8EyNS0_10empty_typeEbEEZZNS1_14partition_implILS5_8ELb0ES3_jN6thrust23THRUST_200600_302600_NS6detail15normal_iteratorINSA_10device_ptrIyEEEEPS6_PKS6_NS0_5tupleIJNSA_16discard_iteratorINSA_11use_defaultEEES6_EEENSJ_IJSG_SG_EEENS0_18inequality_wrapperINSA_8equal_toIyEEEEPmJS6_EEE10hipError_tPvRmT3_T4_T5_T6_T7_T9_mT8_P12ihipStream_tbDpT10_ENKUlT_T0_E_clISt17integral_constantIbLb1EES1D_EEDaS18_S19_EUlS18_E_NS1_11comp_targetILNS1_3genE5ELNS1_11target_archE942ELNS1_3gpuE9ELNS1_3repE0EEENS1_30default_config_static_selectorELNS0_4arch9wavefront6targetE1EEEvT1_,comdat
.Lfunc_end542:
	.size	_ZN7rocprim17ROCPRIM_400000_NS6detail17trampoline_kernelINS0_14default_configENS1_25partition_config_selectorILNS1_17partition_subalgoE8EyNS0_10empty_typeEbEEZZNS1_14partition_implILS5_8ELb0ES3_jN6thrust23THRUST_200600_302600_NS6detail15normal_iteratorINSA_10device_ptrIyEEEEPS6_PKS6_NS0_5tupleIJNSA_16discard_iteratorINSA_11use_defaultEEES6_EEENSJ_IJSG_SG_EEENS0_18inequality_wrapperINSA_8equal_toIyEEEEPmJS6_EEE10hipError_tPvRmT3_T4_T5_T6_T7_T9_mT8_P12ihipStream_tbDpT10_ENKUlT_T0_E_clISt17integral_constantIbLb1EES1D_EEDaS18_S19_EUlS18_E_NS1_11comp_targetILNS1_3genE5ELNS1_11target_archE942ELNS1_3gpuE9ELNS1_3repE0EEENS1_30default_config_static_selectorELNS0_4arch9wavefront6targetE1EEEvT1_, .Lfunc_end542-_ZN7rocprim17ROCPRIM_400000_NS6detail17trampoline_kernelINS0_14default_configENS1_25partition_config_selectorILNS1_17partition_subalgoE8EyNS0_10empty_typeEbEEZZNS1_14partition_implILS5_8ELb0ES3_jN6thrust23THRUST_200600_302600_NS6detail15normal_iteratorINSA_10device_ptrIyEEEEPS6_PKS6_NS0_5tupleIJNSA_16discard_iteratorINSA_11use_defaultEEES6_EEENSJ_IJSG_SG_EEENS0_18inequality_wrapperINSA_8equal_toIyEEEEPmJS6_EEE10hipError_tPvRmT3_T4_T5_T6_T7_T9_mT8_P12ihipStream_tbDpT10_ENKUlT_T0_E_clISt17integral_constantIbLb1EES1D_EEDaS18_S19_EUlS18_E_NS1_11comp_targetILNS1_3genE5ELNS1_11target_archE942ELNS1_3gpuE9ELNS1_3repE0EEENS1_30default_config_static_selectorELNS0_4arch9wavefront6targetE1EEEvT1_
                                        ; -- End function
	.set _ZN7rocprim17ROCPRIM_400000_NS6detail17trampoline_kernelINS0_14default_configENS1_25partition_config_selectorILNS1_17partition_subalgoE8EyNS0_10empty_typeEbEEZZNS1_14partition_implILS5_8ELb0ES3_jN6thrust23THRUST_200600_302600_NS6detail15normal_iteratorINSA_10device_ptrIyEEEEPS6_PKS6_NS0_5tupleIJNSA_16discard_iteratorINSA_11use_defaultEEES6_EEENSJ_IJSG_SG_EEENS0_18inequality_wrapperINSA_8equal_toIyEEEEPmJS6_EEE10hipError_tPvRmT3_T4_T5_T6_T7_T9_mT8_P12ihipStream_tbDpT10_ENKUlT_T0_E_clISt17integral_constantIbLb1EES1D_EEDaS18_S19_EUlS18_E_NS1_11comp_targetILNS1_3genE5ELNS1_11target_archE942ELNS1_3gpuE9ELNS1_3repE0EEENS1_30default_config_static_selectorELNS0_4arch9wavefront6targetE1EEEvT1_.num_vgpr, 0
	.set _ZN7rocprim17ROCPRIM_400000_NS6detail17trampoline_kernelINS0_14default_configENS1_25partition_config_selectorILNS1_17partition_subalgoE8EyNS0_10empty_typeEbEEZZNS1_14partition_implILS5_8ELb0ES3_jN6thrust23THRUST_200600_302600_NS6detail15normal_iteratorINSA_10device_ptrIyEEEEPS6_PKS6_NS0_5tupleIJNSA_16discard_iteratorINSA_11use_defaultEEES6_EEENSJ_IJSG_SG_EEENS0_18inequality_wrapperINSA_8equal_toIyEEEEPmJS6_EEE10hipError_tPvRmT3_T4_T5_T6_T7_T9_mT8_P12ihipStream_tbDpT10_ENKUlT_T0_E_clISt17integral_constantIbLb1EES1D_EEDaS18_S19_EUlS18_E_NS1_11comp_targetILNS1_3genE5ELNS1_11target_archE942ELNS1_3gpuE9ELNS1_3repE0EEENS1_30default_config_static_selectorELNS0_4arch9wavefront6targetE1EEEvT1_.num_agpr, 0
	.set _ZN7rocprim17ROCPRIM_400000_NS6detail17trampoline_kernelINS0_14default_configENS1_25partition_config_selectorILNS1_17partition_subalgoE8EyNS0_10empty_typeEbEEZZNS1_14partition_implILS5_8ELb0ES3_jN6thrust23THRUST_200600_302600_NS6detail15normal_iteratorINSA_10device_ptrIyEEEEPS6_PKS6_NS0_5tupleIJNSA_16discard_iteratorINSA_11use_defaultEEES6_EEENSJ_IJSG_SG_EEENS0_18inequality_wrapperINSA_8equal_toIyEEEEPmJS6_EEE10hipError_tPvRmT3_T4_T5_T6_T7_T9_mT8_P12ihipStream_tbDpT10_ENKUlT_T0_E_clISt17integral_constantIbLb1EES1D_EEDaS18_S19_EUlS18_E_NS1_11comp_targetILNS1_3genE5ELNS1_11target_archE942ELNS1_3gpuE9ELNS1_3repE0EEENS1_30default_config_static_selectorELNS0_4arch9wavefront6targetE1EEEvT1_.numbered_sgpr, 0
	.set _ZN7rocprim17ROCPRIM_400000_NS6detail17trampoline_kernelINS0_14default_configENS1_25partition_config_selectorILNS1_17partition_subalgoE8EyNS0_10empty_typeEbEEZZNS1_14partition_implILS5_8ELb0ES3_jN6thrust23THRUST_200600_302600_NS6detail15normal_iteratorINSA_10device_ptrIyEEEEPS6_PKS6_NS0_5tupleIJNSA_16discard_iteratorINSA_11use_defaultEEES6_EEENSJ_IJSG_SG_EEENS0_18inequality_wrapperINSA_8equal_toIyEEEEPmJS6_EEE10hipError_tPvRmT3_T4_T5_T6_T7_T9_mT8_P12ihipStream_tbDpT10_ENKUlT_T0_E_clISt17integral_constantIbLb1EES1D_EEDaS18_S19_EUlS18_E_NS1_11comp_targetILNS1_3genE5ELNS1_11target_archE942ELNS1_3gpuE9ELNS1_3repE0EEENS1_30default_config_static_selectorELNS0_4arch9wavefront6targetE1EEEvT1_.num_named_barrier, 0
	.set _ZN7rocprim17ROCPRIM_400000_NS6detail17trampoline_kernelINS0_14default_configENS1_25partition_config_selectorILNS1_17partition_subalgoE8EyNS0_10empty_typeEbEEZZNS1_14partition_implILS5_8ELb0ES3_jN6thrust23THRUST_200600_302600_NS6detail15normal_iteratorINSA_10device_ptrIyEEEEPS6_PKS6_NS0_5tupleIJNSA_16discard_iteratorINSA_11use_defaultEEES6_EEENSJ_IJSG_SG_EEENS0_18inequality_wrapperINSA_8equal_toIyEEEEPmJS6_EEE10hipError_tPvRmT3_T4_T5_T6_T7_T9_mT8_P12ihipStream_tbDpT10_ENKUlT_T0_E_clISt17integral_constantIbLb1EES1D_EEDaS18_S19_EUlS18_E_NS1_11comp_targetILNS1_3genE5ELNS1_11target_archE942ELNS1_3gpuE9ELNS1_3repE0EEENS1_30default_config_static_selectorELNS0_4arch9wavefront6targetE1EEEvT1_.private_seg_size, 0
	.set _ZN7rocprim17ROCPRIM_400000_NS6detail17trampoline_kernelINS0_14default_configENS1_25partition_config_selectorILNS1_17partition_subalgoE8EyNS0_10empty_typeEbEEZZNS1_14partition_implILS5_8ELb0ES3_jN6thrust23THRUST_200600_302600_NS6detail15normal_iteratorINSA_10device_ptrIyEEEEPS6_PKS6_NS0_5tupleIJNSA_16discard_iteratorINSA_11use_defaultEEES6_EEENSJ_IJSG_SG_EEENS0_18inequality_wrapperINSA_8equal_toIyEEEEPmJS6_EEE10hipError_tPvRmT3_T4_T5_T6_T7_T9_mT8_P12ihipStream_tbDpT10_ENKUlT_T0_E_clISt17integral_constantIbLb1EES1D_EEDaS18_S19_EUlS18_E_NS1_11comp_targetILNS1_3genE5ELNS1_11target_archE942ELNS1_3gpuE9ELNS1_3repE0EEENS1_30default_config_static_selectorELNS0_4arch9wavefront6targetE1EEEvT1_.uses_vcc, 0
	.set _ZN7rocprim17ROCPRIM_400000_NS6detail17trampoline_kernelINS0_14default_configENS1_25partition_config_selectorILNS1_17partition_subalgoE8EyNS0_10empty_typeEbEEZZNS1_14partition_implILS5_8ELb0ES3_jN6thrust23THRUST_200600_302600_NS6detail15normal_iteratorINSA_10device_ptrIyEEEEPS6_PKS6_NS0_5tupleIJNSA_16discard_iteratorINSA_11use_defaultEEES6_EEENSJ_IJSG_SG_EEENS0_18inequality_wrapperINSA_8equal_toIyEEEEPmJS6_EEE10hipError_tPvRmT3_T4_T5_T6_T7_T9_mT8_P12ihipStream_tbDpT10_ENKUlT_T0_E_clISt17integral_constantIbLb1EES1D_EEDaS18_S19_EUlS18_E_NS1_11comp_targetILNS1_3genE5ELNS1_11target_archE942ELNS1_3gpuE9ELNS1_3repE0EEENS1_30default_config_static_selectorELNS0_4arch9wavefront6targetE1EEEvT1_.uses_flat_scratch, 0
	.set _ZN7rocprim17ROCPRIM_400000_NS6detail17trampoline_kernelINS0_14default_configENS1_25partition_config_selectorILNS1_17partition_subalgoE8EyNS0_10empty_typeEbEEZZNS1_14partition_implILS5_8ELb0ES3_jN6thrust23THRUST_200600_302600_NS6detail15normal_iteratorINSA_10device_ptrIyEEEEPS6_PKS6_NS0_5tupleIJNSA_16discard_iteratorINSA_11use_defaultEEES6_EEENSJ_IJSG_SG_EEENS0_18inequality_wrapperINSA_8equal_toIyEEEEPmJS6_EEE10hipError_tPvRmT3_T4_T5_T6_T7_T9_mT8_P12ihipStream_tbDpT10_ENKUlT_T0_E_clISt17integral_constantIbLb1EES1D_EEDaS18_S19_EUlS18_E_NS1_11comp_targetILNS1_3genE5ELNS1_11target_archE942ELNS1_3gpuE9ELNS1_3repE0EEENS1_30default_config_static_selectorELNS0_4arch9wavefront6targetE1EEEvT1_.has_dyn_sized_stack, 0
	.set _ZN7rocprim17ROCPRIM_400000_NS6detail17trampoline_kernelINS0_14default_configENS1_25partition_config_selectorILNS1_17partition_subalgoE8EyNS0_10empty_typeEbEEZZNS1_14partition_implILS5_8ELb0ES3_jN6thrust23THRUST_200600_302600_NS6detail15normal_iteratorINSA_10device_ptrIyEEEEPS6_PKS6_NS0_5tupleIJNSA_16discard_iteratorINSA_11use_defaultEEES6_EEENSJ_IJSG_SG_EEENS0_18inequality_wrapperINSA_8equal_toIyEEEEPmJS6_EEE10hipError_tPvRmT3_T4_T5_T6_T7_T9_mT8_P12ihipStream_tbDpT10_ENKUlT_T0_E_clISt17integral_constantIbLb1EES1D_EEDaS18_S19_EUlS18_E_NS1_11comp_targetILNS1_3genE5ELNS1_11target_archE942ELNS1_3gpuE9ELNS1_3repE0EEENS1_30default_config_static_selectorELNS0_4arch9wavefront6targetE1EEEvT1_.has_recursion, 0
	.set _ZN7rocprim17ROCPRIM_400000_NS6detail17trampoline_kernelINS0_14default_configENS1_25partition_config_selectorILNS1_17partition_subalgoE8EyNS0_10empty_typeEbEEZZNS1_14partition_implILS5_8ELb0ES3_jN6thrust23THRUST_200600_302600_NS6detail15normal_iteratorINSA_10device_ptrIyEEEEPS6_PKS6_NS0_5tupleIJNSA_16discard_iteratorINSA_11use_defaultEEES6_EEENSJ_IJSG_SG_EEENS0_18inequality_wrapperINSA_8equal_toIyEEEEPmJS6_EEE10hipError_tPvRmT3_T4_T5_T6_T7_T9_mT8_P12ihipStream_tbDpT10_ENKUlT_T0_E_clISt17integral_constantIbLb1EES1D_EEDaS18_S19_EUlS18_E_NS1_11comp_targetILNS1_3genE5ELNS1_11target_archE942ELNS1_3gpuE9ELNS1_3repE0EEENS1_30default_config_static_selectorELNS0_4arch9wavefront6targetE1EEEvT1_.has_indirect_call, 0
	.section	.AMDGPU.csdata,"",@progbits
; Kernel info:
; codeLenInByte = 0
; TotalNumSgprs: 4
; NumVgprs: 0
; ScratchSize: 0
; MemoryBound: 0
; FloatMode: 240
; IeeeMode: 1
; LDSByteSize: 0 bytes/workgroup (compile time only)
; SGPRBlocks: 0
; VGPRBlocks: 0
; NumSGPRsForWavesPerEU: 4
; NumVGPRsForWavesPerEU: 1
; Occupancy: 10
; WaveLimiterHint : 0
; COMPUTE_PGM_RSRC2:SCRATCH_EN: 0
; COMPUTE_PGM_RSRC2:USER_SGPR: 6
; COMPUTE_PGM_RSRC2:TRAP_HANDLER: 0
; COMPUTE_PGM_RSRC2:TGID_X_EN: 1
; COMPUTE_PGM_RSRC2:TGID_Y_EN: 0
; COMPUTE_PGM_RSRC2:TGID_Z_EN: 0
; COMPUTE_PGM_RSRC2:TIDIG_COMP_CNT: 0
	.section	.text._ZN7rocprim17ROCPRIM_400000_NS6detail17trampoline_kernelINS0_14default_configENS1_25partition_config_selectorILNS1_17partition_subalgoE8EyNS0_10empty_typeEbEEZZNS1_14partition_implILS5_8ELb0ES3_jN6thrust23THRUST_200600_302600_NS6detail15normal_iteratorINSA_10device_ptrIyEEEEPS6_PKS6_NS0_5tupleIJNSA_16discard_iteratorINSA_11use_defaultEEES6_EEENSJ_IJSG_SG_EEENS0_18inequality_wrapperINSA_8equal_toIyEEEEPmJS6_EEE10hipError_tPvRmT3_T4_T5_T6_T7_T9_mT8_P12ihipStream_tbDpT10_ENKUlT_T0_E_clISt17integral_constantIbLb1EES1D_EEDaS18_S19_EUlS18_E_NS1_11comp_targetILNS1_3genE4ELNS1_11target_archE910ELNS1_3gpuE8ELNS1_3repE0EEENS1_30default_config_static_selectorELNS0_4arch9wavefront6targetE1EEEvT1_,"axG",@progbits,_ZN7rocprim17ROCPRIM_400000_NS6detail17trampoline_kernelINS0_14default_configENS1_25partition_config_selectorILNS1_17partition_subalgoE8EyNS0_10empty_typeEbEEZZNS1_14partition_implILS5_8ELb0ES3_jN6thrust23THRUST_200600_302600_NS6detail15normal_iteratorINSA_10device_ptrIyEEEEPS6_PKS6_NS0_5tupleIJNSA_16discard_iteratorINSA_11use_defaultEEES6_EEENSJ_IJSG_SG_EEENS0_18inequality_wrapperINSA_8equal_toIyEEEEPmJS6_EEE10hipError_tPvRmT3_T4_T5_T6_T7_T9_mT8_P12ihipStream_tbDpT10_ENKUlT_T0_E_clISt17integral_constantIbLb1EES1D_EEDaS18_S19_EUlS18_E_NS1_11comp_targetILNS1_3genE4ELNS1_11target_archE910ELNS1_3gpuE8ELNS1_3repE0EEENS1_30default_config_static_selectorELNS0_4arch9wavefront6targetE1EEEvT1_,comdat
	.protected	_ZN7rocprim17ROCPRIM_400000_NS6detail17trampoline_kernelINS0_14default_configENS1_25partition_config_selectorILNS1_17partition_subalgoE8EyNS0_10empty_typeEbEEZZNS1_14partition_implILS5_8ELb0ES3_jN6thrust23THRUST_200600_302600_NS6detail15normal_iteratorINSA_10device_ptrIyEEEEPS6_PKS6_NS0_5tupleIJNSA_16discard_iteratorINSA_11use_defaultEEES6_EEENSJ_IJSG_SG_EEENS0_18inequality_wrapperINSA_8equal_toIyEEEEPmJS6_EEE10hipError_tPvRmT3_T4_T5_T6_T7_T9_mT8_P12ihipStream_tbDpT10_ENKUlT_T0_E_clISt17integral_constantIbLb1EES1D_EEDaS18_S19_EUlS18_E_NS1_11comp_targetILNS1_3genE4ELNS1_11target_archE910ELNS1_3gpuE8ELNS1_3repE0EEENS1_30default_config_static_selectorELNS0_4arch9wavefront6targetE1EEEvT1_ ; -- Begin function _ZN7rocprim17ROCPRIM_400000_NS6detail17trampoline_kernelINS0_14default_configENS1_25partition_config_selectorILNS1_17partition_subalgoE8EyNS0_10empty_typeEbEEZZNS1_14partition_implILS5_8ELb0ES3_jN6thrust23THRUST_200600_302600_NS6detail15normal_iteratorINSA_10device_ptrIyEEEEPS6_PKS6_NS0_5tupleIJNSA_16discard_iteratorINSA_11use_defaultEEES6_EEENSJ_IJSG_SG_EEENS0_18inequality_wrapperINSA_8equal_toIyEEEEPmJS6_EEE10hipError_tPvRmT3_T4_T5_T6_T7_T9_mT8_P12ihipStream_tbDpT10_ENKUlT_T0_E_clISt17integral_constantIbLb1EES1D_EEDaS18_S19_EUlS18_E_NS1_11comp_targetILNS1_3genE4ELNS1_11target_archE910ELNS1_3gpuE8ELNS1_3repE0EEENS1_30default_config_static_selectorELNS0_4arch9wavefront6targetE1EEEvT1_
	.globl	_ZN7rocprim17ROCPRIM_400000_NS6detail17trampoline_kernelINS0_14default_configENS1_25partition_config_selectorILNS1_17partition_subalgoE8EyNS0_10empty_typeEbEEZZNS1_14partition_implILS5_8ELb0ES3_jN6thrust23THRUST_200600_302600_NS6detail15normal_iteratorINSA_10device_ptrIyEEEEPS6_PKS6_NS0_5tupleIJNSA_16discard_iteratorINSA_11use_defaultEEES6_EEENSJ_IJSG_SG_EEENS0_18inequality_wrapperINSA_8equal_toIyEEEEPmJS6_EEE10hipError_tPvRmT3_T4_T5_T6_T7_T9_mT8_P12ihipStream_tbDpT10_ENKUlT_T0_E_clISt17integral_constantIbLb1EES1D_EEDaS18_S19_EUlS18_E_NS1_11comp_targetILNS1_3genE4ELNS1_11target_archE910ELNS1_3gpuE8ELNS1_3repE0EEENS1_30default_config_static_selectorELNS0_4arch9wavefront6targetE1EEEvT1_
	.p2align	8
	.type	_ZN7rocprim17ROCPRIM_400000_NS6detail17trampoline_kernelINS0_14default_configENS1_25partition_config_selectorILNS1_17partition_subalgoE8EyNS0_10empty_typeEbEEZZNS1_14partition_implILS5_8ELb0ES3_jN6thrust23THRUST_200600_302600_NS6detail15normal_iteratorINSA_10device_ptrIyEEEEPS6_PKS6_NS0_5tupleIJNSA_16discard_iteratorINSA_11use_defaultEEES6_EEENSJ_IJSG_SG_EEENS0_18inequality_wrapperINSA_8equal_toIyEEEEPmJS6_EEE10hipError_tPvRmT3_T4_T5_T6_T7_T9_mT8_P12ihipStream_tbDpT10_ENKUlT_T0_E_clISt17integral_constantIbLb1EES1D_EEDaS18_S19_EUlS18_E_NS1_11comp_targetILNS1_3genE4ELNS1_11target_archE910ELNS1_3gpuE8ELNS1_3repE0EEENS1_30default_config_static_selectorELNS0_4arch9wavefront6targetE1EEEvT1_,@function
_ZN7rocprim17ROCPRIM_400000_NS6detail17trampoline_kernelINS0_14default_configENS1_25partition_config_selectorILNS1_17partition_subalgoE8EyNS0_10empty_typeEbEEZZNS1_14partition_implILS5_8ELb0ES3_jN6thrust23THRUST_200600_302600_NS6detail15normal_iteratorINSA_10device_ptrIyEEEEPS6_PKS6_NS0_5tupleIJNSA_16discard_iteratorINSA_11use_defaultEEES6_EEENSJ_IJSG_SG_EEENS0_18inequality_wrapperINSA_8equal_toIyEEEEPmJS6_EEE10hipError_tPvRmT3_T4_T5_T6_T7_T9_mT8_P12ihipStream_tbDpT10_ENKUlT_T0_E_clISt17integral_constantIbLb1EES1D_EEDaS18_S19_EUlS18_E_NS1_11comp_targetILNS1_3genE4ELNS1_11target_archE910ELNS1_3gpuE8ELNS1_3repE0EEENS1_30default_config_static_selectorELNS0_4arch9wavefront6targetE1EEEvT1_: ; @_ZN7rocprim17ROCPRIM_400000_NS6detail17trampoline_kernelINS0_14default_configENS1_25partition_config_selectorILNS1_17partition_subalgoE8EyNS0_10empty_typeEbEEZZNS1_14partition_implILS5_8ELb0ES3_jN6thrust23THRUST_200600_302600_NS6detail15normal_iteratorINSA_10device_ptrIyEEEEPS6_PKS6_NS0_5tupleIJNSA_16discard_iteratorINSA_11use_defaultEEES6_EEENSJ_IJSG_SG_EEENS0_18inequality_wrapperINSA_8equal_toIyEEEEPmJS6_EEE10hipError_tPvRmT3_T4_T5_T6_T7_T9_mT8_P12ihipStream_tbDpT10_ENKUlT_T0_E_clISt17integral_constantIbLb1EES1D_EEDaS18_S19_EUlS18_E_NS1_11comp_targetILNS1_3genE4ELNS1_11target_archE910ELNS1_3gpuE8ELNS1_3repE0EEENS1_30default_config_static_selectorELNS0_4arch9wavefront6targetE1EEEvT1_
; %bb.0:
	.section	.rodata,"a",@progbits
	.p2align	6, 0x0
	.amdhsa_kernel _ZN7rocprim17ROCPRIM_400000_NS6detail17trampoline_kernelINS0_14default_configENS1_25partition_config_selectorILNS1_17partition_subalgoE8EyNS0_10empty_typeEbEEZZNS1_14partition_implILS5_8ELb0ES3_jN6thrust23THRUST_200600_302600_NS6detail15normal_iteratorINSA_10device_ptrIyEEEEPS6_PKS6_NS0_5tupleIJNSA_16discard_iteratorINSA_11use_defaultEEES6_EEENSJ_IJSG_SG_EEENS0_18inequality_wrapperINSA_8equal_toIyEEEEPmJS6_EEE10hipError_tPvRmT3_T4_T5_T6_T7_T9_mT8_P12ihipStream_tbDpT10_ENKUlT_T0_E_clISt17integral_constantIbLb1EES1D_EEDaS18_S19_EUlS18_E_NS1_11comp_targetILNS1_3genE4ELNS1_11target_archE910ELNS1_3gpuE8ELNS1_3repE0EEENS1_30default_config_static_selectorELNS0_4arch9wavefront6targetE1EEEvT1_
		.amdhsa_group_segment_fixed_size 0
		.amdhsa_private_segment_fixed_size 0
		.amdhsa_kernarg_size 136
		.amdhsa_user_sgpr_count 6
		.amdhsa_user_sgpr_private_segment_buffer 1
		.amdhsa_user_sgpr_dispatch_ptr 0
		.amdhsa_user_sgpr_queue_ptr 0
		.amdhsa_user_sgpr_kernarg_segment_ptr 1
		.amdhsa_user_sgpr_dispatch_id 0
		.amdhsa_user_sgpr_flat_scratch_init 0
		.amdhsa_user_sgpr_private_segment_size 0
		.amdhsa_uses_dynamic_stack 0
		.amdhsa_system_sgpr_private_segment_wavefront_offset 0
		.amdhsa_system_sgpr_workgroup_id_x 1
		.amdhsa_system_sgpr_workgroup_id_y 0
		.amdhsa_system_sgpr_workgroup_id_z 0
		.amdhsa_system_sgpr_workgroup_info 0
		.amdhsa_system_vgpr_workitem_id 0
		.amdhsa_next_free_vgpr 1
		.amdhsa_next_free_sgpr 0
		.amdhsa_reserve_vcc 0
		.amdhsa_reserve_flat_scratch 0
		.amdhsa_float_round_mode_32 0
		.amdhsa_float_round_mode_16_64 0
		.amdhsa_float_denorm_mode_32 3
		.amdhsa_float_denorm_mode_16_64 3
		.amdhsa_dx10_clamp 1
		.amdhsa_ieee_mode 1
		.amdhsa_fp16_overflow 0
		.amdhsa_exception_fp_ieee_invalid_op 0
		.amdhsa_exception_fp_denorm_src 0
		.amdhsa_exception_fp_ieee_div_zero 0
		.amdhsa_exception_fp_ieee_overflow 0
		.amdhsa_exception_fp_ieee_underflow 0
		.amdhsa_exception_fp_ieee_inexact 0
		.amdhsa_exception_int_div_zero 0
	.end_amdhsa_kernel
	.section	.text._ZN7rocprim17ROCPRIM_400000_NS6detail17trampoline_kernelINS0_14default_configENS1_25partition_config_selectorILNS1_17partition_subalgoE8EyNS0_10empty_typeEbEEZZNS1_14partition_implILS5_8ELb0ES3_jN6thrust23THRUST_200600_302600_NS6detail15normal_iteratorINSA_10device_ptrIyEEEEPS6_PKS6_NS0_5tupleIJNSA_16discard_iteratorINSA_11use_defaultEEES6_EEENSJ_IJSG_SG_EEENS0_18inequality_wrapperINSA_8equal_toIyEEEEPmJS6_EEE10hipError_tPvRmT3_T4_T5_T6_T7_T9_mT8_P12ihipStream_tbDpT10_ENKUlT_T0_E_clISt17integral_constantIbLb1EES1D_EEDaS18_S19_EUlS18_E_NS1_11comp_targetILNS1_3genE4ELNS1_11target_archE910ELNS1_3gpuE8ELNS1_3repE0EEENS1_30default_config_static_selectorELNS0_4arch9wavefront6targetE1EEEvT1_,"axG",@progbits,_ZN7rocprim17ROCPRIM_400000_NS6detail17trampoline_kernelINS0_14default_configENS1_25partition_config_selectorILNS1_17partition_subalgoE8EyNS0_10empty_typeEbEEZZNS1_14partition_implILS5_8ELb0ES3_jN6thrust23THRUST_200600_302600_NS6detail15normal_iteratorINSA_10device_ptrIyEEEEPS6_PKS6_NS0_5tupleIJNSA_16discard_iteratorINSA_11use_defaultEEES6_EEENSJ_IJSG_SG_EEENS0_18inequality_wrapperINSA_8equal_toIyEEEEPmJS6_EEE10hipError_tPvRmT3_T4_T5_T6_T7_T9_mT8_P12ihipStream_tbDpT10_ENKUlT_T0_E_clISt17integral_constantIbLb1EES1D_EEDaS18_S19_EUlS18_E_NS1_11comp_targetILNS1_3genE4ELNS1_11target_archE910ELNS1_3gpuE8ELNS1_3repE0EEENS1_30default_config_static_selectorELNS0_4arch9wavefront6targetE1EEEvT1_,comdat
.Lfunc_end543:
	.size	_ZN7rocprim17ROCPRIM_400000_NS6detail17trampoline_kernelINS0_14default_configENS1_25partition_config_selectorILNS1_17partition_subalgoE8EyNS0_10empty_typeEbEEZZNS1_14partition_implILS5_8ELb0ES3_jN6thrust23THRUST_200600_302600_NS6detail15normal_iteratorINSA_10device_ptrIyEEEEPS6_PKS6_NS0_5tupleIJNSA_16discard_iteratorINSA_11use_defaultEEES6_EEENSJ_IJSG_SG_EEENS0_18inequality_wrapperINSA_8equal_toIyEEEEPmJS6_EEE10hipError_tPvRmT3_T4_T5_T6_T7_T9_mT8_P12ihipStream_tbDpT10_ENKUlT_T0_E_clISt17integral_constantIbLb1EES1D_EEDaS18_S19_EUlS18_E_NS1_11comp_targetILNS1_3genE4ELNS1_11target_archE910ELNS1_3gpuE8ELNS1_3repE0EEENS1_30default_config_static_selectorELNS0_4arch9wavefront6targetE1EEEvT1_, .Lfunc_end543-_ZN7rocprim17ROCPRIM_400000_NS6detail17trampoline_kernelINS0_14default_configENS1_25partition_config_selectorILNS1_17partition_subalgoE8EyNS0_10empty_typeEbEEZZNS1_14partition_implILS5_8ELb0ES3_jN6thrust23THRUST_200600_302600_NS6detail15normal_iteratorINSA_10device_ptrIyEEEEPS6_PKS6_NS0_5tupleIJNSA_16discard_iteratorINSA_11use_defaultEEES6_EEENSJ_IJSG_SG_EEENS0_18inequality_wrapperINSA_8equal_toIyEEEEPmJS6_EEE10hipError_tPvRmT3_T4_T5_T6_T7_T9_mT8_P12ihipStream_tbDpT10_ENKUlT_T0_E_clISt17integral_constantIbLb1EES1D_EEDaS18_S19_EUlS18_E_NS1_11comp_targetILNS1_3genE4ELNS1_11target_archE910ELNS1_3gpuE8ELNS1_3repE0EEENS1_30default_config_static_selectorELNS0_4arch9wavefront6targetE1EEEvT1_
                                        ; -- End function
	.set _ZN7rocprim17ROCPRIM_400000_NS6detail17trampoline_kernelINS0_14default_configENS1_25partition_config_selectorILNS1_17partition_subalgoE8EyNS0_10empty_typeEbEEZZNS1_14partition_implILS5_8ELb0ES3_jN6thrust23THRUST_200600_302600_NS6detail15normal_iteratorINSA_10device_ptrIyEEEEPS6_PKS6_NS0_5tupleIJNSA_16discard_iteratorINSA_11use_defaultEEES6_EEENSJ_IJSG_SG_EEENS0_18inequality_wrapperINSA_8equal_toIyEEEEPmJS6_EEE10hipError_tPvRmT3_T4_T5_T6_T7_T9_mT8_P12ihipStream_tbDpT10_ENKUlT_T0_E_clISt17integral_constantIbLb1EES1D_EEDaS18_S19_EUlS18_E_NS1_11comp_targetILNS1_3genE4ELNS1_11target_archE910ELNS1_3gpuE8ELNS1_3repE0EEENS1_30default_config_static_selectorELNS0_4arch9wavefront6targetE1EEEvT1_.num_vgpr, 0
	.set _ZN7rocprim17ROCPRIM_400000_NS6detail17trampoline_kernelINS0_14default_configENS1_25partition_config_selectorILNS1_17partition_subalgoE8EyNS0_10empty_typeEbEEZZNS1_14partition_implILS5_8ELb0ES3_jN6thrust23THRUST_200600_302600_NS6detail15normal_iteratorINSA_10device_ptrIyEEEEPS6_PKS6_NS0_5tupleIJNSA_16discard_iteratorINSA_11use_defaultEEES6_EEENSJ_IJSG_SG_EEENS0_18inequality_wrapperINSA_8equal_toIyEEEEPmJS6_EEE10hipError_tPvRmT3_T4_T5_T6_T7_T9_mT8_P12ihipStream_tbDpT10_ENKUlT_T0_E_clISt17integral_constantIbLb1EES1D_EEDaS18_S19_EUlS18_E_NS1_11comp_targetILNS1_3genE4ELNS1_11target_archE910ELNS1_3gpuE8ELNS1_3repE0EEENS1_30default_config_static_selectorELNS0_4arch9wavefront6targetE1EEEvT1_.num_agpr, 0
	.set _ZN7rocprim17ROCPRIM_400000_NS6detail17trampoline_kernelINS0_14default_configENS1_25partition_config_selectorILNS1_17partition_subalgoE8EyNS0_10empty_typeEbEEZZNS1_14partition_implILS5_8ELb0ES3_jN6thrust23THRUST_200600_302600_NS6detail15normal_iteratorINSA_10device_ptrIyEEEEPS6_PKS6_NS0_5tupleIJNSA_16discard_iteratorINSA_11use_defaultEEES6_EEENSJ_IJSG_SG_EEENS0_18inequality_wrapperINSA_8equal_toIyEEEEPmJS6_EEE10hipError_tPvRmT3_T4_T5_T6_T7_T9_mT8_P12ihipStream_tbDpT10_ENKUlT_T0_E_clISt17integral_constantIbLb1EES1D_EEDaS18_S19_EUlS18_E_NS1_11comp_targetILNS1_3genE4ELNS1_11target_archE910ELNS1_3gpuE8ELNS1_3repE0EEENS1_30default_config_static_selectorELNS0_4arch9wavefront6targetE1EEEvT1_.numbered_sgpr, 0
	.set _ZN7rocprim17ROCPRIM_400000_NS6detail17trampoline_kernelINS0_14default_configENS1_25partition_config_selectorILNS1_17partition_subalgoE8EyNS0_10empty_typeEbEEZZNS1_14partition_implILS5_8ELb0ES3_jN6thrust23THRUST_200600_302600_NS6detail15normal_iteratorINSA_10device_ptrIyEEEEPS6_PKS6_NS0_5tupleIJNSA_16discard_iteratorINSA_11use_defaultEEES6_EEENSJ_IJSG_SG_EEENS0_18inequality_wrapperINSA_8equal_toIyEEEEPmJS6_EEE10hipError_tPvRmT3_T4_T5_T6_T7_T9_mT8_P12ihipStream_tbDpT10_ENKUlT_T0_E_clISt17integral_constantIbLb1EES1D_EEDaS18_S19_EUlS18_E_NS1_11comp_targetILNS1_3genE4ELNS1_11target_archE910ELNS1_3gpuE8ELNS1_3repE0EEENS1_30default_config_static_selectorELNS0_4arch9wavefront6targetE1EEEvT1_.num_named_barrier, 0
	.set _ZN7rocprim17ROCPRIM_400000_NS6detail17trampoline_kernelINS0_14default_configENS1_25partition_config_selectorILNS1_17partition_subalgoE8EyNS0_10empty_typeEbEEZZNS1_14partition_implILS5_8ELb0ES3_jN6thrust23THRUST_200600_302600_NS6detail15normal_iteratorINSA_10device_ptrIyEEEEPS6_PKS6_NS0_5tupleIJNSA_16discard_iteratorINSA_11use_defaultEEES6_EEENSJ_IJSG_SG_EEENS0_18inequality_wrapperINSA_8equal_toIyEEEEPmJS6_EEE10hipError_tPvRmT3_T4_T5_T6_T7_T9_mT8_P12ihipStream_tbDpT10_ENKUlT_T0_E_clISt17integral_constantIbLb1EES1D_EEDaS18_S19_EUlS18_E_NS1_11comp_targetILNS1_3genE4ELNS1_11target_archE910ELNS1_3gpuE8ELNS1_3repE0EEENS1_30default_config_static_selectorELNS0_4arch9wavefront6targetE1EEEvT1_.private_seg_size, 0
	.set _ZN7rocprim17ROCPRIM_400000_NS6detail17trampoline_kernelINS0_14default_configENS1_25partition_config_selectorILNS1_17partition_subalgoE8EyNS0_10empty_typeEbEEZZNS1_14partition_implILS5_8ELb0ES3_jN6thrust23THRUST_200600_302600_NS6detail15normal_iteratorINSA_10device_ptrIyEEEEPS6_PKS6_NS0_5tupleIJNSA_16discard_iteratorINSA_11use_defaultEEES6_EEENSJ_IJSG_SG_EEENS0_18inequality_wrapperINSA_8equal_toIyEEEEPmJS6_EEE10hipError_tPvRmT3_T4_T5_T6_T7_T9_mT8_P12ihipStream_tbDpT10_ENKUlT_T0_E_clISt17integral_constantIbLb1EES1D_EEDaS18_S19_EUlS18_E_NS1_11comp_targetILNS1_3genE4ELNS1_11target_archE910ELNS1_3gpuE8ELNS1_3repE0EEENS1_30default_config_static_selectorELNS0_4arch9wavefront6targetE1EEEvT1_.uses_vcc, 0
	.set _ZN7rocprim17ROCPRIM_400000_NS6detail17trampoline_kernelINS0_14default_configENS1_25partition_config_selectorILNS1_17partition_subalgoE8EyNS0_10empty_typeEbEEZZNS1_14partition_implILS5_8ELb0ES3_jN6thrust23THRUST_200600_302600_NS6detail15normal_iteratorINSA_10device_ptrIyEEEEPS6_PKS6_NS0_5tupleIJNSA_16discard_iteratorINSA_11use_defaultEEES6_EEENSJ_IJSG_SG_EEENS0_18inequality_wrapperINSA_8equal_toIyEEEEPmJS6_EEE10hipError_tPvRmT3_T4_T5_T6_T7_T9_mT8_P12ihipStream_tbDpT10_ENKUlT_T0_E_clISt17integral_constantIbLb1EES1D_EEDaS18_S19_EUlS18_E_NS1_11comp_targetILNS1_3genE4ELNS1_11target_archE910ELNS1_3gpuE8ELNS1_3repE0EEENS1_30default_config_static_selectorELNS0_4arch9wavefront6targetE1EEEvT1_.uses_flat_scratch, 0
	.set _ZN7rocprim17ROCPRIM_400000_NS6detail17trampoline_kernelINS0_14default_configENS1_25partition_config_selectorILNS1_17partition_subalgoE8EyNS0_10empty_typeEbEEZZNS1_14partition_implILS5_8ELb0ES3_jN6thrust23THRUST_200600_302600_NS6detail15normal_iteratorINSA_10device_ptrIyEEEEPS6_PKS6_NS0_5tupleIJNSA_16discard_iteratorINSA_11use_defaultEEES6_EEENSJ_IJSG_SG_EEENS0_18inequality_wrapperINSA_8equal_toIyEEEEPmJS6_EEE10hipError_tPvRmT3_T4_T5_T6_T7_T9_mT8_P12ihipStream_tbDpT10_ENKUlT_T0_E_clISt17integral_constantIbLb1EES1D_EEDaS18_S19_EUlS18_E_NS1_11comp_targetILNS1_3genE4ELNS1_11target_archE910ELNS1_3gpuE8ELNS1_3repE0EEENS1_30default_config_static_selectorELNS0_4arch9wavefront6targetE1EEEvT1_.has_dyn_sized_stack, 0
	.set _ZN7rocprim17ROCPRIM_400000_NS6detail17trampoline_kernelINS0_14default_configENS1_25partition_config_selectorILNS1_17partition_subalgoE8EyNS0_10empty_typeEbEEZZNS1_14partition_implILS5_8ELb0ES3_jN6thrust23THRUST_200600_302600_NS6detail15normal_iteratorINSA_10device_ptrIyEEEEPS6_PKS6_NS0_5tupleIJNSA_16discard_iteratorINSA_11use_defaultEEES6_EEENSJ_IJSG_SG_EEENS0_18inequality_wrapperINSA_8equal_toIyEEEEPmJS6_EEE10hipError_tPvRmT3_T4_T5_T6_T7_T9_mT8_P12ihipStream_tbDpT10_ENKUlT_T0_E_clISt17integral_constantIbLb1EES1D_EEDaS18_S19_EUlS18_E_NS1_11comp_targetILNS1_3genE4ELNS1_11target_archE910ELNS1_3gpuE8ELNS1_3repE0EEENS1_30default_config_static_selectorELNS0_4arch9wavefront6targetE1EEEvT1_.has_recursion, 0
	.set _ZN7rocprim17ROCPRIM_400000_NS6detail17trampoline_kernelINS0_14default_configENS1_25partition_config_selectorILNS1_17partition_subalgoE8EyNS0_10empty_typeEbEEZZNS1_14partition_implILS5_8ELb0ES3_jN6thrust23THRUST_200600_302600_NS6detail15normal_iteratorINSA_10device_ptrIyEEEEPS6_PKS6_NS0_5tupleIJNSA_16discard_iteratorINSA_11use_defaultEEES6_EEENSJ_IJSG_SG_EEENS0_18inequality_wrapperINSA_8equal_toIyEEEEPmJS6_EEE10hipError_tPvRmT3_T4_T5_T6_T7_T9_mT8_P12ihipStream_tbDpT10_ENKUlT_T0_E_clISt17integral_constantIbLb1EES1D_EEDaS18_S19_EUlS18_E_NS1_11comp_targetILNS1_3genE4ELNS1_11target_archE910ELNS1_3gpuE8ELNS1_3repE0EEENS1_30default_config_static_selectorELNS0_4arch9wavefront6targetE1EEEvT1_.has_indirect_call, 0
	.section	.AMDGPU.csdata,"",@progbits
; Kernel info:
; codeLenInByte = 0
; TotalNumSgprs: 4
; NumVgprs: 0
; ScratchSize: 0
; MemoryBound: 0
; FloatMode: 240
; IeeeMode: 1
; LDSByteSize: 0 bytes/workgroup (compile time only)
; SGPRBlocks: 0
; VGPRBlocks: 0
; NumSGPRsForWavesPerEU: 4
; NumVGPRsForWavesPerEU: 1
; Occupancy: 10
; WaveLimiterHint : 0
; COMPUTE_PGM_RSRC2:SCRATCH_EN: 0
; COMPUTE_PGM_RSRC2:USER_SGPR: 6
; COMPUTE_PGM_RSRC2:TRAP_HANDLER: 0
; COMPUTE_PGM_RSRC2:TGID_X_EN: 1
; COMPUTE_PGM_RSRC2:TGID_Y_EN: 0
; COMPUTE_PGM_RSRC2:TGID_Z_EN: 0
; COMPUTE_PGM_RSRC2:TIDIG_COMP_CNT: 0
	.section	.text._ZN7rocprim17ROCPRIM_400000_NS6detail17trampoline_kernelINS0_14default_configENS1_25partition_config_selectorILNS1_17partition_subalgoE8EyNS0_10empty_typeEbEEZZNS1_14partition_implILS5_8ELb0ES3_jN6thrust23THRUST_200600_302600_NS6detail15normal_iteratorINSA_10device_ptrIyEEEEPS6_PKS6_NS0_5tupleIJNSA_16discard_iteratorINSA_11use_defaultEEES6_EEENSJ_IJSG_SG_EEENS0_18inequality_wrapperINSA_8equal_toIyEEEEPmJS6_EEE10hipError_tPvRmT3_T4_T5_T6_T7_T9_mT8_P12ihipStream_tbDpT10_ENKUlT_T0_E_clISt17integral_constantIbLb1EES1D_EEDaS18_S19_EUlS18_E_NS1_11comp_targetILNS1_3genE3ELNS1_11target_archE908ELNS1_3gpuE7ELNS1_3repE0EEENS1_30default_config_static_selectorELNS0_4arch9wavefront6targetE1EEEvT1_,"axG",@progbits,_ZN7rocprim17ROCPRIM_400000_NS6detail17trampoline_kernelINS0_14default_configENS1_25partition_config_selectorILNS1_17partition_subalgoE8EyNS0_10empty_typeEbEEZZNS1_14partition_implILS5_8ELb0ES3_jN6thrust23THRUST_200600_302600_NS6detail15normal_iteratorINSA_10device_ptrIyEEEEPS6_PKS6_NS0_5tupleIJNSA_16discard_iteratorINSA_11use_defaultEEES6_EEENSJ_IJSG_SG_EEENS0_18inequality_wrapperINSA_8equal_toIyEEEEPmJS6_EEE10hipError_tPvRmT3_T4_T5_T6_T7_T9_mT8_P12ihipStream_tbDpT10_ENKUlT_T0_E_clISt17integral_constantIbLb1EES1D_EEDaS18_S19_EUlS18_E_NS1_11comp_targetILNS1_3genE3ELNS1_11target_archE908ELNS1_3gpuE7ELNS1_3repE0EEENS1_30default_config_static_selectorELNS0_4arch9wavefront6targetE1EEEvT1_,comdat
	.protected	_ZN7rocprim17ROCPRIM_400000_NS6detail17trampoline_kernelINS0_14default_configENS1_25partition_config_selectorILNS1_17partition_subalgoE8EyNS0_10empty_typeEbEEZZNS1_14partition_implILS5_8ELb0ES3_jN6thrust23THRUST_200600_302600_NS6detail15normal_iteratorINSA_10device_ptrIyEEEEPS6_PKS6_NS0_5tupleIJNSA_16discard_iteratorINSA_11use_defaultEEES6_EEENSJ_IJSG_SG_EEENS0_18inequality_wrapperINSA_8equal_toIyEEEEPmJS6_EEE10hipError_tPvRmT3_T4_T5_T6_T7_T9_mT8_P12ihipStream_tbDpT10_ENKUlT_T0_E_clISt17integral_constantIbLb1EES1D_EEDaS18_S19_EUlS18_E_NS1_11comp_targetILNS1_3genE3ELNS1_11target_archE908ELNS1_3gpuE7ELNS1_3repE0EEENS1_30default_config_static_selectorELNS0_4arch9wavefront6targetE1EEEvT1_ ; -- Begin function _ZN7rocprim17ROCPRIM_400000_NS6detail17trampoline_kernelINS0_14default_configENS1_25partition_config_selectorILNS1_17partition_subalgoE8EyNS0_10empty_typeEbEEZZNS1_14partition_implILS5_8ELb0ES3_jN6thrust23THRUST_200600_302600_NS6detail15normal_iteratorINSA_10device_ptrIyEEEEPS6_PKS6_NS0_5tupleIJNSA_16discard_iteratorINSA_11use_defaultEEES6_EEENSJ_IJSG_SG_EEENS0_18inequality_wrapperINSA_8equal_toIyEEEEPmJS6_EEE10hipError_tPvRmT3_T4_T5_T6_T7_T9_mT8_P12ihipStream_tbDpT10_ENKUlT_T0_E_clISt17integral_constantIbLb1EES1D_EEDaS18_S19_EUlS18_E_NS1_11comp_targetILNS1_3genE3ELNS1_11target_archE908ELNS1_3gpuE7ELNS1_3repE0EEENS1_30default_config_static_selectorELNS0_4arch9wavefront6targetE1EEEvT1_
	.globl	_ZN7rocprim17ROCPRIM_400000_NS6detail17trampoline_kernelINS0_14default_configENS1_25partition_config_selectorILNS1_17partition_subalgoE8EyNS0_10empty_typeEbEEZZNS1_14partition_implILS5_8ELb0ES3_jN6thrust23THRUST_200600_302600_NS6detail15normal_iteratorINSA_10device_ptrIyEEEEPS6_PKS6_NS0_5tupleIJNSA_16discard_iteratorINSA_11use_defaultEEES6_EEENSJ_IJSG_SG_EEENS0_18inequality_wrapperINSA_8equal_toIyEEEEPmJS6_EEE10hipError_tPvRmT3_T4_T5_T6_T7_T9_mT8_P12ihipStream_tbDpT10_ENKUlT_T0_E_clISt17integral_constantIbLb1EES1D_EEDaS18_S19_EUlS18_E_NS1_11comp_targetILNS1_3genE3ELNS1_11target_archE908ELNS1_3gpuE7ELNS1_3repE0EEENS1_30default_config_static_selectorELNS0_4arch9wavefront6targetE1EEEvT1_
	.p2align	8
	.type	_ZN7rocprim17ROCPRIM_400000_NS6detail17trampoline_kernelINS0_14default_configENS1_25partition_config_selectorILNS1_17partition_subalgoE8EyNS0_10empty_typeEbEEZZNS1_14partition_implILS5_8ELb0ES3_jN6thrust23THRUST_200600_302600_NS6detail15normal_iteratorINSA_10device_ptrIyEEEEPS6_PKS6_NS0_5tupleIJNSA_16discard_iteratorINSA_11use_defaultEEES6_EEENSJ_IJSG_SG_EEENS0_18inequality_wrapperINSA_8equal_toIyEEEEPmJS6_EEE10hipError_tPvRmT3_T4_T5_T6_T7_T9_mT8_P12ihipStream_tbDpT10_ENKUlT_T0_E_clISt17integral_constantIbLb1EES1D_EEDaS18_S19_EUlS18_E_NS1_11comp_targetILNS1_3genE3ELNS1_11target_archE908ELNS1_3gpuE7ELNS1_3repE0EEENS1_30default_config_static_selectorELNS0_4arch9wavefront6targetE1EEEvT1_,@function
_ZN7rocprim17ROCPRIM_400000_NS6detail17trampoline_kernelINS0_14default_configENS1_25partition_config_selectorILNS1_17partition_subalgoE8EyNS0_10empty_typeEbEEZZNS1_14partition_implILS5_8ELb0ES3_jN6thrust23THRUST_200600_302600_NS6detail15normal_iteratorINSA_10device_ptrIyEEEEPS6_PKS6_NS0_5tupleIJNSA_16discard_iteratorINSA_11use_defaultEEES6_EEENSJ_IJSG_SG_EEENS0_18inequality_wrapperINSA_8equal_toIyEEEEPmJS6_EEE10hipError_tPvRmT3_T4_T5_T6_T7_T9_mT8_P12ihipStream_tbDpT10_ENKUlT_T0_E_clISt17integral_constantIbLb1EES1D_EEDaS18_S19_EUlS18_E_NS1_11comp_targetILNS1_3genE3ELNS1_11target_archE908ELNS1_3gpuE7ELNS1_3repE0EEENS1_30default_config_static_selectorELNS0_4arch9wavefront6targetE1EEEvT1_: ; @_ZN7rocprim17ROCPRIM_400000_NS6detail17trampoline_kernelINS0_14default_configENS1_25partition_config_selectorILNS1_17partition_subalgoE8EyNS0_10empty_typeEbEEZZNS1_14partition_implILS5_8ELb0ES3_jN6thrust23THRUST_200600_302600_NS6detail15normal_iteratorINSA_10device_ptrIyEEEEPS6_PKS6_NS0_5tupleIJNSA_16discard_iteratorINSA_11use_defaultEEES6_EEENSJ_IJSG_SG_EEENS0_18inequality_wrapperINSA_8equal_toIyEEEEPmJS6_EEE10hipError_tPvRmT3_T4_T5_T6_T7_T9_mT8_P12ihipStream_tbDpT10_ENKUlT_T0_E_clISt17integral_constantIbLb1EES1D_EEDaS18_S19_EUlS18_E_NS1_11comp_targetILNS1_3genE3ELNS1_11target_archE908ELNS1_3gpuE7ELNS1_3repE0EEENS1_30default_config_static_selectorELNS0_4arch9wavefront6targetE1EEEvT1_
; %bb.0:
	.section	.rodata,"a",@progbits
	.p2align	6, 0x0
	.amdhsa_kernel _ZN7rocprim17ROCPRIM_400000_NS6detail17trampoline_kernelINS0_14default_configENS1_25partition_config_selectorILNS1_17partition_subalgoE8EyNS0_10empty_typeEbEEZZNS1_14partition_implILS5_8ELb0ES3_jN6thrust23THRUST_200600_302600_NS6detail15normal_iteratorINSA_10device_ptrIyEEEEPS6_PKS6_NS0_5tupleIJNSA_16discard_iteratorINSA_11use_defaultEEES6_EEENSJ_IJSG_SG_EEENS0_18inequality_wrapperINSA_8equal_toIyEEEEPmJS6_EEE10hipError_tPvRmT3_T4_T5_T6_T7_T9_mT8_P12ihipStream_tbDpT10_ENKUlT_T0_E_clISt17integral_constantIbLb1EES1D_EEDaS18_S19_EUlS18_E_NS1_11comp_targetILNS1_3genE3ELNS1_11target_archE908ELNS1_3gpuE7ELNS1_3repE0EEENS1_30default_config_static_selectorELNS0_4arch9wavefront6targetE1EEEvT1_
		.amdhsa_group_segment_fixed_size 0
		.amdhsa_private_segment_fixed_size 0
		.amdhsa_kernarg_size 136
		.amdhsa_user_sgpr_count 6
		.amdhsa_user_sgpr_private_segment_buffer 1
		.amdhsa_user_sgpr_dispatch_ptr 0
		.amdhsa_user_sgpr_queue_ptr 0
		.amdhsa_user_sgpr_kernarg_segment_ptr 1
		.amdhsa_user_sgpr_dispatch_id 0
		.amdhsa_user_sgpr_flat_scratch_init 0
		.amdhsa_user_sgpr_private_segment_size 0
		.amdhsa_uses_dynamic_stack 0
		.amdhsa_system_sgpr_private_segment_wavefront_offset 0
		.amdhsa_system_sgpr_workgroup_id_x 1
		.amdhsa_system_sgpr_workgroup_id_y 0
		.amdhsa_system_sgpr_workgroup_id_z 0
		.amdhsa_system_sgpr_workgroup_info 0
		.amdhsa_system_vgpr_workitem_id 0
		.amdhsa_next_free_vgpr 1
		.amdhsa_next_free_sgpr 0
		.amdhsa_reserve_vcc 0
		.amdhsa_reserve_flat_scratch 0
		.amdhsa_float_round_mode_32 0
		.amdhsa_float_round_mode_16_64 0
		.amdhsa_float_denorm_mode_32 3
		.amdhsa_float_denorm_mode_16_64 3
		.amdhsa_dx10_clamp 1
		.amdhsa_ieee_mode 1
		.amdhsa_fp16_overflow 0
		.amdhsa_exception_fp_ieee_invalid_op 0
		.amdhsa_exception_fp_denorm_src 0
		.amdhsa_exception_fp_ieee_div_zero 0
		.amdhsa_exception_fp_ieee_overflow 0
		.amdhsa_exception_fp_ieee_underflow 0
		.amdhsa_exception_fp_ieee_inexact 0
		.amdhsa_exception_int_div_zero 0
	.end_amdhsa_kernel
	.section	.text._ZN7rocprim17ROCPRIM_400000_NS6detail17trampoline_kernelINS0_14default_configENS1_25partition_config_selectorILNS1_17partition_subalgoE8EyNS0_10empty_typeEbEEZZNS1_14partition_implILS5_8ELb0ES3_jN6thrust23THRUST_200600_302600_NS6detail15normal_iteratorINSA_10device_ptrIyEEEEPS6_PKS6_NS0_5tupleIJNSA_16discard_iteratorINSA_11use_defaultEEES6_EEENSJ_IJSG_SG_EEENS0_18inequality_wrapperINSA_8equal_toIyEEEEPmJS6_EEE10hipError_tPvRmT3_T4_T5_T6_T7_T9_mT8_P12ihipStream_tbDpT10_ENKUlT_T0_E_clISt17integral_constantIbLb1EES1D_EEDaS18_S19_EUlS18_E_NS1_11comp_targetILNS1_3genE3ELNS1_11target_archE908ELNS1_3gpuE7ELNS1_3repE0EEENS1_30default_config_static_selectorELNS0_4arch9wavefront6targetE1EEEvT1_,"axG",@progbits,_ZN7rocprim17ROCPRIM_400000_NS6detail17trampoline_kernelINS0_14default_configENS1_25partition_config_selectorILNS1_17partition_subalgoE8EyNS0_10empty_typeEbEEZZNS1_14partition_implILS5_8ELb0ES3_jN6thrust23THRUST_200600_302600_NS6detail15normal_iteratorINSA_10device_ptrIyEEEEPS6_PKS6_NS0_5tupleIJNSA_16discard_iteratorINSA_11use_defaultEEES6_EEENSJ_IJSG_SG_EEENS0_18inequality_wrapperINSA_8equal_toIyEEEEPmJS6_EEE10hipError_tPvRmT3_T4_T5_T6_T7_T9_mT8_P12ihipStream_tbDpT10_ENKUlT_T0_E_clISt17integral_constantIbLb1EES1D_EEDaS18_S19_EUlS18_E_NS1_11comp_targetILNS1_3genE3ELNS1_11target_archE908ELNS1_3gpuE7ELNS1_3repE0EEENS1_30default_config_static_selectorELNS0_4arch9wavefront6targetE1EEEvT1_,comdat
.Lfunc_end544:
	.size	_ZN7rocprim17ROCPRIM_400000_NS6detail17trampoline_kernelINS0_14default_configENS1_25partition_config_selectorILNS1_17partition_subalgoE8EyNS0_10empty_typeEbEEZZNS1_14partition_implILS5_8ELb0ES3_jN6thrust23THRUST_200600_302600_NS6detail15normal_iteratorINSA_10device_ptrIyEEEEPS6_PKS6_NS0_5tupleIJNSA_16discard_iteratorINSA_11use_defaultEEES6_EEENSJ_IJSG_SG_EEENS0_18inequality_wrapperINSA_8equal_toIyEEEEPmJS6_EEE10hipError_tPvRmT3_T4_T5_T6_T7_T9_mT8_P12ihipStream_tbDpT10_ENKUlT_T0_E_clISt17integral_constantIbLb1EES1D_EEDaS18_S19_EUlS18_E_NS1_11comp_targetILNS1_3genE3ELNS1_11target_archE908ELNS1_3gpuE7ELNS1_3repE0EEENS1_30default_config_static_selectorELNS0_4arch9wavefront6targetE1EEEvT1_, .Lfunc_end544-_ZN7rocprim17ROCPRIM_400000_NS6detail17trampoline_kernelINS0_14default_configENS1_25partition_config_selectorILNS1_17partition_subalgoE8EyNS0_10empty_typeEbEEZZNS1_14partition_implILS5_8ELb0ES3_jN6thrust23THRUST_200600_302600_NS6detail15normal_iteratorINSA_10device_ptrIyEEEEPS6_PKS6_NS0_5tupleIJNSA_16discard_iteratorINSA_11use_defaultEEES6_EEENSJ_IJSG_SG_EEENS0_18inequality_wrapperINSA_8equal_toIyEEEEPmJS6_EEE10hipError_tPvRmT3_T4_T5_T6_T7_T9_mT8_P12ihipStream_tbDpT10_ENKUlT_T0_E_clISt17integral_constantIbLb1EES1D_EEDaS18_S19_EUlS18_E_NS1_11comp_targetILNS1_3genE3ELNS1_11target_archE908ELNS1_3gpuE7ELNS1_3repE0EEENS1_30default_config_static_selectorELNS0_4arch9wavefront6targetE1EEEvT1_
                                        ; -- End function
	.set _ZN7rocprim17ROCPRIM_400000_NS6detail17trampoline_kernelINS0_14default_configENS1_25partition_config_selectorILNS1_17partition_subalgoE8EyNS0_10empty_typeEbEEZZNS1_14partition_implILS5_8ELb0ES3_jN6thrust23THRUST_200600_302600_NS6detail15normal_iteratorINSA_10device_ptrIyEEEEPS6_PKS6_NS0_5tupleIJNSA_16discard_iteratorINSA_11use_defaultEEES6_EEENSJ_IJSG_SG_EEENS0_18inequality_wrapperINSA_8equal_toIyEEEEPmJS6_EEE10hipError_tPvRmT3_T4_T5_T6_T7_T9_mT8_P12ihipStream_tbDpT10_ENKUlT_T0_E_clISt17integral_constantIbLb1EES1D_EEDaS18_S19_EUlS18_E_NS1_11comp_targetILNS1_3genE3ELNS1_11target_archE908ELNS1_3gpuE7ELNS1_3repE0EEENS1_30default_config_static_selectorELNS0_4arch9wavefront6targetE1EEEvT1_.num_vgpr, 0
	.set _ZN7rocprim17ROCPRIM_400000_NS6detail17trampoline_kernelINS0_14default_configENS1_25partition_config_selectorILNS1_17partition_subalgoE8EyNS0_10empty_typeEbEEZZNS1_14partition_implILS5_8ELb0ES3_jN6thrust23THRUST_200600_302600_NS6detail15normal_iteratorINSA_10device_ptrIyEEEEPS6_PKS6_NS0_5tupleIJNSA_16discard_iteratorINSA_11use_defaultEEES6_EEENSJ_IJSG_SG_EEENS0_18inequality_wrapperINSA_8equal_toIyEEEEPmJS6_EEE10hipError_tPvRmT3_T4_T5_T6_T7_T9_mT8_P12ihipStream_tbDpT10_ENKUlT_T0_E_clISt17integral_constantIbLb1EES1D_EEDaS18_S19_EUlS18_E_NS1_11comp_targetILNS1_3genE3ELNS1_11target_archE908ELNS1_3gpuE7ELNS1_3repE0EEENS1_30default_config_static_selectorELNS0_4arch9wavefront6targetE1EEEvT1_.num_agpr, 0
	.set _ZN7rocprim17ROCPRIM_400000_NS6detail17trampoline_kernelINS0_14default_configENS1_25partition_config_selectorILNS1_17partition_subalgoE8EyNS0_10empty_typeEbEEZZNS1_14partition_implILS5_8ELb0ES3_jN6thrust23THRUST_200600_302600_NS6detail15normal_iteratorINSA_10device_ptrIyEEEEPS6_PKS6_NS0_5tupleIJNSA_16discard_iteratorINSA_11use_defaultEEES6_EEENSJ_IJSG_SG_EEENS0_18inequality_wrapperINSA_8equal_toIyEEEEPmJS6_EEE10hipError_tPvRmT3_T4_T5_T6_T7_T9_mT8_P12ihipStream_tbDpT10_ENKUlT_T0_E_clISt17integral_constantIbLb1EES1D_EEDaS18_S19_EUlS18_E_NS1_11comp_targetILNS1_3genE3ELNS1_11target_archE908ELNS1_3gpuE7ELNS1_3repE0EEENS1_30default_config_static_selectorELNS0_4arch9wavefront6targetE1EEEvT1_.numbered_sgpr, 0
	.set _ZN7rocprim17ROCPRIM_400000_NS6detail17trampoline_kernelINS0_14default_configENS1_25partition_config_selectorILNS1_17partition_subalgoE8EyNS0_10empty_typeEbEEZZNS1_14partition_implILS5_8ELb0ES3_jN6thrust23THRUST_200600_302600_NS6detail15normal_iteratorINSA_10device_ptrIyEEEEPS6_PKS6_NS0_5tupleIJNSA_16discard_iteratorINSA_11use_defaultEEES6_EEENSJ_IJSG_SG_EEENS0_18inequality_wrapperINSA_8equal_toIyEEEEPmJS6_EEE10hipError_tPvRmT3_T4_T5_T6_T7_T9_mT8_P12ihipStream_tbDpT10_ENKUlT_T0_E_clISt17integral_constantIbLb1EES1D_EEDaS18_S19_EUlS18_E_NS1_11comp_targetILNS1_3genE3ELNS1_11target_archE908ELNS1_3gpuE7ELNS1_3repE0EEENS1_30default_config_static_selectorELNS0_4arch9wavefront6targetE1EEEvT1_.num_named_barrier, 0
	.set _ZN7rocprim17ROCPRIM_400000_NS6detail17trampoline_kernelINS0_14default_configENS1_25partition_config_selectorILNS1_17partition_subalgoE8EyNS0_10empty_typeEbEEZZNS1_14partition_implILS5_8ELb0ES3_jN6thrust23THRUST_200600_302600_NS6detail15normal_iteratorINSA_10device_ptrIyEEEEPS6_PKS6_NS0_5tupleIJNSA_16discard_iteratorINSA_11use_defaultEEES6_EEENSJ_IJSG_SG_EEENS0_18inequality_wrapperINSA_8equal_toIyEEEEPmJS6_EEE10hipError_tPvRmT3_T4_T5_T6_T7_T9_mT8_P12ihipStream_tbDpT10_ENKUlT_T0_E_clISt17integral_constantIbLb1EES1D_EEDaS18_S19_EUlS18_E_NS1_11comp_targetILNS1_3genE3ELNS1_11target_archE908ELNS1_3gpuE7ELNS1_3repE0EEENS1_30default_config_static_selectorELNS0_4arch9wavefront6targetE1EEEvT1_.private_seg_size, 0
	.set _ZN7rocprim17ROCPRIM_400000_NS6detail17trampoline_kernelINS0_14default_configENS1_25partition_config_selectorILNS1_17partition_subalgoE8EyNS0_10empty_typeEbEEZZNS1_14partition_implILS5_8ELb0ES3_jN6thrust23THRUST_200600_302600_NS6detail15normal_iteratorINSA_10device_ptrIyEEEEPS6_PKS6_NS0_5tupleIJNSA_16discard_iteratorINSA_11use_defaultEEES6_EEENSJ_IJSG_SG_EEENS0_18inequality_wrapperINSA_8equal_toIyEEEEPmJS6_EEE10hipError_tPvRmT3_T4_T5_T6_T7_T9_mT8_P12ihipStream_tbDpT10_ENKUlT_T0_E_clISt17integral_constantIbLb1EES1D_EEDaS18_S19_EUlS18_E_NS1_11comp_targetILNS1_3genE3ELNS1_11target_archE908ELNS1_3gpuE7ELNS1_3repE0EEENS1_30default_config_static_selectorELNS0_4arch9wavefront6targetE1EEEvT1_.uses_vcc, 0
	.set _ZN7rocprim17ROCPRIM_400000_NS6detail17trampoline_kernelINS0_14default_configENS1_25partition_config_selectorILNS1_17partition_subalgoE8EyNS0_10empty_typeEbEEZZNS1_14partition_implILS5_8ELb0ES3_jN6thrust23THRUST_200600_302600_NS6detail15normal_iteratorINSA_10device_ptrIyEEEEPS6_PKS6_NS0_5tupleIJNSA_16discard_iteratorINSA_11use_defaultEEES6_EEENSJ_IJSG_SG_EEENS0_18inequality_wrapperINSA_8equal_toIyEEEEPmJS6_EEE10hipError_tPvRmT3_T4_T5_T6_T7_T9_mT8_P12ihipStream_tbDpT10_ENKUlT_T0_E_clISt17integral_constantIbLb1EES1D_EEDaS18_S19_EUlS18_E_NS1_11comp_targetILNS1_3genE3ELNS1_11target_archE908ELNS1_3gpuE7ELNS1_3repE0EEENS1_30default_config_static_selectorELNS0_4arch9wavefront6targetE1EEEvT1_.uses_flat_scratch, 0
	.set _ZN7rocprim17ROCPRIM_400000_NS6detail17trampoline_kernelINS0_14default_configENS1_25partition_config_selectorILNS1_17partition_subalgoE8EyNS0_10empty_typeEbEEZZNS1_14partition_implILS5_8ELb0ES3_jN6thrust23THRUST_200600_302600_NS6detail15normal_iteratorINSA_10device_ptrIyEEEEPS6_PKS6_NS0_5tupleIJNSA_16discard_iteratorINSA_11use_defaultEEES6_EEENSJ_IJSG_SG_EEENS0_18inequality_wrapperINSA_8equal_toIyEEEEPmJS6_EEE10hipError_tPvRmT3_T4_T5_T6_T7_T9_mT8_P12ihipStream_tbDpT10_ENKUlT_T0_E_clISt17integral_constantIbLb1EES1D_EEDaS18_S19_EUlS18_E_NS1_11comp_targetILNS1_3genE3ELNS1_11target_archE908ELNS1_3gpuE7ELNS1_3repE0EEENS1_30default_config_static_selectorELNS0_4arch9wavefront6targetE1EEEvT1_.has_dyn_sized_stack, 0
	.set _ZN7rocprim17ROCPRIM_400000_NS6detail17trampoline_kernelINS0_14default_configENS1_25partition_config_selectorILNS1_17partition_subalgoE8EyNS0_10empty_typeEbEEZZNS1_14partition_implILS5_8ELb0ES3_jN6thrust23THRUST_200600_302600_NS6detail15normal_iteratorINSA_10device_ptrIyEEEEPS6_PKS6_NS0_5tupleIJNSA_16discard_iteratorINSA_11use_defaultEEES6_EEENSJ_IJSG_SG_EEENS0_18inequality_wrapperINSA_8equal_toIyEEEEPmJS6_EEE10hipError_tPvRmT3_T4_T5_T6_T7_T9_mT8_P12ihipStream_tbDpT10_ENKUlT_T0_E_clISt17integral_constantIbLb1EES1D_EEDaS18_S19_EUlS18_E_NS1_11comp_targetILNS1_3genE3ELNS1_11target_archE908ELNS1_3gpuE7ELNS1_3repE0EEENS1_30default_config_static_selectorELNS0_4arch9wavefront6targetE1EEEvT1_.has_recursion, 0
	.set _ZN7rocprim17ROCPRIM_400000_NS6detail17trampoline_kernelINS0_14default_configENS1_25partition_config_selectorILNS1_17partition_subalgoE8EyNS0_10empty_typeEbEEZZNS1_14partition_implILS5_8ELb0ES3_jN6thrust23THRUST_200600_302600_NS6detail15normal_iteratorINSA_10device_ptrIyEEEEPS6_PKS6_NS0_5tupleIJNSA_16discard_iteratorINSA_11use_defaultEEES6_EEENSJ_IJSG_SG_EEENS0_18inequality_wrapperINSA_8equal_toIyEEEEPmJS6_EEE10hipError_tPvRmT3_T4_T5_T6_T7_T9_mT8_P12ihipStream_tbDpT10_ENKUlT_T0_E_clISt17integral_constantIbLb1EES1D_EEDaS18_S19_EUlS18_E_NS1_11comp_targetILNS1_3genE3ELNS1_11target_archE908ELNS1_3gpuE7ELNS1_3repE0EEENS1_30default_config_static_selectorELNS0_4arch9wavefront6targetE1EEEvT1_.has_indirect_call, 0
	.section	.AMDGPU.csdata,"",@progbits
; Kernel info:
; codeLenInByte = 0
; TotalNumSgprs: 4
; NumVgprs: 0
; ScratchSize: 0
; MemoryBound: 0
; FloatMode: 240
; IeeeMode: 1
; LDSByteSize: 0 bytes/workgroup (compile time only)
; SGPRBlocks: 0
; VGPRBlocks: 0
; NumSGPRsForWavesPerEU: 4
; NumVGPRsForWavesPerEU: 1
; Occupancy: 10
; WaveLimiterHint : 0
; COMPUTE_PGM_RSRC2:SCRATCH_EN: 0
; COMPUTE_PGM_RSRC2:USER_SGPR: 6
; COMPUTE_PGM_RSRC2:TRAP_HANDLER: 0
; COMPUTE_PGM_RSRC2:TGID_X_EN: 1
; COMPUTE_PGM_RSRC2:TGID_Y_EN: 0
; COMPUTE_PGM_RSRC2:TGID_Z_EN: 0
; COMPUTE_PGM_RSRC2:TIDIG_COMP_CNT: 0
	.section	.text._ZN7rocprim17ROCPRIM_400000_NS6detail17trampoline_kernelINS0_14default_configENS1_25partition_config_selectorILNS1_17partition_subalgoE8EyNS0_10empty_typeEbEEZZNS1_14partition_implILS5_8ELb0ES3_jN6thrust23THRUST_200600_302600_NS6detail15normal_iteratorINSA_10device_ptrIyEEEEPS6_PKS6_NS0_5tupleIJNSA_16discard_iteratorINSA_11use_defaultEEES6_EEENSJ_IJSG_SG_EEENS0_18inequality_wrapperINSA_8equal_toIyEEEEPmJS6_EEE10hipError_tPvRmT3_T4_T5_T6_T7_T9_mT8_P12ihipStream_tbDpT10_ENKUlT_T0_E_clISt17integral_constantIbLb1EES1D_EEDaS18_S19_EUlS18_E_NS1_11comp_targetILNS1_3genE2ELNS1_11target_archE906ELNS1_3gpuE6ELNS1_3repE0EEENS1_30default_config_static_selectorELNS0_4arch9wavefront6targetE1EEEvT1_,"axG",@progbits,_ZN7rocprim17ROCPRIM_400000_NS6detail17trampoline_kernelINS0_14default_configENS1_25partition_config_selectorILNS1_17partition_subalgoE8EyNS0_10empty_typeEbEEZZNS1_14partition_implILS5_8ELb0ES3_jN6thrust23THRUST_200600_302600_NS6detail15normal_iteratorINSA_10device_ptrIyEEEEPS6_PKS6_NS0_5tupleIJNSA_16discard_iteratorINSA_11use_defaultEEES6_EEENSJ_IJSG_SG_EEENS0_18inequality_wrapperINSA_8equal_toIyEEEEPmJS6_EEE10hipError_tPvRmT3_T4_T5_T6_T7_T9_mT8_P12ihipStream_tbDpT10_ENKUlT_T0_E_clISt17integral_constantIbLb1EES1D_EEDaS18_S19_EUlS18_E_NS1_11comp_targetILNS1_3genE2ELNS1_11target_archE906ELNS1_3gpuE6ELNS1_3repE0EEENS1_30default_config_static_selectorELNS0_4arch9wavefront6targetE1EEEvT1_,comdat
	.protected	_ZN7rocprim17ROCPRIM_400000_NS6detail17trampoline_kernelINS0_14default_configENS1_25partition_config_selectorILNS1_17partition_subalgoE8EyNS0_10empty_typeEbEEZZNS1_14partition_implILS5_8ELb0ES3_jN6thrust23THRUST_200600_302600_NS6detail15normal_iteratorINSA_10device_ptrIyEEEEPS6_PKS6_NS0_5tupleIJNSA_16discard_iteratorINSA_11use_defaultEEES6_EEENSJ_IJSG_SG_EEENS0_18inequality_wrapperINSA_8equal_toIyEEEEPmJS6_EEE10hipError_tPvRmT3_T4_T5_T6_T7_T9_mT8_P12ihipStream_tbDpT10_ENKUlT_T0_E_clISt17integral_constantIbLb1EES1D_EEDaS18_S19_EUlS18_E_NS1_11comp_targetILNS1_3genE2ELNS1_11target_archE906ELNS1_3gpuE6ELNS1_3repE0EEENS1_30default_config_static_selectorELNS0_4arch9wavefront6targetE1EEEvT1_ ; -- Begin function _ZN7rocprim17ROCPRIM_400000_NS6detail17trampoline_kernelINS0_14default_configENS1_25partition_config_selectorILNS1_17partition_subalgoE8EyNS0_10empty_typeEbEEZZNS1_14partition_implILS5_8ELb0ES3_jN6thrust23THRUST_200600_302600_NS6detail15normal_iteratorINSA_10device_ptrIyEEEEPS6_PKS6_NS0_5tupleIJNSA_16discard_iteratorINSA_11use_defaultEEES6_EEENSJ_IJSG_SG_EEENS0_18inequality_wrapperINSA_8equal_toIyEEEEPmJS6_EEE10hipError_tPvRmT3_T4_T5_T6_T7_T9_mT8_P12ihipStream_tbDpT10_ENKUlT_T0_E_clISt17integral_constantIbLb1EES1D_EEDaS18_S19_EUlS18_E_NS1_11comp_targetILNS1_3genE2ELNS1_11target_archE906ELNS1_3gpuE6ELNS1_3repE0EEENS1_30default_config_static_selectorELNS0_4arch9wavefront6targetE1EEEvT1_
	.globl	_ZN7rocprim17ROCPRIM_400000_NS6detail17trampoline_kernelINS0_14default_configENS1_25partition_config_selectorILNS1_17partition_subalgoE8EyNS0_10empty_typeEbEEZZNS1_14partition_implILS5_8ELb0ES3_jN6thrust23THRUST_200600_302600_NS6detail15normal_iteratorINSA_10device_ptrIyEEEEPS6_PKS6_NS0_5tupleIJNSA_16discard_iteratorINSA_11use_defaultEEES6_EEENSJ_IJSG_SG_EEENS0_18inequality_wrapperINSA_8equal_toIyEEEEPmJS6_EEE10hipError_tPvRmT3_T4_T5_T6_T7_T9_mT8_P12ihipStream_tbDpT10_ENKUlT_T0_E_clISt17integral_constantIbLb1EES1D_EEDaS18_S19_EUlS18_E_NS1_11comp_targetILNS1_3genE2ELNS1_11target_archE906ELNS1_3gpuE6ELNS1_3repE0EEENS1_30default_config_static_selectorELNS0_4arch9wavefront6targetE1EEEvT1_
	.p2align	8
	.type	_ZN7rocprim17ROCPRIM_400000_NS6detail17trampoline_kernelINS0_14default_configENS1_25partition_config_selectorILNS1_17partition_subalgoE8EyNS0_10empty_typeEbEEZZNS1_14partition_implILS5_8ELb0ES3_jN6thrust23THRUST_200600_302600_NS6detail15normal_iteratorINSA_10device_ptrIyEEEEPS6_PKS6_NS0_5tupleIJNSA_16discard_iteratorINSA_11use_defaultEEES6_EEENSJ_IJSG_SG_EEENS0_18inequality_wrapperINSA_8equal_toIyEEEEPmJS6_EEE10hipError_tPvRmT3_T4_T5_T6_T7_T9_mT8_P12ihipStream_tbDpT10_ENKUlT_T0_E_clISt17integral_constantIbLb1EES1D_EEDaS18_S19_EUlS18_E_NS1_11comp_targetILNS1_3genE2ELNS1_11target_archE906ELNS1_3gpuE6ELNS1_3repE0EEENS1_30default_config_static_selectorELNS0_4arch9wavefront6targetE1EEEvT1_,@function
_ZN7rocprim17ROCPRIM_400000_NS6detail17trampoline_kernelINS0_14default_configENS1_25partition_config_selectorILNS1_17partition_subalgoE8EyNS0_10empty_typeEbEEZZNS1_14partition_implILS5_8ELb0ES3_jN6thrust23THRUST_200600_302600_NS6detail15normal_iteratorINSA_10device_ptrIyEEEEPS6_PKS6_NS0_5tupleIJNSA_16discard_iteratorINSA_11use_defaultEEES6_EEENSJ_IJSG_SG_EEENS0_18inequality_wrapperINSA_8equal_toIyEEEEPmJS6_EEE10hipError_tPvRmT3_T4_T5_T6_T7_T9_mT8_P12ihipStream_tbDpT10_ENKUlT_T0_E_clISt17integral_constantIbLb1EES1D_EEDaS18_S19_EUlS18_E_NS1_11comp_targetILNS1_3genE2ELNS1_11target_archE906ELNS1_3gpuE6ELNS1_3repE0EEENS1_30default_config_static_selectorELNS0_4arch9wavefront6targetE1EEEvT1_: ; @_ZN7rocprim17ROCPRIM_400000_NS6detail17trampoline_kernelINS0_14default_configENS1_25partition_config_selectorILNS1_17partition_subalgoE8EyNS0_10empty_typeEbEEZZNS1_14partition_implILS5_8ELb0ES3_jN6thrust23THRUST_200600_302600_NS6detail15normal_iteratorINSA_10device_ptrIyEEEEPS6_PKS6_NS0_5tupleIJNSA_16discard_iteratorINSA_11use_defaultEEES6_EEENSJ_IJSG_SG_EEENS0_18inequality_wrapperINSA_8equal_toIyEEEEPmJS6_EEE10hipError_tPvRmT3_T4_T5_T6_T7_T9_mT8_P12ihipStream_tbDpT10_ENKUlT_T0_E_clISt17integral_constantIbLb1EES1D_EEDaS18_S19_EUlS18_E_NS1_11comp_targetILNS1_3genE2ELNS1_11target_archE906ELNS1_3gpuE6ELNS1_3repE0EEENS1_30default_config_static_selectorELNS0_4arch9wavefront6targetE1EEEvT1_
; %bb.0:
	s_endpgm
	.section	.rodata,"a",@progbits
	.p2align	6, 0x0
	.amdhsa_kernel _ZN7rocprim17ROCPRIM_400000_NS6detail17trampoline_kernelINS0_14default_configENS1_25partition_config_selectorILNS1_17partition_subalgoE8EyNS0_10empty_typeEbEEZZNS1_14partition_implILS5_8ELb0ES3_jN6thrust23THRUST_200600_302600_NS6detail15normal_iteratorINSA_10device_ptrIyEEEEPS6_PKS6_NS0_5tupleIJNSA_16discard_iteratorINSA_11use_defaultEEES6_EEENSJ_IJSG_SG_EEENS0_18inequality_wrapperINSA_8equal_toIyEEEEPmJS6_EEE10hipError_tPvRmT3_T4_T5_T6_T7_T9_mT8_P12ihipStream_tbDpT10_ENKUlT_T0_E_clISt17integral_constantIbLb1EES1D_EEDaS18_S19_EUlS18_E_NS1_11comp_targetILNS1_3genE2ELNS1_11target_archE906ELNS1_3gpuE6ELNS1_3repE0EEENS1_30default_config_static_selectorELNS0_4arch9wavefront6targetE1EEEvT1_
		.amdhsa_group_segment_fixed_size 0
		.amdhsa_private_segment_fixed_size 0
		.amdhsa_kernarg_size 136
		.amdhsa_user_sgpr_count 6
		.amdhsa_user_sgpr_private_segment_buffer 1
		.amdhsa_user_sgpr_dispatch_ptr 0
		.amdhsa_user_sgpr_queue_ptr 0
		.amdhsa_user_sgpr_kernarg_segment_ptr 1
		.amdhsa_user_sgpr_dispatch_id 0
		.amdhsa_user_sgpr_flat_scratch_init 0
		.amdhsa_user_sgpr_private_segment_size 0
		.amdhsa_uses_dynamic_stack 0
		.amdhsa_system_sgpr_private_segment_wavefront_offset 0
		.amdhsa_system_sgpr_workgroup_id_x 1
		.amdhsa_system_sgpr_workgroup_id_y 0
		.amdhsa_system_sgpr_workgroup_id_z 0
		.amdhsa_system_sgpr_workgroup_info 0
		.amdhsa_system_vgpr_workitem_id 0
		.amdhsa_next_free_vgpr 1
		.amdhsa_next_free_sgpr 0
		.amdhsa_reserve_vcc 0
		.amdhsa_reserve_flat_scratch 0
		.amdhsa_float_round_mode_32 0
		.amdhsa_float_round_mode_16_64 0
		.amdhsa_float_denorm_mode_32 3
		.amdhsa_float_denorm_mode_16_64 3
		.amdhsa_dx10_clamp 1
		.amdhsa_ieee_mode 1
		.amdhsa_fp16_overflow 0
		.amdhsa_exception_fp_ieee_invalid_op 0
		.amdhsa_exception_fp_denorm_src 0
		.amdhsa_exception_fp_ieee_div_zero 0
		.amdhsa_exception_fp_ieee_overflow 0
		.amdhsa_exception_fp_ieee_underflow 0
		.amdhsa_exception_fp_ieee_inexact 0
		.amdhsa_exception_int_div_zero 0
	.end_amdhsa_kernel
	.section	.text._ZN7rocprim17ROCPRIM_400000_NS6detail17trampoline_kernelINS0_14default_configENS1_25partition_config_selectorILNS1_17partition_subalgoE8EyNS0_10empty_typeEbEEZZNS1_14partition_implILS5_8ELb0ES3_jN6thrust23THRUST_200600_302600_NS6detail15normal_iteratorINSA_10device_ptrIyEEEEPS6_PKS6_NS0_5tupleIJNSA_16discard_iteratorINSA_11use_defaultEEES6_EEENSJ_IJSG_SG_EEENS0_18inequality_wrapperINSA_8equal_toIyEEEEPmJS6_EEE10hipError_tPvRmT3_T4_T5_T6_T7_T9_mT8_P12ihipStream_tbDpT10_ENKUlT_T0_E_clISt17integral_constantIbLb1EES1D_EEDaS18_S19_EUlS18_E_NS1_11comp_targetILNS1_3genE2ELNS1_11target_archE906ELNS1_3gpuE6ELNS1_3repE0EEENS1_30default_config_static_selectorELNS0_4arch9wavefront6targetE1EEEvT1_,"axG",@progbits,_ZN7rocprim17ROCPRIM_400000_NS6detail17trampoline_kernelINS0_14default_configENS1_25partition_config_selectorILNS1_17partition_subalgoE8EyNS0_10empty_typeEbEEZZNS1_14partition_implILS5_8ELb0ES3_jN6thrust23THRUST_200600_302600_NS6detail15normal_iteratorINSA_10device_ptrIyEEEEPS6_PKS6_NS0_5tupleIJNSA_16discard_iteratorINSA_11use_defaultEEES6_EEENSJ_IJSG_SG_EEENS0_18inequality_wrapperINSA_8equal_toIyEEEEPmJS6_EEE10hipError_tPvRmT3_T4_T5_T6_T7_T9_mT8_P12ihipStream_tbDpT10_ENKUlT_T0_E_clISt17integral_constantIbLb1EES1D_EEDaS18_S19_EUlS18_E_NS1_11comp_targetILNS1_3genE2ELNS1_11target_archE906ELNS1_3gpuE6ELNS1_3repE0EEENS1_30default_config_static_selectorELNS0_4arch9wavefront6targetE1EEEvT1_,comdat
.Lfunc_end545:
	.size	_ZN7rocprim17ROCPRIM_400000_NS6detail17trampoline_kernelINS0_14default_configENS1_25partition_config_selectorILNS1_17partition_subalgoE8EyNS0_10empty_typeEbEEZZNS1_14partition_implILS5_8ELb0ES3_jN6thrust23THRUST_200600_302600_NS6detail15normal_iteratorINSA_10device_ptrIyEEEEPS6_PKS6_NS0_5tupleIJNSA_16discard_iteratorINSA_11use_defaultEEES6_EEENSJ_IJSG_SG_EEENS0_18inequality_wrapperINSA_8equal_toIyEEEEPmJS6_EEE10hipError_tPvRmT3_T4_T5_T6_T7_T9_mT8_P12ihipStream_tbDpT10_ENKUlT_T0_E_clISt17integral_constantIbLb1EES1D_EEDaS18_S19_EUlS18_E_NS1_11comp_targetILNS1_3genE2ELNS1_11target_archE906ELNS1_3gpuE6ELNS1_3repE0EEENS1_30default_config_static_selectorELNS0_4arch9wavefront6targetE1EEEvT1_, .Lfunc_end545-_ZN7rocprim17ROCPRIM_400000_NS6detail17trampoline_kernelINS0_14default_configENS1_25partition_config_selectorILNS1_17partition_subalgoE8EyNS0_10empty_typeEbEEZZNS1_14partition_implILS5_8ELb0ES3_jN6thrust23THRUST_200600_302600_NS6detail15normal_iteratorINSA_10device_ptrIyEEEEPS6_PKS6_NS0_5tupleIJNSA_16discard_iteratorINSA_11use_defaultEEES6_EEENSJ_IJSG_SG_EEENS0_18inequality_wrapperINSA_8equal_toIyEEEEPmJS6_EEE10hipError_tPvRmT3_T4_T5_T6_T7_T9_mT8_P12ihipStream_tbDpT10_ENKUlT_T0_E_clISt17integral_constantIbLb1EES1D_EEDaS18_S19_EUlS18_E_NS1_11comp_targetILNS1_3genE2ELNS1_11target_archE906ELNS1_3gpuE6ELNS1_3repE0EEENS1_30default_config_static_selectorELNS0_4arch9wavefront6targetE1EEEvT1_
                                        ; -- End function
	.set _ZN7rocprim17ROCPRIM_400000_NS6detail17trampoline_kernelINS0_14default_configENS1_25partition_config_selectorILNS1_17partition_subalgoE8EyNS0_10empty_typeEbEEZZNS1_14partition_implILS5_8ELb0ES3_jN6thrust23THRUST_200600_302600_NS6detail15normal_iteratorINSA_10device_ptrIyEEEEPS6_PKS6_NS0_5tupleIJNSA_16discard_iteratorINSA_11use_defaultEEES6_EEENSJ_IJSG_SG_EEENS0_18inequality_wrapperINSA_8equal_toIyEEEEPmJS6_EEE10hipError_tPvRmT3_T4_T5_T6_T7_T9_mT8_P12ihipStream_tbDpT10_ENKUlT_T0_E_clISt17integral_constantIbLb1EES1D_EEDaS18_S19_EUlS18_E_NS1_11comp_targetILNS1_3genE2ELNS1_11target_archE906ELNS1_3gpuE6ELNS1_3repE0EEENS1_30default_config_static_selectorELNS0_4arch9wavefront6targetE1EEEvT1_.num_vgpr, 0
	.set _ZN7rocprim17ROCPRIM_400000_NS6detail17trampoline_kernelINS0_14default_configENS1_25partition_config_selectorILNS1_17partition_subalgoE8EyNS0_10empty_typeEbEEZZNS1_14partition_implILS5_8ELb0ES3_jN6thrust23THRUST_200600_302600_NS6detail15normal_iteratorINSA_10device_ptrIyEEEEPS6_PKS6_NS0_5tupleIJNSA_16discard_iteratorINSA_11use_defaultEEES6_EEENSJ_IJSG_SG_EEENS0_18inequality_wrapperINSA_8equal_toIyEEEEPmJS6_EEE10hipError_tPvRmT3_T4_T5_T6_T7_T9_mT8_P12ihipStream_tbDpT10_ENKUlT_T0_E_clISt17integral_constantIbLb1EES1D_EEDaS18_S19_EUlS18_E_NS1_11comp_targetILNS1_3genE2ELNS1_11target_archE906ELNS1_3gpuE6ELNS1_3repE0EEENS1_30default_config_static_selectorELNS0_4arch9wavefront6targetE1EEEvT1_.num_agpr, 0
	.set _ZN7rocprim17ROCPRIM_400000_NS6detail17trampoline_kernelINS0_14default_configENS1_25partition_config_selectorILNS1_17partition_subalgoE8EyNS0_10empty_typeEbEEZZNS1_14partition_implILS5_8ELb0ES3_jN6thrust23THRUST_200600_302600_NS6detail15normal_iteratorINSA_10device_ptrIyEEEEPS6_PKS6_NS0_5tupleIJNSA_16discard_iteratorINSA_11use_defaultEEES6_EEENSJ_IJSG_SG_EEENS0_18inequality_wrapperINSA_8equal_toIyEEEEPmJS6_EEE10hipError_tPvRmT3_T4_T5_T6_T7_T9_mT8_P12ihipStream_tbDpT10_ENKUlT_T0_E_clISt17integral_constantIbLb1EES1D_EEDaS18_S19_EUlS18_E_NS1_11comp_targetILNS1_3genE2ELNS1_11target_archE906ELNS1_3gpuE6ELNS1_3repE0EEENS1_30default_config_static_selectorELNS0_4arch9wavefront6targetE1EEEvT1_.numbered_sgpr, 0
	.set _ZN7rocprim17ROCPRIM_400000_NS6detail17trampoline_kernelINS0_14default_configENS1_25partition_config_selectorILNS1_17partition_subalgoE8EyNS0_10empty_typeEbEEZZNS1_14partition_implILS5_8ELb0ES3_jN6thrust23THRUST_200600_302600_NS6detail15normal_iteratorINSA_10device_ptrIyEEEEPS6_PKS6_NS0_5tupleIJNSA_16discard_iteratorINSA_11use_defaultEEES6_EEENSJ_IJSG_SG_EEENS0_18inequality_wrapperINSA_8equal_toIyEEEEPmJS6_EEE10hipError_tPvRmT3_T4_T5_T6_T7_T9_mT8_P12ihipStream_tbDpT10_ENKUlT_T0_E_clISt17integral_constantIbLb1EES1D_EEDaS18_S19_EUlS18_E_NS1_11comp_targetILNS1_3genE2ELNS1_11target_archE906ELNS1_3gpuE6ELNS1_3repE0EEENS1_30default_config_static_selectorELNS0_4arch9wavefront6targetE1EEEvT1_.num_named_barrier, 0
	.set _ZN7rocprim17ROCPRIM_400000_NS6detail17trampoline_kernelINS0_14default_configENS1_25partition_config_selectorILNS1_17partition_subalgoE8EyNS0_10empty_typeEbEEZZNS1_14partition_implILS5_8ELb0ES3_jN6thrust23THRUST_200600_302600_NS6detail15normal_iteratorINSA_10device_ptrIyEEEEPS6_PKS6_NS0_5tupleIJNSA_16discard_iteratorINSA_11use_defaultEEES6_EEENSJ_IJSG_SG_EEENS0_18inequality_wrapperINSA_8equal_toIyEEEEPmJS6_EEE10hipError_tPvRmT3_T4_T5_T6_T7_T9_mT8_P12ihipStream_tbDpT10_ENKUlT_T0_E_clISt17integral_constantIbLb1EES1D_EEDaS18_S19_EUlS18_E_NS1_11comp_targetILNS1_3genE2ELNS1_11target_archE906ELNS1_3gpuE6ELNS1_3repE0EEENS1_30default_config_static_selectorELNS0_4arch9wavefront6targetE1EEEvT1_.private_seg_size, 0
	.set _ZN7rocprim17ROCPRIM_400000_NS6detail17trampoline_kernelINS0_14default_configENS1_25partition_config_selectorILNS1_17partition_subalgoE8EyNS0_10empty_typeEbEEZZNS1_14partition_implILS5_8ELb0ES3_jN6thrust23THRUST_200600_302600_NS6detail15normal_iteratorINSA_10device_ptrIyEEEEPS6_PKS6_NS0_5tupleIJNSA_16discard_iteratorINSA_11use_defaultEEES6_EEENSJ_IJSG_SG_EEENS0_18inequality_wrapperINSA_8equal_toIyEEEEPmJS6_EEE10hipError_tPvRmT3_T4_T5_T6_T7_T9_mT8_P12ihipStream_tbDpT10_ENKUlT_T0_E_clISt17integral_constantIbLb1EES1D_EEDaS18_S19_EUlS18_E_NS1_11comp_targetILNS1_3genE2ELNS1_11target_archE906ELNS1_3gpuE6ELNS1_3repE0EEENS1_30default_config_static_selectorELNS0_4arch9wavefront6targetE1EEEvT1_.uses_vcc, 0
	.set _ZN7rocprim17ROCPRIM_400000_NS6detail17trampoline_kernelINS0_14default_configENS1_25partition_config_selectorILNS1_17partition_subalgoE8EyNS0_10empty_typeEbEEZZNS1_14partition_implILS5_8ELb0ES3_jN6thrust23THRUST_200600_302600_NS6detail15normal_iteratorINSA_10device_ptrIyEEEEPS6_PKS6_NS0_5tupleIJNSA_16discard_iteratorINSA_11use_defaultEEES6_EEENSJ_IJSG_SG_EEENS0_18inequality_wrapperINSA_8equal_toIyEEEEPmJS6_EEE10hipError_tPvRmT3_T4_T5_T6_T7_T9_mT8_P12ihipStream_tbDpT10_ENKUlT_T0_E_clISt17integral_constantIbLb1EES1D_EEDaS18_S19_EUlS18_E_NS1_11comp_targetILNS1_3genE2ELNS1_11target_archE906ELNS1_3gpuE6ELNS1_3repE0EEENS1_30default_config_static_selectorELNS0_4arch9wavefront6targetE1EEEvT1_.uses_flat_scratch, 0
	.set _ZN7rocprim17ROCPRIM_400000_NS6detail17trampoline_kernelINS0_14default_configENS1_25partition_config_selectorILNS1_17partition_subalgoE8EyNS0_10empty_typeEbEEZZNS1_14partition_implILS5_8ELb0ES3_jN6thrust23THRUST_200600_302600_NS6detail15normal_iteratorINSA_10device_ptrIyEEEEPS6_PKS6_NS0_5tupleIJNSA_16discard_iteratorINSA_11use_defaultEEES6_EEENSJ_IJSG_SG_EEENS0_18inequality_wrapperINSA_8equal_toIyEEEEPmJS6_EEE10hipError_tPvRmT3_T4_T5_T6_T7_T9_mT8_P12ihipStream_tbDpT10_ENKUlT_T0_E_clISt17integral_constantIbLb1EES1D_EEDaS18_S19_EUlS18_E_NS1_11comp_targetILNS1_3genE2ELNS1_11target_archE906ELNS1_3gpuE6ELNS1_3repE0EEENS1_30default_config_static_selectorELNS0_4arch9wavefront6targetE1EEEvT1_.has_dyn_sized_stack, 0
	.set _ZN7rocprim17ROCPRIM_400000_NS6detail17trampoline_kernelINS0_14default_configENS1_25partition_config_selectorILNS1_17partition_subalgoE8EyNS0_10empty_typeEbEEZZNS1_14partition_implILS5_8ELb0ES3_jN6thrust23THRUST_200600_302600_NS6detail15normal_iteratorINSA_10device_ptrIyEEEEPS6_PKS6_NS0_5tupleIJNSA_16discard_iteratorINSA_11use_defaultEEES6_EEENSJ_IJSG_SG_EEENS0_18inequality_wrapperINSA_8equal_toIyEEEEPmJS6_EEE10hipError_tPvRmT3_T4_T5_T6_T7_T9_mT8_P12ihipStream_tbDpT10_ENKUlT_T0_E_clISt17integral_constantIbLb1EES1D_EEDaS18_S19_EUlS18_E_NS1_11comp_targetILNS1_3genE2ELNS1_11target_archE906ELNS1_3gpuE6ELNS1_3repE0EEENS1_30default_config_static_selectorELNS0_4arch9wavefront6targetE1EEEvT1_.has_recursion, 0
	.set _ZN7rocprim17ROCPRIM_400000_NS6detail17trampoline_kernelINS0_14default_configENS1_25partition_config_selectorILNS1_17partition_subalgoE8EyNS0_10empty_typeEbEEZZNS1_14partition_implILS5_8ELb0ES3_jN6thrust23THRUST_200600_302600_NS6detail15normal_iteratorINSA_10device_ptrIyEEEEPS6_PKS6_NS0_5tupleIJNSA_16discard_iteratorINSA_11use_defaultEEES6_EEENSJ_IJSG_SG_EEENS0_18inequality_wrapperINSA_8equal_toIyEEEEPmJS6_EEE10hipError_tPvRmT3_T4_T5_T6_T7_T9_mT8_P12ihipStream_tbDpT10_ENKUlT_T0_E_clISt17integral_constantIbLb1EES1D_EEDaS18_S19_EUlS18_E_NS1_11comp_targetILNS1_3genE2ELNS1_11target_archE906ELNS1_3gpuE6ELNS1_3repE0EEENS1_30default_config_static_selectorELNS0_4arch9wavefront6targetE1EEEvT1_.has_indirect_call, 0
	.section	.AMDGPU.csdata,"",@progbits
; Kernel info:
; codeLenInByte = 4
; TotalNumSgprs: 4
; NumVgprs: 0
; ScratchSize: 0
; MemoryBound: 0
; FloatMode: 240
; IeeeMode: 1
; LDSByteSize: 0 bytes/workgroup (compile time only)
; SGPRBlocks: 0
; VGPRBlocks: 0
; NumSGPRsForWavesPerEU: 4
; NumVGPRsForWavesPerEU: 1
; Occupancy: 10
; WaveLimiterHint : 0
; COMPUTE_PGM_RSRC2:SCRATCH_EN: 0
; COMPUTE_PGM_RSRC2:USER_SGPR: 6
; COMPUTE_PGM_RSRC2:TRAP_HANDLER: 0
; COMPUTE_PGM_RSRC2:TGID_X_EN: 1
; COMPUTE_PGM_RSRC2:TGID_Y_EN: 0
; COMPUTE_PGM_RSRC2:TGID_Z_EN: 0
; COMPUTE_PGM_RSRC2:TIDIG_COMP_CNT: 0
	.section	.text._ZN7rocprim17ROCPRIM_400000_NS6detail17trampoline_kernelINS0_14default_configENS1_25partition_config_selectorILNS1_17partition_subalgoE8EyNS0_10empty_typeEbEEZZNS1_14partition_implILS5_8ELb0ES3_jN6thrust23THRUST_200600_302600_NS6detail15normal_iteratorINSA_10device_ptrIyEEEEPS6_PKS6_NS0_5tupleIJNSA_16discard_iteratorINSA_11use_defaultEEES6_EEENSJ_IJSG_SG_EEENS0_18inequality_wrapperINSA_8equal_toIyEEEEPmJS6_EEE10hipError_tPvRmT3_T4_T5_T6_T7_T9_mT8_P12ihipStream_tbDpT10_ENKUlT_T0_E_clISt17integral_constantIbLb1EES1D_EEDaS18_S19_EUlS18_E_NS1_11comp_targetILNS1_3genE10ELNS1_11target_archE1200ELNS1_3gpuE4ELNS1_3repE0EEENS1_30default_config_static_selectorELNS0_4arch9wavefront6targetE1EEEvT1_,"axG",@progbits,_ZN7rocprim17ROCPRIM_400000_NS6detail17trampoline_kernelINS0_14default_configENS1_25partition_config_selectorILNS1_17partition_subalgoE8EyNS0_10empty_typeEbEEZZNS1_14partition_implILS5_8ELb0ES3_jN6thrust23THRUST_200600_302600_NS6detail15normal_iteratorINSA_10device_ptrIyEEEEPS6_PKS6_NS0_5tupleIJNSA_16discard_iteratorINSA_11use_defaultEEES6_EEENSJ_IJSG_SG_EEENS0_18inequality_wrapperINSA_8equal_toIyEEEEPmJS6_EEE10hipError_tPvRmT3_T4_T5_T6_T7_T9_mT8_P12ihipStream_tbDpT10_ENKUlT_T0_E_clISt17integral_constantIbLb1EES1D_EEDaS18_S19_EUlS18_E_NS1_11comp_targetILNS1_3genE10ELNS1_11target_archE1200ELNS1_3gpuE4ELNS1_3repE0EEENS1_30default_config_static_selectorELNS0_4arch9wavefront6targetE1EEEvT1_,comdat
	.protected	_ZN7rocprim17ROCPRIM_400000_NS6detail17trampoline_kernelINS0_14default_configENS1_25partition_config_selectorILNS1_17partition_subalgoE8EyNS0_10empty_typeEbEEZZNS1_14partition_implILS5_8ELb0ES3_jN6thrust23THRUST_200600_302600_NS6detail15normal_iteratorINSA_10device_ptrIyEEEEPS6_PKS6_NS0_5tupleIJNSA_16discard_iteratorINSA_11use_defaultEEES6_EEENSJ_IJSG_SG_EEENS0_18inequality_wrapperINSA_8equal_toIyEEEEPmJS6_EEE10hipError_tPvRmT3_T4_T5_T6_T7_T9_mT8_P12ihipStream_tbDpT10_ENKUlT_T0_E_clISt17integral_constantIbLb1EES1D_EEDaS18_S19_EUlS18_E_NS1_11comp_targetILNS1_3genE10ELNS1_11target_archE1200ELNS1_3gpuE4ELNS1_3repE0EEENS1_30default_config_static_selectorELNS0_4arch9wavefront6targetE1EEEvT1_ ; -- Begin function _ZN7rocprim17ROCPRIM_400000_NS6detail17trampoline_kernelINS0_14default_configENS1_25partition_config_selectorILNS1_17partition_subalgoE8EyNS0_10empty_typeEbEEZZNS1_14partition_implILS5_8ELb0ES3_jN6thrust23THRUST_200600_302600_NS6detail15normal_iteratorINSA_10device_ptrIyEEEEPS6_PKS6_NS0_5tupleIJNSA_16discard_iteratorINSA_11use_defaultEEES6_EEENSJ_IJSG_SG_EEENS0_18inequality_wrapperINSA_8equal_toIyEEEEPmJS6_EEE10hipError_tPvRmT3_T4_T5_T6_T7_T9_mT8_P12ihipStream_tbDpT10_ENKUlT_T0_E_clISt17integral_constantIbLb1EES1D_EEDaS18_S19_EUlS18_E_NS1_11comp_targetILNS1_3genE10ELNS1_11target_archE1200ELNS1_3gpuE4ELNS1_3repE0EEENS1_30default_config_static_selectorELNS0_4arch9wavefront6targetE1EEEvT1_
	.globl	_ZN7rocprim17ROCPRIM_400000_NS6detail17trampoline_kernelINS0_14default_configENS1_25partition_config_selectorILNS1_17partition_subalgoE8EyNS0_10empty_typeEbEEZZNS1_14partition_implILS5_8ELb0ES3_jN6thrust23THRUST_200600_302600_NS6detail15normal_iteratorINSA_10device_ptrIyEEEEPS6_PKS6_NS0_5tupleIJNSA_16discard_iteratorINSA_11use_defaultEEES6_EEENSJ_IJSG_SG_EEENS0_18inequality_wrapperINSA_8equal_toIyEEEEPmJS6_EEE10hipError_tPvRmT3_T4_T5_T6_T7_T9_mT8_P12ihipStream_tbDpT10_ENKUlT_T0_E_clISt17integral_constantIbLb1EES1D_EEDaS18_S19_EUlS18_E_NS1_11comp_targetILNS1_3genE10ELNS1_11target_archE1200ELNS1_3gpuE4ELNS1_3repE0EEENS1_30default_config_static_selectorELNS0_4arch9wavefront6targetE1EEEvT1_
	.p2align	8
	.type	_ZN7rocprim17ROCPRIM_400000_NS6detail17trampoline_kernelINS0_14default_configENS1_25partition_config_selectorILNS1_17partition_subalgoE8EyNS0_10empty_typeEbEEZZNS1_14partition_implILS5_8ELb0ES3_jN6thrust23THRUST_200600_302600_NS6detail15normal_iteratorINSA_10device_ptrIyEEEEPS6_PKS6_NS0_5tupleIJNSA_16discard_iteratorINSA_11use_defaultEEES6_EEENSJ_IJSG_SG_EEENS0_18inequality_wrapperINSA_8equal_toIyEEEEPmJS6_EEE10hipError_tPvRmT3_T4_T5_T6_T7_T9_mT8_P12ihipStream_tbDpT10_ENKUlT_T0_E_clISt17integral_constantIbLb1EES1D_EEDaS18_S19_EUlS18_E_NS1_11comp_targetILNS1_3genE10ELNS1_11target_archE1200ELNS1_3gpuE4ELNS1_3repE0EEENS1_30default_config_static_selectorELNS0_4arch9wavefront6targetE1EEEvT1_,@function
_ZN7rocprim17ROCPRIM_400000_NS6detail17trampoline_kernelINS0_14default_configENS1_25partition_config_selectorILNS1_17partition_subalgoE8EyNS0_10empty_typeEbEEZZNS1_14partition_implILS5_8ELb0ES3_jN6thrust23THRUST_200600_302600_NS6detail15normal_iteratorINSA_10device_ptrIyEEEEPS6_PKS6_NS0_5tupleIJNSA_16discard_iteratorINSA_11use_defaultEEES6_EEENSJ_IJSG_SG_EEENS0_18inequality_wrapperINSA_8equal_toIyEEEEPmJS6_EEE10hipError_tPvRmT3_T4_T5_T6_T7_T9_mT8_P12ihipStream_tbDpT10_ENKUlT_T0_E_clISt17integral_constantIbLb1EES1D_EEDaS18_S19_EUlS18_E_NS1_11comp_targetILNS1_3genE10ELNS1_11target_archE1200ELNS1_3gpuE4ELNS1_3repE0EEENS1_30default_config_static_selectorELNS0_4arch9wavefront6targetE1EEEvT1_: ; @_ZN7rocprim17ROCPRIM_400000_NS6detail17trampoline_kernelINS0_14default_configENS1_25partition_config_selectorILNS1_17partition_subalgoE8EyNS0_10empty_typeEbEEZZNS1_14partition_implILS5_8ELb0ES3_jN6thrust23THRUST_200600_302600_NS6detail15normal_iteratorINSA_10device_ptrIyEEEEPS6_PKS6_NS0_5tupleIJNSA_16discard_iteratorINSA_11use_defaultEEES6_EEENSJ_IJSG_SG_EEENS0_18inequality_wrapperINSA_8equal_toIyEEEEPmJS6_EEE10hipError_tPvRmT3_T4_T5_T6_T7_T9_mT8_P12ihipStream_tbDpT10_ENKUlT_T0_E_clISt17integral_constantIbLb1EES1D_EEDaS18_S19_EUlS18_E_NS1_11comp_targetILNS1_3genE10ELNS1_11target_archE1200ELNS1_3gpuE4ELNS1_3repE0EEENS1_30default_config_static_selectorELNS0_4arch9wavefront6targetE1EEEvT1_
; %bb.0:
	.section	.rodata,"a",@progbits
	.p2align	6, 0x0
	.amdhsa_kernel _ZN7rocprim17ROCPRIM_400000_NS6detail17trampoline_kernelINS0_14default_configENS1_25partition_config_selectorILNS1_17partition_subalgoE8EyNS0_10empty_typeEbEEZZNS1_14partition_implILS5_8ELb0ES3_jN6thrust23THRUST_200600_302600_NS6detail15normal_iteratorINSA_10device_ptrIyEEEEPS6_PKS6_NS0_5tupleIJNSA_16discard_iteratorINSA_11use_defaultEEES6_EEENSJ_IJSG_SG_EEENS0_18inequality_wrapperINSA_8equal_toIyEEEEPmJS6_EEE10hipError_tPvRmT3_T4_T5_T6_T7_T9_mT8_P12ihipStream_tbDpT10_ENKUlT_T0_E_clISt17integral_constantIbLb1EES1D_EEDaS18_S19_EUlS18_E_NS1_11comp_targetILNS1_3genE10ELNS1_11target_archE1200ELNS1_3gpuE4ELNS1_3repE0EEENS1_30default_config_static_selectorELNS0_4arch9wavefront6targetE1EEEvT1_
		.amdhsa_group_segment_fixed_size 0
		.amdhsa_private_segment_fixed_size 0
		.amdhsa_kernarg_size 136
		.amdhsa_user_sgpr_count 6
		.amdhsa_user_sgpr_private_segment_buffer 1
		.amdhsa_user_sgpr_dispatch_ptr 0
		.amdhsa_user_sgpr_queue_ptr 0
		.amdhsa_user_sgpr_kernarg_segment_ptr 1
		.amdhsa_user_sgpr_dispatch_id 0
		.amdhsa_user_sgpr_flat_scratch_init 0
		.amdhsa_user_sgpr_private_segment_size 0
		.amdhsa_uses_dynamic_stack 0
		.amdhsa_system_sgpr_private_segment_wavefront_offset 0
		.amdhsa_system_sgpr_workgroup_id_x 1
		.amdhsa_system_sgpr_workgroup_id_y 0
		.amdhsa_system_sgpr_workgroup_id_z 0
		.amdhsa_system_sgpr_workgroup_info 0
		.amdhsa_system_vgpr_workitem_id 0
		.amdhsa_next_free_vgpr 1
		.amdhsa_next_free_sgpr 0
		.amdhsa_reserve_vcc 0
		.amdhsa_reserve_flat_scratch 0
		.amdhsa_float_round_mode_32 0
		.amdhsa_float_round_mode_16_64 0
		.amdhsa_float_denorm_mode_32 3
		.amdhsa_float_denorm_mode_16_64 3
		.amdhsa_dx10_clamp 1
		.amdhsa_ieee_mode 1
		.amdhsa_fp16_overflow 0
		.amdhsa_exception_fp_ieee_invalid_op 0
		.amdhsa_exception_fp_denorm_src 0
		.amdhsa_exception_fp_ieee_div_zero 0
		.amdhsa_exception_fp_ieee_overflow 0
		.amdhsa_exception_fp_ieee_underflow 0
		.amdhsa_exception_fp_ieee_inexact 0
		.amdhsa_exception_int_div_zero 0
	.end_amdhsa_kernel
	.section	.text._ZN7rocprim17ROCPRIM_400000_NS6detail17trampoline_kernelINS0_14default_configENS1_25partition_config_selectorILNS1_17partition_subalgoE8EyNS0_10empty_typeEbEEZZNS1_14partition_implILS5_8ELb0ES3_jN6thrust23THRUST_200600_302600_NS6detail15normal_iteratorINSA_10device_ptrIyEEEEPS6_PKS6_NS0_5tupleIJNSA_16discard_iteratorINSA_11use_defaultEEES6_EEENSJ_IJSG_SG_EEENS0_18inequality_wrapperINSA_8equal_toIyEEEEPmJS6_EEE10hipError_tPvRmT3_T4_T5_T6_T7_T9_mT8_P12ihipStream_tbDpT10_ENKUlT_T0_E_clISt17integral_constantIbLb1EES1D_EEDaS18_S19_EUlS18_E_NS1_11comp_targetILNS1_3genE10ELNS1_11target_archE1200ELNS1_3gpuE4ELNS1_3repE0EEENS1_30default_config_static_selectorELNS0_4arch9wavefront6targetE1EEEvT1_,"axG",@progbits,_ZN7rocprim17ROCPRIM_400000_NS6detail17trampoline_kernelINS0_14default_configENS1_25partition_config_selectorILNS1_17partition_subalgoE8EyNS0_10empty_typeEbEEZZNS1_14partition_implILS5_8ELb0ES3_jN6thrust23THRUST_200600_302600_NS6detail15normal_iteratorINSA_10device_ptrIyEEEEPS6_PKS6_NS0_5tupleIJNSA_16discard_iteratorINSA_11use_defaultEEES6_EEENSJ_IJSG_SG_EEENS0_18inequality_wrapperINSA_8equal_toIyEEEEPmJS6_EEE10hipError_tPvRmT3_T4_T5_T6_T7_T9_mT8_P12ihipStream_tbDpT10_ENKUlT_T0_E_clISt17integral_constantIbLb1EES1D_EEDaS18_S19_EUlS18_E_NS1_11comp_targetILNS1_3genE10ELNS1_11target_archE1200ELNS1_3gpuE4ELNS1_3repE0EEENS1_30default_config_static_selectorELNS0_4arch9wavefront6targetE1EEEvT1_,comdat
.Lfunc_end546:
	.size	_ZN7rocprim17ROCPRIM_400000_NS6detail17trampoline_kernelINS0_14default_configENS1_25partition_config_selectorILNS1_17partition_subalgoE8EyNS0_10empty_typeEbEEZZNS1_14partition_implILS5_8ELb0ES3_jN6thrust23THRUST_200600_302600_NS6detail15normal_iteratorINSA_10device_ptrIyEEEEPS6_PKS6_NS0_5tupleIJNSA_16discard_iteratorINSA_11use_defaultEEES6_EEENSJ_IJSG_SG_EEENS0_18inequality_wrapperINSA_8equal_toIyEEEEPmJS6_EEE10hipError_tPvRmT3_T4_T5_T6_T7_T9_mT8_P12ihipStream_tbDpT10_ENKUlT_T0_E_clISt17integral_constantIbLb1EES1D_EEDaS18_S19_EUlS18_E_NS1_11comp_targetILNS1_3genE10ELNS1_11target_archE1200ELNS1_3gpuE4ELNS1_3repE0EEENS1_30default_config_static_selectorELNS0_4arch9wavefront6targetE1EEEvT1_, .Lfunc_end546-_ZN7rocprim17ROCPRIM_400000_NS6detail17trampoline_kernelINS0_14default_configENS1_25partition_config_selectorILNS1_17partition_subalgoE8EyNS0_10empty_typeEbEEZZNS1_14partition_implILS5_8ELb0ES3_jN6thrust23THRUST_200600_302600_NS6detail15normal_iteratorINSA_10device_ptrIyEEEEPS6_PKS6_NS0_5tupleIJNSA_16discard_iteratorINSA_11use_defaultEEES6_EEENSJ_IJSG_SG_EEENS0_18inequality_wrapperINSA_8equal_toIyEEEEPmJS6_EEE10hipError_tPvRmT3_T4_T5_T6_T7_T9_mT8_P12ihipStream_tbDpT10_ENKUlT_T0_E_clISt17integral_constantIbLb1EES1D_EEDaS18_S19_EUlS18_E_NS1_11comp_targetILNS1_3genE10ELNS1_11target_archE1200ELNS1_3gpuE4ELNS1_3repE0EEENS1_30default_config_static_selectorELNS0_4arch9wavefront6targetE1EEEvT1_
                                        ; -- End function
	.set _ZN7rocprim17ROCPRIM_400000_NS6detail17trampoline_kernelINS0_14default_configENS1_25partition_config_selectorILNS1_17partition_subalgoE8EyNS0_10empty_typeEbEEZZNS1_14partition_implILS5_8ELb0ES3_jN6thrust23THRUST_200600_302600_NS6detail15normal_iteratorINSA_10device_ptrIyEEEEPS6_PKS6_NS0_5tupleIJNSA_16discard_iteratorINSA_11use_defaultEEES6_EEENSJ_IJSG_SG_EEENS0_18inequality_wrapperINSA_8equal_toIyEEEEPmJS6_EEE10hipError_tPvRmT3_T4_T5_T6_T7_T9_mT8_P12ihipStream_tbDpT10_ENKUlT_T0_E_clISt17integral_constantIbLb1EES1D_EEDaS18_S19_EUlS18_E_NS1_11comp_targetILNS1_3genE10ELNS1_11target_archE1200ELNS1_3gpuE4ELNS1_3repE0EEENS1_30default_config_static_selectorELNS0_4arch9wavefront6targetE1EEEvT1_.num_vgpr, 0
	.set _ZN7rocprim17ROCPRIM_400000_NS6detail17trampoline_kernelINS0_14default_configENS1_25partition_config_selectorILNS1_17partition_subalgoE8EyNS0_10empty_typeEbEEZZNS1_14partition_implILS5_8ELb0ES3_jN6thrust23THRUST_200600_302600_NS6detail15normal_iteratorINSA_10device_ptrIyEEEEPS6_PKS6_NS0_5tupleIJNSA_16discard_iteratorINSA_11use_defaultEEES6_EEENSJ_IJSG_SG_EEENS0_18inequality_wrapperINSA_8equal_toIyEEEEPmJS6_EEE10hipError_tPvRmT3_T4_T5_T6_T7_T9_mT8_P12ihipStream_tbDpT10_ENKUlT_T0_E_clISt17integral_constantIbLb1EES1D_EEDaS18_S19_EUlS18_E_NS1_11comp_targetILNS1_3genE10ELNS1_11target_archE1200ELNS1_3gpuE4ELNS1_3repE0EEENS1_30default_config_static_selectorELNS0_4arch9wavefront6targetE1EEEvT1_.num_agpr, 0
	.set _ZN7rocprim17ROCPRIM_400000_NS6detail17trampoline_kernelINS0_14default_configENS1_25partition_config_selectorILNS1_17partition_subalgoE8EyNS0_10empty_typeEbEEZZNS1_14partition_implILS5_8ELb0ES3_jN6thrust23THRUST_200600_302600_NS6detail15normal_iteratorINSA_10device_ptrIyEEEEPS6_PKS6_NS0_5tupleIJNSA_16discard_iteratorINSA_11use_defaultEEES6_EEENSJ_IJSG_SG_EEENS0_18inequality_wrapperINSA_8equal_toIyEEEEPmJS6_EEE10hipError_tPvRmT3_T4_T5_T6_T7_T9_mT8_P12ihipStream_tbDpT10_ENKUlT_T0_E_clISt17integral_constantIbLb1EES1D_EEDaS18_S19_EUlS18_E_NS1_11comp_targetILNS1_3genE10ELNS1_11target_archE1200ELNS1_3gpuE4ELNS1_3repE0EEENS1_30default_config_static_selectorELNS0_4arch9wavefront6targetE1EEEvT1_.numbered_sgpr, 0
	.set _ZN7rocprim17ROCPRIM_400000_NS6detail17trampoline_kernelINS0_14default_configENS1_25partition_config_selectorILNS1_17partition_subalgoE8EyNS0_10empty_typeEbEEZZNS1_14partition_implILS5_8ELb0ES3_jN6thrust23THRUST_200600_302600_NS6detail15normal_iteratorINSA_10device_ptrIyEEEEPS6_PKS6_NS0_5tupleIJNSA_16discard_iteratorINSA_11use_defaultEEES6_EEENSJ_IJSG_SG_EEENS0_18inequality_wrapperINSA_8equal_toIyEEEEPmJS6_EEE10hipError_tPvRmT3_T4_T5_T6_T7_T9_mT8_P12ihipStream_tbDpT10_ENKUlT_T0_E_clISt17integral_constantIbLb1EES1D_EEDaS18_S19_EUlS18_E_NS1_11comp_targetILNS1_3genE10ELNS1_11target_archE1200ELNS1_3gpuE4ELNS1_3repE0EEENS1_30default_config_static_selectorELNS0_4arch9wavefront6targetE1EEEvT1_.num_named_barrier, 0
	.set _ZN7rocprim17ROCPRIM_400000_NS6detail17trampoline_kernelINS0_14default_configENS1_25partition_config_selectorILNS1_17partition_subalgoE8EyNS0_10empty_typeEbEEZZNS1_14partition_implILS5_8ELb0ES3_jN6thrust23THRUST_200600_302600_NS6detail15normal_iteratorINSA_10device_ptrIyEEEEPS6_PKS6_NS0_5tupleIJNSA_16discard_iteratorINSA_11use_defaultEEES6_EEENSJ_IJSG_SG_EEENS0_18inequality_wrapperINSA_8equal_toIyEEEEPmJS6_EEE10hipError_tPvRmT3_T4_T5_T6_T7_T9_mT8_P12ihipStream_tbDpT10_ENKUlT_T0_E_clISt17integral_constantIbLb1EES1D_EEDaS18_S19_EUlS18_E_NS1_11comp_targetILNS1_3genE10ELNS1_11target_archE1200ELNS1_3gpuE4ELNS1_3repE0EEENS1_30default_config_static_selectorELNS0_4arch9wavefront6targetE1EEEvT1_.private_seg_size, 0
	.set _ZN7rocprim17ROCPRIM_400000_NS6detail17trampoline_kernelINS0_14default_configENS1_25partition_config_selectorILNS1_17partition_subalgoE8EyNS0_10empty_typeEbEEZZNS1_14partition_implILS5_8ELb0ES3_jN6thrust23THRUST_200600_302600_NS6detail15normal_iteratorINSA_10device_ptrIyEEEEPS6_PKS6_NS0_5tupleIJNSA_16discard_iteratorINSA_11use_defaultEEES6_EEENSJ_IJSG_SG_EEENS0_18inequality_wrapperINSA_8equal_toIyEEEEPmJS6_EEE10hipError_tPvRmT3_T4_T5_T6_T7_T9_mT8_P12ihipStream_tbDpT10_ENKUlT_T0_E_clISt17integral_constantIbLb1EES1D_EEDaS18_S19_EUlS18_E_NS1_11comp_targetILNS1_3genE10ELNS1_11target_archE1200ELNS1_3gpuE4ELNS1_3repE0EEENS1_30default_config_static_selectorELNS0_4arch9wavefront6targetE1EEEvT1_.uses_vcc, 0
	.set _ZN7rocprim17ROCPRIM_400000_NS6detail17trampoline_kernelINS0_14default_configENS1_25partition_config_selectorILNS1_17partition_subalgoE8EyNS0_10empty_typeEbEEZZNS1_14partition_implILS5_8ELb0ES3_jN6thrust23THRUST_200600_302600_NS6detail15normal_iteratorINSA_10device_ptrIyEEEEPS6_PKS6_NS0_5tupleIJNSA_16discard_iteratorINSA_11use_defaultEEES6_EEENSJ_IJSG_SG_EEENS0_18inequality_wrapperINSA_8equal_toIyEEEEPmJS6_EEE10hipError_tPvRmT3_T4_T5_T6_T7_T9_mT8_P12ihipStream_tbDpT10_ENKUlT_T0_E_clISt17integral_constantIbLb1EES1D_EEDaS18_S19_EUlS18_E_NS1_11comp_targetILNS1_3genE10ELNS1_11target_archE1200ELNS1_3gpuE4ELNS1_3repE0EEENS1_30default_config_static_selectorELNS0_4arch9wavefront6targetE1EEEvT1_.uses_flat_scratch, 0
	.set _ZN7rocprim17ROCPRIM_400000_NS6detail17trampoline_kernelINS0_14default_configENS1_25partition_config_selectorILNS1_17partition_subalgoE8EyNS0_10empty_typeEbEEZZNS1_14partition_implILS5_8ELb0ES3_jN6thrust23THRUST_200600_302600_NS6detail15normal_iteratorINSA_10device_ptrIyEEEEPS6_PKS6_NS0_5tupleIJNSA_16discard_iteratorINSA_11use_defaultEEES6_EEENSJ_IJSG_SG_EEENS0_18inequality_wrapperINSA_8equal_toIyEEEEPmJS6_EEE10hipError_tPvRmT3_T4_T5_T6_T7_T9_mT8_P12ihipStream_tbDpT10_ENKUlT_T0_E_clISt17integral_constantIbLb1EES1D_EEDaS18_S19_EUlS18_E_NS1_11comp_targetILNS1_3genE10ELNS1_11target_archE1200ELNS1_3gpuE4ELNS1_3repE0EEENS1_30default_config_static_selectorELNS0_4arch9wavefront6targetE1EEEvT1_.has_dyn_sized_stack, 0
	.set _ZN7rocprim17ROCPRIM_400000_NS6detail17trampoline_kernelINS0_14default_configENS1_25partition_config_selectorILNS1_17partition_subalgoE8EyNS0_10empty_typeEbEEZZNS1_14partition_implILS5_8ELb0ES3_jN6thrust23THRUST_200600_302600_NS6detail15normal_iteratorINSA_10device_ptrIyEEEEPS6_PKS6_NS0_5tupleIJNSA_16discard_iteratorINSA_11use_defaultEEES6_EEENSJ_IJSG_SG_EEENS0_18inequality_wrapperINSA_8equal_toIyEEEEPmJS6_EEE10hipError_tPvRmT3_T4_T5_T6_T7_T9_mT8_P12ihipStream_tbDpT10_ENKUlT_T0_E_clISt17integral_constantIbLb1EES1D_EEDaS18_S19_EUlS18_E_NS1_11comp_targetILNS1_3genE10ELNS1_11target_archE1200ELNS1_3gpuE4ELNS1_3repE0EEENS1_30default_config_static_selectorELNS0_4arch9wavefront6targetE1EEEvT1_.has_recursion, 0
	.set _ZN7rocprim17ROCPRIM_400000_NS6detail17trampoline_kernelINS0_14default_configENS1_25partition_config_selectorILNS1_17partition_subalgoE8EyNS0_10empty_typeEbEEZZNS1_14partition_implILS5_8ELb0ES3_jN6thrust23THRUST_200600_302600_NS6detail15normal_iteratorINSA_10device_ptrIyEEEEPS6_PKS6_NS0_5tupleIJNSA_16discard_iteratorINSA_11use_defaultEEES6_EEENSJ_IJSG_SG_EEENS0_18inequality_wrapperINSA_8equal_toIyEEEEPmJS6_EEE10hipError_tPvRmT3_T4_T5_T6_T7_T9_mT8_P12ihipStream_tbDpT10_ENKUlT_T0_E_clISt17integral_constantIbLb1EES1D_EEDaS18_S19_EUlS18_E_NS1_11comp_targetILNS1_3genE10ELNS1_11target_archE1200ELNS1_3gpuE4ELNS1_3repE0EEENS1_30default_config_static_selectorELNS0_4arch9wavefront6targetE1EEEvT1_.has_indirect_call, 0
	.section	.AMDGPU.csdata,"",@progbits
; Kernel info:
; codeLenInByte = 0
; TotalNumSgprs: 4
; NumVgprs: 0
; ScratchSize: 0
; MemoryBound: 0
; FloatMode: 240
; IeeeMode: 1
; LDSByteSize: 0 bytes/workgroup (compile time only)
; SGPRBlocks: 0
; VGPRBlocks: 0
; NumSGPRsForWavesPerEU: 4
; NumVGPRsForWavesPerEU: 1
; Occupancy: 10
; WaveLimiterHint : 0
; COMPUTE_PGM_RSRC2:SCRATCH_EN: 0
; COMPUTE_PGM_RSRC2:USER_SGPR: 6
; COMPUTE_PGM_RSRC2:TRAP_HANDLER: 0
; COMPUTE_PGM_RSRC2:TGID_X_EN: 1
; COMPUTE_PGM_RSRC2:TGID_Y_EN: 0
; COMPUTE_PGM_RSRC2:TGID_Z_EN: 0
; COMPUTE_PGM_RSRC2:TIDIG_COMP_CNT: 0
	.section	.text._ZN7rocprim17ROCPRIM_400000_NS6detail17trampoline_kernelINS0_14default_configENS1_25partition_config_selectorILNS1_17partition_subalgoE8EyNS0_10empty_typeEbEEZZNS1_14partition_implILS5_8ELb0ES3_jN6thrust23THRUST_200600_302600_NS6detail15normal_iteratorINSA_10device_ptrIyEEEEPS6_PKS6_NS0_5tupleIJNSA_16discard_iteratorINSA_11use_defaultEEES6_EEENSJ_IJSG_SG_EEENS0_18inequality_wrapperINSA_8equal_toIyEEEEPmJS6_EEE10hipError_tPvRmT3_T4_T5_T6_T7_T9_mT8_P12ihipStream_tbDpT10_ENKUlT_T0_E_clISt17integral_constantIbLb1EES1D_EEDaS18_S19_EUlS18_E_NS1_11comp_targetILNS1_3genE9ELNS1_11target_archE1100ELNS1_3gpuE3ELNS1_3repE0EEENS1_30default_config_static_selectorELNS0_4arch9wavefront6targetE1EEEvT1_,"axG",@progbits,_ZN7rocprim17ROCPRIM_400000_NS6detail17trampoline_kernelINS0_14default_configENS1_25partition_config_selectorILNS1_17partition_subalgoE8EyNS0_10empty_typeEbEEZZNS1_14partition_implILS5_8ELb0ES3_jN6thrust23THRUST_200600_302600_NS6detail15normal_iteratorINSA_10device_ptrIyEEEEPS6_PKS6_NS0_5tupleIJNSA_16discard_iteratorINSA_11use_defaultEEES6_EEENSJ_IJSG_SG_EEENS0_18inequality_wrapperINSA_8equal_toIyEEEEPmJS6_EEE10hipError_tPvRmT3_T4_T5_T6_T7_T9_mT8_P12ihipStream_tbDpT10_ENKUlT_T0_E_clISt17integral_constantIbLb1EES1D_EEDaS18_S19_EUlS18_E_NS1_11comp_targetILNS1_3genE9ELNS1_11target_archE1100ELNS1_3gpuE3ELNS1_3repE0EEENS1_30default_config_static_selectorELNS0_4arch9wavefront6targetE1EEEvT1_,comdat
	.protected	_ZN7rocprim17ROCPRIM_400000_NS6detail17trampoline_kernelINS0_14default_configENS1_25partition_config_selectorILNS1_17partition_subalgoE8EyNS0_10empty_typeEbEEZZNS1_14partition_implILS5_8ELb0ES3_jN6thrust23THRUST_200600_302600_NS6detail15normal_iteratorINSA_10device_ptrIyEEEEPS6_PKS6_NS0_5tupleIJNSA_16discard_iteratorINSA_11use_defaultEEES6_EEENSJ_IJSG_SG_EEENS0_18inequality_wrapperINSA_8equal_toIyEEEEPmJS6_EEE10hipError_tPvRmT3_T4_T5_T6_T7_T9_mT8_P12ihipStream_tbDpT10_ENKUlT_T0_E_clISt17integral_constantIbLb1EES1D_EEDaS18_S19_EUlS18_E_NS1_11comp_targetILNS1_3genE9ELNS1_11target_archE1100ELNS1_3gpuE3ELNS1_3repE0EEENS1_30default_config_static_selectorELNS0_4arch9wavefront6targetE1EEEvT1_ ; -- Begin function _ZN7rocprim17ROCPRIM_400000_NS6detail17trampoline_kernelINS0_14default_configENS1_25partition_config_selectorILNS1_17partition_subalgoE8EyNS0_10empty_typeEbEEZZNS1_14partition_implILS5_8ELb0ES3_jN6thrust23THRUST_200600_302600_NS6detail15normal_iteratorINSA_10device_ptrIyEEEEPS6_PKS6_NS0_5tupleIJNSA_16discard_iteratorINSA_11use_defaultEEES6_EEENSJ_IJSG_SG_EEENS0_18inequality_wrapperINSA_8equal_toIyEEEEPmJS6_EEE10hipError_tPvRmT3_T4_T5_T6_T7_T9_mT8_P12ihipStream_tbDpT10_ENKUlT_T0_E_clISt17integral_constantIbLb1EES1D_EEDaS18_S19_EUlS18_E_NS1_11comp_targetILNS1_3genE9ELNS1_11target_archE1100ELNS1_3gpuE3ELNS1_3repE0EEENS1_30default_config_static_selectorELNS0_4arch9wavefront6targetE1EEEvT1_
	.globl	_ZN7rocprim17ROCPRIM_400000_NS6detail17trampoline_kernelINS0_14default_configENS1_25partition_config_selectorILNS1_17partition_subalgoE8EyNS0_10empty_typeEbEEZZNS1_14partition_implILS5_8ELb0ES3_jN6thrust23THRUST_200600_302600_NS6detail15normal_iteratorINSA_10device_ptrIyEEEEPS6_PKS6_NS0_5tupleIJNSA_16discard_iteratorINSA_11use_defaultEEES6_EEENSJ_IJSG_SG_EEENS0_18inequality_wrapperINSA_8equal_toIyEEEEPmJS6_EEE10hipError_tPvRmT3_T4_T5_T6_T7_T9_mT8_P12ihipStream_tbDpT10_ENKUlT_T0_E_clISt17integral_constantIbLb1EES1D_EEDaS18_S19_EUlS18_E_NS1_11comp_targetILNS1_3genE9ELNS1_11target_archE1100ELNS1_3gpuE3ELNS1_3repE0EEENS1_30default_config_static_selectorELNS0_4arch9wavefront6targetE1EEEvT1_
	.p2align	8
	.type	_ZN7rocprim17ROCPRIM_400000_NS6detail17trampoline_kernelINS0_14default_configENS1_25partition_config_selectorILNS1_17partition_subalgoE8EyNS0_10empty_typeEbEEZZNS1_14partition_implILS5_8ELb0ES3_jN6thrust23THRUST_200600_302600_NS6detail15normal_iteratorINSA_10device_ptrIyEEEEPS6_PKS6_NS0_5tupleIJNSA_16discard_iteratorINSA_11use_defaultEEES6_EEENSJ_IJSG_SG_EEENS0_18inequality_wrapperINSA_8equal_toIyEEEEPmJS6_EEE10hipError_tPvRmT3_T4_T5_T6_T7_T9_mT8_P12ihipStream_tbDpT10_ENKUlT_T0_E_clISt17integral_constantIbLb1EES1D_EEDaS18_S19_EUlS18_E_NS1_11comp_targetILNS1_3genE9ELNS1_11target_archE1100ELNS1_3gpuE3ELNS1_3repE0EEENS1_30default_config_static_selectorELNS0_4arch9wavefront6targetE1EEEvT1_,@function
_ZN7rocprim17ROCPRIM_400000_NS6detail17trampoline_kernelINS0_14default_configENS1_25partition_config_selectorILNS1_17partition_subalgoE8EyNS0_10empty_typeEbEEZZNS1_14partition_implILS5_8ELb0ES3_jN6thrust23THRUST_200600_302600_NS6detail15normal_iteratorINSA_10device_ptrIyEEEEPS6_PKS6_NS0_5tupleIJNSA_16discard_iteratorINSA_11use_defaultEEES6_EEENSJ_IJSG_SG_EEENS0_18inequality_wrapperINSA_8equal_toIyEEEEPmJS6_EEE10hipError_tPvRmT3_T4_T5_T6_T7_T9_mT8_P12ihipStream_tbDpT10_ENKUlT_T0_E_clISt17integral_constantIbLb1EES1D_EEDaS18_S19_EUlS18_E_NS1_11comp_targetILNS1_3genE9ELNS1_11target_archE1100ELNS1_3gpuE3ELNS1_3repE0EEENS1_30default_config_static_selectorELNS0_4arch9wavefront6targetE1EEEvT1_: ; @_ZN7rocprim17ROCPRIM_400000_NS6detail17trampoline_kernelINS0_14default_configENS1_25partition_config_selectorILNS1_17partition_subalgoE8EyNS0_10empty_typeEbEEZZNS1_14partition_implILS5_8ELb0ES3_jN6thrust23THRUST_200600_302600_NS6detail15normal_iteratorINSA_10device_ptrIyEEEEPS6_PKS6_NS0_5tupleIJNSA_16discard_iteratorINSA_11use_defaultEEES6_EEENSJ_IJSG_SG_EEENS0_18inequality_wrapperINSA_8equal_toIyEEEEPmJS6_EEE10hipError_tPvRmT3_T4_T5_T6_T7_T9_mT8_P12ihipStream_tbDpT10_ENKUlT_T0_E_clISt17integral_constantIbLb1EES1D_EEDaS18_S19_EUlS18_E_NS1_11comp_targetILNS1_3genE9ELNS1_11target_archE1100ELNS1_3gpuE3ELNS1_3repE0EEENS1_30default_config_static_selectorELNS0_4arch9wavefront6targetE1EEEvT1_
; %bb.0:
	.section	.rodata,"a",@progbits
	.p2align	6, 0x0
	.amdhsa_kernel _ZN7rocprim17ROCPRIM_400000_NS6detail17trampoline_kernelINS0_14default_configENS1_25partition_config_selectorILNS1_17partition_subalgoE8EyNS0_10empty_typeEbEEZZNS1_14partition_implILS5_8ELb0ES3_jN6thrust23THRUST_200600_302600_NS6detail15normal_iteratorINSA_10device_ptrIyEEEEPS6_PKS6_NS0_5tupleIJNSA_16discard_iteratorINSA_11use_defaultEEES6_EEENSJ_IJSG_SG_EEENS0_18inequality_wrapperINSA_8equal_toIyEEEEPmJS6_EEE10hipError_tPvRmT3_T4_T5_T6_T7_T9_mT8_P12ihipStream_tbDpT10_ENKUlT_T0_E_clISt17integral_constantIbLb1EES1D_EEDaS18_S19_EUlS18_E_NS1_11comp_targetILNS1_3genE9ELNS1_11target_archE1100ELNS1_3gpuE3ELNS1_3repE0EEENS1_30default_config_static_selectorELNS0_4arch9wavefront6targetE1EEEvT1_
		.amdhsa_group_segment_fixed_size 0
		.amdhsa_private_segment_fixed_size 0
		.amdhsa_kernarg_size 136
		.amdhsa_user_sgpr_count 6
		.amdhsa_user_sgpr_private_segment_buffer 1
		.amdhsa_user_sgpr_dispatch_ptr 0
		.amdhsa_user_sgpr_queue_ptr 0
		.amdhsa_user_sgpr_kernarg_segment_ptr 1
		.amdhsa_user_sgpr_dispatch_id 0
		.amdhsa_user_sgpr_flat_scratch_init 0
		.amdhsa_user_sgpr_private_segment_size 0
		.amdhsa_uses_dynamic_stack 0
		.amdhsa_system_sgpr_private_segment_wavefront_offset 0
		.amdhsa_system_sgpr_workgroup_id_x 1
		.amdhsa_system_sgpr_workgroup_id_y 0
		.amdhsa_system_sgpr_workgroup_id_z 0
		.amdhsa_system_sgpr_workgroup_info 0
		.amdhsa_system_vgpr_workitem_id 0
		.amdhsa_next_free_vgpr 1
		.amdhsa_next_free_sgpr 0
		.amdhsa_reserve_vcc 0
		.amdhsa_reserve_flat_scratch 0
		.amdhsa_float_round_mode_32 0
		.amdhsa_float_round_mode_16_64 0
		.amdhsa_float_denorm_mode_32 3
		.amdhsa_float_denorm_mode_16_64 3
		.amdhsa_dx10_clamp 1
		.amdhsa_ieee_mode 1
		.amdhsa_fp16_overflow 0
		.amdhsa_exception_fp_ieee_invalid_op 0
		.amdhsa_exception_fp_denorm_src 0
		.amdhsa_exception_fp_ieee_div_zero 0
		.amdhsa_exception_fp_ieee_overflow 0
		.amdhsa_exception_fp_ieee_underflow 0
		.amdhsa_exception_fp_ieee_inexact 0
		.amdhsa_exception_int_div_zero 0
	.end_amdhsa_kernel
	.section	.text._ZN7rocprim17ROCPRIM_400000_NS6detail17trampoline_kernelINS0_14default_configENS1_25partition_config_selectorILNS1_17partition_subalgoE8EyNS0_10empty_typeEbEEZZNS1_14partition_implILS5_8ELb0ES3_jN6thrust23THRUST_200600_302600_NS6detail15normal_iteratorINSA_10device_ptrIyEEEEPS6_PKS6_NS0_5tupleIJNSA_16discard_iteratorINSA_11use_defaultEEES6_EEENSJ_IJSG_SG_EEENS0_18inequality_wrapperINSA_8equal_toIyEEEEPmJS6_EEE10hipError_tPvRmT3_T4_T5_T6_T7_T9_mT8_P12ihipStream_tbDpT10_ENKUlT_T0_E_clISt17integral_constantIbLb1EES1D_EEDaS18_S19_EUlS18_E_NS1_11comp_targetILNS1_3genE9ELNS1_11target_archE1100ELNS1_3gpuE3ELNS1_3repE0EEENS1_30default_config_static_selectorELNS0_4arch9wavefront6targetE1EEEvT1_,"axG",@progbits,_ZN7rocprim17ROCPRIM_400000_NS6detail17trampoline_kernelINS0_14default_configENS1_25partition_config_selectorILNS1_17partition_subalgoE8EyNS0_10empty_typeEbEEZZNS1_14partition_implILS5_8ELb0ES3_jN6thrust23THRUST_200600_302600_NS6detail15normal_iteratorINSA_10device_ptrIyEEEEPS6_PKS6_NS0_5tupleIJNSA_16discard_iteratorINSA_11use_defaultEEES6_EEENSJ_IJSG_SG_EEENS0_18inequality_wrapperINSA_8equal_toIyEEEEPmJS6_EEE10hipError_tPvRmT3_T4_T5_T6_T7_T9_mT8_P12ihipStream_tbDpT10_ENKUlT_T0_E_clISt17integral_constantIbLb1EES1D_EEDaS18_S19_EUlS18_E_NS1_11comp_targetILNS1_3genE9ELNS1_11target_archE1100ELNS1_3gpuE3ELNS1_3repE0EEENS1_30default_config_static_selectorELNS0_4arch9wavefront6targetE1EEEvT1_,comdat
.Lfunc_end547:
	.size	_ZN7rocprim17ROCPRIM_400000_NS6detail17trampoline_kernelINS0_14default_configENS1_25partition_config_selectorILNS1_17partition_subalgoE8EyNS0_10empty_typeEbEEZZNS1_14partition_implILS5_8ELb0ES3_jN6thrust23THRUST_200600_302600_NS6detail15normal_iteratorINSA_10device_ptrIyEEEEPS6_PKS6_NS0_5tupleIJNSA_16discard_iteratorINSA_11use_defaultEEES6_EEENSJ_IJSG_SG_EEENS0_18inequality_wrapperINSA_8equal_toIyEEEEPmJS6_EEE10hipError_tPvRmT3_T4_T5_T6_T7_T9_mT8_P12ihipStream_tbDpT10_ENKUlT_T0_E_clISt17integral_constantIbLb1EES1D_EEDaS18_S19_EUlS18_E_NS1_11comp_targetILNS1_3genE9ELNS1_11target_archE1100ELNS1_3gpuE3ELNS1_3repE0EEENS1_30default_config_static_selectorELNS0_4arch9wavefront6targetE1EEEvT1_, .Lfunc_end547-_ZN7rocprim17ROCPRIM_400000_NS6detail17trampoline_kernelINS0_14default_configENS1_25partition_config_selectorILNS1_17partition_subalgoE8EyNS0_10empty_typeEbEEZZNS1_14partition_implILS5_8ELb0ES3_jN6thrust23THRUST_200600_302600_NS6detail15normal_iteratorINSA_10device_ptrIyEEEEPS6_PKS6_NS0_5tupleIJNSA_16discard_iteratorINSA_11use_defaultEEES6_EEENSJ_IJSG_SG_EEENS0_18inequality_wrapperINSA_8equal_toIyEEEEPmJS6_EEE10hipError_tPvRmT3_T4_T5_T6_T7_T9_mT8_P12ihipStream_tbDpT10_ENKUlT_T0_E_clISt17integral_constantIbLb1EES1D_EEDaS18_S19_EUlS18_E_NS1_11comp_targetILNS1_3genE9ELNS1_11target_archE1100ELNS1_3gpuE3ELNS1_3repE0EEENS1_30default_config_static_selectorELNS0_4arch9wavefront6targetE1EEEvT1_
                                        ; -- End function
	.set _ZN7rocprim17ROCPRIM_400000_NS6detail17trampoline_kernelINS0_14default_configENS1_25partition_config_selectorILNS1_17partition_subalgoE8EyNS0_10empty_typeEbEEZZNS1_14partition_implILS5_8ELb0ES3_jN6thrust23THRUST_200600_302600_NS6detail15normal_iteratorINSA_10device_ptrIyEEEEPS6_PKS6_NS0_5tupleIJNSA_16discard_iteratorINSA_11use_defaultEEES6_EEENSJ_IJSG_SG_EEENS0_18inequality_wrapperINSA_8equal_toIyEEEEPmJS6_EEE10hipError_tPvRmT3_T4_T5_T6_T7_T9_mT8_P12ihipStream_tbDpT10_ENKUlT_T0_E_clISt17integral_constantIbLb1EES1D_EEDaS18_S19_EUlS18_E_NS1_11comp_targetILNS1_3genE9ELNS1_11target_archE1100ELNS1_3gpuE3ELNS1_3repE0EEENS1_30default_config_static_selectorELNS0_4arch9wavefront6targetE1EEEvT1_.num_vgpr, 0
	.set _ZN7rocprim17ROCPRIM_400000_NS6detail17trampoline_kernelINS0_14default_configENS1_25partition_config_selectorILNS1_17partition_subalgoE8EyNS0_10empty_typeEbEEZZNS1_14partition_implILS5_8ELb0ES3_jN6thrust23THRUST_200600_302600_NS6detail15normal_iteratorINSA_10device_ptrIyEEEEPS6_PKS6_NS0_5tupleIJNSA_16discard_iteratorINSA_11use_defaultEEES6_EEENSJ_IJSG_SG_EEENS0_18inequality_wrapperINSA_8equal_toIyEEEEPmJS6_EEE10hipError_tPvRmT3_T4_T5_T6_T7_T9_mT8_P12ihipStream_tbDpT10_ENKUlT_T0_E_clISt17integral_constantIbLb1EES1D_EEDaS18_S19_EUlS18_E_NS1_11comp_targetILNS1_3genE9ELNS1_11target_archE1100ELNS1_3gpuE3ELNS1_3repE0EEENS1_30default_config_static_selectorELNS0_4arch9wavefront6targetE1EEEvT1_.num_agpr, 0
	.set _ZN7rocprim17ROCPRIM_400000_NS6detail17trampoline_kernelINS0_14default_configENS1_25partition_config_selectorILNS1_17partition_subalgoE8EyNS0_10empty_typeEbEEZZNS1_14partition_implILS5_8ELb0ES3_jN6thrust23THRUST_200600_302600_NS6detail15normal_iteratorINSA_10device_ptrIyEEEEPS6_PKS6_NS0_5tupleIJNSA_16discard_iteratorINSA_11use_defaultEEES6_EEENSJ_IJSG_SG_EEENS0_18inequality_wrapperINSA_8equal_toIyEEEEPmJS6_EEE10hipError_tPvRmT3_T4_T5_T6_T7_T9_mT8_P12ihipStream_tbDpT10_ENKUlT_T0_E_clISt17integral_constantIbLb1EES1D_EEDaS18_S19_EUlS18_E_NS1_11comp_targetILNS1_3genE9ELNS1_11target_archE1100ELNS1_3gpuE3ELNS1_3repE0EEENS1_30default_config_static_selectorELNS0_4arch9wavefront6targetE1EEEvT1_.numbered_sgpr, 0
	.set _ZN7rocprim17ROCPRIM_400000_NS6detail17trampoline_kernelINS0_14default_configENS1_25partition_config_selectorILNS1_17partition_subalgoE8EyNS0_10empty_typeEbEEZZNS1_14partition_implILS5_8ELb0ES3_jN6thrust23THRUST_200600_302600_NS6detail15normal_iteratorINSA_10device_ptrIyEEEEPS6_PKS6_NS0_5tupleIJNSA_16discard_iteratorINSA_11use_defaultEEES6_EEENSJ_IJSG_SG_EEENS0_18inequality_wrapperINSA_8equal_toIyEEEEPmJS6_EEE10hipError_tPvRmT3_T4_T5_T6_T7_T9_mT8_P12ihipStream_tbDpT10_ENKUlT_T0_E_clISt17integral_constantIbLb1EES1D_EEDaS18_S19_EUlS18_E_NS1_11comp_targetILNS1_3genE9ELNS1_11target_archE1100ELNS1_3gpuE3ELNS1_3repE0EEENS1_30default_config_static_selectorELNS0_4arch9wavefront6targetE1EEEvT1_.num_named_barrier, 0
	.set _ZN7rocprim17ROCPRIM_400000_NS6detail17trampoline_kernelINS0_14default_configENS1_25partition_config_selectorILNS1_17partition_subalgoE8EyNS0_10empty_typeEbEEZZNS1_14partition_implILS5_8ELb0ES3_jN6thrust23THRUST_200600_302600_NS6detail15normal_iteratorINSA_10device_ptrIyEEEEPS6_PKS6_NS0_5tupleIJNSA_16discard_iteratorINSA_11use_defaultEEES6_EEENSJ_IJSG_SG_EEENS0_18inequality_wrapperINSA_8equal_toIyEEEEPmJS6_EEE10hipError_tPvRmT3_T4_T5_T6_T7_T9_mT8_P12ihipStream_tbDpT10_ENKUlT_T0_E_clISt17integral_constantIbLb1EES1D_EEDaS18_S19_EUlS18_E_NS1_11comp_targetILNS1_3genE9ELNS1_11target_archE1100ELNS1_3gpuE3ELNS1_3repE0EEENS1_30default_config_static_selectorELNS0_4arch9wavefront6targetE1EEEvT1_.private_seg_size, 0
	.set _ZN7rocprim17ROCPRIM_400000_NS6detail17trampoline_kernelINS0_14default_configENS1_25partition_config_selectorILNS1_17partition_subalgoE8EyNS0_10empty_typeEbEEZZNS1_14partition_implILS5_8ELb0ES3_jN6thrust23THRUST_200600_302600_NS6detail15normal_iteratorINSA_10device_ptrIyEEEEPS6_PKS6_NS0_5tupleIJNSA_16discard_iteratorINSA_11use_defaultEEES6_EEENSJ_IJSG_SG_EEENS0_18inequality_wrapperINSA_8equal_toIyEEEEPmJS6_EEE10hipError_tPvRmT3_T4_T5_T6_T7_T9_mT8_P12ihipStream_tbDpT10_ENKUlT_T0_E_clISt17integral_constantIbLb1EES1D_EEDaS18_S19_EUlS18_E_NS1_11comp_targetILNS1_3genE9ELNS1_11target_archE1100ELNS1_3gpuE3ELNS1_3repE0EEENS1_30default_config_static_selectorELNS0_4arch9wavefront6targetE1EEEvT1_.uses_vcc, 0
	.set _ZN7rocprim17ROCPRIM_400000_NS6detail17trampoline_kernelINS0_14default_configENS1_25partition_config_selectorILNS1_17partition_subalgoE8EyNS0_10empty_typeEbEEZZNS1_14partition_implILS5_8ELb0ES3_jN6thrust23THRUST_200600_302600_NS6detail15normal_iteratorINSA_10device_ptrIyEEEEPS6_PKS6_NS0_5tupleIJNSA_16discard_iteratorINSA_11use_defaultEEES6_EEENSJ_IJSG_SG_EEENS0_18inequality_wrapperINSA_8equal_toIyEEEEPmJS6_EEE10hipError_tPvRmT3_T4_T5_T6_T7_T9_mT8_P12ihipStream_tbDpT10_ENKUlT_T0_E_clISt17integral_constantIbLb1EES1D_EEDaS18_S19_EUlS18_E_NS1_11comp_targetILNS1_3genE9ELNS1_11target_archE1100ELNS1_3gpuE3ELNS1_3repE0EEENS1_30default_config_static_selectorELNS0_4arch9wavefront6targetE1EEEvT1_.uses_flat_scratch, 0
	.set _ZN7rocprim17ROCPRIM_400000_NS6detail17trampoline_kernelINS0_14default_configENS1_25partition_config_selectorILNS1_17partition_subalgoE8EyNS0_10empty_typeEbEEZZNS1_14partition_implILS5_8ELb0ES3_jN6thrust23THRUST_200600_302600_NS6detail15normal_iteratorINSA_10device_ptrIyEEEEPS6_PKS6_NS0_5tupleIJNSA_16discard_iteratorINSA_11use_defaultEEES6_EEENSJ_IJSG_SG_EEENS0_18inequality_wrapperINSA_8equal_toIyEEEEPmJS6_EEE10hipError_tPvRmT3_T4_T5_T6_T7_T9_mT8_P12ihipStream_tbDpT10_ENKUlT_T0_E_clISt17integral_constantIbLb1EES1D_EEDaS18_S19_EUlS18_E_NS1_11comp_targetILNS1_3genE9ELNS1_11target_archE1100ELNS1_3gpuE3ELNS1_3repE0EEENS1_30default_config_static_selectorELNS0_4arch9wavefront6targetE1EEEvT1_.has_dyn_sized_stack, 0
	.set _ZN7rocprim17ROCPRIM_400000_NS6detail17trampoline_kernelINS0_14default_configENS1_25partition_config_selectorILNS1_17partition_subalgoE8EyNS0_10empty_typeEbEEZZNS1_14partition_implILS5_8ELb0ES3_jN6thrust23THRUST_200600_302600_NS6detail15normal_iteratorINSA_10device_ptrIyEEEEPS6_PKS6_NS0_5tupleIJNSA_16discard_iteratorINSA_11use_defaultEEES6_EEENSJ_IJSG_SG_EEENS0_18inequality_wrapperINSA_8equal_toIyEEEEPmJS6_EEE10hipError_tPvRmT3_T4_T5_T6_T7_T9_mT8_P12ihipStream_tbDpT10_ENKUlT_T0_E_clISt17integral_constantIbLb1EES1D_EEDaS18_S19_EUlS18_E_NS1_11comp_targetILNS1_3genE9ELNS1_11target_archE1100ELNS1_3gpuE3ELNS1_3repE0EEENS1_30default_config_static_selectorELNS0_4arch9wavefront6targetE1EEEvT1_.has_recursion, 0
	.set _ZN7rocprim17ROCPRIM_400000_NS6detail17trampoline_kernelINS0_14default_configENS1_25partition_config_selectorILNS1_17partition_subalgoE8EyNS0_10empty_typeEbEEZZNS1_14partition_implILS5_8ELb0ES3_jN6thrust23THRUST_200600_302600_NS6detail15normal_iteratorINSA_10device_ptrIyEEEEPS6_PKS6_NS0_5tupleIJNSA_16discard_iteratorINSA_11use_defaultEEES6_EEENSJ_IJSG_SG_EEENS0_18inequality_wrapperINSA_8equal_toIyEEEEPmJS6_EEE10hipError_tPvRmT3_T4_T5_T6_T7_T9_mT8_P12ihipStream_tbDpT10_ENKUlT_T0_E_clISt17integral_constantIbLb1EES1D_EEDaS18_S19_EUlS18_E_NS1_11comp_targetILNS1_3genE9ELNS1_11target_archE1100ELNS1_3gpuE3ELNS1_3repE0EEENS1_30default_config_static_selectorELNS0_4arch9wavefront6targetE1EEEvT1_.has_indirect_call, 0
	.section	.AMDGPU.csdata,"",@progbits
; Kernel info:
; codeLenInByte = 0
; TotalNumSgprs: 4
; NumVgprs: 0
; ScratchSize: 0
; MemoryBound: 0
; FloatMode: 240
; IeeeMode: 1
; LDSByteSize: 0 bytes/workgroup (compile time only)
; SGPRBlocks: 0
; VGPRBlocks: 0
; NumSGPRsForWavesPerEU: 4
; NumVGPRsForWavesPerEU: 1
; Occupancy: 10
; WaveLimiterHint : 0
; COMPUTE_PGM_RSRC2:SCRATCH_EN: 0
; COMPUTE_PGM_RSRC2:USER_SGPR: 6
; COMPUTE_PGM_RSRC2:TRAP_HANDLER: 0
; COMPUTE_PGM_RSRC2:TGID_X_EN: 1
; COMPUTE_PGM_RSRC2:TGID_Y_EN: 0
; COMPUTE_PGM_RSRC2:TGID_Z_EN: 0
; COMPUTE_PGM_RSRC2:TIDIG_COMP_CNT: 0
	.section	.text._ZN7rocprim17ROCPRIM_400000_NS6detail17trampoline_kernelINS0_14default_configENS1_25partition_config_selectorILNS1_17partition_subalgoE8EyNS0_10empty_typeEbEEZZNS1_14partition_implILS5_8ELb0ES3_jN6thrust23THRUST_200600_302600_NS6detail15normal_iteratorINSA_10device_ptrIyEEEEPS6_PKS6_NS0_5tupleIJNSA_16discard_iteratorINSA_11use_defaultEEES6_EEENSJ_IJSG_SG_EEENS0_18inequality_wrapperINSA_8equal_toIyEEEEPmJS6_EEE10hipError_tPvRmT3_T4_T5_T6_T7_T9_mT8_P12ihipStream_tbDpT10_ENKUlT_T0_E_clISt17integral_constantIbLb1EES1D_EEDaS18_S19_EUlS18_E_NS1_11comp_targetILNS1_3genE8ELNS1_11target_archE1030ELNS1_3gpuE2ELNS1_3repE0EEENS1_30default_config_static_selectorELNS0_4arch9wavefront6targetE1EEEvT1_,"axG",@progbits,_ZN7rocprim17ROCPRIM_400000_NS6detail17trampoline_kernelINS0_14default_configENS1_25partition_config_selectorILNS1_17partition_subalgoE8EyNS0_10empty_typeEbEEZZNS1_14partition_implILS5_8ELb0ES3_jN6thrust23THRUST_200600_302600_NS6detail15normal_iteratorINSA_10device_ptrIyEEEEPS6_PKS6_NS0_5tupleIJNSA_16discard_iteratorINSA_11use_defaultEEES6_EEENSJ_IJSG_SG_EEENS0_18inequality_wrapperINSA_8equal_toIyEEEEPmJS6_EEE10hipError_tPvRmT3_T4_T5_T6_T7_T9_mT8_P12ihipStream_tbDpT10_ENKUlT_T0_E_clISt17integral_constantIbLb1EES1D_EEDaS18_S19_EUlS18_E_NS1_11comp_targetILNS1_3genE8ELNS1_11target_archE1030ELNS1_3gpuE2ELNS1_3repE0EEENS1_30default_config_static_selectorELNS0_4arch9wavefront6targetE1EEEvT1_,comdat
	.protected	_ZN7rocprim17ROCPRIM_400000_NS6detail17trampoline_kernelINS0_14default_configENS1_25partition_config_selectorILNS1_17partition_subalgoE8EyNS0_10empty_typeEbEEZZNS1_14partition_implILS5_8ELb0ES3_jN6thrust23THRUST_200600_302600_NS6detail15normal_iteratorINSA_10device_ptrIyEEEEPS6_PKS6_NS0_5tupleIJNSA_16discard_iteratorINSA_11use_defaultEEES6_EEENSJ_IJSG_SG_EEENS0_18inequality_wrapperINSA_8equal_toIyEEEEPmJS6_EEE10hipError_tPvRmT3_T4_T5_T6_T7_T9_mT8_P12ihipStream_tbDpT10_ENKUlT_T0_E_clISt17integral_constantIbLb1EES1D_EEDaS18_S19_EUlS18_E_NS1_11comp_targetILNS1_3genE8ELNS1_11target_archE1030ELNS1_3gpuE2ELNS1_3repE0EEENS1_30default_config_static_selectorELNS0_4arch9wavefront6targetE1EEEvT1_ ; -- Begin function _ZN7rocprim17ROCPRIM_400000_NS6detail17trampoline_kernelINS0_14default_configENS1_25partition_config_selectorILNS1_17partition_subalgoE8EyNS0_10empty_typeEbEEZZNS1_14partition_implILS5_8ELb0ES3_jN6thrust23THRUST_200600_302600_NS6detail15normal_iteratorINSA_10device_ptrIyEEEEPS6_PKS6_NS0_5tupleIJNSA_16discard_iteratorINSA_11use_defaultEEES6_EEENSJ_IJSG_SG_EEENS0_18inequality_wrapperINSA_8equal_toIyEEEEPmJS6_EEE10hipError_tPvRmT3_T4_T5_T6_T7_T9_mT8_P12ihipStream_tbDpT10_ENKUlT_T0_E_clISt17integral_constantIbLb1EES1D_EEDaS18_S19_EUlS18_E_NS1_11comp_targetILNS1_3genE8ELNS1_11target_archE1030ELNS1_3gpuE2ELNS1_3repE0EEENS1_30default_config_static_selectorELNS0_4arch9wavefront6targetE1EEEvT1_
	.globl	_ZN7rocprim17ROCPRIM_400000_NS6detail17trampoline_kernelINS0_14default_configENS1_25partition_config_selectorILNS1_17partition_subalgoE8EyNS0_10empty_typeEbEEZZNS1_14partition_implILS5_8ELb0ES3_jN6thrust23THRUST_200600_302600_NS6detail15normal_iteratorINSA_10device_ptrIyEEEEPS6_PKS6_NS0_5tupleIJNSA_16discard_iteratorINSA_11use_defaultEEES6_EEENSJ_IJSG_SG_EEENS0_18inequality_wrapperINSA_8equal_toIyEEEEPmJS6_EEE10hipError_tPvRmT3_T4_T5_T6_T7_T9_mT8_P12ihipStream_tbDpT10_ENKUlT_T0_E_clISt17integral_constantIbLb1EES1D_EEDaS18_S19_EUlS18_E_NS1_11comp_targetILNS1_3genE8ELNS1_11target_archE1030ELNS1_3gpuE2ELNS1_3repE0EEENS1_30default_config_static_selectorELNS0_4arch9wavefront6targetE1EEEvT1_
	.p2align	8
	.type	_ZN7rocprim17ROCPRIM_400000_NS6detail17trampoline_kernelINS0_14default_configENS1_25partition_config_selectorILNS1_17partition_subalgoE8EyNS0_10empty_typeEbEEZZNS1_14partition_implILS5_8ELb0ES3_jN6thrust23THRUST_200600_302600_NS6detail15normal_iteratorINSA_10device_ptrIyEEEEPS6_PKS6_NS0_5tupleIJNSA_16discard_iteratorINSA_11use_defaultEEES6_EEENSJ_IJSG_SG_EEENS0_18inequality_wrapperINSA_8equal_toIyEEEEPmJS6_EEE10hipError_tPvRmT3_T4_T5_T6_T7_T9_mT8_P12ihipStream_tbDpT10_ENKUlT_T0_E_clISt17integral_constantIbLb1EES1D_EEDaS18_S19_EUlS18_E_NS1_11comp_targetILNS1_3genE8ELNS1_11target_archE1030ELNS1_3gpuE2ELNS1_3repE0EEENS1_30default_config_static_selectorELNS0_4arch9wavefront6targetE1EEEvT1_,@function
_ZN7rocprim17ROCPRIM_400000_NS6detail17trampoline_kernelINS0_14default_configENS1_25partition_config_selectorILNS1_17partition_subalgoE8EyNS0_10empty_typeEbEEZZNS1_14partition_implILS5_8ELb0ES3_jN6thrust23THRUST_200600_302600_NS6detail15normal_iteratorINSA_10device_ptrIyEEEEPS6_PKS6_NS0_5tupleIJNSA_16discard_iteratorINSA_11use_defaultEEES6_EEENSJ_IJSG_SG_EEENS0_18inequality_wrapperINSA_8equal_toIyEEEEPmJS6_EEE10hipError_tPvRmT3_T4_T5_T6_T7_T9_mT8_P12ihipStream_tbDpT10_ENKUlT_T0_E_clISt17integral_constantIbLb1EES1D_EEDaS18_S19_EUlS18_E_NS1_11comp_targetILNS1_3genE8ELNS1_11target_archE1030ELNS1_3gpuE2ELNS1_3repE0EEENS1_30default_config_static_selectorELNS0_4arch9wavefront6targetE1EEEvT1_: ; @_ZN7rocprim17ROCPRIM_400000_NS6detail17trampoline_kernelINS0_14default_configENS1_25partition_config_selectorILNS1_17partition_subalgoE8EyNS0_10empty_typeEbEEZZNS1_14partition_implILS5_8ELb0ES3_jN6thrust23THRUST_200600_302600_NS6detail15normal_iteratorINSA_10device_ptrIyEEEEPS6_PKS6_NS0_5tupleIJNSA_16discard_iteratorINSA_11use_defaultEEES6_EEENSJ_IJSG_SG_EEENS0_18inequality_wrapperINSA_8equal_toIyEEEEPmJS6_EEE10hipError_tPvRmT3_T4_T5_T6_T7_T9_mT8_P12ihipStream_tbDpT10_ENKUlT_T0_E_clISt17integral_constantIbLb1EES1D_EEDaS18_S19_EUlS18_E_NS1_11comp_targetILNS1_3genE8ELNS1_11target_archE1030ELNS1_3gpuE2ELNS1_3repE0EEENS1_30default_config_static_selectorELNS0_4arch9wavefront6targetE1EEEvT1_
; %bb.0:
	.section	.rodata,"a",@progbits
	.p2align	6, 0x0
	.amdhsa_kernel _ZN7rocprim17ROCPRIM_400000_NS6detail17trampoline_kernelINS0_14default_configENS1_25partition_config_selectorILNS1_17partition_subalgoE8EyNS0_10empty_typeEbEEZZNS1_14partition_implILS5_8ELb0ES3_jN6thrust23THRUST_200600_302600_NS6detail15normal_iteratorINSA_10device_ptrIyEEEEPS6_PKS6_NS0_5tupleIJNSA_16discard_iteratorINSA_11use_defaultEEES6_EEENSJ_IJSG_SG_EEENS0_18inequality_wrapperINSA_8equal_toIyEEEEPmJS6_EEE10hipError_tPvRmT3_T4_T5_T6_T7_T9_mT8_P12ihipStream_tbDpT10_ENKUlT_T0_E_clISt17integral_constantIbLb1EES1D_EEDaS18_S19_EUlS18_E_NS1_11comp_targetILNS1_3genE8ELNS1_11target_archE1030ELNS1_3gpuE2ELNS1_3repE0EEENS1_30default_config_static_selectorELNS0_4arch9wavefront6targetE1EEEvT1_
		.amdhsa_group_segment_fixed_size 0
		.amdhsa_private_segment_fixed_size 0
		.amdhsa_kernarg_size 136
		.amdhsa_user_sgpr_count 6
		.amdhsa_user_sgpr_private_segment_buffer 1
		.amdhsa_user_sgpr_dispatch_ptr 0
		.amdhsa_user_sgpr_queue_ptr 0
		.amdhsa_user_sgpr_kernarg_segment_ptr 1
		.amdhsa_user_sgpr_dispatch_id 0
		.amdhsa_user_sgpr_flat_scratch_init 0
		.amdhsa_user_sgpr_private_segment_size 0
		.amdhsa_uses_dynamic_stack 0
		.amdhsa_system_sgpr_private_segment_wavefront_offset 0
		.amdhsa_system_sgpr_workgroup_id_x 1
		.amdhsa_system_sgpr_workgroup_id_y 0
		.amdhsa_system_sgpr_workgroup_id_z 0
		.amdhsa_system_sgpr_workgroup_info 0
		.amdhsa_system_vgpr_workitem_id 0
		.amdhsa_next_free_vgpr 1
		.amdhsa_next_free_sgpr 0
		.amdhsa_reserve_vcc 0
		.amdhsa_reserve_flat_scratch 0
		.amdhsa_float_round_mode_32 0
		.amdhsa_float_round_mode_16_64 0
		.amdhsa_float_denorm_mode_32 3
		.amdhsa_float_denorm_mode_16_64 3
		.amdhsa_dx10_clamp 1
		.amdhsa_ieee_mode 1
		.amdhsa_fp16_overflow 0
		.amdhsa_exception_fp_ieee_invalid_op 0
		.amdhsa_exception_fp_denorm_src 0
		.amdhsa_exception_fp_ieee_div_zero 0
		.amdhsa_exception_fp_ieee_overflow 0
		.amdhsa_exception_fp_ieee_underflow 0
		.amdhsa_exception_fp_ieee_inexact 0
		.amdhsa_exception_int_div_zero 0
	.end_amdhsa_kernel
	.section	.text._ZN7rocprim17ROCPRIM_400000_NS6detail17trampoline_kernelINS0_14default_configENS1_25partition_config_selectorILNS1_17partition_subalgoE8EyNS0_10empty_typeEbEEZZNS1_14partition_implILS5_8ELb0ES3_jN6thrust23THRUST_200600_302600_NS6detail15normal_iteratorINSA_10device_ptrIyEEEEPS6_PKS6_NS0_5tupleIJNSA_16discard_iteratorINSA_11use_defaultEEES6_EEENSJ_IJSG_SG_EEENS0_18inequality_wrapperINSA_8equal_toIyEEEEPmJS6_EEE10hipError_tPvRmT3_T4_T5_T6_T7_T9_mT8_P12ihipStream_tbDpT10_ENKUlT_T0_E_clISt17integral_constantIbLb1EES1D_EEDaS18_S19_EUlS18_E_NS1_11comp_targetILNS1_3genE8ELNS1_11target_archE1030ELNS1_3gpuE2ELNS1_3repE0EEENS1_30default_config_static_selectorELNS0_4arch9wavefront6targetE1EEEvT1_,"axG",@progbits,_ZN7rocprim17ROCPRIM_400000_NS6detail17trampoline_kernelINS0_14default_configENS1_25partition_config_selectorILNS1_17partition_subalgoE8EyNS0_10empty_typeEbEEZZNS1_14partition_implILS5_8ELb0ES3_jN6thrust23THRUST_200600_302600_NS6detail15normal_iteratorINSA_10device_ptrIyEEEEPS6_PKS6_NS0_5tupleIJNSA_16discard_iteratorINSA_11use_defaultEEES6_EEENSJ_IJSG_SG_EEENS0_18inequality_wrapperINSA_8equal_toIyEEEEPmJS6_EEE10hipError_tPvRmT3_T4_T5_T6_T7_T9_mT8_P12ihipStream_tbDpT10_ENKUlT_T0_E_clISt17integral_constantIbLb1EES1D_EEDaS18_S19_EUlS18_E_NS1_11comp_targetILNS1_3genE8ELNS1_11target_archE1030ELNS1_3gpuE2ELNS1_3repE0EEENS1_30default_config_static_selectorELNS0_4arch9wavefront6targetE1EEEvT1_,comdat
.Lfunc_end548:
	.size	_ZN7rocprim17ROCPRIM_400000_NS6detail17trampoline_kernelINS0_14default_configENS1_25partition_config_selectorILNS1_17partition_subalgoE8EyNS0_10empty_typeEbEEZZNS1_14partition_implILS5_8ELb0ES3_jN6thrust23THRUST_200600_302600_NS6detail15normal_iteratorINSA_10device_ptrIyEEEEPS6_PKS6_NS0_5tupleIJNSA_16discard_iteratorINSA_11use_defaultEEES6_EEENSJ_IJSG_SG_EEENS0_18inequality_wrapperINSA_8equal_toIyEEEEPmJS6_EEE10hipError_tPvRmT3_T4_T5_T6_T7_T9_mT8_P12ihipStream_tbDpT10_ENKUlT_T0_E_clISt17integral_constantIbLb1EES1D_EEDaS18_S19_EUlS18_E_NS1_11comp_targetILNS1_3genE8ELNS1_11target_archE1030ELNS1_3gpuE2ELNS1_3repE0EEENS1_30default_config_static_selectorELNS0_4arch9wavefront6targetE1EEEvT1_, .Lfunc_end548-_ZN7rocprim17ROCPRIM_400000_NS6detail17trampoline_kernelINS0_14default_configENS1_25partition_config_selectorILNS1_17partition_subalgoE8EyNS0_10empty_typeEbEEZZNS1_14partition_implILS5_8ELb0ES3_jN6thrust23THRUST_200600_302600_NS6detail15normal_iteratorINSA_10device_ptrIyEEEEPS6_PKS6_NS0_5tupleIJNSA_16discard_iteratorINSA_11use_defaultEEES6_EEENSJ_IJSG_SG_EEENS0_18inequality_wrapperINSA_8equal_toIyEEEEPmJS6_EEE10hipError_tPvRmT3_T4_T5_T6_T7_T9_mT8_P12ihipStream_tbDpT10_ENKUlT_T0_E_clISt17integral_constantIbLb1EES1D_EEDaS18_S19_EUlS18_E_NS1_11comp_targetILNS1_3genE8ELNS1_11target_archE1030ELNS1_3gpuE2ELNS1_3repE0EEENS1_30default_config_static_selectorELNS0_4arch9wavefront6targetE1EEEvT1_
                                        ; -- End function
	.set _ZN7rocprim17ROCPRIM_400000_NS6detail17trampoline_kernelINS0_14default_configENS1_25partition_config_selectorILNS1_17partition_subalgoE8EyNS0_10empty_typeEbEEZZNS1_14partition_implILS5_8ELb0ES3_jN6thrust23THRUST_200600_302600_NS6detail15normal_iteratorINSA_10device_ptrIyEEEEPS6_PKS6_NS0_5tupleIJNSA_16discard_iteratorINSA_11use_defaultEEES6_EEENSJ_IJSG_SG_EEENS0_18inequality_wrapperINSA_8equal_toIyEEEEPmJS6_EEE10hipError_tPvRmT3_T4_T5_T6_T7_T9_mT8_P12ihipStream_tbDpT10_ENKUlT_T0_E_clISt17integral_constantIbLb1EES1D_EEDaS18_S19_EUlS18_E_NS1_11comp_targetILNS1_3genE8ELNS1_11target_archE1030ELNS1_3gpuE2ELNS1_3repE0EEENS1_30default_config_static_selectorELNS0_4arch9wavefront6targetE1EEEvT1_.num_vgpr, 0
	.set _ZN7rocprim17ROCPRIM_400000_NS6detail17trampoline_kernelINS0_14default_configENS1_25partition_config_selectorILNS1_17partition_subalgoE8EyNS0_10empty_typeEbEEZZNS1_14partition_implILS5_8ELb0ES3_jN6thrust23THRUST_200600_302600_NS6detail15normal_iteratorINSA_10device_ptrIyEEEEPS6_PKS6_NS0_5tupleIJNSA_16discard_iteratorINSA_11use_defaultEEES6_EEENSJ_IJSG_SG_EEENS0_18inequality_wrapperINSA_8equal_toIyEEEEPmJS6_EEE10hipError_tPvRmT3_T4_T5_T6_T7_T9_mT8_P12ihipStream_tbDpT10_ENKUlT_T0_E_clISt17integral_constantIbLb1EES1D_EEDaS18_S19_EUlS18_E_NS1_11comp_targetILNS1_3genE8ELNS1_11target_archE1030ELNS1_3gpuE2ELNS1_3repE0EEENS1_30default_config_static_selectorELNS0_4arch9wavefront6targetE1EEEvT1_.num_agpr, 0
	.set _ZN7rocprim17ROCPRIM_400000_NS6detail17trampoline_kernelINS0_14default_configENS1_25partition_config_selectorILNS1_17partition_subalgoE8EyNS0_10empty_typeEbEEZZNS1_14partition_implILS5_8ELb0ES3_jN6thrust23THRUST_200600_302600_NS6detail15normal_iteratorINSA_10device_ptrIyEEEEPS6_PKS6_NS0_5tupleIJNSA_16discard_iteratorINSA_11use_defaultEEES6_EEENSJ_IJSG_SG_EEENS0_18inequality_wrapperINSA_8equal_toIyEEEEPmJS6_EEE10hipError_tPvRmT3_T4_T5_T6_T7_T9_mT8_P12ihipStream_tbDpT10_ENKUlT_T0_E_clISt17integral_constantIbLb1EES1D_EEDaS18_S19_EUlS18_E_NS1_11comp_targetILNS1_3genE8ELNS1_11target_archE1030ELNS1_3gpuE2ELNS1_3repE0EEENS1_30default_config_static_selectorELNS0_4arch9wavefront6targetE1EEEvT1_.numbered_sgpr, 0
	.set _ZN7rocprim17ROCPRIM_400000_NS6detail17trampoline_kernelINS0_14default_configENS1_25partition_config_selectorILNS1_17partition_subalgoE8EyNS0_10empty_typeEbEEZZNS1_14partition_implILS5_8ELb0ES3_jN6thrust23THRUST_200600_302600_NS6detail15normal_iteratorINSA_10device_ptrIyEEEEPS6_PKS6_NS0_5tupleIJNSA_16discard_iteratorINSA_11use_defaultEEES6_EEENSJ_IJSG_SG_EEENS0_18inequality_wrapperINSA_8equal_toIyEEEEPmJS6_EEE10hipError_tPvRmT3_T4_T5_T6_T7_T9_mT8_P12ihipStream_tbDpT10_ENKUlT_T0_E_clISt17integral_constantIbLb1EES1D_EEDaS18_S19_EUlS18_E_NS1_11comp_targetILNS1_3genE8ELNS1_11target_archE1030ELNS1_3gpuE2ELNS1_3repE0EEENS1_30default_config_static_selectorELNS0_4arch9wavefront6targetE1EEEvT1_.num_named_barrier, 0
	.set _ZN7rocprim17ROCPRIM_400000_NS6detail17trampoline_kernelINS0_14default_configENS1_25partition_config_selectorILNS1_17partition_subalgoE8EyNS0_10empty_typeEbEEZZNS1_14partition_implILS5_8ELb0ES3_jN6thrust23THRUST_200600_302600_NS6detail15normal_iteratorINSA_10device_ptrIyEEEEPS6_PKS6_NS0_5tupleIJNSA_16discard_iteratorINSA_11use_defaultEEES6_EEENSJ_IJSG_SG_EEENS0_18inequality_wrapperINSA_8equal_toIyEEEEPmJS6_EEE10hipError_tPvRmT3_T4_T5_T6_T7_T9_mT8_P12ihipStream_tbDpT10_ENKUlT_T0_E_clISt17integral_constantIbLb1EES1D_EEDaS18_S19_EUlS18_E_NS1_11comp_targetILNS1_3genE8ELNS1_11target_archE1030ELNS1_3gpuE2ELNS1_3repE0EEENS1_30default_config_static_selectorELNS0_4arch9wavefront6targetE1EEEvT1_.private_seg_size, 0
	.set _ZN7rocprim17ROCPRIM_400000_NS6detail17trampoline_kernelINS0_14default_configENS1_25partition_config_selectorILNS1_17partition_subalgoE8EyNS0_10empty_typeEbEEZZNS1_14partition_implILS5_8ELb0ES3_jN6thrust23THRUST_200600_302600_NS6detail15normal_iteratorINSA_10device_ptrIyEEEEPS6_PKS6_NS0_5tupleIJNSA_16discard_iteratorINSA_11use_defaultEEES6_EEENSJ_IJSG_SG_EEENS0_18inequality_wrapperINSA_8equal_toIyEEEEPmJS6_EEE10hipError_tPvRmT3_T4_T5_T6_T7_T9_mT8_P12ihipStream_tbDpT10_ENKUlT_T0_E_clISt17integral_constantIbLb1EES1D_EEDaS18_S19_EUlS18_E_NS1_11comp_targetILNS1_3genE8ELNS1_11target_archE1030ELNS1_3gpuE2ELNS1_3repE0EEENS1_30default_config_static_selectorELNS0_4arch9wavefront6targetE1EEEvT1_.uses_vcc, 0
	.set _ZN7rocprim17ROCPRIM_400000_NS6detail17trampoline_kernelINS0_14default_configENS1_25partition_config_selectorILNS1_17partition_subalgoE8EyNS0_10empty_typeEbEEZZNS1_14partition_implILS5_8ELb0ES3_jN6thrust23THRUST_200600_302600_NS6detail15normal_iteratorINSA_10device_ptrIyEEEEPS6_PKS6_NS0_5tupleIJNSA_16discard_iteratorINSA_11use_defaultEEES6_EEENSJ_IJSG_SG_EEENS0_18inequality_wrapperINSA_8equal_toIyEEEEPmJS6_EEE10hipError_tPvRmT3_T4_T5_T6_T7_T9_mT8_P12ihipStream_tbDpT10_ENKUlT_T0_E_clISt17integral_constantIbLb1EES1D_EEDaS18_S19_EUlS18_E_NS1_11comp_targetILNS1_3genE8ELNS1_11target_archE1030ELNS1_3gpuE2ELNS1_3repE0EEENS1_30default_config_static_selectorELNS0_4arch9wavefront6targetE1EEEvT1_.uses_flat_scratch, 0
	.set _ZN7rocprim17ROCPRIM_400000_NS6detail17trampoline_kernelINS0_14default_configENS1_25partition_config_selectorILNS1_17partition_subalgoE8EyNS0_10empty_typeEbEEZZNS1_14partition_implILS5_8ELb0ES3_jN6thrust23THRUST_200600_302600_NS6detail15normal_iteratorINSA_10device_ptrIyEEEEPS6_PKS6_NS0_5tupleIJNSA_16discard_iteratorINSA_11use_defaultEEES6_EEENSJ_IJSG_SG_EEENS0_18inequality_wrapperINSA_8equal_toIyEEEEPmJS6_EEE10hipError_tPvRmT3_T4_T5_T6_T7_T9_mT8_P12ihipStream_tbDpT10_ENKUlT_T0_E_clISt17integral_constantIbLb1EES1D_EEDaS18_S19_EUlS18_E_NS1_11comp_targetILNS1_3genE8ELNS1_11target_archE1030ELNS1_3gpuE2ELNS1_3repE0EEENS1_30default_config_static_selectorELNS0_4arch9wavefront6targetE1EEEvT1_.has_dyn_sized_stack, 0
	.set _ZN7rocprim17ROCPRIM_400000_NS6detail17trampoline_kernelINS0_14default_configENS1_25partition_config_selectorILNS1_17partition_subalgoE8EyNS0_10empty_typeEbEEZZNS1_14partition_implILS5_8ELb0ES3_jN6thrust23THRUST_200600_302600_NS6detail15normal_iteratorINSA_10device_ptrIyEEEEPS6_PKS6_NS0_5tupleIJNSA_16discard_iteratorINSA_11use_defaultEEES6_EEENSJ_IJSG_SG_EEENS0_18inequality_wrapperINSA_8equal_toIyEEEEPmJS6_EEE10hipError_tPvRmT3_T4_T5_T6_T7_T9_mT8_P12ihipStream_tbDpT10_ENKUlT_T0_E_clISt17integral_constantIbLb1EES1D_EEDaS18_S19_EUlS18_E_NS1_11comp_targetILNS1_3genE8ELNS1_11target_archE1030ELNS1_3gpuE2ELNS1_3repE0EEENS1_30default_config_static_selectorELNS0_4arch9wavefront6targetE1EEEvT1_.has_recursion, 0
	.set _ZN7rocprim17ROCPRIM_400000_NS6detail17trampoline_kernelINS0_14default_configENS1_25partition_config_selectorILNS1_17partition_subalgoE8EyNS0_10empty_typeEbEEZZNS1_14partition_implILS5_8ELb0ES3_jN6thrust23THRUST_200600_302600_NS6detail15normal_iteratorINSA_10device_ptrIyEEEEPS6_PKS6_NS0_5tupleIJNSA_16discard_iteratorINSA_11use_defaultEEES6_EEENSJ_IJSG_SG_EEENS0_18inequality_wrapperINSA_8equal_toIyEEEEPmJS6_EEE10hipError_tPvRmT3_T4_T5_T6_T7_T9_mT8_P12ihipStream_tbDpT10_ENKUlT_T0_E_clISt17integral_constantIbLb1EES1D_EEDaS18_S19_EUlS18_E_NS1_11comp_targetILNS1_3genE8ELNS1_11target_archE1030ELNS1_3gpuE2ELNS1_3repE0EEENS1_30default_config_static_selectorELNS0_4arch9wavefront6targetE1EEEvT1_.has_indirect_call, 0
	.section	.AMDGPU.csdata,"",@progbits
; Kernel info:
; codeLenInByte = 0
; TotalNumSgprs: 4
; NumVgprs: 0
; ScratchSize: 0
; MemoryBound: 0
; FloatMode: 240
; IeeeMode: 1
; LDSByteSize: 0 bytes/workgroup (compile time only)
; SGPRBlocks: 0
; VGPRBlocks: 0
; NumSGPRsForWavesPerEU: 4
; NumVGPRsForWavesPerEU: 1
; Occupancy: 10
; WaveLimiterHint : 0
; COMPUTE_PGM_RSRC2:SCRATCH_EN: 0
; COMPUTE_PGM_RSRC2:USER_SGPR: 6
; COMPUTE_PGM_RSRC2:TRAP_HANDLER: 0
; COMPUTE_PGM_RSRC2:TGID_X_EN: 1
; COMPUTE_PGM_RSRC2:TGID_Y_EN: 0
; COMPUTE_PGM_RSRC2:TGID_Z_EN: 0
; COMPUTE_PGM_RSRC2:TIDIG_COMP_CNT: 0
	.section	.text._ZN7rocprim17ROCPRIM_400000_NS6detail17trampoline_kernelINS0_14default_configENS1_25partition_config_selectorILNS1_17partition_subalgoE8EyNS0_10empty_typeEbEEZZNS1_14partition_implILS5_8ELb0ES3_jN6thrust23THRUST_200600_302600_NS6detail15normal_iteratorINSA_10device_ptrIyEEEEPS6_PKS6_NS0_5tupleIJNSA_16discard_iteratorINSA_11use_defaultEEES6_EEENSJ_IJSG_SG_EEENS0_18inequality_wrapperINSA_8equal_toIyEEEEPmJS6_EEE10hipError_tPvRmT3_T4_T5_T6_T7_T9_mT8_P12ihipStream_tbDpT10_ENKUlT_T0_E_clISt17integral_constantIbLb1EES1C_IbLb0EEEEDaS18_S19_EUlS18_E_NS1_11comp_targetILNS1_3genE0ELNS1_11target_archE4294967295ELNS1_3gpuE0ELNS1_3repE0EEENS1_30default_config_static_selectorELNS0_4arch9wavefront6targetE1EEEvT1_,"axG",@progbits,_ZN7rocprim17ROCPRIM_400000_NS6detail17trampoline_kernelINS0_14default_configENS1_25partition_config_selectorILNS1_17partition_subalgoE8EyNS0_10empty_typeEbEEZZNS1_14partition_implILS5_8ELb0ES3_jN6thrust23THRUST_200600_302600_NS6detail15normal_iteratorINSA_10device_ptrIyEEEEPS6_PKS6_NS0_5tupleIJNSA_16discard_iteratorINSA_11use_defaultEEES6_EEENSJ_IJSG_SG_EEENS0_18inequality_wrapperINSA_8equal_toIyEEEEPmJS6_EEE10hipError_tPvRmT3_T4_T5_T6_T7_T9_mT8_P12ihipStream_tbDpT10_ENKUlT_T0_E_clISt17integral_constantIbLb1EES1C_IbLb0EEEEDaS18_S19_EUlS18_E_NS1_11comp_targetILNS1_3genE0ELNS1_11target_archE4294967295ELNS1_3gpuE0ELNS1_3repE0EEENS1_30default_config_static_selectorELNS0_4arch9wavefront6targetE1EEEvT1_,comdat
	.protected	_ZN7rocprim17ROCPRIM_400000_NS6detail17trampoline_kernelINS0_14default_configENS1_25partition_config_selectorILNS1_17partition_subalgoE8EyNS0_10empty_typeEbEEZZNS1_14partition_implILS5_8ELb0ES3_jN6thrust23THRUST_200600_302600_NS6detail15normal_iteratorINSA_10device_ptrIyEEEEPS6_PKS6_NS0_5tupleIJNSA_16discard_iteratorINSA_11use_defaultEEES6_EEENSJ_IJSG_SG_EEENS0_18inequality_wrapperINSA_8equal_toIyEEEEPmJS6_EEE10hipError_tPvRmT3_T4_T5_T6_T7_T9_mT8_P12ihipStream_tbDpT10_ENKUlT_T0_E_clISt17integral_constantIbLb1EES1C_IbLb0EEEEDaS18_S19_EUlS18_E_NS1_11comp_targetILNS1_3genE0ELNS1_11target_archE4294967295ELNS1_3gpuE0ELNS1_3repE0EEENS1_30default_config_static_selectorELNS0_4arch9wavefront6targetE1EEEvT1_ ; -- Begin function _ZN7rocprim17ROCPRIM_400000_NS6detail17trampoline_kernelINS0_14default_configENS1_25partition_config_selectorILNS1_17partition_subalgoE8EyNS0_10empty_typeEbEEZZNS1_14partition_implILS5_8ELb0ES3_jN6thrust23THRUST_200600_302600_NS6detail15normal_iteratorINSA_10device_ptrIyEEEEPS6_PKS6_NS0_5tupleIJNSA_16discard_iteratorINSA_11use_defaultEEES6_EEENSJ_IJSG_SG_EEENS0_18inequality_wrapperINSA_8equal_toIyEEEEPmJS6_EEE10hipError_tPvRmT3_T4_T5_T6_T7_T9_mT8_P12ihipStream_tbDpT10_ENKUlT_T0_E_clISt17integral_constantIbLb1EES1C_IbLb0EEEEDaS18_S19_EUlS18_E_NS1_11comp_targetILNS1_3genE0ELNS1_11target_archE4294967295ELNS1_3gpuE0ELNS1_3repE0EEENS1_30default_config_static_selectorELNS0_4arch9wavefront6targetE1EEEvT1_
	.globl	_ZN7rocprim17ROCPRIM_400000_NS6detail17trampoline_kernelINS0_14default_configENS1_25partition_config_selectorILNS1_17partition_subalgoE8EyNS0_10empty_typeEbEEZZNS1_14partition_implILS5_8ELb0ES3_jN6thrust23THRUST_200600_302600_NS6detail15normal_iteratorINSA_10device_ptrIyEEEEPS6_PKS6_NS0_5tupleIJNSA_16discard_iteratorINSA_11use_defaultEEES6_EEENSJ_IJSG_SG_EEENS0_18inequality_wrapperINSA_8equal_toIyEEEEPmJS6_EEE10hipError_tPvRmT3_T4_T5_T6_T7_T9_mT8_P12ihipStream_tbDpT10_ENKUlT_T0_E_clISt17integral_constantIbLb1EES1C_IbLb0EEEEDaS18_S19_EUlS18_E_NS1_11comp_targetILNS1_3genE0ELNS1_11target_archE4294967295ELNS1_3gpuE0ELNS1_3repE0EEENS1_30default_config_static_selectorELNS0_4arch9wavefront6targetE1EEEvT1_
	.p2align	8
	.type	_ZN7rocprim17ROCPRIM_400000_NS6detail17trampoline_kernelINS0_14default_configENS1_25partition_config_selectorILNS1_17partition_subalgoE8EyNS0_10empty_typeEbEEZZNS1_14partition_implILS5_8ELb0ES3_jN6thrust23THRUST_200600_302600_NS6detail15normal_iteratorINSA_10device_ptrIyEEEEPS6_PKS6_NS0_5tupleIJNSA_16discard_iteratorINSA_11use_defaultEEES6_EEENSJ_IJSG_SG_EEENS0_18inequality_wrapperINSA_8equal_toIyEEEEPmJS6_EEE10hipError_tPvRmT3_T4_T5_T6_T7_T9_mT8_P12ihipStream_tbDpT10_ENKUlT_T0_E_clISt17integral_constantIbLb1EES1C_IbLb0EEEEDaS18_S19_EUlS18_E_NS1_11comp_targetILNS1_3genE0ELNS1_11target_archE4294967295ELNS1_3gpuE0ELNS1_3repE0EEENS1_30default_config_static_selectorELNS0_4arch9wavefront6targetE1EEEvT1_,@function
_ZN7rocprim17ROCPRIM_400000_NS6detail17trampoline_kernelINS0_14default_configENS1_25partition_config_selectorILNS1_17partition_subalgoE8EyNS0_10empty_typeEbEEZZNS1_14partition_implILS5_8ELb0ES3_jN6thrust23THRUST_200600_302600_NS6detail15normal_iteratorINSA_10device_ptrIyEEEEPS6_PKS6_NS0_5tupleIJNSA_16discard_iteratorINSA_11use_defaultEEES6_EEENSJ_IJSG_SG_EEENS0_18inequality_wrapperINSA_8equal_toIyEEEEPmJS6_EEE10hipError_tPvRmT3_T4_T5_T6_T7_T9_mT8_P12ihipStream_tbDpT10_ENKUlT_T0_E_clISt17integral_constantIbLb1EES1C_IbLb0EEEEDaS18_S19_EUlS18_E_NS1_11comp_targetILNS1_3genE0ELNS1_11target_archE4294967295ELNS1_3gpuE0ELNS1_3repE0EEENS1_30default_config_static_selectorELNS0_4arch9wavefront6targetE1EEEvT1_: ; @_ZN7rocprim17ROCPRIM_400000_NS6detail17trampoline_kernelINS0_14default_configENS1_25partition_config_selectorILNS1_17partition_subalgoE8EyNS0_10empty_typeEbEEZZNS1_14partition_implILS5_8ELb0ES3_jN6thrust23THRUST_200600_302600_NS6detail15normal_iteratorINSA_10device_ptrIyEEEEPS6_PKS6_NS0_5tupleIJNSA_16discard_iteratorINSA_11use_defaultEEES6_EEENSJ_IJSG_SG_EEENS0_18inequality_wrapperINSA_8equal_toIyEEEEPmJS6_EEE10hipError_tPvRmT3_T4_T5_T6_T7_T9_mT8_P12ihipStream_tbDpT10_ENKUlT_T0_E_clISt17integral_constantIbLb1EES1C_IbLb0EEEEDaS18_S19_EUlS18_E_NS1_11comp_targetILNS1_3genE0ELNS1_11target_archE4294967295ELNS1_3gpuE0ELNS1_3repE0EEENS1_30default_config_static_selectorELNS0_4arch9wavefront6targetE1EEEvT1_
; %bb.0:
	.section	.rodata,"a",@progbits
	.p2align	6, 0x0
	.amdhsa_kernel _ZN7rocprim17ROCPRIM_400000_NS6detail17trampoline_kernelINS0_14default_configENS1_25partition_config_selectorILNS1_17partition_subalgoE8EyNS0_10empty_typeEbEEZZNS1_14partition_implILS5_8ELb0ES3_jN6thrust23THRUST_200600_302600_NS6detail15normal_iteratorINSA_10device_ptrIyEEEEPS6_PKS6_NS0_5tupleIJNSA_16discard_iteratorINSA_11use_defaultEEES6_EEENSJ_IJSG_SG_EEENS0_18inequality_wrapperINSA_8equal_toIyEEEEPmJS6_EEE10hipError_tPvRmT3_T4_T5_T6_T7_T9_mT8_P12ihipStream_tbDpT10_ENKUlT_T0_E_clISt17integral_constantIbLb1EES1C_IbLb0EEEEDaS18_S19_EUlS18_E_NS1_11comp_targetILNS1_3genE0ELNS1_11target_archE4294967295ELNS1_3gpuE0ELNS1_3repE0EEENS1_30default_config_static_selectorELNS0_4arch9wavefront6targetE1EEEvT1_
		.amdhsa_group_segment_fixed_size 0
		.amdhsa_private_segment_fixed_size 0
		.amdhsa_kernarg_size 120
		.amdhsa_user_sgpr_count 6
		.amdhsa_user_sgpr_private_segment_buffer 1
		.amdhsa_user_sgpr_dispatch_ptr 0
		.amdhsa_user_sgpr_queue_ptr 0
		.amdhsa_user_sgpr_kernarg_segment_ptr 1
		.amdhsa_user_sgpr_dispatch_id 0
		.amdhsa_user_sgpr_flat_scratch_init 0
		.amdhsa_user_sgpr_private_segment_size 0
		.amdhsa_uses_dynamic_stack 0
		.amdhsa_system_sgpr_private_segment_wavefront_offset 0
		.amdhsa_system_sgpr_workgroup_id_x 1
		.amdhsa_system_sgpr_workgroup_id_y 0
		.amdhsa_system_sgpr_workgroup_id_z 0
		.amdhsa_system_sgpr_workgroup_info 0
		.amdhsa_system_vgpr_workitem_id 0
		.amdhsa_next_free_vgpr 1
		.amdhsa_next_free_sgpr 0
		.amdhsa_reserve_vcc 0
		.amdhsa_reserve_flat_scratch 0
		.amdhsa_float_round_mode_32 0
		.amdhsa_float_round_mode_16_64 0
		.amdhsa_float_denorm_mode_32 3
		.amdhsa_float_denorm_mode_16_64 3
		.amdhsa_dx10_clamp 1
		.amdhsa_ieee_mode 1
		.amdhsa_fp16_overflow 0
		.amdhsa_exception_fp_ieee_invalid_op 0
		.amdhsa_exception_fp_denorm_src 0
		.amdhsa_exception_fp_ieee_div_zero 0
		.amdhsa_exception_fp_ieee_overflow 0
		.amdhsa_exception_fp_ieee_underflow 0
		.amdhsa_exception_fp_ieee_inexact 0
		.amdhsa_exception_int_div_zero 0
	.end_amdhsa_kernel
	.section	.text._ZN7rocprim17ROCPRIM_400000_NS6detail17trampoline_kernelINS0_14default_configENS1_25partition_config_selectorILNS1_17partition_subalgoE8EyNS0_10empty_typeEbEEZZNS1_14partition_implILS5_8ELb0ES3_jN6thrust23THRUST_200600_302600_NS6detail15normal_iteratorINSA_10device_ptrIyEEEEPS6_PKS6_NS0_5tupleIJNSA_16discard_iteratorINSA_11use_defaultEEES6_EEENSJ_IJSG_SG_EEENS0_18inequality_wrapperINSA_8equal_toIyEEEEPmJS6_EEE10hipError_tPvRmT3_T4_T5_T6_T7_T9_mT8_P12ihipStream_tbDpT10_ENKUlT_T0_E_clISt17integral_constantIbLb1EES1C_IbLb0EEEEDaS18_S19_EUlS18_E_NS1_11comp_targetILNS1_3genE0ELNS1_11target_archE4294967295ELNS1_3gpuE0ELNS1_3repE0EEENS1_30default_config_static_selectorELNS0_4arch9wavefront6targetE1EEEvT1_,"axG",@progbits,_ZN7rocprim17ROCPRIM_400000_NS6detail17trampoline_kernelINS0_14default_configENS1_25partition_config_selectorILNS1_17partition_subalgoE8EyNS0_10empty_typeEbEEZZNS1_14partition_implILS5_8ELb0ES3_jN6thrust23THRUST_200600_302600_NS6detail15normal_iteratorINSA_10device_ptrIyEEEEPS6_PKS6_NS0_5tupleIJNSA_16discard_iteratorINSA_11use_defaultEEES6_EEENSJ_IJSG_SG_EEENS0_18inequality_wrapperINSA_8equal_toIyEEEEPmJS6_EEE10hipError_tPvRmT3_T4_T5_T6_T7_T9_mT8_P12ihipStream_tbDpT10_ENKUlT_T0_E_clISt17integral_constantIbLb1EES1C_IbLb0EEEEDaS18_S19_EUlS18_E_NS1_11comp_targetILNS1_3genE0ELNS1_11target_archE4294967295ELNS1_3gpuE0ELNS1_3repE0EEENS1_30default_config_static_selectorELNS0_4arch9wavefront6targetE1EEEvT1_,comdat
.Lfunc_end549:
	.size	_ZN7rocprim17ROCPRIM_400000_NS6detail17trampoline_kernelINS0_14default_configENS1_25partition_config_selectorILNS1_17partition_subalgoE8EyNS0_10empty_typeEbEEZZNS1_14partition_implILS5_8ELb0ES3_jN6thrust23THRUST_200600_302600_NS6detail15normal_iteratorINSA_10device_ptrIyEEEEPS6_PKS6_NS0_5tupleIJNSA_16discard_iteratorINSA_11use_defaultEEES6_EEENSJ_IJSG_SG_EEENS0_18inequality_wrapperINSA_8equal_toIyEEEEPmJS6_EEE10hipError_tPvRmT3_T4_T5_T6_T7_T9_mT8_P12ihipStream_tbDpT10_ENKUlT_T0_E_clISt17integral_constantIbLb1EES1C_IbLb0EEEEDaS18_S19_EUlS18_E_NS1_11comp_targetILNS1_3genE0ELNS1_11target_archE4294967295ELNS1_3gpuE0ELNS1_3repE0EEENS1_30default_config_static_selectorELNS0_4arch9wavefront6targetE1EEEvT1_, .Lfunc_end549-_ZN7rocprim17ROCPRIM_400000_NS6detail17trampoline_kernelINS0_14default_configENS1_25partition_config_selectorILNS1_17partition_subalgoE8EyNS0_10empty_typeEbEEZZNS1_14partition_implILS5_8ELb0ES3_jN6thrust23THRUST_200600_302600_NS6detail15normal_iteratorINSA_10device_ptrIyEEEEPS6_PKS6_NS0_5tupleIJNSA_16discard_iteratorINSA_11use_defaultEEES6_EEENSJ_IJSG_SG_EEENS0_18inequality_wrapperINSA_8equal_toIyEEEEPmJS6_EEE10hipError_tPvRmT3_T4_T5_T6_T7_T9_mT8_P12ihipStream_tbDpT10_ENKUlT_T0_E_clISt17integral_constantIbLb1EES1C_IbLb0EEEEDaS18_S19_EUlS18_E_NS1_11comp_targetILNS1_3genE0ELNS1_11target_archE4294967295ELNS1_3gpuE0ELNS1_3repE0EEENS1_30default_config_static_selectorELNS0_4arch9wavefront6targetE1EEEvT1_
                                        ; -- End function
	.set _ZN7rocprim17ROCPRIM_400000_NS6detail17trampoline_kernelINS0_14default_configENS1_25partition_config_selectorILNS1_17partition_subalgoE8EyNS0_10empty_typeEbEEZZNS1_14partition_implILS5_8ELb0ES3_jN6thrust23THRUST_200600_302600_NS6detail15normal_iteratorINSA_10device_ptrIyEEEEPS6_PKS6_NS0_5tupleIJNSA_16discard_iteratorINSA_11use_defaultEEES6_EEENSJ_IJSG_SG_EEENS0_18inequality_wrapperINSA_8equal_toIyEEEEPmJS6_EEE10hipError_tPvRmT3_T4_T5_T6_T7_T9_mT8_P12ihipStream_tbDpT10_ENKUlT_T0_E_clISt17integral_constantIbLb1EES1C_IbLb0EEEEDaS18_S19_EUlS18_E_NS1_11comp_targetILNS1_3genE0ELNS1_11target_archE4294967295ELNS1_3gpuE0ELNS1_3repE0EEENS1_30default_config_static_selectorELNS0_4arch9wavefront6targetE1EEEvT1_.num_vgpr, 0
	.set _ZN7rocprim17ROCPRIM_400000_NS6detail17trampoline_kernelINS0_14default_configENS1_25partition_config_selectorILNS1_17partition_subalgoE8EyNS0_10empty_typeEbEEZZNS1_14partition_implILS5_8ELb0ES3_jN6thrust23THRUST_200600_302600_NS6detail15normal_iteratorINSA_10device_ptrIyEEEEPS6_PKS6_NS0_5tupleIJNSA_16discard_iteratorINSA_11use_defaultEEES6_EEENSJ_IJSG_SG_EEENS0_18inequality_wrapperINSA_8equal_toIyEEEEPmJS6_EEE10hipError_tPvRmT3_T4_T5_T6_T7_T9_mT8_P12ihipStream_tbDpT10_ENKUlT_T0_E_clISt17integral_constantIbLb1EES1C_IbLb0EEEEDaS18_S19_EUlS18_E_NS1_11comp_targetILNS1_3genE0ELNS1_11target_archE4294967295ELNS1_3gpuE0ELNS1_3repE0EEENS1_30default_config_static_selectorELNS0_4arch9wavefront6targetE1EEEvT1_.num_agpr, 0
	.set _ZN7rocprim17ROCPRIM_400000_NS6detail17trampoline_kernelINS0_14default_configENS1_25partition_config_selectorILNS1_17partition_subalgoE8EyNS0_10empty_typeEbEEZZNS1_14partition_implILS5_8ELb0ES3_jN6thrust23THRUST_200600_302600_NS6detail15normal_iteratorINSA_10device_ptrIyEEEEPS6_PKS6_NS0_5tupleIJNSA_16discard_iteratorINSA_11use_defaultEEES6_EEENSJ_IJSG_SG_EEENS0_18inequality_wrapperINSA_8equal_toIyEEEEPmJS6_EEE10hipError_tPvRmT3_T4_T5_T6_T7_T9_mT8_P12ihipStream_tbDpT10_ENKUlT_T0_E_clISt17integral_constantIbLb1EES1C_IbLb0EEEEDaS18_S19_EUlS18_E_NS1_11comp_targetILNS1_3genE0ELNS1_11target_archE4294967295ELNS1_3gpuE0ELNS1_3repE0EEENS1_30default_config_static_selectorELNS0_4arch9wavefront6targetE1EEEvT1_.numbered_sgpr, 0
	.set _ZN7rocprim17ROCPRIM_400000_NS6detail17trampoline_kernelINS0_14default_configENS1_25partition_config_selectorILNS1_17partition_subalgoE8EyNS0_10empty_typeEbEEZZNS1_14partition_implILS5_8ELb0ES3_jN6thrust23THRUST_200600_302600_NS6detail15normal_iteratorINSA_10device_ptrIyEEEEPS6_PKS6_NS0_5tupleIJNSA_16discard_iteratorINSA_11use_defaultEEES6_EEENSJ_IJSG_SG_EEENS0_18inequality_wrapperINSA_8equal_toIyEEEEPmJS6_EEE10hipError_tPvRmT3_T4_T5_T6_T7_T9_mT8_P12ihipStream_tbDpT10_ENKUlT_T0_E_clISt17integral_constantIbLb1EES1C_IbLb0EEEEDaS18_S19_EUlS18_E_NS1_11comp_targetILNS1_3genE0ELNS1_11target_archE4294967295ELNS1_3gpuE0ELNS1_3repE0EEENS1_30default_config_static_selectorELNS0_4arch9wavefront6targetE1EEEvT1_.num_named_barrier, 0
	.set _ZN7rocprim17ROCPRIM_400000_NS6detail17trampoline_kernelINS0_14default_configENS1_25partition_config_selectorILNS1_17partition_subalgoE8EyNS0_10empty_typeEbEEZZNS1_14partition_implILS5_8ELb0ES3_jN6thrust23THRUST_200600_302600_NS6detail15normal_iteratorINSA_10device_ptrIyEEEEPS6_PKS6_NS0_5tupleIJNSA_16discard_iteratorINSA_11use_defaultEEES6_EEENSJ_IJSG_SG_EEENS0_18inequality_wrapperINSA_8equal_toIyEEEEPmJS6_EEE10hipError_tPvRmT3_T4_T5_T6_T7_T9_mT8_P12ihipStream_tbDpT10_ENKUlT_T0_E_clISt17integral_constantIbLb1EES1C_IbLb0EEEEDaS18_S19_EUlS18_E_NS1_11comp_targetILNS1_3genE0ELNS1_11target_archE4294967295ELNS1_3gpuE0ELNS1_3repE0EEENS1_30default_config_static_selectorELNS0_4arch9wavefront6targetE1EEEvT1_.private_seg_size, 0
	.set _ZN7rocprim17ROCPRIM_400000_NS6detail17trampoline_kernelINS0_14default_configENS1_25partition_config_selectorILNS1_17partition_subalgoE8EyNS0_10empty_typeEbEEZZNS1_14partition_implILS5_8ELb0ES3_jN6thrust23THRUST_200600_302600_NS6detail15normal_iteratorINSA_10device_ptrIyEEEEPS6_PKS6_NS0_5tupleIJNSA_16discard_iteratorINSA_11use_defaultEEES6_EEENSJ_IJSG_SG_EEENS0_18inequality_wrapperINSA_8equal_toIyEEEEPmJS6_EEE10hipError_tPvRmT3_T4_T5_T6_T7_T9_mT8_P12ihipStream_tbDpT10_ENKUlT_T0_E_clISt17integral_constantIbLb1EES1C_IbLb0EEEEDaS18_S19_EUlS18_E_NS1_11comp_targetILNS1_3genE0ELNS1_11target_archE4294967295ELNS1_3gpuE0ELNS1_3repE0EEENS1_30default_config_static_selectorELNS0_4arch9wavefront6targetE1EEEvT1_.uses_vcc, 0
	.set _ZN7rocprim17ROCPRIM_400000_NS6detail17trampoline_kernelINS0_14default_configENS1_25partition_config_selectorILNS1_17partition_subalgoE8EyNS0_10empty_typeEbEEZZNS1_14partition_implILS5_8ELb0ES3_jN6thrust23THRUST_200600_302600_NS6detail15normal_iteratorINSA_10device_ptrIyEEEEPS6_PKS6_NS0_5tupleIJNSA_16discard_iteratorINSA_11use_defaultEEES6_EEENSJ_IJSG_SG_EEENS0_18inequality_wrapperINSA_8equal_toIyEEEEPmJS6_EEE10hipError_tPvRmT3_T4_T5_T6_T7_T9_mT8_P12ihipStream_tbDpT10_ENKUlT_T0_E_clISt17integral_constantIbLb1EES1C_IbLb0EEEEDaS18_S19_EUlS18_E_NS1_11comp_targetILNS1_3genE0ELNS1_11target_archE4294967295ELNS1_3gpuE0ELNS1_3repE0EEENS1_30default_config_static_selectorELNS0_4arch9wavefront6targetE1EEEvT1_.uses_flat_scratch, 0
	.set _ZN7rocprim17ROCPRIM_400000_NS6detail17trampoline_kernelINS0_14default_configENS1_25partition_config_selectorILNS1_17partition_subalgoE8EyNS0_10empty_typeEbEEZZNS1_14partition_implILS5_8ELb0ES3_jN6thrust23THRUST_200600_302600_NS6detail15normal_iteratorINSA_10device_ptrIyEEEEPS6_PKS6_NS0_5tupleIJNSA_16discard_iteratorINSA_11use_defaultEEES6_EEENSJ_IJSG_SG_EEENS0_18inequality_wrapperINSA_8equal_toIyEEEEPmJS6_EEE10hipError_tPvRmT3_T4_T5_T6_T7_T9_mT8_P12ihipStream_tbDpT10_ENKUlT_T0_E_clISt17integral_constantIbLb1EES1C_IbLb0EEEEDaS18_S19_EUlS18_E_NS1_11comp_targetILNS1_3genE0ELNS1_11target_archE4294967295ELNS1_3gpuE0ELNS1_3repE0EEENS1_30default_config_static_selectorELNS0_4arch9wavefront6targetE1EEEvT1_.has_dyn_sized_stack, 0
	.set _ZN7rocprim17ROCPRIM_400000_NS6detail17trampoline_kernelINS0_14default_configENS1_25partition_config_selectorILNS1_17partition_subalgoE8EyNS0_10empty_typeEbEEZZNS1_14partition_implILS5_8ELb0ES3_jN6thrust23THRUST_200600_302600_NS6detail15normal_iteratorINSA_10device_ptrIyEEEEPS6_PKS6_NS0_5tupleIJNSA_16discard_iteratorINSA_11use_defaultEEES6_EEENSJ_IJSG_SG_EEENS0_18inequality_wrapperINSA_8equal_toIyEEEEPmJS6_EEE10hipError_tPvRmT3_T4_T5_T6_T7_T9_mT8_P12ihipStream_tbDpT10_ENKUlT_T0_E_clISt17integral_constantIbLb1EES1C_IbLb0EEEEDaS18_S19_EUlS18_E_NS1_11comp_targetILNS1_3genE0ELNS1_11target_archE4294967295ELNS1_3gpuE0ELNS1_3repE0EEENS1_30default_config_static_selectorELNS0_4arch9wavefront6targetE1EEEvT1_.has_recursion, 0
	.set _ZN7rocprim17ROCPRIM_400000_NS6detail17trampoline_kernelINS0_14default_configENS1_25partition_config_selectorILNS1_17partition_subalgoE8EyNS0_10empty_typeEbEEZZNS1_14partition_implILS5_8ELb0ES3_jN6thrust23THRUST_200600_302600_NS6detail15normal_iteratorINSA_10device_ptrIyEEEEPS6_PKS6_NS0_5tupleIJNSA_16discard_iteratorINSA_11use_defaultEEES6_EEENSJ_IJSG_SG_EEENS0_18inequality_wrapperINSA_8equal_toIyEEEEPmJS6_EEE10hipError_tPvRmT3_T4_T5_T6_T7_T9_mT8_P12ihipStream_tbDpT10_ENKUlT_T0_E_clISt17integral_constantIbLb1EES1C_IbLb0EEEEDaS18_S19_EUlS18_E_NS1_11comp_targetILNS1_3genE0ELNS1_11target_archE4294967295ELNS1_3gpuE0ELNS1_3repE0EEENS1_30default_config_static_selectorELNS0_4arch9wavefront6targetE1EEEvT1_.has_indirect_call, 0
	.section	.AMDGPU.csdata,"",@progbits
; Kernel info:
; codeLenInByte = 0
; TotalNumSgprs: 4
; NumVgprs: 0
; ScratchSize: 0
; MemoryBound: 0
; FloatMode: 240
; IeeeMode: 1
; LDSByteSize: 0 bytes/workgroup (compile time only)
; SGPRBlocks: 0
; VGPRBlocks: 0
; NumSGPRsForWavesPerEU: 4
; NumVGPRsForWavesPerEU: 1
; Occupancy: 10
; WaveLimiterHint : 0
; COMPUTE_PGM_RSRC2:SCRATCH_EN: 0
; COMPUTE_PGM_RSRC2:USER_SGPR: 6
; COMPUTE_PGM_RSRC2:TRAP_HANDLER: 0
; COMPUTE_PGM_RSRC2:TGID_X_EN: 1
; COMPUTE_PGM_RSRC2:TGID_Y_EN: 0
; COMPUTE_PGM_RSRC2:TGID_Z_EN: 0
; COMPUTE_PGM_RSRC2:TIDIG_COMP_CNT: 0
	.section	.text._ZN7rocprim17ROCPRIM_400000_NS6detail17trampoline_kernelINS0_14default_configENS1_25partition_config_selectorILNS1_17partition_subalgoE8EyNS0_10empty_typeEbEEZZNS1_14partition_implILS5_8ELb0ES3_jN6thrust23THRUST_200600_302600_NS6detail15normal_iteratorINSA_10device_ptrIyEEEEPS6_PKS6_NS0_5tupleIJNSA_16discard_iteratorINSA_11use_defaultEEES6_EEENSJ_IJSG_SG_EEENS0_18inequality_wrapperINSA_8equal_toIyEEEEPmJS6_EEE10hipError_tPvRmT3_T4_T5_T6_T7_T9_mT8_P12ihipStream_tbDpT10_ENKUlT_T0_E_clISt17integral_constantIbLb1EES1C_IbLb0EEEEDaS18_S19_EUlS18_E_NS1_11comp_targetILNS1_3genE5ELNS1_11target_archE942ELNS1_3gpuE9ELNS1_3repE0EEENS1_30default_config_static_selectorELNS0_4arch9wavefront6targetE1EEEvT1_,"axG",@progbits,_ZN7rocprim17ROCPRIM_400000_NS6detail17trampoline_kernelINS0_14default_configENS1_25partition_config_selectorILNS1_17partition_subalgoE8EyNS0_10empty_typeEbEEZZNS1_14partition_implILS5_8ELb0ES3_jN6thrust23THRUST_200600_302600_NS6detail15normal_iteratorINSA_10device_ptrIyEEEEPS6_PKS6_NS0_5tupleIJNSA_16discard_iteratorINSA_11use_defaultEEES6_EEENSJ_IJSG_SG_EEENS0_18inequality_wrapperINSA_8equal_toIyEEEEPmJS6_EEE10hipError_tPvRmT3_T4_T5_T6_T7_T9_mT8_P12ihipStream_tbDpT10_ENKUlT_T0_E_clISt17integral_constantIbLb1EES1C_IbLb0EEEEDaS18_S19_EUlS18_E_NS1_11comp_targetILNS1_3genE5ELNS1_11target_archE942ELNS1_3gpuE9ELNS1_3repE0EEENS1_30default_config_static_selectorELNS0_4arch9wavefront6targetE1EEEvT1_,comdat
	.protected	_ZN7rocprim17ROCPRIM_400000_NS6detail17trampoline_kernelINS0_14default_configENS1_25partition_config_selectorILNS1_17partition_subalgoE8EyNS0_10empty_typeEbEEZZNS1_14partition_implILS5_8ELb0ES3_jN6thrust23THRUST_200600_302600_NS6detail15normal_iteratorINSA_10device_ptrIyEEEEPS6_PKS6_NS0_5tupleIJNSA_16discard_iteratorINSA_11use_defaultEEES6_EEENSJ_IJSG_SG_EEENS0_18inequality_wrapperINSA_8equal_toIyEEEEPmJS6_EEE10hipError_tPvRmT3_T4_T5_T6_T7_T9_mT8_P12ihipStream_tbDpT10_ENKUlT_T0_E_clISt17integral_constantIbLb1EES1C_IbLb0EEEEDaS18_S19_EUlS18_E_NS1_11comp_targetILNS1_3genE5ELNS1_11target_archE942ELNS1_3gpuE9ELNS1_3repE0EEENS1_30default_config_static_selectorELNS0_4arch9wavefront6targetE1EEEvT1_ ; -- Begin function _ZN7rocprim17ROCPRIM_400000_NS6detail17trampoline_kernelINS0_14default_configENS1_25partition_config_selectorILNS1_17partition_subalgoE8EyNS0_10empty_typeEbEEZZNS1_14partition_implILS5_8ELb0ES3_jN6thrust23THRUST_200600_302600_NS6detail15normal_iteratorINSA_10device_ptrIyEEEEPS6_PKS6_NS0_5tupleIJNSA_16discard_iteratorINSA_11use_defaultEEES6_EEENSJ_IJSG_SG_EEENS0_18inequality_wrapperINSA_8equal_toIyEEEEPmJS6_EEE10hipError_tPvRmT3_T4_T5_T6_T7_T9_mT8_P12ihipStream_tbDpT10_ENKUlT_T0_E_clISt17integral_constantIbLb1EES1C_IbLb0EEEEDaS18_S19_EUlS18_E_NS1_11comp_targetILNS1_3genE5ELNS1_11target_archE942ELNS1_3gpuE9ELNS1_3repE0EEENS1_30default_config_static_selectorELNS0_4arch9wavefront6targetE1EEEvT1_
	.globl	_ZN7rocprim17ROCPRIM_400000_NS6detail17trampoline_kernelINS0_14default_configENS1_25partition_config_selectorILNS1_17partition_subalgoE8EyNS0_10empty_typeEbEEZZNS1_14partition_implILS5_8ELb0ES3_jN6thrust23THRUST_200600_302600_NS6detail15normal_iteratorINSA_10device_ptrIyEEEEPS6_PKS6_NS0_5tupleIJNSA_16discard_iteratorINSA_11use_defaultEEES6_EEENSJ_IJSG_SG_EEENS0_18inequality_wrapperINSA_8equal_toIyEEEEPmJS6_EEE10hipError_tPvRmT3_T4_T5_T6_T7_T9_mT8_P12ihipStream_tbDpT10_ENKUlT_T0_E_clISt17integral_constantIbLb1EES1C_IbLb0EEEEDaS18_S19_EUlS18_E_NS1_11comp_targetILNS1_3genE5ELNS1_11target_archE942ELNS1_3gpuE9ELNS1_3repE0EEENS1_30default_config_static_selectorELNS0_4arch9wavefront6targetE1EEEvT1_
	.p2align	8
	.type	_ZN7rocprim17ROCPRIM_400000_NS6detail17trampoline_kernelINS0_14default_configENS1_25partition_config_selectorILNS1_17partition_subalgoE8EyNS0_10empty_typeEbEEZZNS1_14partition_implILS5_8ELb0ES3_jN6thrust23THRUST_200600_302600_NS6detail15normal_iteratorINSA_10device_ptrIyEEEEPS6_PKS6_NS0_5tupleIJNSA_16discard_iteratorINSA_11use_defaultEEES6_EEENSJ_IJSG_SG_EEENS0_18inequality_wrapperINSA_8equal_toIyEEEEPmJS6_EEE10hipError_tPvRmT3_T4_T5_T6_T7_T9_mT8_P12ihipStream_tbDpT10_ENKUlT_T0_E_clISt17integral_constantIbLb1EES1C_IbLb0EEEEDaS18_S19_EUlS18_E_NS1_11comp_targetILNS1_3genE5ELNS1_11target_archE942ELNS1_3gpuE9ELNS1_3repE0EEENS1_30default_config_static_selectorELNS0_4arch9wavefront6targetE1EEEvT1_,@function
_ZN7rocprim17ROCPRIM_400000_NS6detail17trampoline_kernelINS0_14default_configENS1_25partition_config_selectorILNS1_17partition_subalgoE8EyNS0_10empty_typeEbEEZZNS1_14partition_implILS5_8ELb0ES3_jN6thrust23THRUST_200600_302600_NS6detail15normal_iteratorINSA_10device_ptrIyEEEEPS6_PKS6_NS0_5tupleIJNSA_16discard_iteratorINSA_11use_defaultEEES6_EEENSJ_IJSG_SG_EEENS0_18inequality_wrapperINSA_8equal_toIyEEEEPmJS6_EEE10hipError_tPvRmT3_T4_T5_T6_T7_T9_mT8_P12ihipStream_tbDpT10_ENKUlT_T0_E_clISt17integral_constantIbLb1EES1C_IbLb0EEEEDaS18_S19_EUlS18_E_NS1_11comp_targetILNS1_3genE5ELNS1_11target_archE942ELNS1_3gpuE9ELNS1_3repE0EEENS1_30default_config_static_selectorELNS0_4arch9wavefront6targetE1EEEvT1_: ; @_ZN7rocprim17ROCPRIM_400000_NS6detail17trampoline_kernelINS0_14default_configENS1_25partition_config_selectorILNS1_17partition_subalgoE8EyNS0_10empty_typeEbEEZZNS1_14partition_implILS5_8ELb0ES3_jN6thrust23THRUST_200600_302600_NS6detail15normal_iteratorINSA_10device_ptrIyEEEEPS6_PKS6_NS0_5tupleIJNSA_16discard_iteratorINSA_11use_defaultEEES6_EEENSJ_IJSG_SG_EEENS0_18inequality_wrapperINSA_8equal_toIyEEEEPmJS6_EEE10hipError_tPvRmT3_T4_T5_T6_T7_T9_mT8_P12ihipStream_tbDpT10_ENKUlT_T0_E_clISt17integral_constantIbLb1EES1C_IbLb0EEEEDaS18_S19_EUlS18_E_NS1_11comp_targetILNS1_3genE5ELNS1_11target_archE942ELNS1_3gpuE9ELNS1_3repE0EEENS1_30default_config_static_selectorELNS0_4arch9wavefront6targetE1EEEvT1_
; %bb.0:
	.section	.rodata,"a",@progbits
	.p2align	6, 0x0
	.amdhsa_kernel _ZN7rocprim17ROCPRIM_400000_NS6detail17trampoline_kernelINS0_14default_configENS1_25partition_config_selectorILNS1_17partition_subalgoE8EyNS0_10empty_typeEbEEZZNS1_14partition_implILS5_8ELb0ES3_jN6thrust23THRUST_200600_302600_NS6detail15normal_iteratorINSA_10device_ptrIyEEEEPS6_PKS6_NS0_5tupleIJNSA_16discard_iteratorINSA_11use_defaultEEES6_EEENSJ_IJSG_SG_EEENS0_18inequality_wrapperINSA_8equal_toIyEEEEPmJS6_EEE10hipError_tPvRmT3_T4_T5_T6_T7_T9_mT8_P12ihipStream_tbDpT10_ENKUlT_T0_E_clISt17integral_constantIbLb1EES1C_IbLb0EEEEDaS18_S19_EUlS18_E_NS1_11comp_targetILNS1_3genE5ELNS1_11target_archE942ELNS1_3gpuE9ELNS1_3repE0EEENS1_30default_config_static_selectorELNS0_4arch9wavefront6targetE1EEEvT1_
		.amdhsa_group_segment_fixed_size 0
		.amdhsa_private_segment_fixed_size 0
		.amdhsa_kernarg_size 120
		.amdhsa_user_sgpr_count 6
		.amdhsa_user_sgpr_private_segment_buffer 1
		.amdhsa_user_sgpr_dispatch_ptr 0
		.amdhsa_user_sgpr_queue_ptr 0
		.amdhsa_user_sgpr_kernarg_segment_ptr 1
		.amdhsa_user_sgpr_dispatch_id 0
		.amdhsa_user_sgpr_flat_scratch_init 0
		.amdhsa_user_sgpr_private_segment_size 0
		.amdhsa_uses_dynamic_stack 0
		.amdhsa_system_sgpr_private_segment_wavefront_offset 0
		.amdhsa_system_sgpr_workgroup_id_x 1
		.amdhsa_system_sgpr_workgroup_id_y 0
		.amdhsa_system_sgpr_workgroup_id_z 0
		.amdhsa_system_sgpr_workgroup_info 0
		.amdhsa_system_vgpr_workitem_id 0
		.amdhsa_next_free_vgpr 1
		.amdhsa_next_free_sgpr 0
		.amdhsa_reserve_vcc 0
		.amdhsa_reserve_flat_scratch 0
		.amdhsa_float_round_mode_32 0
		.amdhsa_float_round_mode_16_64 0
		.amdhsa_float_denorm_mode_32 3
		.amdhsa_float_denorm_mode_16_64 3
		.amdhsa_dx10_clamp 1
		.amdhsa_ieee_mode 1
		.amdhsa_fp16_overflow 0
		.amdhsa_exception_fp_ieee_invalid_op 0
		.amdhsa_exception_fp_denorm_src 0
		.amdhsa_exception_fp_ieee_div_zero 0
		.amdhsa_exception_fp_ieee_overflow 0
		.amdhsa_exception_fp_ieee_underflow 0
		.amdhsa_exception_fp_ieee_inexact 0
		.amdhsa_exception_int_div_zero 0
	.end_amdhsa_kernel
	.section	.text._ZN7rocprim17ROCPRIM_400000_NS6detail17trampoline_kernelINS0_14default_configENS1_25partition_config_selectorILNS1_17partition_subalgoE8EyNS0_10empty_typeEbEEZZNS1_14partition_implILS5_8ELb0ES3_jN6thrust23THRUST_200600_302600_NS6detail15normal_iteratorINSA_10device_ptrIyEEEEPS6_PKS6_NS0_5tupleIJNSA_16discard_iteratorINSA_11use_defaultEEES6_EEENSJ_IJSG_SG_EEENS0_18inequality_wrapperINSA_8equal_toIyEEEEPmJS6_EEE10hipError_tPvRmT3_T4_T5_T6_T7_T9_mT8_P12ihipStream_tbDpT10_ENKUlT_T0_E_clISt17integral_constantIbLb1EES1C_IbLb0EEEEDaS18_S19_EUlS18_E_NS1_11comp_targetILNS1_3genE5ELNS1_11target_archE942ELNS1_3gpuE9ELNS1_3repE0EEENS1_30default_config_static_selectorELNS0_4arch9wavefront6targetE1EEEvT1_,"axG",@progbits,_ZN7rocprim17ROCPRIM_400000_NS6detail17trampoline_kernelINS0_14default_configENS1_25partition_config_selectorILNS1_17partition_subalgoE8EyNS0_10empty_typeEbEEZZNS1_14partition_implILS5_8ELb0ES3_jN6thrust23THRUST_200600_302600_NS6detail15normal_iteratorINSA_10device_ptrIyEEEEPS6_PKS6_NS0_5tupleIJNSA_16discard_iteratorINSA_11use_defaultEEES6_EEENSJ_IJSG_SG_EEENS0_18inequality_wrapperINSA_8equal_toIyEEEEPmJS6_EEE10hipError_tPvRmT3_T4_T5_T6_T7_T9_mT8_P12ihipStream_tbDpT10_ENKUlT_T0_E_clISt17integral_constantIbLb1EES1C_IbLb0EEEEDaS18_S19_EUlS18_E_NS1_11comp_targetILNS1_3genE5ELNS1_11target_archE942ELNS1_3gpuE9ELNS1_3repE0EEENS1_30default_config_static_selectorELNS0_4arch9wavefront6targetE1EEEvT1_,comdat
.Lfunc_end550:
	.size	_ZN7rocprim17ROCPRIM_400000_NS6detail17trampoline_kernelINS0_14default_configENS1_25partition_config_selectorILNS1_17partition_subalgoE8EyNS0_10empty_typeEbEEZZNS1_14partition_implILS5_8ELb0ES3_jN6thrust23THRUST_200600_302600_NS6detail15normal_iteratorINSA_10device_ptrIyEEEEPS6_PKS6_NS0_5tupleIJNSA_16discard_iteratorINSA_11use_defaultEEES6_EEENSJ_IJSG_SG_EEENS0_18inequality_wrapperINSA_8equal_toIyEEEEPmJS6_EEE10hipError_tPvRmT3_T4_T5_T6_T7_T9_mT8_P12ihipStream_tbDpT10_ENKUlT_T0_E_clISt17integral_constantIbLb1EES1C_IbLb0EEEEDaS18_S19_EUlS18_E_NS1_11comp_targetILNS1_3genE5ELNS1_11target_archE942ELNS1_3gpuE9ELNS1_3repE0EEENS1_30default_config_static_selectorELNS0_4arch9wavefront6targetE1EEEvT1_, .Lfunc_end550-_ZN7rocprim17ROCPRIM_400000_NS6detail17trampoline_kernelINS0_14default_configENS1_25partition_config_selectorILNS1_17partition_subalgoE8EyNS0_10empty_typeEbEEZZNS1_14partition_implILS5_8ELb0ES3_jN6thrust23THRUST_200600_302600_NS6detail15normal_iteratorINSA_10device_ptrIyEEEEPS6_PKS6_NS0_5tupleIJNSA_16discard_iteratorINSA_11use_defaultEEES6_EEENSJ_IJSG_SG_EEENS0_18inequality_wrapperINSA_8equal_toIyEEEEPmJS6_EEE10hipError_tPvRmT3_T4_T5_T6_T7_T9_mT8_P12ihipStream_tbDpT10_ENKUlT_T0_E_clISt17integral_constantIbLb1EES1C_IbLb0EEEEDaS18_S19_EUlS18_E_NS1_11comp_targetILNS1_3genE5ELNS1_11target_archE942ELNS1_3gpuE9ELNS1_3repE0EEENS1_30default_config_static_selectorELNS0_4arch9wavefront6targetE1EEEvT1_
                                        ; -- End function
	.set _ZN7rocprim17ROCPRIM_400000_NS6detail17trampoline_kernelINS0_14default_configENS1_25partition_config_selectorILNS1_17partition_subalgoE8EyNS0_10empty_typeEbEEZZNS1_14partition_implILS5_8ELb0ES3_jN6thrust23THRUST_200600_302600_NS6detail15normal_iteratorINSA_10device_ptrIyEEEEPS6_PKS6_NS0_5tupleIJNSA_16discard_iteratorINSA_11use_defaultEEES6_EEENSJ_IJSG_SG_EEENS0_18inequality_wrapperINSA_8equal_toIyEEEEPmJS6_EEE10hipError_tPvRmT3_T4_T5_T6_T7_T9_mT8_P12ihipStream_tbDpT10_ENKUlT_T0_E_clISt17integral_constantIbLb1EES1C_IbLb0EEEEDaS18_S19_EUlS18_E_NS1_11comp_targetILNS1_3genE5ELNS1_11target_archE942ELNS1_3gpuE9ELNS1_3repE0EEENS1_30default_config_static_selectorELNS0_4arch9wavefront6targetE1EEEvT1_.num_vgpr, 0
	.set _ZN7rocprim17ROCPRIM_400000_NS6detail17trampoline_kernelINS0_14default_configENS1_25partition_config_selectorILNS1_17partition_subalgoE8EyNS0_10empty_typeEbEEZZNS1_14partition_implILS5_8ELb0ES3_jN6thrust23THRUST_200600_302600_NS6detail15normal_iteratorINSA_10device_ptrIyEEEEPS6_PKS6_NS0_5tupleIJNSA_16discard_iteratorINSA_11use_defaultEEES6_EEENSJ_IJSG_SG_EEENS0_18inequality_wrapperINSA_8equal_toIyEEEEPmJS6_EEE10hipError_tPvRmT3_T4_T5_T6_T7_T9_mT8_P12ihipStream_tbDpT10_ENKUlT_T0_E_clISt17integral_constantIbLb1EES1C_IbLb0EEEEDaS18_S19_EUlS18_E_NS1_11comp_targetILNS1_3genE5ELNS1_11target_archE942ELNS1_3gpuE9ELNS1_3repE0EEENS1_30default_config_static_selectorELNS0_4arch9wavefront6targetE1EEEvT1_.num_agpr, 0
	.set _ZN7rocprim17ROCPRIM_400000_NS6detail17trampoline_kernelINS0_14default_configENS1_25partition_config_selectorILNS1_17partition_subalgoE8EyNS0_10empty_typeEbEEZZNS1_14partition_implILS5_8ELb0ES3_jN6thrust23THRUST_200600_302600_NS6detail15normal_iteratorINSA_10device_ptrIyEEEEPS6_PKS6_NS0_5tupleIJNSA_16discard_iteratorINSA_11use_defaultEEES6_EEENSJ_IJSG_SG_EEENS0_18inequality_wrapperINSA_8equal_toIyEEEEPmJS6_EEE10hipError_tPvRmT3_T4_T5_T6_T7_T9_mT8_P12ihipStream_tbDpT10_ENKUlT_T0_E_clISt17integral_constantIbLb1EES1C_IbLb0EEEEDaS18_S19_EUlS18_E_NS1_11comp_targetILNS1_3genE5ELNS1_11target_archE942ELNS1_3gpuE9ELNS1_3repE0EEENS1_30default_config_static_selectorELNS0_4arch9wavefront6targetE1EEEvT1_.numbered_sgpr, 0
	.set _ZN7rocprim17ROCPRIM_400000_NS6detail17trampoline_kernelINS0_14default_configENS1_25partition_config_selectorILNS1_17partition_subalgoE8EyNS0_10empty_typeEbEEZZNS1_14partition_implILS5_8ELb0ES3_jN6thrust23THRUST_200600_302600_NS6detail15normal_iteratorINSA_10device_ptrIyEEEEPS6_PKS6_NS0_5tupleIJNSA_16discard_iteratorINSA_11use_defaultEEES6_EEENSJ_IJSG_SG_EEENS0_18inequality_wrapperINSA_8equal_toIyEEEEPmJS6_EEE10hipError_tPvRmT3_T4_T5_T6_T7_T9_mT8_P12ihipStream_tbDpT10_ENKUlT_T0_E_clISt17integral_constantIbLb1EES1C_IbLb0EEEEDaS18_S19_EUlS18_E_NS1_11comp_targetILNS1_3genE5ELNS1_11target_archE942ELNS1_3gpuE9ELNS1_3repE0EEENS1_30default_config_static_selectorELNS0_4arch9wavefront6targetE1EEEvT1_.num_named_barrier, 0
	.set _ZN7rocprim17ROCPRIM_400000_NS6detail17trampoline_kernelINS0_14default_configENS1_25partition_config_selectorILNS1_17partition_subalgoE8EyNS0_10empty_typeEbEEZZNS1_14partition_implILS5_8ELb0ES3_jN6thrust23THRUST_200600_302600_NS6detail15normal_iteratorINSA_10device_ptrIyEEEEPS6_PKS6_NS0_5tupleIJNSA_16discard_iteratorINSA_11use_defaultEEES6_EEENSJ_IJSG_SG_EEENS0_18inequality_wrapperINSA_8equal_toIyEEEEPmJS6_EEE10hipError_tPvRmT3_T4_T5_T6_T7_T9_mT8_P12ihipStream_tbDpT10_ENKUlT_T0_E_clISt17integral_constantIbLb1EES1C_IbLb0EEEEDaS18_S19_EUlS18_E_NS1_11comp_targetILNS1_3genE5ELNS1_11target_archE942ELNS1_3gpuE9ELNS1_3repE0EEENS1_30default_config_static_selectorELNS0_4arch9wavefront6targetE1EEEvT1_.private_seg_size, 0
	.set _ZN7rocprim17ROCPRIM_400000_NS6detail17trampoline_kernelINS0_14default_configENS1_25partition_config_selectorILNS1_17partition_subalgoE8EyNS0_10empty_typeEbEEZZNS1_14partition_implILS5_8ELb0ES3_jN6thrust23THRUST_200600_302600_NS6detail15normal_iteratorINSA_10device_ptrIyEEEEPS6_PKS6_NS0_5tupleIJNSA_16discard_iteratorINSA_11use_defaultEEES6_EEENSJ_IJSG_SG_EEENS0_18inequality_wrapperINSA_8equal_toIyEEEEPmJS6_EEE10hipError_tPvRmT3_T4_T5_T6_T7_T9_mT8_P12ihipStream_tbDpT10_ENKUlT_T0_E_clISt17integral_constantIbLb1EES1C_IbLb0EEEEDaS18_S19_EUlS18_E_NS1_11comp_targetILNS1_3genE5ELNS1_11target_archE942ELNS1_3gpuE9ELNS1_3repE0EEENS1_30default_config_static_selectorELNS0_4arch9wavefront6targetE1EEEvT1_.uses_vcc, 0
	.set _ZN7rocprim17ROCPRIM_400000_NS6detail17trampoline_kernelINS0_14default_configENS1_25partition_config_selectorILNS1_17partition_subalgoE8EyNS0_10empty_typeEbEEZZNS1_14partition_implILS5_8ELb0ES3_jN6thrust23THRUST_200600_302600_NS6detail15normal_iteratorINSA_10device_ptrIyEEEEPS6_PKS6_NS0_5tupleIJNSA_16discard_iteratorINSA_11use_defaultEEES6_EEENSJ_IJSG_SG_EEENS0_18inequality_wrapperINSA_8equal_toIyEEEEPmJS6_EEE10hipError_tPvRmT3_T4_T5_T6_T7_T9_mT8_P12ihipStream_tbDpT10_ENKUlT_T0_E_clISt17integral_constantIbLb1EES1C_IbLb0EEEEDaS18_S19_EUlS18_E_NS1_11comp_targetILNS1_3genE5ELNS1_11target_archE942ELNS1_3gpuE9ELNS1_3repE0EEENS1_30default_config_static_selectorELNS0_4arch9wavefront6targetE1EEEvT1_.uses_flat_scratch, 0
	.set _ZN7rocprim17ROCPRIM_400000_NS6detail17trampoline_kernelINS0_14default_configENS1_25partition_config_selectorILNS1_17partition_subalgoE8EyNS0_10empty_typeEbEEZZNS1_14partition_implILS5_8ELb0ES3_jN6thrust23THRUST_200600_302600_NS6detail15normal_iteratorINSA_10device_ptrIyEEEEPS6_PKS6_NS0_5tupleIJNSA_16discard_iteratorINSA_11use_defaultEEES6_EEENSJ_IJSG_SG_EEENS0_18inequality_wrapperINSA_8equal_toIyEEEEPmJS6_EEE10hipError_tPvRmT3_T4_T5_T6_T7_T9_mT8_P12ihipStream_tbDpT10_ENKUlT_T0_E_clISt17integral_constantIbLb1EES1C_IbLb0EEEEDaS18_S19_EUlS18_E_NS1_11comp_targetILNS1_3genE5ELNS1_11target_archE942ELNS1_3gpuE9ELNS1_3repE0EEENS1_30default_config_static_selectorELNS0_4arch9wavefront6targetE1EEEvT1_.has_dyn_sized_stack, 0
	.set _ZN7rocprim17ROCPRIM_400000_NS6detail17trampoline_kernelINS0_14default_configENS1_25partition_config_selectorILNS1_17partition_subalgoE8EyNS0_10empty_typeEbEEZZNS1_14partition_implILS5_8ELb0ES3_jN6thrust23THRUST_200600_302600_NS6detail15normal_iteratorINSA_10device_ptrIyEEEEPS6_PKS6_NS0_5tupleIJNSA_16discard_iteratorINSA_11use_defaultEEES6_EEENSJ_IJSG_SG_EEENS0_18inequality_wrapperINSA_8equal_toIyEEEEPmJS6_EEE10hipError_tPvRmT3_T4_T5_T6_T7_T9_mT8_P12ihipStream_tbDpT10_ENKUlT_T0_E_clISt17integral_constantIbLb1EES1C_IbLb0EEEEDaS18_S19_EUlS18_E_NS1_11comp_targetILNS1_3genE5ELNS1_11target_archE942ELNS1_3gpuE9ELNS1_3repE0EEENS1_30default_config_static_selectorELNS0_4arch9wavefront6targetE1EEEvT1_.has_recursion, 0
	.set _ZN7rocprim17ROCPRIM_400000_NS6detail17trampoline_kernelINS0_14default_configENS1_25partition_config_selectorILNS1_17partition_subalgoE8EyNS0_10empty_typeEbEEZZNS1_14partition_implILS5_8ELb0ES3_jN6thrust23THRUST_200600_302600_NS6detail15normal_iteratorINSA_10device_ptrIyEEEEPS6_PKS6_NS0_5tupleIJNSA_16discard_iteratorINSA_11use_defaultEEES6_EEENSJ_IJSG_SG_EEENS0_18inequality_wrapperINSA_8equal_toIyEEEEPmJS6_EEE10hipError_tPvRmT3_T4_T5_T6_T7_T9_mT8_P12ihipStream_tbDpT10_ENKUlT_T0_E_clISt17integral_constantIbLb1EES1C_IbLb0EEEEDaS18_S19_EUlS18_E_NS1_11comp_targetILNS1_3genE5ELNS1_11target_archE942ELNS1_3gpuE9ELNS1_3repE0EEENS1_30default_config_static_selectorELNS0_4arch9wavefront6targetE1EEEvT1_.has_indirect_call, 0
	.section	.AMDGPU.csdata,"",@progbits
; Kernel info:
; codeLenInByte = 0
; TotalNumSgprs: 4
; NumVgprs: 0
; ScratchSize: 0
; MemoryBound: 0
; FloatMode: 240
; IeeeMode: 1
; LDSByteSize: 0 bytes/workgroup (compile time only)
; SGPRBlocks: 0
; VGPRBlocks: 0
; NumSGPRsForWavesPerEU: 4
; NumVGPRsForWavesPerEU: 1
; Occupancy: 10
; WaveLimiterHint : 0
; COMPUTE_PGM_RSRC2:SCRATCH_EN: 0
; COMPUTE_PGM_RSRC2:USER_SGPR: 6
; COMPUTE_PGM_RSRC2:TRAP_HANDLER: 0
; COMPUTE_PGM_RSRC2:TGID_X_EN: 1
; COMPUTE_PGM_RSRC2:TGID_Y_EN: 0
; COMPUTE_PGM_RSRC2:TGID_Z_EN: 0
; COMPUTE_PGM_RSRC2:TIDIG_COMP_CNT: 0
	.section	.text._ZN7rocprim17ROCPRIM_400000_NS6detail17trampoline_kernelINS0_14default_configENS1_25partition_config_selectorILNS1_17partition_subalgoE8EyNS0_10empty_typeEbEEZZNS1_14partition_implILS5_8ELb0ES3_jN6thrust23THRUST_200600_302600_NS6detail15normal_iteratorINSA_10device_ptrIyEEEEPS6_PKS6_NS0_5tupleIJNSA_16discard_iteratorINSA_11use_defaultEEES6_EEENSJ_IJSG_SG_EEENS0_18inequality_wrapperINSA_8equal_toIyEEEEPmJS6_EEE10hipError_tPvRmT3_T4_T5_T6_T7_T9_mT8_P12ihipStream_tbDpT10_ENKUlT_T0_E_clISt17integral_constantIbLb1EES1C_IbLb0EEEEDaS18_S19_EUlS18_E_NS1_11comp_targetILNS1_3genE4ELNS1_11target_archE910ELNS1_3gpuE8ELNS1_3repE0EEENS1_30default_config_static_selectorELNS0_4arch9wavefront6targetE1EEEvT1_,"axG",@progbits,_ZN7rocprim17ROCPRIM_400000_NS6detail17trampoline_kernelINS0_14default_configENS1_25partition_config_selectorILNS1_17partition_subalgoE8EyNS0_10empty_typeEbEEZZNS1_14partition_implILS5_8ELb0ES3_jN6thrust23THRUST_200600_302600_NS6detail15normal_iteratorINSA_10device_ptrIyEEEEPS6_PKS6_NS0_5tupleIJNSA_16discard_iteratorINSA_11use_defaultEEES6_EEENSJ_IJSG_SG_EEENS0_18inequality_wrapperINSA_8equal_toIyEEEEPmJS6_EEE10hipError_tPvRmT3_T4_T5_T6_T7_T9_mT8_P12ihipStream_tbDpT10_ENKUlT_T0_E_clISt17integral_constantIbLb1EES1C_IbLb0EEEEDaS18_S19_EUlS18_E_NS1_11comp_targetILNS1_3genE4ELNS1_11target_archE910ELNS1_3gpuE8ELNS1_3repE0EEENS1_30default_config_static_selectorELNS0_4arch9wavefront6targetE1EEEvT1_,comdat
	.protected	_ZN7rocprim17ROCPRIM_400000_NS6detail17trampoline_kernelINS0_14default_configENS1_25partition_config_selectorILNS1_17partition_subalgoE8EyNS0_10empty_typeEbEEZZNS1_14partition_implILS5_8ELb0ES3_jN6thrust23THRUST_200600_302600_NS6detail15normal_iteratorINSA_10device_ptrIyEEEEPS6_PKS6_NS0_5tupleIJNSA_16discard_iteratorINSA_11use_defaultEEES6_EEENSJ_IJSG_SG_EEENS0_18inequality_wrapperINSA_8equal_toIyEEEEPmJS6_EEE10hipError_tPvRmT3_T4_T5_T6_T7_T9_mT8_P12ihipStream_tbDpT10_ENKUlT_T0_E_clISt17integral_constantIbLb1EES1C_IbLb0EEEEDaS18_S19_EUlS18_E_NS1_11comp_targetILNS1_3genE4ELNS1_11target_archE910ELNS1_3gpuE8ELNS1_3repE0EEENS1_30default_config_static_selectorELNS0_4arch9wavefront6targetE1EEEvT1_ ; -- Begin function _ZN7rocprim17ROCPRIM_400000_NS6detail17trampoline_kernelINS0_14default_configENS1_25partition_config_selectorILNS1_17partition_subalgoE8EyNS0_10empty_typeEbEEZZNS1_14partition_implILS5_8ELb0ES3_jN6thrust23THRUST_200600_302600_NS6detail15normal_iteratorINSA_10device_ptrIyEEEEPS6_PKS6_NS0_5tupleIJNSA_16discard_iteratorINSA_11use_defaultEEES6_EEENSJ_IJSG_SG_EEENS0_18inequality_wrapperINSA_8equal_toIyEEEEPmJS6_EEE10hipError_tPvRmT3_T4_T5_T6_T7_T9_mT8_P12ihipStream_tbDpT10_ENKUlT_T0_E_clISt17integral_constantIbLb1EES1C_IbLb0EEEEDaS18_S19_EUlS18_E_NS1_11comp_targetILNS1_3genE4ELNS1_11target_archE910ELNS1_3gpuE8ELNS1_3repE0EEENS1_30default_config_static_selectorELNS0_4arch9wavefront6targetE1EEEvT1_
	.globl	_ZN7rocprim17ROCPRIM_400000_NS6detail17trampoline_kernelINS0_14default_configENS1_25partition_config_selectorILNS1_17partition_subalgoE8EyNS0_10empty_typeEbEEZZNS1_14partition_implILS5_8ELb0ES3_jN6thrust23THRUST_200600_302600_NS6detail15normal_iteratorINSA_10device_ptrIyEEEEPS6_PKS6_NS0_5tupleIJNSA_16discard_iteratorINSA_11use_defaultEEES6_EEENSJ_IJSG_SG_EEENS0_18inequality_wrapperINSA_8equal_toIyEEEEPmJS6_EEE10hipError_tPvRmT3_T4_T5_T6_T7_T9_mT8_P12ihipStream_tbDpT10_ENKUlT_T0_E_clISt17integral_constantIbLb1EES1C_IbLb0EEEEDaS18_S19_EUlS18_E_NS1_11comp_targetILNS1_3genE4ELNS1_11target_archE910ELNS1_3gpuE8ELNS1_3repE0EEENS1_30default_config_static_selectorELNS0_4arch9wavefront6targetE1EEEvT1_
	.p2align	8
	.type	_ZN7rocprim17ROCPRIM_400000_NS6detail17trampoline_kernelINS0_14default_configENS1_25partition_config_selectorILNS1_17partition_subalgoE8EyNS0_10empty_typeEbEEZZNS1_14partition_implILS5_8ELb0ES3_jN6thrust23THRUST_200600_302600_NS6detail15normal_iteratorINSA_10device_ptrIyEEEEPS6_PKS6_NS0_5tupleIJNSA_16discard_iteratorINSA_11use_defaultEEES6_EEENSJ_IJSG_SG_EEENS0_18inequality_wrapperINSA_8equal_toIyEEEEPmJS6_EEE10hipError_tPvRmT3_T4_T5_T6_T7_T9_mT8_P12ihipStream_tbDpT10_ENKUlT_T0_E_clISt17integral_constantIbLb1EES1C_IbLb0EEEEDaS18_S19_EUlS18_E_NS1_11comp_targetILNS1_3genE4ELNS1_11target_archE910ELNS1_3gpuE8ELNS1_3repE0EEENS1_30default_config_static_selectorELNS0_4arch9wavefront6targetE1EEEvT1_,@function
_ZN7rocprim17ROCPRIM_400000_NS6detail17trampoline_kernelINS0_14default_configENS1_25partition_config_selectorILNS1_17partition_subalgoE8EyNS0_10empty_typeEbEEZZNS1_14partition_implILS5_8ELb0ES3_jN6thrust23THRUST_200600_302600_NS6detail15normal_iteratorINSA_10device_ptrIyEEEEPS6_PKS6_NS0_5tupleIJNSA_16discard_iteratorINSA_11use_defaultEEES6_EEENSJ_IJSG_SG_EEENS0_18inequality_wrapperINSA_8equal_toIyEEEEPmJS6_EEE10hipError_tPvRmT3_T4_T5_T6_T7_T9_mT8_P12ihipStream_tbDpT10_ENKUlT_T0_E_clISt17integral_constantIbLb1EES1C_IbLb0EEEEDaS18_S19_EUlS18_E_NS1_11comp_targetILNS1_3genE4ELNS1_11target_archE910ELNS1_3gpuE8ELNS1_3repE0EEENS1_30default_config_static_selectorELNS0_4arch9wavefront6targetE1EEEvT1_: ; @_ZN7rocprim17ROCPRIM_400000_NS6detail17trampoline_kernelINS0_14default_configENS1_25partition_config_selectorILNS1_17partition_subalgoE8EyNS0_10empty_typeEbEEZZNS1_14partition_implILS5_8ELb0ES3_jN6thrust23THRUST_200600_302600_NS6detail15normal_iteratorINSA_10device_ptrIyEEEEPS6_PKS6_NS0_5tupleIJNSA_16discard_iteratorINSA_11use_defaultEEES6_EEENSJ_IJSG_SG_EEENS0_18inequality_wrapperINSA_8equal_toIyEEEEPmJS6_EEE10hipError_tPvRmT3_T4_T5_T6_T7_T9_mT8_P12ihipStream_tbDpT10_ENKUlT_T0_E_clISt17integral_constantIbLb1EES1C_IbLb0EEEEDaS18_S19_EUlS18_E_NS1_11comp_targetILNS1_3genE4ELNS1_11target_archE910ELNS1_3gpuE8ELNS1_3repE0EEENS1_30default_config_static_selectorELNS0_4arch9wavefront6targetE1EEEvT1_
; %bb.0:
	.section	.rodata,"a",@progbits
	.p2align	6, 0x0
	.amdhsa_kernel _ZN7rocprim17ROCPRIM_400000_NS6detail17trampoline_kernelINS0_14default_configENS1_25partition_config_selectorILNS1_17partition_subalgoE8EyNS0_10empty_typeEbEEZZNS1_14partition_implILS5_8ELb0ES3_jN6thrust23THRUST_200600_302600_NS6detail15normal_iteratorINSA_10device_ptrIyEEEEPS6_PKS6_NS0_5tupleIJNSA_16discard_iteratorINSA_11use_defaultEEES6_EEENSJ_IJSG_SG_EEENS0_18inequality_wrapperINSA_8equal_toIyEEEEPmJS6_EEE10hipError_tPvRmT3_T4_T5_T6_T7_T9_mT8_P12ihipStream_tbDpT10_ENKUlT_T0_E_clISt17integral_constantIbLb1EES1C_IbLb0EEEEDaS18_S19_EUlS18_E_NS1_11comp_targetILNS1_3genE4ELNS1_11target_archE910ELNS1_3gpuE8ELNS1_3repE0EEENS1_30default_config_static_selectorELNS0_4arch9wavefront6targetE1EEEvT1_
		.amdhsa_group_segment_fixed_size 0
		.amdhsa_private_segment_fixed_size 0
		.amdhsa_kernarg_size 120
		.amdhsa_user_sgpr_count 6
		.amdhsa_user_sgpr_private_segment_buffer 1
		.amdhsa_user_sgpr_dispatch_ptr 0
		.amdhsa_user_sgpr_queue_ptr 0
		.amdhsa_user_sgpr_kernarg_segment_ptr 1
		.amdhsa_user_sgpr_dispatch_id 0
		.amdhsa_user_sgpr_flat_scratch_init 0
		.amdhsa_user_sgpr_private_segment_size 0
		.amdhsa_uses_dynamic_stack 0
		.amdhsa_system_sgpr_private_segment_wavefront_offset 0
		.amdhsa_system_sgpr_workgroup_id_x 1
		.amdhsa_system_sgpr_workgroup_id_y 0
		.amdhsa_system_sgpr_workgroup_id_z 0
		.amdhsa_system_sgpr_workgroup_info 0
		.amdhsa_system_vgpr_workitem_id 0
		.amdhsa_next_free_vgpr 1
		.amdhsa_next_free_sgpr 0
		.amdhsa_reserve_vcc 0
		.amdhsa_reserve_flat_scratch 0
		.amdhsa_float_round_mode_32 0
		.amdhsa_float_round_mode_16_64 0
		.amdhsa_float_denorm_mode_32 3
		.amdhsa_float_denorm_mode_16_64 3
		.amdhsa_dx10_clamp 1
		.amdhsa_ieee_mode 1
		.amdhsa_fp16_overflow 0
		.amdhsa_exception_fp_ieee_invalid_op 0
		.amdhsa_exception_fp_denorm_src 0
		.amdhsa_exception_fp_ieee_div_zero 0
		.amdhsa_exception_fp_ieee_overflow 0
		.amdhsa_exception_fp_ieee_underflow 0
		.amdhsa_exception_fp_ieee_inexact 0
		.amdhsa_exception_int_div_zero 0
	.end_amdhsa_kernel
	.section	.text._ZN7rocprim17ROCPRIM_400000_NS6detail17trampoline_kernelINS0_14default_configENS1_25partition_config_selectorILNS1_17partition_subalgoE8EyNS0_10empty_typeEbEEZZNS1_14partition_implILS5_8ELb0ES3_jN6thrust23THRUST_200600_302600_NS6detail15normal_iteratorINSA_10device_ptrIyEEEEPS6_PKS6_NS0_5tupleIJNSA_16discard_iteratorINSA_11use_defaultEEES6_EEENSJ_IJSG_SG_EEENS0_18inequality_wrapperINSA_8equal_toIyEEEEPmJS6_EEE10hipError_tPvRmT3_T4_T5_T6_T7_T9_mT8_P12ihipStream_tbDpT10_ENKUlT_T0_E_clISt17integral_constantIbLb1EES1C_IbLb0EEEEDaS18_S19_EUlS18_E_NS1_11comp_targetILNS1_3genE4ELNS1_11target_archE910ELNS1_3gpuE8ELNS1_3repE0EEENS1_30default_config_static_selectorELNS0_4arch9wavefront6targetE1EEEvT1_,"axG",@progbits,_ZN7rocprim17ROCPRIM_400000_NS6detail17trampoline_kernelINS0_14default_configENS1_25partition_config_selectorILNS1_17partition_subalgoE8EyNS0_10empty_typeEbEEZZNS1_14partition_implILS5_8ELb0ES3_jN6thrust23THRUST_200600_302600_NS6detail15normal_iteratorINSA_10device_ptrIyEEEEPS6_PKS6_NS0_5tupleIJNSA_16discard_iteratorINSA_11use_defaultEEES6_EEENSJ_IJSG_SG_EEENS0_18inequality_wrapperINSA_8equal_toIyEEEEPmJS6_EEE10hipError_tPvRmT3_T4_T5_T6_T7_T9_mT8_P12ihipStream_tbDpT10_ENKUlT_T0_E_clISt17integral_constantIbLb1EES1C_IbLb0EEEEDaS18_S19_EUlS18_E_NS1_11comp_targetILNS1_3genE4ELNS1_11target_archE910ELNS1_3gpuE8ELNS1_3repE0EEENS1_30default_config_static_selectorELNS0_4arch9wavefront6targetE1EEEvT1_,comdat
.Lfunc_end551:
	.size	_ZN7rocprim17ROCPRIM_400000_NS6detail17trampoline_kernelINS0_14default_configENS1_25partition_config_selectorILNS1_17partition_subalgoE8EyNS0_10empty_typeEbEEZZNS1_14partition_implILS5_8ELb0ES3_jN6thrust23THRUST_200600_302600_NS6detail15normal_iteratorINSA_10device_ptrIyEEEEPS6_PKS6_NS0_5tupleIJNSA_16discard_iteratorINSA_11use_defaultEEES6_EEENSJ_IJSG_SG_EEENS0_18inequality_wrapperINSA_8equal_toIyEEEEPmJS6_EEE10hipError_tPvRmT3_T4_T5_T6_T7_T9_mT8_P12ihipStream_tbDpT10_ENKUlT_T0_E_clISt17integral_constantIbLb1EES1C_IbLb0EEEEDaS18_S19_EUlS18_E_NS1_11comp_targetILNS1_3genE4ELNS1_11target_archE910ELNS1_3gpuE8ELNS1_3repE0EEENS1_30default_config_static_selectorELNS0_4arch9wavefront6targetE1EEEvT1_, .Lfunc_end551-_ZN7rocprim17ROCPRIM_400000_NS6detail17trampoline_kernelINS0_14default_configENS1_25partition_config_selectorILNS1_17partition_subalgoE8EyNS0_10empty_typeEbEEZZNS1_14partition_implILS5_8ELb0ES3_jN6thrust23THRUST_200600_302600_NS6detail15normal_iteratorINSA_10device_ptrIyEEEEPS6_PKS6_NS0_5tupleIJNSA_16discard_iteratorINSA_11use_defaultEEES6_EEENSJ_IJSG_SG_EEENS0_18inequality_wrapperINSA_8equal_toIyEEEEPmJS6_EEE10hipError_tPvRmT3_T4_T5_T6_T7_T9_mT8_P12ihipStream_tbDpT10_ENKUlT_T0_E_clISt17integral_constantIbLb1EES1C_IbLb0EEEEDaS18_S19_EUlS18_E_NS1_11comp_targetILNS1_3genE4ELNS1_11target_archE910ELNS1_3gpuE8ELNS1_3repE0EEENS1_30default_config_static_selectorELNS0_4arch9wavefront6targetE1EEEvT1_
                                        ; -- End function
	.set _ZN7rocprim17ROCPRIM_400000_NS6detail17trampoline_kernelINS0_14default_configENS1_25partition_config_selectorILNS1_17partition_subalgoE8EyNS0_10empty_typeEbEEZZNS1_14partition_implILS5_8ELb0ES3_jN6thrust23THRUST_200600_302600_NS6detail15normal_iteratorINSA_10device_ptrIyEEEEPS6_PKS6_NS0_5tupleIJNSA_16discard_iteratorINSA_11use_defaultEEES6_EEENSJ_IJSG_SG_EEENS0_18inequality_wrapperINSA_8equal_toIyEEEEPmJS6_EEE10hipError_tPvRmT3_T4_T5_T6_T7_T9_mT8_P12ihipStream_tbDpT10_ENKUlT_T0_E_clISt17integral_constantIbLb1EES1C_IbLb0EEEEDaS18_S19_EUlS18_E_NS1_11comp_targetILNS1_3genE4ELNS1_11target_archE910ELNS1_3gpuE8ELNS1_3repE0EEENS1_30default_config_static_selectorELNS0_4arch9wavefront6targetE1EEEvT1_.num_vgpr, 0
	.set _ZN7rocprim17ROCPRIM_400000_NS6detail17trampoline_kernelINS0_14default_configENS1_25partition_config_selectorILNS1_17partition_subalgoE8EyNS0_10empty_typeEbEEZZNS1_14partition_implILS5_8ELb0ES3_jN6thrust23THRUST_200600_302600_NS6detail15normal_iteratorINSA_10device_ptrIyEEEEPS6_PKS6_NS0_5tupleIJNSA_16discard_iteratorINSA_11use_defaultEEES6_EEENSJ_IJSG_SG_EEENS0_18inequality_wrapperINSA_8equal_toIyEEEEPmJS6_EEE10hipError_tPvRmT3_T4_T5_T6_T7_T9_mT8_P12ihipStream_tbDpT10_ENKUlT_T0_E_clISt17integral_constantIbLb1EES1C_IbLb0EEEEDaS18_S19_EUlS18_E_NS1_11comp_targetILNS1_3genE4ELNS1_11target_archE910ELNS1_3gpuE8ELNS1_3repE0EEENS1_30default_config_static_selectorELNS0_4arch9wavefront6targetE1EEEvT1_.num_agpr, 0
	.set _ZN7rocprim17ROCPRIM_400000_NS6detail17trampoline_kernelINS0_14default_configENS1_25partition_config_selectorILNS1_17partition_subalgoE8EyNS0_10empty_typeEbEEZZNS1_14partition_implILS5_8ELb0ES3_jN6thrust23THRUST_200600_302600_NS6detail15normal_iteratorINSA_10device_ptrIyEEEEPS6_PKS6_NS0_5tupleIJNSA_16discard_iteratorINSA_11use_defaultEEES6_EEENSJ_IJSG_SG_EEENS0_18inequality_wrapperINSA_8equal_toIyEEEEPmJS6_EEE10hipError_tPvRmT3_T4_T5_T6_T7_T9_mT8_P12ihipStream_tbDpT10_ENKUlT_T0_E_clISt17integral_constantIbLb1EES1C_IbLb0EEEEDaS18_S19_EUlS18_E_NS1_11comp_targetILNS1_3genE4ELNS1_11target_archE910ELNS1_3gpuE8ELNS1_3repE0EEENS1_30default_config_static_selectorELNS0_4arch9wavefront6targetE1EEEvT1_.numbered_sgpr, 0
	.set _ZN7rocprim17ROCPRIM_400000_NS6detail17trampoline_kernelINS0_14default_configENS1_25partition_config_selectorILNS1_17partition_subalgoE8EyNS0_10empty_typeEbEEZZNS1_14partition_implILS5_8ELb0ES3_jN6thrust23THRUST_200600_302600_NS6detail15normal_iteratorINSA_10device_ptrIyEEEEPS6_PKS6_NS0_5tupleIJNSA_16discard_iteratorINSA_11use_defaultEEES6_EEENSJ_IJSG_SG_EEENS0_18inequality_wrapperINSA_8equal_toIyEEEEPmJS6_EEE10hipError_tPvRmT3_T4_T5_T6_T7_T9_mT8_P12ihipStream_tbDpT10_ENKUlT_T0_E_clISt17integral_constantIbLb1EES1C_IbLb0EEEEDaS18_S19_EUlS18_E_NS1_11comp_targetILNS1_3genE4ELNS1_11target_archE910ELNS1_3gpuE8ELNS1_3repE0EEENS1_30default_config_static_selectorELNS0_4arch9wavefront6targetE1EEEvT1_.num_named_barrier, 0
	.set _ZN7rocprim17ROCPRIM_400000_NS6detail17trampoline_kernelINS0_14default_configENS1_25partition_config_selectorILNS1_17partition_subalgoE8EyNS0_10empty_typeEbEEZZNS1_14partition_implILS5_8ELb0ES3_jN6thrust23THRUST_200600_302600_NS6detail15normal_iteratorINSA_10device_ptrIyEEEEPS6_PKS6_NS0_5tupleIJNSA_16discard_iteratorINSA_11use_defaultEEES6_EEENSJ_IJSG_SG_EEENS0_18inequality_wrapperINSA_8equal_toIyEEEEPmJS6_EEE10hipError_tPvRmT3_T4_T5_T6_T7_T9_mT8_P12ihipStream_tbDpT10_ENKUlT_T0_E_clISt17integral_constantIbLb1EES1C_IbLb0EEEEDaS18_S19_EUlS18_E_NS1_11comp_targetILNS1_3genE4ELNS1_11target_archE910ELNS1_3gpuE8ELNS1_3repE0EEENS1_30default_config_static_selectorELNS0_4arch9wavefront6targetE1EEEvT1_.private_seg_size, 0
	.set _ZN7rocprim17ROCPRIM_400000_NS6detail17trampoline_kernelINS0_14default_configENS1_25partition_config_selectorILNS1_17partition_subalgoE8EyNS0_10empty_typeEbEEZZNS1_14partition_implILS5_8ELb0ES3_jN6thrust23THRUST_200600_302600_NS6detail15normal_iteratorINSA_10device_ptrIyEEEEPS6_PKS6_NS0_5tupleIJNSA_16discard_iteratorINSA_11use_defaultEEES6_EEENSJ_IJSG_SG_EEENS0_18inequality_wrapperINSA_8equal_toIyEEEEPmJS6_EEE10hipError_tPvRmT3_T4_T5_T6_T7_T9_mT8_P12ihipStream_tbDpT10_ENKUlT_T0_E_clISt17integral_constantIbLb1EES1C_IbLb0EEEEDaS18_S19_EUlS18_E_NS1_11comp_targetILNS1_3genE4ELNS1_11target_archE910ELNS1_3gpuE8ELNS1_3repE0EEENS1_30default_config_static_selectorELNS0_4arch9wavefront6targetE1EEEvT1_.uses_vcc, 0
	.set _ZN7rocprim17ROCPRIM_400000_NS6detail17trampoline_kernelINS0_14default_configENS1_25partition_config_selectorILNS1_17partition_subalgoE8EyNS0_10empty_typeEbEEZZNS1_14partition_implILS5_8ELb0ES3_jN6thrust23THRUST_200600_302600_NS6detail15normal_iteratorINSA_10device_ptrIyEEEEPS6_PKS6_NS0_5tupleIJNSA_16discard_iteratorINSA_11use_defaultEEES6_EEENSJ_IJSG_SG_EEENS0_18inequality_wrapperINSA_8equal_toIyEEEEPmJS6_EEE10hipError_tPvRmT3_T4_T5_T6_T7_T9_mT8_P12ihipStream_tbDpT10_ENKUlT_T0_E_clISt17integral_constantIbLb1EES1C_IbLb0EEEEDaS18_S19_EUlS18_E_NS1_11comp_targetILNS1_3genE4ELNS1_11target_archE910ELNS1_3gpuE8ELNS1_3repE0EEENS1_30default_config_static_selectorELNS0_4arch9wavefront6targetE1EEEvT1_.uses_flat_scratch, 0
	.set _ZN7rocprim17ROCPRIM_400000_NS6detail17trampoline_kernelINS0_14default_configENS1_25partition_config_selectorILNS1_17partition_subalgoE8EyNS0_10empty_typeEbEEZZNS1_14partition_implILS5_8ELb0ES3_jN6thrust23THRUST_200600_302600_NS6detail15normal_iteratorINSA_10device_ptrIyEEEEPS6_PKS6_NS0_5tupleIJNSA_16discard_iteratorINSA_11use_defaultEEES6_EEENSJ_IJSG_SG_EEENS0_18inequality_wrapperINSA_8equal_toIyEEEEPmJS6_EEE10hipError_tPvRmT3_T4_T5_T6_T7_T9_mT8_P12ihipStream_tbDpT10_ENKUlT_T0_E_clISt17integral_constantIbLb1EES1C_IbLb0EEEEDaS18_S19_EUlS18_E_NS1_11comp_targetILNS1_3genE4ELNS1_11target_archE910ELNS1_3gpuE8ELNS1_3repE0EEENS1_30default_config_static_selectorELNS0_4arch9wavefront6targetE1EEEvT1_.has_dyn_sized_stack, 0
	.set _ZN7rocprim17ROCPRIM_400000_NS6detail17trampoline_kernelINS0_14default_configENS1_25partition_config_selectorILNS1_17partition_subalgoE8EyNS0_10empty_typeEbEEZZNS1_14partition_implILS5_8ELb0ES3_jN6thrust23THRUST_200600_302600_NS6detail15normal_iteratorINSA_10device_ptrIyEEEEPS6_PKS6_NS0_5tupleIJNSA_16discard_iteratorINSA_11use_defaultEEES6_EEENSJ_IJSG_SG_EEENS0_18inequality_wrapperINSA_8equal_toIyEEEEPmJS6_EEE10hipError_tPvRmT3_T4_T5_T6_T7_T9_mT8_P12ihipStream_tbDpT10_ENKUlT_T0_E_clISt17integral_constantIbLb1EES1C_IbLb0EEEEDaS18_S19_EUlS18_E_NS1_11comp_targetILNS1_3genE4ELNS1_11target_archE910ELNS1_3gpuE8ELNS1_3repE0EEENS1_30default_config_static_selectorELNS0_4arch9wavefront6targetE1EEEvT1_.has_recursion, 0
	.set _ZN7rocprim17ROCPRIM_400000_NS6detail17trampoline_kernelINS0_14default_configENS1_25partition_config_selectorILNS1_17partition_subalgoE8EyNS0_10empty_typeEbEEZZNS1_14partition_implILS5_8ELb0ES3_jN6thrust23THRUST_200600_302600_NS6detail15normal_iteratorINSA_10device_ptrIyEEEEPS6_PKS6_NS0_5tupleIJNSA_16discard_iteratorINSA_11use_defaultEEES6_EEENSJ_IJSG_SG_EEENS0_18inequality_wrapperINSA_8equal_toIyEEEEPmJS6_EEE10hipError_tPvRmT3_T4_T5_T6_T7_T9_mT8_P12ihipStream_tbDpT10_ENKUlT_T0_E_clISt17integral_constantIbLb1EES1C_IbLb0EEEEDaS18_S19_EUlS18_E_NS1_11comp_targetILNS1_3genE4ELNS1_11target_archE910ELNS1_3gpuE8ELNS1_3repE0EEENS1_30default_config_static_selectorELNS0_4arch9wavefront6targetE1EEEvT1_.has_indirect_call, 0
	.section	.AMDGPU.csdata,"",@progbits
; Kernel info:
; codeLenInByte = 0
; TotalNumSgprs: 4
; NumVgprs: 0
; ScratchSize: 0
; MemoryBound: 0
; FloatMode: 240
; IeeeMode: 1
; LDSByteSize: 0 bytes/workgroup (compile time only)
; SGPRBlocks: 0
; VGPRBlocks: 0
; NumSGPRsForWavesPerEU: 4
; NumVGPRsForWavesPerEU: 1
; Occupancy: 10
; WaveLimiterHint : 0
; COMPUTE_PGM_RSRC2:SCRATCH_EN: 0
; COMPUTE_PGM_RSRC2:USER_SGPR: 6
; COMPUTE_PGM_RSRC2:TRAP_HANDLER: 0
; COMPUTE_PGM_RSRC2:TGID_X_EN: 1
; COMPUTE_PGM_RSRC2:TGID_Y_EN: 0
; COMPUTE_PGM_RSRC2:TGID_Z_EN: 0
; COMPUTE_PGM_RSRC2:TIDIG_COMP_CNT: 0
	.section	.text._ZN7rocprim17ROCPRIM_400000_NS6detail17trampoline_kernelINS0_14default_configENS1_25partition_config_selectorILNS1_17partition_subalgoE8EyNS0_10empty_typeEbEEZZNS1_14partition_implILS5_8ELb0ES3_jN6thrust23THRUST_200600_302600_NS6detail15normal_iteratorINSA_10device_ptrIyEEEEPS6_PKS6_NS0_5tupleIJNSA_16discard_iteratorINSA_11use_defaultEEES6_EEENSJ_IJSG_SG_EEENS0_18inequality_wrapperINSA_8equal_toIyEEEEPmJS6_EEE10hipError_tPvRmT3_T4_T5_T6_T7_T9_mT8_P12ihipStream_tbDpT10_ENKUlT_T0_E_clISt17integral_constantIbLb1EES1C_IbLb0EEEEDaS18_S19_EUlS18_E_NS1_11comp_targetILNS1_3genE3ELNS1_11target_archE908ELNS1_3gpuE7ELNS1_3repE0EEENS1_30default_config_static_selectorELNS0_4arch9wavefront6targetE1EEEvT1_,"axG",@progbits,_ZN7rocprim17ROCPRIM_400000_NS6detail17trampoline_kernelINS0_14default_configENS1_25partition_config_selectorILNS1_17partition_subalgoE8EyNS0_10empty_typeEbEEZZNS1_14partition_implILS5_8ELb0ES3_jN6thrust23THRUST_200600_302600_NS6detail15normal_iteratorINSA_10device_ptrIyEEEEPS6_PKS6_NS0_5tupleIJNSA_16discard_iteratorINSA_11use_defaultEEES6_EEENSJ_IJSG_SG_EEENS0_18inequality_wrapperINSA_8equal_toIyEEEEPmJS6_EEE10hipError_tPvRmT3_T4_T5_T6_T7_T9_mT8_P12ihipStream_tbDpT10_ENKUlT_T0_E_clISt17integral_constantIbLb1EES1C_IbLb0EEEEDaS18_S19_EUlS18_E_NS1_11comp_targetILNS1_3genE3ELNS1_11target_archE908ELNS1_3gpuE7ELNS1_3repE0EEENS1_30default_config_static_selectorELNS0_4arch9wavefront6targetE1EEEvT1_,comdat
	.protected	_ZN7rocprim17ROCPRIM_400000_NS6detail17trampoline_kernelINS0_14default_configENS1_25partition_config_selectorILNS1_17partition_subalgoE8EyNS0_10empty_typeEbEEZZNS1_14partition_implILS5_8ELb0ES3_jN6thrust23THRUST_200600_302600_NS6detail15normal_iteratorINSA_10device_ptrIyEEEEPS6_PKS6_NS0_5tupleIJNSA_16discard_iteratorINSA_11use_defaultEEES6_EEENSJ_IJSG_SG_EEENS0_18inequality_wrapperINSA_8equal_toIyEEEEPmJS6_EEE10hipError_tPvRmT3_T4_T5_T6_T7_T9_mT8_P12ihipStream_tbDpT10_ENKUlT_T0_E_clISt17integral_constantIbLb1EES1C_IbLb0EEEEDaS18_S19_EUlS18_E_NS1_11comp_targetILNS1_3genE3ELNS1_11target_archE908ELNS1_3gpuE7ELNS1_3repE0EEENS1_30default_config_static_selectorELNS0_4arch9wavefront6targetE1EEEvT1_ ; -- Begin function _ZN7rocprim17ROCPRIM_400000_NS6detail17trampoline_kernelINS0_14default_configENS1_25partition_config_selectorILNS1_17partition_subalgoE8EyNS0_10empty_typeEbEEZZNS1_14partition_implILS5_8ELb0ES3_jN6thrust23THRUST_200600_302600_NS6detail15normal_iteratorINSA_10device_ptrIyEEEEPS6_PKS6_NS0_5tupleIJNSA_16discard_iteratorINSA_11use_defaultEEES6_EEENSJ_IJSG_SG_EEENS0_18inequality_wrapperINSA_8equal_toIyEEEEPmJS6_EEE10hipError_tPvRmT3_T4_T5_T6_T7_T9_mT8_P12ihipStream_tbDpT10_ENKUlT_T0_E_clISt17integral_constantIbLb1EES1C_IbLb0EEEEDaS18_S19_EUlS18_E_NS1_11comp_targetILNS1_3genE3ELNS1_11target_archE908ELNS1_3gpuE7ELNS1_3repE0EEENS1_30default_config_static_selectorELNS0_4arch9wavefront6targetE1EEEvT1_
	.globl	_ZN7rocprim17ROCPRIM_400000_NS6detail17trampoline_kernelINS0_14default_configENS1_25partition_config_selectorILNS1_17partition_subalgoE8EyNS0_10empty_typeEbEEZZNS1_14partition_implILS5_8ELb0ES3_jN6thrust23THRUST_200600_302600_NS6detail15normal_iteratorINSA_10device_ptrIyEEEEPS6_PKS6_NS0_5tupleIJNSA_16discard_iteratorINSA_11use_defaultEEES6_EEENSJ_IJSG_SG_EEENS0_18inequality_wrapperINSA_8equal_toIyEEEEPmJS6_EEE10hipError_tPvRmT3_T4_T5_T6_T7_T9_mT8_P12ihipStream_tbDpT10_ENKUlT_T0_E_clISt17integral_constantIbLb1EES1C_IbLb0EEEEDaS18_S19_EUlS18_E_NS1_11comp_targetILNS1_3genE3ELNS1_11target_archE908ELNS1_3gpuE7ELNS1_3repE0EEENS1_30default_config_static_selectorELNS0_4arch9wavefront6targetE1EEEvT1_
	.p2align	8
	.type	_ZN7rocprim17ROCPRIM_400000_NS6detail17trampoline_kernelINS0_14default_configENS1_25partition_config_selectorILNS1_17partition_subalgoE8EyNS0_10empty_typeEbEEZZNS1_14partition_implILS5_8ELb0ES3_jN6thrust23THRUST_200600_302600_NS6detail15normal_iteratorINSA_10device_ptrIyEEEEPS6_PKS6_NS0_5tupleIJNSA_16discard_iteratorINSA_11use_defaultEEES6_EEENSJ_IJSG_SG_EEENS0_18inequality_wrapperINSA_8equal_toIyEEEEPmJS6_EEE10hipError_tPvRmT3_T4_T5_T6_T7_T9_mT8_P12ihipStream_tbDpT10_ENKUlT_T0_E_clISt17integral_constantIbLb1EES1C_IbLb0EEEEDaS18_S19_EUlS18_E_NS1_11comp_targetILNS1_3genE3ELNS1_11target_archE908ELNS1_3gpuE7ELNS1_3repE0EEENS1_30default_config_static_selectorELNS0_4arch9wavefront6targetE1EEEvT1_,@function
_ZN7rocprim17ROCPRIM_400000_NS6detail17trampoline_kernelINS0_14default_configENS1_25partition_config_selectorILNS1_17partition_subalgoE8EyNS0_10empty_typeEbEEZZNS1_14partition_implILS5_8ELb0ES3_jN6thrust23THRUST_200600_302600_NS6detail15normal_iteratorINSA_10device_ptrIyEEEEPS6_PKS6_NS0_5tupleIJNSA_16discard_iteratorINSA_11use_defaultEEES6_EEENSJ_IJSG_SG_EEENS0_18inequality_wrapperINSA_8equal_toIyEEEEPmJS6_EEE10hipError_tPvRmT3_T4_T5_T6_T7_T9_mT8_P12ihipStream_tbDpT10_ENKUlT_T0_E_clISt17integral_constantIbLb1EES1C_IbLb0EEEEDaS18_S19_EUlS18_E_NS1_11comp_targetILNS1_3genE3ELNS1_11target_archE908ELNS1_3gpuE7ELNS1_3repE0EEENS1_30default_config_static_selectorELNS0_4arch9wavefront6targetE1EEEvT1_: ; @_ZN7rocprim17ROCPRIM_400000_NS6detail17trampoline_kernelINS0_14default_configENS1_25partition_config_selectorILNS1_17partition_subalgoE8EyNS0_10empty_typeEbEEZZNS1_14partition_implILS5_8ELb0ES3_jN6thrust23THRUST_200600_302600_NS6detail15normal_iteratorINSA_10device_ptrIyEEEEPS6_PKS6_NS0_5tupleIJNSA_16discard_iteratorINSA_11use_defaultEEES6_EEENSJ_IJSG_SG_EEENS0_18inequality_wrapperINSA_8equal_toIyEEEEPmJS6_EEE10hipError_tPvRmT3_T4_T5_T6_T7_T9_mT8_P12ihipStream_tbDpT10_ENKUlT_T0_E_clISt17integral_constantIbLb1EES1C_IbLb0EEEEDaS18_S19_EUlS18_E_NS1_11comp_targetILNS1_3genE3ELNS1_11target_archE908ELNS1_3gpuE7ELNS1_3repE0EEENS1_30default_config_static_selectorELNS0_4arch9wavefront6targetE1EEEvT1_
; %bb.0:
	.section	.rodata,"a",@progbits
	.p2align	6, 0x0
	.amdhsa_kernel _ZN7rocprim17ROCPRIM_400000_NS6detail17trampoline_kernelINS0_14default_configENS1_25partition_config_selectorILNS1_17partition_subalgoE8EyNS0_10empty_typeEbEEZZNS1_14partition_implILS5_8ELb0ES3_jN6thrust23THRUST_200600_302600_NS6detail15normal_iteratorINSA_10device_ptrIyEEEEPS6_PKS6_NS0_5tupleIJNSA_16discard_iteratorINSA_11use_defaultEEES6_EEENSJ_IJSG_SG_EEENS0_18inequality_wrapperINSA_8equal_toIyEEEEPmJS6_EEE10hipError_tPvRmT3_T4_T5_T6_T7_T9_mT8_P12ihipStream_tbDpT10_ENKUlT_T0_E_clISt17integral_constantIbLb1EES1C_IbLb0EEEEDaS18_S19_EUlS18_E_NS1_11comp_targetILNS1_3genE3ELNS1_11target_archE908ELNS1_3gpuE7ELNS1_3repE0EEENS1_30default_config_static_selectorELNS0_4arch9wavefront6targetE1EEEvT1_
		.amdhsa_group_segment_fixed_size 0
		.amdhsa_private_segment_fixed_size 0
		.amdhsa_kernarg_size 120
		.amdhsa_user_sgpr_count 6
		.amdhsa_user_sgpr_private_segment_buffer 1
		.amdhsa_user_sgpr_dispatch_ptr 0
		.amdhsa_user_sgpr_queue_ptr 0
		.amdhsa_user_sgpr_kernarg_segment_ptr 1
		.amdhsa_user_sgpr_dispatch_id 0
		.amdhsa_user_sgpr_flat_scratch_init 0
		.amdhsa_user_sgpr_private_segment_size 0
		.amdhsa_uses_dynamic_stack 0
		.amdhsa_system_sgpr_private_segment_wavefront_offset 0
		.amdhsa_system_sgpr_workgroup_id_x 1
		.amdhsa_system_sgpr_workgroup_id_y 0
		.amdhsa_system_sgpr_workgroup_id_z 0
		.amdhsa_system_sgpr_workgroup_info 0
		.amdhsa_system_vgpr_workitem_id 0
		.amdhsa_next_free_vgpr 1
		.amdhsa_next_free_sgpr 0
		.amdhsa_reserve_vcc 0
		.amdhsa_reserve_flat_scratch 0
		.amdhsa_float_round_mode_32 0
		.amdhsa_float_round_mode_16_64 0
		.amdhsa_float_denorm_mode_32 3
		.amdhsa_float_denorm_mode_16_64 3
		.amdhsa_dx10_clamp 1
		.amdhsa_ieee_mode 1
		.amdhsa_fp16_overflow 0
		.amdhsa_exception_fp_ieee_invalid_op 0
		.amdhsa_exception_fp_denorm_src 0
		.amdhsa_exception_fp_ieee_div_zero 0
		.amdhsa_exception_fp_ieee_overflow 0
		.amdhsa_exception_fp_ieee_underflow 0
		.amdhsa_exception_fp_ieee_inexact 0
		.amdhsa_exception_int_div_zero 0
	.end_amdhsa_kernel
	.section	.text._ZN7rocprim17ROCPRIM_400000_NS6detail17trampoline_kernelINS0_14default_configENS1_25partition_config_selectorILNS1_17partition_subalgoE8EyNS0_10empty_typeEbEEZZNS1_14partition_implILS5_8ELb0ES3_jN6thrust23THRUST_200600_302600_NS6detail15normal_iteratorINSA_10device_ptrIyEEEEPS6_PKS6_NS0_5tupleIJNSA_16discard_iteratorINSA_11use_defaultEEES6_EEENSJ_IJSG_SG_EEENS0_18inequality_wrapperINSA_8equal_toIyEEEEPmJS6_EEE10hipError_tPvRmT3_T4_T5_T6_T7_T9_mT8_P12ihipStream_tbDpT10_ENKUlT_T0_E_clISt17integral_constantIbLb1EES1C_IbLb0EEEEDaS18_S19_EUlS18_E_NS1_11comp_targetILNS1_3genE3ELNS1_11target_archE908ELNS1_3gpuE7ELNS1_3repE0EEENS1_30default_config_static_selectorELNS0_4arch9wavefront6targetE1EEEvT1_,"axG",@progbits,_ZN7rocprim17ROCPRIM_400000_NS6detail17trampoline_kernelINS0_14default_configENS1_25partition_config_selectorILNS1_17partition_subalgoE8EyNS0_10empty_typeEbEEZZNS1_14partition_implILS5_8ELb0ES3_jN6thrust23THRUST_200600_302600_NS6detail15normal_iteratorINSA_10device_ptrIyEEEEPS6_PKS6_NS0_5tupleIJNSA_16discard_iteratorINSA_11use_defaultEEES6_EEENSJ_IJSG_SG_EEENS0_18inequality_wrapperINSA_8equal_toIyEEEEPmJS6_EEE10hipError_tPvRmT3_T4_T5_T6_T7_T9_mT8_P12ihipStream_tbDpT10_ENKUlT_T0_E_clISt17integral_constantIbLb1EES1C_IbLb0EEEEDaS18_S19_EUlS18_E_NS1_11comp_targetILNS1_3genE3ELNS1_11target_archE908ELNS1_3gpuE7ELNS1_3repE0EEENS1_30default_config_static_selectorELNS0_4arch9wavefront6targetE1EEEvT1_,comdat
.Lfunc_end552:
	.size	_ZN7rocprim17ROCPRIM_400000_NS6detail17trampoline_kernelINS0_14default_configENS1_25partition_config_selectorILNS1_17partition_subalgoE8EyNS0_10empty_typeEbEEZZNS1_14partition_implILS5_8ELb0ES3_jN6thrust23THRUST_200600_302600_NS6detail15normal_iteratorINSA_10device_ptrIyEEEEPS6_PKS6_NS0_5tupleIJNSA_16discard_iteratorINSA_11use_defaultEEES6_EEENSJ_IJSG_SG_EEENS0_18inequality_wrapperINSA_8equal_toIyEEEEPmJS6_EEE10hipError_tPvRmT3_T4_T5_T6_T7_T9_mT8_P12ihipStream_tbDpT10_ENKUlT_T0_E_clISt17integral_constantIbLb1EES1C_IbLb0EEEEDaS18_S19_EUlS18_E_NS1_11comp_targetILNS1_3genE3ELNS1_11target_archE908ELNS1_3gpuE7ELNS1_3repE0EEENS1_30default_config_static_selectorELNS0_4arch9wavefront6targetE1EEEvT1_, .Lfunc_end552-_ZN7rocprim17ROCPRIM_400000_NS6detail17trampoline_kernelINS0_14default_configENS1_25partition_config_selectorILNS1_17partition_subalgoE8EyNS0_10empty_typeEbEEZZNS1_14partition_implILS5_8ELb0ES3_jN6thrust23THRUST_200600_302600_NS6detail15normal_iteratorINSA_10device_ptrIyEEEEPS6_PKS6_NS0_5tupleIJNSA_16discard_iteratorINSA_11use_defaultEEES6_EEENSJ_IJSG_SG_EEENS0_18inequality_wrapperINSA_8equal_toIyEEEEPmJS6_EEE10hipError_tPvRmT3_T4_T5_T6_T7_T9_mT8_P12ihipStream_tbDpT10_ENKUlT_T0_E_clISt17integral_constantIbLb1EES1C_IbLb0EEEEDaS18_S19_EUlS18_E_NS1_11comp_targetILNS1_3genE3ELNS1_11target_archE908ELNS1_3gpuE7ELNS1_3repE0EEENS1_30default_config_static_selectorELNS0_4arch9wavefront6targetE1EEEvT1_
                                        ; -- End function
	.set _ZN7rocprim17ROCPRIM_400000_NS6detail17trampoline_kernelINS0_14default_configENS1_25partition_config_selectorILNS1_17partition_subalgoE8EyNS0_10empty_typeEbEEZZNS1_14partition_implILS5_8ELb0ES3_jN6thrust23THRUST_200600_302600_NS6detail15normal_iteratorINSA_10device_ptrIyEEEEPS6_PKS6_NS0_5tupleIJNSA_16discard_iteratorINSA_11use_defaultEEES6_EEENSJ_IJSG_SG_EEENS0_18inequality_wrapperINSA_8equal_toIyEEEEPmJS6_EEE10hipError_tPvRmT3_T4_T5_T6_T7_T9_mT8_P12ihipStream_tbDpT10_ENKUlT_T0_E_clISt17integral_constantIbLb1EES1C_IbLb0EEEEDaS18_S19_EUlS18_E_NS1_11comp_targetILNS1_3genE3ELNS1_11target_archE908ELNS1_3gpuE7ELNS1_3repE0EEENS1_30default_config_static_selectorELNS0_4arch9wavefront6targetE1EEEvT1_.num_vgpr, 0
	.set _ZN7rocprim17ROCPRIM_400000_NS6detail17trampoline_kernelINS0_14default_configENS1_25partition_config_selectorILNS1_17partition_subalgoE8EyNS0_10empty_typeEbEEZZNS1_14partition_implILS5_8ELb0ES3_jN6thrust23THRUST_200600_302600_NS6detail15normal_iteratorINSA_10device_ptrIyEEEEPS6_PKS6_NS0_5tupleIJNSA_16discard_iteratorINSA_11use_defaultEEES6_EEENSJ_IJSG_SG_EEENS0_18inequality_wrapperINSA_8equal_toIyEEEEPmJS6_EEE10hipError_tPvRmT3_T4_T5_T6_T7_T9_mT8_P12ihipStream_tbDpT10_ENKUlT_T0_E_clISt17integral_constantIbLb1EES1C_IbLb0EEEEDaS18_S19_EUlS18_E_NS1_11comp_targetILNS1_3genE3ELNS1_11target_archE908ELNS1_3gpuE7ELNS1_3repE0EEENS1_30default_config_static_selectorELNS0_4arch9wavefront6targetE1EEEvT1_.num_agpr, 0
	.set _ZN7rocprim17ROCPRIM_400000_NS6detail17trampoline_kernelINS0_14default_configENS1_25partition_config_selectorILNS1_17partition_subalgoE8EyNS0_10empty_typeEbEEZZNS1_14partition_implILS5_8ELb0ES3_jN6thrust23THRUST_200600_302600_NS6detail15normal_iteratorINSA_10device_ptrIyEEEEPS6_PKS6_NS0_5tupleIJNSA_16discard_iteratorINSA_11use_defaultEEES6_EEENSJ_IJSG_SG_EEENS0_18inequality_wrapperINSA_8equal_toIyEEEEPmJS6_EEE10hipError_tPvRmT3_T4_T5_T6_T7_T9_mT8_P12ihipStream_tbDpT10_ENKUlT_T0_E_clISt17integral_constantIbLb1EES1C_IbLb0EEEEDaS18_S19_EUlS18_E_NS1_11comp_targetILNS1_3genE3ELNS1_11target_archE908ELNS1_3gpuE7ELNS1_3repE0EEENS1_30default_config_static_selectorELNS0_4arch9wavefront6targetE1EEEvT1_.numbered_sgpr, 0
	.set _ZN7rocprim17ROCPRIM_400000_NS6detail17trampoline_kernelINS0_14default_configENS1_25partition_config_selectorILNS1_17partition_subalgoE8EyNS0_10empty_typeEbEEZZNS1_14partition_implILS5_8ELb0ES3_jN6thrust23THRUST_200600_302600_NS6detail15normal_iteratorINSA_10device_ptrIyEEEEPS6_PKS6_NS0_5tupleIJNSA_16discard_iteratorINSA_11use_defaultEEES6_EEENSJ_IJSG_SG_EEENS0_18inequality_wrapperINSA_8equal_toIyEEEEPmJS6_EEE10hipError_tPvRmT3_T4_T5_T6_T7_T9_mT8_P12ihipStream_tbDpT10_ENKUlT_T0_E_clISt17integral_constantIbLb1EES1C_IbLb0EEEEDaS18_S19_EUlS18_E_NS1_11comp_targetILNS1_3genE3ELNS1_11target_archE908ELNS1_3gpuE7ELNS1_3repE0EEENS1_30default_config_static_selectorELNS0_4arch9wavefront6targetE1EEEvT1_.num_named_barrier, 0
	.set _ZN7rocprim17ROCPRIM_400000_NS6detail17trampoline_kernelINS0_14default_configENS1_25partition_config_selectorILNS1_17partition_subalgoE8EyNS0_10empty_typeEbEEZZNS1_14partition_implILS5_8ELb0ES3_jN6thrust23THRUST_200600_302600_NS6detail15normal_iteratorINSA_10device_ptrIyEEEEPS6_PKS6_NS0_5tupleIJNSA_16discard_iteratorINSA_11use_defaultEEES6_EEENSJ_IJSG_SG_EEENS0_18inequality_wrapperINSA_8equal_toIyEEEEPmJS6_EEE10hipError_tPvRmT3_T4_T5_T6_T7_T9_mT8_P12ihipStream_tbDpT10_ENKUlT_T0_E_clISt17integral_constantIbLb1EES1C_IbLb0EEEEDaS18_S19_EUlS18_E_NS1_11comp_targetILNS1_3genE3ELNS1_11target_archE908ELNS1_3gpuE7ELNS1_3repE0EEENS1_30default_config_static_selectorELNS0_4arch9wavefront6targetE1EEEvT1_.private_seg_size, 0
	.set _ZN7rocprim17ROCPRIM_400000_NS6detail17trampoline_kernelINS0_14default_configENS1_25partition_config_selectorILNS1_17partition_subalgoE8EyNS0_10empty_typeEbEEZZNS1_14partition_implILS5_8ELb0ES3_jN6thrust23THRUST_200600_302600_NS6detail15normal_iteratorINSA_10device_ptrIyEEEEPS6_PKS6_NS0_5tupleIJNSA_16discard_iteratorINSA_11use_defaultEEES6_EEENSJ_IJSG_SG_EEENS0_18inequality_wrapperINSA_8equal_toIyEEEEPmJS6_EEE10hipError_tPvRmT3_T4_T5_T6_T7_T9_mT8_P12ihipStream_tbDpT10_ENKUlT_T0_E_clISt17integral_constantIbLb1EES1C_IbLb0EEEEDaS18_S19_EUlS18_E_NS1_11comp_targetILNS1_3genE3ELNS1_11target_archE908ELNS1_3gpuE7ELNS1_3repE0EEENS1_30default_config_static_selectorELNS0_4arch9wavefront6targetE1EEEvT1_.uses_vcc, 0
	.set _ZN7rocprim17ROCPRIM_400000_NS6detail17trampoline_kernelINS0_14default_configENS1_25partition_config_selectorILNS1_17partition_subalgoE8EyNS0_10empty_typeEbEEZZNS1_14partition_implILS5_8ELb0ES3_jN6thrust23THRUST_200600_302600_NS6detail15normal_iteratorINSA_10device_ptrIyEEEEPS6_PKS6_NS0_5tupleIJNSA_16discard_iteratorINSA_11use_defaultEEES6_EEENSJ_IJSG_SG_EEENS0_18inequality_wrapperINSA_8equal_toIyEEEEPmJS6_EEE10hipError_tPvRmT3_T4_T5_T6_T7_T9_mT8_P12ihipStream_tbDpT10_ENKUlT_T0_E_clISt17integral_constantIbLb1EES1C_IbLb0EEEEDaS18_S19_EUlS18_E_NS1_11comp_targetILNS1_3genE3ELNS1_11target_archE908ELNS1_3gpuE7ELNS1_3repE0EEENS1_30default_config_static_selectorELNS0_4arch9wavefront6targetE1EEEvT1_.uses_flat_scratch, 0
	.set _ZN7rocprim17ROCPRIM_400000_NS6detail17trampoline_kernelINS0_14default_configENS1_25partition_config_selectorILNS1_17partition_subalgoE8EyNS0_10empty_typeEbEEZZNS1_14partition_implILS5_8ELb0ES3_jN6thrust23THRUST_200600_302600_NS6detail15normal_iteratorINSA_10device_ptrIyEEEEPS6_PKS6_NS0_5tupleIJNSA_16discard_iteratorINSA_11use_defaultEEES6_EEENSJ_IJSG_SG_EEENS0_18inequality_wrapperINSA_8equal_toIyEEEEPmJS6_EEE10hipError_tPvRmT3_T4_T5_T6_T7_T9_mT8_P12ihipStream_tbDpT10_ENKUlT_T0_E_clISt17integral_constantIbLb1EES1C_IbLb0EEEEDaS18_S19_EUlS18_E_NS1_11comp_targetILNS1_3genE3ELNS1_11target_archE908ELNS1_3gpuE7ELNS1_3repE0EEENS1_30default_config_static_selectorELNS0_4arch9wavefront6targetE1EEEvT1_.has_dyn_sized_stack, 0
	.set _ZN7rocprim17ROCPRIM_400000_NS6detail17trampoline_kernelINS0_14default_configENS1_25partition_config_selectorILNS1_17partition_subalgoE8EyNS0_10empty_typeEbEEZZNS1_14partition_implILS5_8ELb0ES3_jN6thrust23THRUST_200600_302600_NS6detail15normal_iteratorINSA_10device_ptrIyEEEEPS6_PKS6_NS0_5tupleIJNSA_16discard_iteratorINSA_11use_defaultEEES6_EEENSJ_IJSG_SG_EEENS0_18inequality_wrapperINSA_8equal_toIyEEEEPmJS6_EEE10hipError_tPvRmT3_T4_T5_T6_T7_T9_mT8_P12ihipStream_tbDpT10_ENKUlT_T0_E_clISt17integral_constantIbLb1EES1C_IbLb0EEEEDaS18_S19_EUlS18_E_NS1_11comp_targetILNS1_3genE3ELNS1_11target_archE908ELNS1_3gpuE7ELNS1_3repE0EEENS1_30default_config_static_selectorELNS0_4arch9wavefront6targetE1EEEvT1_.has_recursion, 0
	.set _ZN7rocprim17ROCPRIM_400000_NS6detail17trampoline_kernelINS0_14default_configENS1_25partition_config_selectorILNS1_17partition_subalgoE8EyNS0_10empty_typeEbEEZZNS1_14partition_implILS5_8ELb0ES3_jN6thrust23THRUST_200600_302600_NS6detail15normal_iteratorINSA_10device_ptrIyEEEEPS6_PKS6_NS0_5tupleIJNSA_16discard_iteratorINSA_11use_defaultEEES6_EEENSJ_IJSG_SG_EEENS0_18inequality_wrapperINSA_8equal_toIyEEEEPmJS6_EEE10hipError_tPvRmT3_T4_T5_T6_T7_T9_mT8_P12ihipStream_tbDpT10_ENKUlT_T0_E_clISt17integral_constantIbLb1EES1C_IbLb0EEEEDaS18_S19_EUlS18_E_NS1_11comp_targetILNS1_3genE3ELNS1_11target_archE908ELNS1_3gpuE7ELNS1_3repE0EEENS1_30default_config_static_selectorELNS0_4arch9wavefront6targetE1EEEvT1_.has_indirect_call, 0
	.section	.AMDGPU.csdata,"",@progbits
; Kernel info:
; codeLenInByte = 0
; TotalNumSgprs: 4
; NumVgprs: 0
; ScratchSize: 0
; MemoryBound: 0
; FloatMode: 240
; IeeeMode: 1
; LDSByteSize: 0 bytes/workgroup (compile time only)
; SGPRBlocks: 0
; VGPRBlocks: 0
; NumSGPRsForWavesPerEU: 4
; NumVGPRsForWavesPerEU: 1
; Occupancy: 10
; WaveLimiterHint : 0
; COMPUTE_PGM_RSRC2:SCRATCH_EN: 0
; COMPUTE_PGM_RSRC2:USER_SGPR: 6
; COMPUTE_PGM_RSRC2:TRAP_HANDLER: 0
; COMPUTE_PGM_RSRC2:TGID_X_EN: 1
; COMPUTE_PGM_RSRC2:TGID_Y_EN: 0
; COMPUTE_PGM_RSRC2:TGID_Z_EN: 0
; COMPUTE_PGM_RSRC2:TIDIG_COMP_CNT: 0
	.section	.text._ZN7rocprim17ROCPRIM_400000_NS6detail17trampoline_kernelINS0_14default_configENS1_25partition_config_selectorILNS1_17partition_subalgoE8EyNS0_10empty_typeEbEEZZNS1_14partition_implILS5_8ELb0ES3_jN6thrust23THRUST_200600_302600_NS6detail15normal_iteratorINSA_10device_ptrIyEEEEPS6_PKS6_NS0_5tupleIJNSA_16discard_iteratorINSA_11use_defaultEEES6_EEENSJ_IJSG_SG_EEENS0_18inequality_wrapperINSA_8equal_toIyEEEEPmJS6_EEE10hipError_tPvRmT3_T4_T5_T6_T7_T9_mT8_P12ihipStream_tbDpT10_ENKUlT_T0_E_clISt17integral_constantIbLb1EES1C_IbLb0EEEEDaS18_S19_EUlS18_E_NS1_11comp_targetILNS1_3genE2ELNS1_11target_archE906ELNS1_3gpuE6ELNS1_3repE0EEENS1_30default_config_static_selectorELNS0_4arch9wavefront6targetE1EEEvT1_,"axG",@progbits,_ZN7rocprim17ROCPRIM_400000_NS6detail17trampoline_kernelINS0_14default_configENS1_25partition_config_selectorILNS1_17partition_subalgoE8EyNS0_10empty_typeEbEEZZNS1_14partition_implILS5_8ELb0ES3_jN6thrust23THRUST_200600_302600_NS6detail15normal_iteratorINSA_10device_ptrIyEEEEPS6_PKS6_NS0_5tupleIJNSA_16discard_iteratorINSA_11use_defaultEEES6_EEENSJ_IJSG_SG_EEENS0_18inequality_wrapperINSA_8equal_toIyEEEEPmJS6_EEE10hipError_tPvRmT3_T4_T5_T6_T7_T9_mT8_P12ihipStream_tbDpT10_ENKUlT_T0_E_clISt17integral_constantIbLb1EES1C_IbLb0EEEEDaS18_S19_EUlS18_E_NS1_11comp_targetILNS1_3genE2ELNS1_11target_archE906ELNS1_3gpuE6ELNS1_3repE0EEENS1_30default_config_static_selectorELNS0_4arch9wavefront6targetE1EEEvT1_,comdat
	.protected	_ZN7rocprim17ROCPRIM_400000_NS6detail17trampoline_kernelINS0_14default_configENS1_25partition_config_selectorILNS1_17partition_subalgoE8EyNS0_10empty_typeEbEEZZNS1_14partition_implILS5_8ELb0ES3_jN6thrust23THRUST_200600_302600_NS6detail15normal_iteratorINSA_10device_ptrIyEEEEPS6_PKS6_NS0_5tupleIJNSA_16discard_iteratorINSA_11use_defaultEEES6_EEENSJ_IJSG_SG_EEENS0_18inequality_wrapperINSA_8equal_toIyEEEEPmJS6_EEE10hipError_tPvRmT3_T4_T5_T6_T7_T9_mT8_P12ihipStream_tbDpT10_ENKUlT_T0_E_clISt17integral_constantIbLb1EES1C_IbLb0EEEEDaS18_S19_EUlS18_E_NS1_11comp_targetILNS1_3genE2ELNS1_11target_archE906ELNS1_3gpuE6ELNS1_3repE0EEENS1_30default_config_static_selectorELNS0_4arch9wavefront6targetE1EEEvT1_ ; -- Begin function _ZN7rocprim17ROCPRIM_400000_NS6detail17trampoline_kernelINS0_14default_configENS1_25partition_config_selectorILNS1_17partition_subalgoE8EyNS0_10empty_typeEbEEZZNS1_14partition_implILS5_8ELb0ES3_jN6thrust23THRUST_200600_302600_NS6detail15normal_iteratorINSA_10device_ptrIyEEEEPS6_PKS6_NS0_5tupleIJNSA_16discard_iteratorINSA_11use_defaultEEES6_EEENSJ_IJSG_SG_EEENS0_18inequality_wrapperINSA_8equal_toIyEEEEPmJS6_EEE10hipError_tPvRmT3_T4_T5_T6_T7_T9_mT8_P12ihipStream_tbDpT10_ENKUlT_T0_E_clISt17integral_constantIbLb1EES1C_IbLb0EEEEDaS18_S19_EUlS18_E_NS1_11comp_targetILNS1_3genE2ELNS1_11target_archE906ELNS1_3gpuE6ELNS1_3repE0EEENS1_30default_config_static_selectorELNS0_4arch9wavefront6targetE1EEEvT1_
	.globl	_ZN7rocprim17ROCPRIM_400000_NS6detail17trampoline_kernelINS0_14default_configENS1_25partition_config_selectorILNS1_17partition_subalgoE8EyNS0_10empty_typeEbEEZZNS1_14partition_implILS5_8ELb0ES3_jN6thrust23THRUST_200600_302600_NS6detail15normal_iteratorINSA_10device_ptrIyEEEEPS6_PKS6_NS0_5tupleIJNSA_16discard_iteratorINSA_11use_defaultEEES6_EEENSJ_IJSG_SG_EEENS0_18inequality_wrapperINSA_8equal_toIyEEEEPmJS6_EEE10hipError_tPvRmT3_T4_T5_T6_T7_T9_mT8_P12ihipStream_tbDpT10_ENKUlT_T0_E_clISt17integral_constantIbLb1EES1C_IbLb0EEEEDaS18_S19_EUlS18_E_NS1_11comp_targetILNS1_3genE2ELNS1_11target_archE906ELNS1_3gpuE6ELNS1_3repE0EEENS1_30default_config_static_selectorELNS0_4arch9wavefront6targetE1EEEvT1_
	.p2align	8
	.type	_ZN7rocprim17ROCPRIM_400000_NS6detail17trampoline_kernelINS0_14default_configENS1_25partition_config_selectorILNS1_17partition_subalgoE8EyNS0_10empty_typeEbEEZZNS1_14partition_implILS5_8ELb0ES3_jN6thrust23THRUST_200600_302600_NS6detail15normal_iteratorINSA_10device_ptrIyEEEEPS6_PKS6_NS0_5tupleIJNSA_16discard_iteratorINSA_11use_defaultEEES6_EEENSJ_IJSG_SG_EEENS0_18inequality_wrapperINSA_8equal_toIyEEEEPmJS6_EEE10hipError_tPvRmT3_T4_T5_T6_T7_T9_mT8_P12ihipStream_tbDpT10_ENKUlT_T0_E_clISt17integral_constantIbLb1EES1C_IbLb0EEEEDaS18_S19_EUlS18_E_NS1_11comp_targetILNS1_3genE2ELNS1_11target_archE906ELNS1_3gpuE6ELNS1_3repE0EEENS1_30default_config_static_selectorELNS0_4arch9wavefront6targetE1EEEvT1_,@function
_ZN7rocprim17ROCPRIM_400000_NS6detail17trampoline_kernelINS0_14default_configENS1_25partition_config_selectorILNS1_17partition_subalgoE8EyNS0_10empty_typeEbEEZZNS1_14partition_implILS5_8ELb0ES3_jN6thrust23THRUST_200600_302600_NS6detail15normal_iteratorINSA_10device_ptrIyEEEEPS6_PKS6_NS0_5tupleIJNSA_16discard_iteratorINSA_11use_defaultEEES6_EEENSJ_IJSG_SG_EEENS0_18inequality_wrapperINSA_8equal_toIyEEEEPmJS6_EEE10hipError_tPvRmT3_T4_T5_T6_T7_T9_mT8_P12ihipStream_tbDpT10_ENKUlT_T0_E_clISt17integral_constantIbLb1EES1C_IbLb0EEEEDaS18_S19_EUlS18_E_NS1_11comp_targetILNS1_3genE2ELNS1_11target_archE906ELNS1_3gpuE6ELNS1_3repE0EEENS1_30default_config_static_selectorELNS0_4arch9wavefront6targetE1EEEvT1_: ; @_ZN7rocprim17ROCPRIM_400000_NS6detail17trampoline_kernelINS0_14default_configENS1_25partition_config_selectorILNS1_17partition_subalgoE8EyNS0_10empty_typeEbEEZZNS1_14partition_implILS5_8ELb0ES3_jN6thrust23THRUST_200600_302600_NS6detail15normal_iteratorINSA_10device_ptrIyEEEEPS6_PKS6_NS0_5tupleIJNSA_16discard_iteratorINSA_11use_defaultEEES6_EEENSJ_IJSG_SG_EEENS0_18inequality_wrapperINSA_8equal_toIyEEEEPmJS6_EEE10hipError_tPvRmT3_T4_T5_T6_T7_T9_mT8_P12ihipStream_tbDpT10_ENKUlT_T0_E_clISt17integral_constantIbLb1EES1C_IbLb0EEEEDaS18_S19_EUlS18_E_NS1_11comp_targetILNS1_3genE2ELNS1_11target_archE906ELNS1_3gpuE6ELNS1_3repE0EEENS1_30default_config_static_selectorELNS0_4arch9wavefront6targetE1EEEvT1_
; %bb.0:
	s_endpgm
	.section	.rodata,"a",@progbits
	.p2align	6, 0x0
	.amdhsa_kernel _ZN7rocprim17ROCPRIM_400000_NS6detail17trampoline_kernelINS0_14default_configENS1_25partition_config_selectorILNS1_17partition_subalgoE8EyNS0_10empty_typeEbEEZZNS1_14partition_implILS5_8ELb0ES3_jN6thrust23THRUST_200600_302600_NS6detail15normal_iteratorINSA_10device_ptrIyEEEEPS6_PKS6_NS0_5tupleIJNSA_16discard_iteratorINSA_11use_defaultEEES6_EEENSJ_IJSG_SG_EEENS0_18inequality_wrapperINSA_8equal_toIyEEEEPmJS6_EEE10hipError_tPvRmT3_T4_T5_T6_T7_T9_mT8_P12ihipStream_tbDpT10_ENKUlT_T0_E_clISt17integral_constantIbLb1EES1C_IbLb0EEEEDaS18_S19_EUlS18_E_NS1_11comp_targetILNS1_3genE2ELNS1_11target_archE906ELNS1_3gpuE6ELNS1_3repE0EEENS1_30default_config_static_selectorELNS0_4arch9wavefront6targetE1EEEvT1_
		.amdhsa_group_segment_fixed_size 0
		.amdhsa_private_segment_fixed_size 0
		.amdhsa_kernarg_size 120
		.amdhsa_user_sgpr_count 6
		.amdhsa_user_sgpr_private_segment_buffer 1
		.amdhsa_user_sgpr_dispatch_ptr 0
		.amdhsa_user_sgpr_queue_ptr 0
		.amdhsa_user_sgpr_kernarg_segment_ptr 1
		.amdhsa_user_sgpr_dispatch_id 0
		.amdhsa_user_sgpr_flat_scratch_init 0
		.amdhsa_user_sgpr_private_segment_size 0
		.amdhsa_uses_dynamic_stack 0
		.amdhsa_system_sgpr_private_segment_wavefront_offset 0
		.amdhsa_system_sgpr_workgroup_id_x 1
		.amdhsa_system_sgpr_workgroup_id_y 0
		.amdhsa_system_sgpr_workgroup_id_z 0
		.amdhsa_system_sgpr_workgroup_info 0
		.amdhsa_system_vgpr_workitem_id 0
		.amdhsa_next_free_vgpr 1
		.amdhsa_next_free_sgpr 0
		.amdhsa_reserve_vcc 0
		.amdhsa_reserve_flat_scratch 0
		.amdhsa_float_round_mode_32 0
		.amdhsa_float_round_mode_16_64 0
		.amdhsa_float_denorm_mode_32 3
		.amdhsa_float_denorm_mode_16_64 3
		.amdhsa_dx10_clamp 1
		.amdhsa_ieee_mode 1
		.amdhsa_fp16_overflow 0
		.amdhsa_exception_fp_ieee_invalid_op 0
		.amdhsa_exception_fp_denorm_src 0
		.amdhsa_exception_fp_ieee_div_zero 0
		.amdhsa_exception_fp_ieee_overflow 0
		.amdhsa_exception_fp_ieee_underflow 0
		.amdhsa_exception_fp_ieee_inexact 0
		.amdhsa_exception_int_div_zero 0
	.end_amdhsa_kernel
	.section	.text._ZN7rocprim17ROCPRIM_400000_NS6detail17trampoline_kernelINS0_14default_configENS1_25partition_config_selectorILNS1_17partition_subalgoE8EyNS0_10empty_typeEbEEZZNS1_14partition_implILS5_8ELb0ES3_jN6thrust23THRUST_200600_302600_NS6detail15normal_iteratorINSA_10device_ptrIyEEEEPS6_PKS6_NS0_5tupleIJNSA_16discard_iteratorINSA_11use_defaultEEES6_EEENSJ_IJSG_SG_EEENS0_18inequality_wrapperINSA_8equal_toIyEEEEPmJS6_EEE10hipError_tPvRmT3_T4_T5_T6_T7_T9_mT8_P12ihipStream_tbDpT10_ENKUlT_T0_E_clISt17integral_constantIbLb1EES1C_IbLb0EEEEDaS18_S19_EUlS18_E_NS1_11comp_targetILNS1_3genE2ELNS1_11target_archE906ELNS1_3gpuE6ELNS1_3repE0EEENS1_30default_config_static_selectorELNS0_4arch9wavefront6targetE1EEEvT1_,"axG",@progbits,_ZN7rocprim17ROCPRIM_400000_NS6detail17trampoline_kernelINS0_14default_configENS1_25partition_config_selectorILNS1_17partition_subalgoE8EyNS0_10empty_typeEbEEZZNS1_14partition_implILS5_8ELb0ES3_jN6thrust23THRUST_200600_302600_NS6detail15normal_iteratorINSA_10device_ptrIyEEEEPS6_PKS6_NS0_5tupleIJNSA_16discard_iteratorINSA_11use_defaultEEES6_EEENSJ_IJSG_SG_EEENS0_18inequality_wrapperINSA_8equal_toIyEEEEPmJS6_EEE10hipError_tPvRmT3_T4_T5_T6_T7_T9_mT8_P12ihipStream_tbDpT10_ENKUlT_T0_E_clISt17integral_constantIbLb1EES1C_IbLb0EEEEDaS18_S19_EUlS18_E_NS1_11comp_targetILNS1_3genE2ELNS1_11target_archE906ELNS1_3gpuE6ELNS1_3repE0EEENS1_30default_config_static_selectorELNS0_4arch9wavefront6targetE1EEEvT1_,comdat
.Lfunc_end553:
	.size	_ZN7rocprim17ROCPRIM_400000_NS6detail17trampoline_kernelINS0_14default_configENS1_25partition_config_selectorILNS1_17partition_subalgoE8EyNS0_10empty_typeEbEEZZNS1_14partition_implILS5_8ELb0ES3_jN6thrust23THRUST_200600_302600_NS6detail15normal_iteratorINSA_10device_ptrIyEEEEPS6_PKS6_NS0_5tupleIJNSA_16discard_iteratorINSA_11use_defaultEEES6_EEENSJ_IJSG_SG_EEENS0_18inequality_wrapperINSA_8equal_toIyEEEEPmJS6_EEE10hipError_tPvRmT3_T4_T5_T6_T7_T9_mT8_P12ihipStream_tbDpT10_ENKUlT_T0_E_clISt17integral_constantIbLb1EES1C_IbLb0EEEEDaS18_S19_EUlS18_E_NS1_11comp_targetILNS1_3genE2ELNS1_11target_archE906ELNS1_3gpuE6ELNS1_3repE0EEENS1_30default_config_static_selectorELNS0_4arch9wavefront6targetE1EEEvT1_, .Lfunc_end553-_ZN7rocprim17ROCPRIM_400000_NS6detail17trampoline_kernelINS0_14default_configENS1_25partition_config_selectorILNS1_17partition_subalgoE8EyNS0_10empty_typeEbEEZZNS1_14partition_implILS5_8ELb0ES3_jN6thrust23THRUST_200600_302600_NS6detail15normal_iteratorINSA_10device_ptrIyEEEEPS6_PKS6_NS0_5tupleIJNSA_16discard_iteratorINSA_11use_defaultEEES6_EEENSJ_IJSG_SG_EEENS0_18inequality_wrapperINSA_8equal_toIyEEEEPmJS6_EEE10hipError_tPvRmT3_T4_T5_T6_T7_T9_mT8_P12ihipStream_tbDpT10_ENKUlT_T0_E_clISt17integral_constantIbLb1EES1C_IbLb0EEEEDaS18_S19_EUlS18_E_NS1_11comp_targetILNS1_3genE2ELNS1_11target_archE906ELNS1_3gpuE6ELNS1_3repE0EEENS1_30default_config_static_selectorELNS0_4arch9wavefront6targetE1EEEvT1_
                                        ; -- End function
	.set _ZN7rocprim17ROCPRIM_400000_NS6detail17trampoline_kernelINS0_14default_configENS1_25partition_config_selectorILNS1_17partition_subalgoE8EyNS0_10empty_typeEbEEZZNS1_14partition_implILS5_8ELb0ES3_jN6thrust23THRUST_200600_302600_NS6detail15normal_iteratorINSA_10device_ptrIyEEEEPS6_PKS6_NS0_5tupleIJNSA_16discard_iteratorINSA_11use_defaultEEES6_EEENSJ_IJSG_SG_EEENS0_18inequality_wrapperINSA_8equal_toIyEEEEPmJS6_EEE10hipError_tPvRmT3_T4_T5_T6_T7_T9_mT8_P12ihipStream_tbDpT10_ENKUlT_T0_E_clISt17integral_constantIbLb1EES1C_IbLb0EEEEDaS18_S19_EUlS18_E_NS1_11comp_targetILNS1_3genE2ELNS1_11target_archE906ELNS1_3gpuE6ELNS1_3repE0EEENS1_30default_config_static_selectorELNS0_4arch9wavefront6targetE1EEEvT1_.num_vgpr, 0
	.set _ZN7rocprim17ROCPRIM_400000_NS6detail17trampoline_kernelINS0_14default_configENS1_25partition_config_selectorILNS1_17partition_subalgoE8EyNS0_10empty_typeEbEEZZNS1_14partition_implILS5_8ELb0ES3_jN6thrust23THRUST_200600_302600_NS6detail15normal_iteratorINSA_10device_ptrIyEEEEPS6_PKS6_NS0_5tupleIJNSA_16discard_iteratorINSA_11use_defaultEEES6_EEENSJ_IJSG_SG_EEENS0_18inequality_wrapperINSA_8equal_toIyEEEEPmJS6_EEE10hipError_tPvRmT3_T4_T5_T6_T7_T9_mT8_P12ihipStream_tbDpT10_ENKUlT_T0_E_clISt17integral_constantIbLb1EES1C_IbLb0EEEEDaS18_S19_EUlS18_E_NS1_11comp_targetILNS1_3genE2ELNS1_11target_archE906ELNS1_3gpuE6ELNS1_3repE0EEENS1_30default_config_static_selectorELNS0_4arch9wavefront6targetE1EEEvT1_.num_agpr, 0
	.set _ZN7rocprim17ROCPRIM_400000_NS6detail17trampoline_kernelINS0_14default_configENS1_25partition_config_selectorILNS1_17partition_subalgoE8EyNS0_10empty_typeEbEEZZNS1_14partition_implILS5_8ELb0ES3_jN6thrust23THRUST_200600_302600_NS6detail15normal_iteratorINSA_10device_ptrIyEEEEPS6_PKS6_NS0_5tupleIJNSA_16discard_iteratorINSA_11use_defaultEEES6_EEENSJ_IJSG_SG_EEENS0_18inequality_wrapperINSA_8equal_toIyEEEEPmJS6_EEE10hipError_tPvRmT3_T4_T5_T6_T7_T9_mT8_P12ihipStream_tbDpT10_ENKUlT_T0_E_clISt17integral_constantIbLb1EES1C_IbLb0EEEEDaS18_S19_EUlS18_E_NS1_11comp_targetILNS1_3genE2ELNS1_11target_archE906ELNS1_3gpuE6ELNS1_3repE0EEENS1_30default_config_static_selectorELNS0_4arch9wavefront6targetE1EEEvT1_.numbered_sgpr, 0
	.set _ZN7rocprim17ROCPRIM_400000_NS6detail17trampoline_kernelINS0_14default_configENS1_25partition_config_selectorILNS1_17partition_subalgoE8EyNS0_10empty_typeEbEEZZNS1_14partition_implILS5_8ELb0ES3_jN6thrust23THRUST_200600_302600_NS6detail15normal_iteratorINSA_10device_ptrIyEEEEPS6_PKS6_NS0_5tupleIJNSA_16discard_iteratorINSA_11use_defaultEEES6_EEENSJ_IJSG_SG_EEENS0_18inequality_wrapperINSA_8equal_toIyEEEEPmJS6_EEE10hipError_tPvRmT3_T4_T5_T6_T7_T9_mT8_P12ihipStream_tbDpT10_ENKUlT_T0_E_clISt17integral_constantIbLb1EES1C_IbLb0EEEEDaS18_S19_EUlS18_E_NS1_11comp_targetILNS1_3genE2ELNS1_11target_archE906ELNS1_3gpuE6ELNS1_3repE0EEENS1_30default_config_static_selectorELNS0_4arch9wavefront6targetE1EEEvT1_.num_named_barrier, 0
	.set _ZN7rocprim17ROCPRIM_400000_NS6detail17trampoline_kernelINS0_14default_configENS1_25partition_config_selectorILNS1_17partition_subalgoE8EyNS0_10empty_typeEbEEZZNS1_14partition_implILS5_8ELb0ES3_jN6thrust23THRUST_200600_302600_NS6detail15normal_iteratorINSA_10device_ptrIyEEEEPS6_PKS6_NS0_5tupleIJNSA_16discard_iteratorINSA_11use_defaultEEES6_EEENSJ_IJSG_SG_EEENS0_18inequality_wrapperINSA_8equal_toIyEEEEPmJS6_EEE10hipError_tPvRmT3_T4_T5_T6_T7_T9_mT8_P12ihipStream_tbDpT10_ENKUlT_T0_E_clISt17integral_constantIbLb1EES1C_IbLb0EEEEDaS18_S19_EUlS18_E_NS1_11comp_targetILNS1_3genE2ELNS1_11target_archE906ELNS1_3gpuE6ELNS1_3repE0EEENS1_30default_config_static_selectorELNS0_4arch9wavefront6targetE1EEEvT1_.private_seg_size, 0
	.set _ZN7rocprim17ROCPRIM_400000_NS6detail17trampoline_kernelINS0_14default_configENS1_25partition_config_selectorILNS1_17partition_subalgoE8EyNS0_10empty_typeEbEEZZNS1_14partition_implILS5_8ELb0ES3_jN6thrust23THRUST_200600_302600_NS6detail15normal_iteratorINSA_10device_ptrIyEEEEPS6_PKS6_NS0_5tupleIJNSA_16discard_iteratorINSA_11use_defaultEEES6_EEENSJ_IJSG_SG_EEENS0_18inequality_wrapperINSA_8equal_toIyEEEEPmJS6_EEE10hipError_tPvRmT3_T4_T5_T6_T7_T9_mT8_P12ihipStream_tbDpT10_ENKUlT_T0_E_clISt17integral_constantIbLb1EES1C_IbLb0EEEEDaS18_S19_EUlS18_E_NS1_11comp_targetILNS1_3genE2ELNS1_11target_archE906ELNS1_3gpuE6ELNS1_3repE0EEENS1_30default_config_static_selectorELNS0_4arch9wavefront6targetE1EEEvT1_.uses_vcc, 0
	.set _ZN7rocprim17ROCPRIM_400000_NS6detail17trampoline_kernelINS0_14default_configENS1_25partition_config_selectorILNS1_17partition_subalgoE8EyNS0_10empty_typeEbEEZZNS1_14partition_implILS5_8ELb0ES3_jN6thrust23THRUST_200600_302600_NS6detail15normal_iteratorINSA_10device_ptrIyEEEEPS6_PKS6_NS0_5tupleIJNSA_16discard_iteratorINSA_11use_defaultEEES6_EEENSJ_IJSG_SG_EEENS0_18inequality_wrapperINSA_8equal_toIyEEEEPmJS6_EEE10hipError_tPvRmT3_T4_T5_T6_T7_T9_mT8_P12ihipStream_tbDpT10_ENKUlT_T0_E_clISt17integral_constantIbLb1EES1C_IbLb0EEEEDaS18_S19_EUlS18_E_NS1_11comp_targetILNS1_3genE2ELNS1_11target_archE906ELNS1_3gpuE6ELNS1_3repE0EEENS1_30default_config_static_selectorELNS0_4arch9wavefront6targetE1EEEvT1_.uses_flat_scratch, 0
	.set _ZN7rocprim17ROCPRIM_400000_NS6detail17trampoline_kernelINS0_14default_configENS1_25partition_config_selectorILNS1_17partition_subalgoE8EyNS0_10empty_typeEbEEZZNS1_14partition_implILS5_8ELb0ES3_jN6thrust23THRUST_200600_302600_NS6detail15normal_iteratorINSA_10device_ptrIyEEEEPS6_PKS6_NS0_5tupleIJNSA_16discard_iteratorINSA_11use_defaultEEES6_EEENSJ_IJSG_SG_EEENS0_18inequality_wrapperINSA_8equal_toIyEEEEPmJS6_EEE10hipError_tPvRmT3_T4_T5_T6_T7_T9_mT8_P12ihipStream_tbDpT10_ENKUlT_T0_E_clISt17integral_constantIbLb1EES1C_IbLb0EEEEDaS18_S19_EUlS18_E_NS1_11comp_targetILNS1_3genE2ELNS1_11target_archE906ELNS1_3gpuE6ELNS1_3repE0EEENS1_30default_config_static_selectorELNS0_4arch9wavefront6targetE1EEEvT1_.has_dyn_sized_stack, 0
	.set _ZN7rocprim17ROCPRIM_400000_NS6detail17trampoline_kernelINS0_14default_configENS1_25partition_config_selectorILNS1_17partition_subalgoE8EyNS0_10empty_typeEbEEZZNS1_14partition_implILS5_8ELb0ES3_jN6thrust23THRUST_200600_302600_NS6detail15normal_iteratorINSA_10device_ptrIyEEEEPS6_PKS6_NS0_5tupleIJNSA_16discard_iteratorINSA_11use_defaultEEES6_EEENSJ_IJSG_SG_EEENS0_18inequality_wrapperINSA_8equal_toIyEEEEPmJS6_EEE10hipError_tPvRmT3_T4_T5_T6_T7_T9_mT8_P12ihipStream_tbDpT10_ENKUlT_T0_E_clISt17integral_constantIbLb1EES1C_IbLb0EEEEDaS18_S19_EUlS18_E_NS1_11comp_targetILNS1_3genE2ELNS1_11target_archE906ELNS1_3gpuE6ELNS1_3repE0EEENS1_30default_config_static_selectorELNS0_4arch9wavefront6targetE1EEEvT1_.has_recursion, 0
	.set _ZN7rocprim17ROCPRIM_400000_NS6detail17trampoline_kernelINS0_14default_configENS1_25partition_config_selectorILNS1_17partition_subalgoE8EyNS0_10empty_typeEbEEZZNS1_14partition_implILS5_8ELb0ES3_jN6thrust23THRUST_200600_302600_NS6detail15normal_iteratorINSA_10device_ptrIyEEEEPS6_PKS6_NS0_5tupleIJNSA_16discard_iteratorINSA_11use_defaultEEES6_EEENSJ_IJSG_SG_EEENS0_18inequality_wrapperINSA_8equal_toIyEEEEPmJS6_EEE10hipError_tPvRmT3_T4_T5_T6_T7_T9_mT8_P12ihipStream_tbDpT10_ENKUlT_T0_E_clISt17integral_constantIbLb1EES1C_IbLb0EEEEDaS18_S19_EUlS18_E_NS1_11comp_targetILNS1_3genE2ELNS1_11target_archE906ELNS1_3gpuE6ELNS1_3repE0EEENS1_30default_config_static_selectorELNS0_4arch9wavefront6targetE1EEEvT1_.has_indirect_call, 0
	.section	.AMDGPU.csdata,"",@progbits
; Kernel info:
; codeLenInByte = 4
; TotalNumSgprs: 4
; NumVgprs: 0
; ScratchSize: 0
; MemoryBound: 0
; FloatMode: 240
; IeeeMode: 1
; LDSByteSize: 0 bytes/workgroup (compile time only)
; SGPRBlocks: 0
; VGPRBlocks: 0
; NumSGPRsForWavesPerEU: 4
; NumVGPRsForWavesPerEU: 1
; Occupancy: 10
; WaveLimiterHint : 0
; COMPUTE_PGM_RSRC2:SCRATCH_EN: 0
; COMPUTE_PGM_RSRC2:USER_SGPR: 6
; COMPUTE_PGM_RSRC2:TRAP_HANDLER: 0
; COMPUTE_PGM_RSRC2:TGID_X_EN: 1
; COMPUTE_PGM_RSRC2:TGID_Y_EN: 0
; COMPUTE_PGM_RSRC2:TGID_Z_EN: 0
; COMPUTE_PGM_RSRC2:TIDIG_COMP_CNT: 0
	.section	.text._ZN7rocprim17ROCPRIM_400000_NS6detail17trampoline_kernelINS0_14default_configENS1_25partition_config_selectorILNS1_17partition_subalgoE8EyNS0_10empty_typeEbEEZZNS1_14partition_implILS5_8ELb0ES3_jN6thrust23THRUST_200600_302600_NS6detail15normal_iteratorINSA_10device_ptrIyEEEEPS6_PKS6_NS0_5tupleIJNSA_16discard_iteratorINSA_11use_defaultEEES6_EEENSJ_IJSG_SG_EEENS0_18inequality_wrapperINSA_8equal_toIyEEEEPmJS6_EEE10hipError_tPvRmT3_T4_T5_T6_T7_T9_mT8_P12ihipStream_tbDpT10_ENKUlT_T0_E_clISt17integral_constantIbLb1EES1C_IbLb0EEEEDaS18_S19_EUlS18_E_NS1_11comp_targetILNS1_3genE10ELNS1_11target_archE1200ELNS1_3gpuE4ELNS1_3repE0EEENS1_30default_config_static_selectorELNS0_4arch9wavefront6targetE1EEEvT1_,"axG",@progbits,_ZN7rocprim17ROCPRIM_400000_NS6detail17trampoline_kernelINS0_14default_configENS1_25partition_config_selectorILNS1_17partition_subalgoE8EyNS0_10empty_typeEbEEZZNS1_14partition_implILS5_8ELb0ES3_jN6thrust23THRUST_200600_302600_NS6detail15normal_iteratorINSA_10device_ptrIyEEEEPS6_PKS6_NS0_5tupleIJNSA_16discard_iteratorINSA_11use_defaultEEES6_EEENSJ_IJSG_SG_EEENS0_18inequality_wrapperINSA_8equal_toIyEEEEPmJS6_EEE10hipError_tPvRmT3_T4_T5_T6_T7_T9_mT8_P12ihipStream_tbDpT10_ENKUlT_T0_E_clISt17integral_constantIbLb1EES1C_IbLb0EEEEDaS18_S19_EUlS18_E_NS1_11comp_targetILNS1_3genE10ELNS1_11target_archE1200ELNS1_3gpuE4ELNS1_3repE0EEENS1_30default_config_static_selectorELNS0_4arch9wavefront6targetE1EEEvT1_,comdat
	.protected	_ZN7rocprim17ROCPRIM_400000_NS6detail17trampoline_kernelINS0_14default_configENS1_25partition_config_selectorILNS1_17partition_subalgoE8EyNS0_10empty_typeEbEEZZNS1_14partition_implILS5_8ELb0ES3_jN6thrust23THRUST_200600_302600_NS6detail15normal_iteratorINSA_10device_ptrIyEEEEPS6_PKS6_NS0_5tupleIJNSA_16discard_iteratorINSA_11use_defaultEEES6_EEENSJ_IJSG_SG_EEENS0_18inequality_wrapperINSA_8equal_toIyEEEEPmJS6_EEE10hipError_tPvRmT3_T4_T5_T6_T7_T9_mT8_P12ihipStream_tbDpT10_ENKUlT_T0_E_clISt17integral_constantIbLb1EES1C_IbLb0EEEEDaS18_S19_EUlS18_E_NS1_11comp_targetILNS1_3genE10ELNS1_11target_archE1200ELNS1_3gpuE4ELNS1_3repE0EEENS1_30default_config_static_selectorELNS0_4arch9wavefront6targetE1EEEvT1_ ; -- Begin function _ZN7rocprim17ROCPRIM_400000_NS6detail17trampoline_kernelINS0_14default_configENS1_25partition_config_selectorILNS1_17partition_subalgoE8EyNS0_10empty_typeEbEEZZNS1_14partition_implILS5_8ELb0ES3_jN6thrust23THRUST_200600_302600_NS6detail15normal_iteratorINSA_10device_ptrIyEEEEPS6_PKS6_NS0_5tupleIJNSA_16discard_iteratorINSA_11use_defaultEEES6_EEENSJ_IJSG_SG_EEENS0_18inequality_wrapperINSA_8equal_toIyEEEEPmJS6_EEE10hipError_tPvRmT3_T4_T5_T6_T7_T9_mT8_P12ihipStream_tbDpT10_ENKUlT_T0_E_clISt17integral_constantIbLb1EES1C_IbLb0EEEEDaS18_S19_EUlS18_E_NS1_11comp_targetILNS1_3genE10ELNS1_11target_archE1200ELNS1_3gpuE4ELNS1_3repE0EEENS1_30default_config_static_selectorELNS0_4arch9wavefront6targetE1EEEvT1_
	.globl	_ZN7rocprim17ROCPRIM_400000_NS6detail17trampoline_kernelINS0_14default_configENS1_25partition_config_selectorILNS1_17partition_subalgoE8EyNS0_10empty_typeEbEEZZNS1_14partition_implILS5_8ELb0ES3_jN6thrust23THRUST_200600_302600_NS6detail15normal_iteratorINSA_10device_ptrIyEEEEPS6_PKS6_NS0_5tupleIJNSA_16discard_iteratorINSA_11use_defaultEEES6_EEENSJ_IJSG_SG_EEENS0_18inequality_wrapperINSA_8equal_toIyEEEEPmJS6_EEE10hipError_tPvRmT3_T4_T5_T6_T7_T9_mT8_P12ihipStream_tbDpT10_ENKUlT_T0_E_clISt17integral_constantIbLb1EES1C_IbLb0EEEEDaS18_S19_EUlS18_E_NS1_11comp_targetILNS1_3genE10ELNS1_11target_archE1200ELNS1_3gpuE4ELNS1_3repE0EEENS1_30default_config_static_selectorELNS0_4arch9wavefront6targetE1EEEvT1_
	.p2align	8
	.type	_ZN7rocprim17ROCPRIM_400000_NS6detail17trampoline_kernelINS0_14default_configENS1_25partition_config_selectorILNS1_17partition_subalgoE8EyNS0_10empty_typeEbEEZZNS1_14partition_implILS5_8ELb0ES3_jN6thrust23THRUST_200600_302600_NS6detail15normal_iteratorINSA_10device_ptrIyEEEEPS6_PKS6_NS0_5tupleIJNSA_16discard_iteratorINSA_11use_defaultEEES6_EEENSJ_IJSG_SG_EEENS0_18inequality_wrapperINSA_8equal_toIyEEEEPmJS6_EEE10hipError_tPvRmT3_T4_T5_T6_T7_T9_mT8_P12ihipStream_tbDpT10_ENKUlT_T0_E_clISt17integral_constantIbLb1EES1C_IbLb0EEEEDaS18_S19_EUlS18_E_NS1_11comp_targetILNS1_3genE10ELNS1_11target_archE1200ELNS1_3gpuE4ELNS1_3repE0EEENS1_30default_config_static_selectorELNS0_4arch9wavefront6targetE1EEEvT1_,@function
_ZN7rocprim17ROCPRIM_400000_NS6detail17trampoline_kernelINS0_14default_configENS1_25partition_config_selectorILNS1_17partition_subalgoE8EyNS0_10empty_typeEbEEZZNS1_14partition_implILS5_8ELb0ES3_jN6thrust23THRUST_200600_302600_NS6detail15normal_iteratorINSA_10device_ptrIyEEEEPS6_PKS6_NS0_5tupleIJNSA_16discard_iteratorINSA_11use_defaultEEES6_EEENSJ_IJSG_SG_EEENS0_18inequality_wrapperINSA_8equal_toIyEEEEPmJS6_EEE10hipError_tPvRmT3_T4_T5_T6_T7_T9_mT8_P12ihipStream_tbDpT10_ENKUlT_T0_E_clISt17integral_constantIbLb1EES1C_IbLb0EEEEDaS18_S19_EUlS18_E_NS1_11comp_targetILNS1_3genE10ELNS1_11target_archE1200ELNS1_3gpuE4ELNS1_3repE0EEENS1_30default_config_static_selectorELNS0_4arch9wavefront6targetE1EEEvT1_: ; @_ZN7rocprim17ROCPRIM_400000_NS6detail17trampoline_kernelINS0_14default_configENS1_25partition_config_selectorILNS1_17partition_subalgoE8EyNS0_10empty_typeEbEEZZNS1_14partition_implILS5_8ELb0ES3_jN6thrust23THRUST_200600_302600_NS6detail15normal_iteratorINSA_10device_ptrIyEEEEPS6_PKS6_NS0_5tupleIJNSA_16discard_iteratorINSA_11use_defaultEEES6_EEENSJ_IJSG_SG_EEENS0_18inequality_wrapperINSA_8equal_toIyEEEEPmJS6_EEE10hipError_tPvRmT3_T4_T5_T6_T7_T9_mT8_P12ihipStream_tbDpT10_ENKUlT_T0_E_clISt17integral_constantIbLb1EES1C_IbLb0EEEEDaS18_S19_EUlS18_E_NS1_11comp_targetILNS1_3genE10ELNS1_11target_archE1200ELNS1_3gpuE4ELNS1_3repE0EEENS1_30default_config_static_selectorELNS0_4arch9wavefront6targetE1EEEvT1_
; %bb.0:
	.section	.rodata,"a",@progbits
	.p2align	6, 0x0
	.amdhsa_kernel _ZN7rocprim17ROCPRIM_400000_NS6detail17trampoline_kernelINS0_14default_configENS1_25partition_config_selectorILNS1_17partition_subalgoE8EyNS0_10empty_typeEbEEZZNS1_14partition_implILS5_8ELb0ES3_jN6thrust23THRUST_200600_302600_NS6detail15normal_iteratorINSA_10device_ptrIyEEEEPS6_PKS6_NS0_5tupleIJNSA_16discard_iteratorINSA_11use_defaultEEES6_EEENSJ_IJSG_SG_EEENS0_18inequality_wrapperINSA_8equal_toIyEEEEPmJS6_EEE10hipError_tPvRmT3_T4_T5_T6_T7_T9_mT8_P12ihipStream_tbDpT10_ENKUlT_T0_E_clISt17integral_constantIbLb1EES1C_IbLb0EEEEDaS18_S19_EUlS18_E_NS1_11comp_targetILNS1_3genE10ELNS1_11target_archE1200ELNS1_3gpuE4ELNS1_3repE0EEENS1_30default_config_static_selectorELNS0_4arch9wavefront6targetE1EEEvT1_
		.amdhsa_group_segment_fixed_size 0
		.amdhsa_private_segment_fixed_size 0
		.amdhsa_kernarg_size 120
		.amdhsa_user_sgpr_count 6
		.amdhsa_user_sgpr_private_segment_buffer 1
		.amdhsa_user_sgpr_dispatch_ptr 0
		.amdhsa_user_sgpr_queue_ptr 0
		.amdhsa_user_sgpr_kernarg_segment_ptr 1
		.amdhsa_user_sgpr_dispatch_id 0
		.amdhsa_user_sgpr_flat_scratch_init 0
		.amdhsa_user_sgpr_private_segment_size 0
		.amdhsa_uses_dynamic_stack 0
		.amdhsa_system_sgpr_private_segment_wavefront_offset 0
		.amdhsa_system_sgpr_workgroup_id_x 1
		.amdhsa_system_sgpr_workgroup_id_y 0
		.amdhsa_system_sgpr_workgroup_id_z 0
		.amdhsa_system_sgpr_workgroup_info 0
		.amdhsa_system_vgpr_workitem_id 0
		.amdhsa_next_free_vgpr 1
		.amdhsa_next_free_sgpr 0
		.amdhsa_reserve_vcc 0
		.amdhsa_reserve_flat_scratch 0
		.amdhsa_float_round_mode_32 0
		.amdhsa_float_round_mode_16_64 0
		.amdhsa_float_denorm_mode_32 3
		.amdhsa_float_denorm_mode_16_64 3
		.amdhsa_dx10_clamp 1
		.amdhsa_ieee_mode 1
		.amdhsa_fp16_overflow 0
		.amdhsa_exception_fp_ieee_invalid_op 0
		.amdhsa_exception_fp_denorm_src 0
		.amdhsa_exception_fp_ieee_div_zero 0
		.amdhsa_exception_fp_ieee_overflow 0
		.amdhsa_exception_fp_ieee_underflow 0
		.amdhsa_exception_fp_ieee_inexact 0
		.amdhsa_exception_int_div_zero 0
	.end_amdhsa_kernel
	.section	.text._ZN7rocprim17ROCPRIM_400000_NS6detail17trampoline_kernelINS0_14default_configENS1_25partition_config_selectorILNS1_17partition_subalgoE8EyNS0_10empty_typeEbEEZZNS1_14partition_implILS5_8ELb0ES3_jN6thrust23THRUST_200600_302600_NS6detail15normal_iteratorINSA_10device_ptrIyEEEEPS6_PKS6_NS0_5tupleIJNSA_16discard_iteratorINSA_11use_defaultEEES6_EEENSJ_IJSG_SG_EEENS0_18inequality_wrapperINSA_8equal_toIyEEEEPmJS6_EEE10hipError_tPvRmT3_T4_T5_T6_T7_T9_mT8_P12ihipStream_tbDpT10_ENKUlT_T0_E_clISt17integral_constantIbLb1EES1C_IbLb0EEEEDaS18_S19_EUlS18_E_NS1_11comp_targetILNS1_3genE10ELNS1_11target_archE1200ELNS1_3gpuE4ELNS1_3repE0EEENS1_30default_config_static_selectorELNS0_4arch9wavefront6targetE1EEEvT1_,"axG",@progbits,_ZN7rocprim17ROCPRIM_400000_NS6detail17trampoline_kernelINS0_14default_configENS1_25partition_config_selectorILNS1_17partition_subalgoE8EyNS0_10empty_typeEbEEZZNS1_14partition_implILS5_8ELb0ES3_jN6thrust23THRUST_200600_302600_NS6detail15normal_iteratorINSA_10device_ptrIyEEEEPS6_PKS6_NS0_5tupleIJNSA_16discard_iteratorINSA_11use_defaultEEES6_EEENSJ_IJSG_SG_EEENS0_18inequality_wrapperINSA_8equal_toIyEEEEPmJS6_EEE10hipError_tPvRmT3_T4_T5_T6_T7_T9_mT8_P12ihipStream_tbDpT10_ENKUlT_T0_E_clISt17integral_constantIbLb1EES1C_IbLb0EEEEDaS18_S19_EUlS18_E_NS1_11comp_targetILNS1_3genE10ELNS1_11target_archE1200ELNS1_3gpuE4ELNS1_3repE0EEENS1_30default_config_static_selectorELNS0_4arch9wavefront6targetE1EEEvT1_,comdat
.Lfunc_end554:
	.size	_ZN7rocprim17ROCPRIM_400000_NS6detail17trampoline_kernelINS0_14default_configENS1_25partition_config_selectorILNS1_17partition_subalgoE8EyNS0_10empty_typeEbEEZZNS1_14partition_implILS5_8ELb0ES3_jN6thrust23THRUST_200600_302600_NS6detail15normal_iteratorINSA_10device_ptrIyEEEEPS6_PKS6_NS0_5tupleIJNSA_16discard_iteratorINSA_11use_defaultEEES6_EEENSJ_IJSG_SG_EEENS0_18inequality_wrapperINSA_8equal_toIyEEEEPmJS6_EEE10hipError_tPvRmT3_T4_T5_T6_T7_T9_mT8_P12ihipStream_tbDpT10_ENKUlT_T0_E_clISt17integral_constantIbLb1EES1C_IbLb0EEEEDaS18_S19_EUlS18_E_NS1_11comp_targetILNS1_3genE10ELNS1_11target_archE1200ELNS1_3gpuE4ELNS1_3repE0EEENS1_30default_config_static_selectorELNS0_4arch9wavefront6targetE1EEEvT1_, .Lfunc_end554-_ZN7rocprim17ROCPRIM_400000_NS6detail17trampoline_kernelINS0_14default_configENS1_25partition_config_selectorILNS1_17partition_subalgoE8EyNS0_10empty_typeEbEEZZNS1_14partition_implILS5_8ELb0ES3_jN6thrust23THRUST_200600_302600_NS6detail15normal_iteratorINSA_10device_ptrIyEEEEPS6_PKS6_NS0_5tupleIJNSA_16discard_iteratorINSA_11use_defaultEEES6_EEENSJ_IJSG_SG_EEENS0_18inequality_wrapperINSA_8equal_toIyEEEEPmJS6_EEE10hipError_tPvRmT3_T4_T5_T6_T7_T9_mT8_P12ihipStream_tbDpT10_ENKUlT_T0_E_clISt17integral_constantIbLb1EES1C_IbLb0EEEEDaS18_S19_EUlS18_E_NS1_11comp_targetILNS1_3genE10ELNS1_11target_archE1200ELNS1_3gpuE4ELNS1_3repE0EEENS1_30default_config_static_selectorELNS0_4arch9wavefront6targetE1EEEvT1_
                                        ; -- End function
	.set _ZN7rocprim17ROCPRIM_400000_NS6detail17trampoline_kernelINS0_14default_configENS1_25partition_config_selectorILNS1_17partition_subalgoE8EyNS0_10empty_typeEbEEZZNS1_14partition_implILS5_8ELb0ES3_jN6thrust23THRUST_200600_302600_NS6detail15normal_iteratorINSA_10device_ptrIyEEEEPS6_PKS6_NS0_5tupleIJNSA_16discard_iteratorINSA_11use_defaultEEES6_EEENSJ_IJSG_SG_EEENS0_18inequality_wrapperINSA_8equal_toIyEEEEPmJS6_EEE10hipError_tPvRmT3_T4_T5_T6_T7_T9_mT8_P12ihipStream_tbDpT10_ENKUlT_T0_E_clISt17integral_constantIbLb1EES1C_IbLb0EEEEDaS18_S19_EUlS18_E_NS1_11comp_targetILNS1_3genE10ELNS1_11target_archE1200ELNS1_3gpuE4ELNS1_3repE0EEENS1_30default_config_static_selectorELNS0_4arch9wavefront6targetE1EEEvT1_.num_vgpr, 0
	.set _ZN7rocprim17ROCPRIM_400000_NS6detail17trampoline_kernelINS0_14default_configENS1_25partition_config_selectorILNS1_17partition_subalgoE8EyNS0_10empty_typeEbEEZZNS1_14partition_implILS5_8ELb0ES3_jN6thrust23THRUST_200600_302600_NS6detail15normal_iteratorINSA_10device_ptrIyEEEEPS6_PKS6_NS0_5tupleIJNSA_16discard_iteratorINSA_11use_defaultEEES6_EEENSJ_IJSG_SG_EEENS0_18inequality_wrapperINSA_8equal_toIyEEEEPmJS6_EEE10hipError_tPvRmT3_T4_T5_T6_T7_T9_mT8_P12ihipStream_tbDpT10_ENKUlT_T0_E_clISt17integral_constantIbLb1EES1C_IbLb0EEEEDaS18_S19_EUlS18_E_NS1_11comp_targetILNS1_3genE10ELNS1_11target_archE1200ELNS1_3gpuE4ELNS1_3repE0EEENS1_30default_config_static_selectorELNS0_4arch9wavefront6targetE1EEEvT1_.num_agpr, 0
	.set _ZN7rocprim17ROCPRIM_400000_NS6detail17trampoline_kernelINS0_14default_configENS1_25partition_config_selectorILNS1_17partition_subalgoE8EyNS0_10empty_typeEbEEZZNS1_14partition_implILS5_8ELb0ES3_jN6thrust23THRUST_200600_302600_NS6detail15normal_iteratorINSA_10device_ptrIyEEEEPS6_PKS6_NS0_5tupleIJNSA_16discard_iteratorINSA_11use_defaultEEES6_EEENSJ_IJSG_SG_EEENS0_18inequality_wrapperINSA_8equal_toIyEEEEPmJS6_EEE10hipError_tPvRmT3_T4_T5_T6_T7_T9_mT8_P12ihipStream_tbDpT10_ENKUlT_T0_E_clISt17integral_constantIbLb1EES1C_IbLb0EEEEDaS18_S19_EUlS18_E_NS1_11comp_targetILNS1_3genE10ELNS1_11target_archE1200ELNS1_3gpuE4ELNS1_3repE0EEENS1_30default_config_static_selectorELNS0_4arch9wavefront6targetE1EEEvT1_.numbered_sgpr, 0
	.set _ZN7rocprim17ROCPRIM_400000_NS6detail17trampoline_kernelINS0_14default_configENS1_25partition_config_selectorILNS1_17partition_subalgoE8EyNS0_10empty_typeEbEEZZNS1_14partition_implILS5_8ELb0ES3_jN6thrust23THRUST_200600_302600_NS6detail15normal_iteratorINSA_10device_ptrIyEEEEPS6_PKS6_NS0_5tupleIJNSA_16discard_iteratorINSA_11use_defaultEEES6_EEENSJ_IJSG_SG_EEENS0_18inequality_wrapperINSA_8equal_toIyEEEEPmJS6_EEE10hipError_tPvRmT3_T4_T5_T6_T7_T9_mT8_P12ihipStream_tbDpT10_ENKUlT_T0_E_clISt17integral_constantIbLb1EES1C_IbLb0EEEEDaS18_S19_EUlS18_E_NS1_11comp_targetILNS1_3genE10ELNS1_11target_archE1200ELNS1_3gpuE4ELNS1_3repE0EEENS1_30default_config_static_selectorELNS0_4arch9wavefront6targetE1EEEvT1_.num_named_barrier, 0
	.set _ZN7rocprim17ROCPRIM_400000_NS6detail17trampoline_kernelINS0_14default_configENS1_25partition_config_selectorILNS1_17partition_subalgoE8EyNS0_10empty_typeEbEEZZNS1_14partition_implILS5_8ELb0ES3_jN6thrust23THRUST_200600_302600_NS6detail15normal_iteratorINSA_10device_ptrIyEEEEPS6_PKS6_NS0_5tupleIJNSA_16discard_iteratorINSA_11use_defaultEEES6_EEENSJ_IJSG_SG_EEENS0_18inequality_wrapperINSA_8equal_toIyEEEEPmJS6_EEE10hipError_tPvRmT3_T4_T5_T6_T7_T9_mT8_P12ihipStream_tbDpT10_ENKUlT_T0_E_clISt17integral_constantIbLb1EES1C_IbLb0EEEEDaS18_S19_EUlS18_E_NS1_11comp_targetILNS1_3genE10ELNS1_11target_archE1200ELNS1_3gpuE4ELNS1_3repE0EEENS1_30default_config_static_selectorELNS0_4arch9wavefront6targetE1EEEvT1_.private_seg_size, 0
	.set _ZN7rocprim17ROCPRIM_400000_NS6detail17trampoline_kernelINS0_14default_configENS1_25partition_config_selectorILNS1_17partition_subalgoE8EyNS0_10empty_typeEbEEZZNS1_14partition_implILS5_8ELb0ES3_jN6thrust23THRUST_200600_302600_NS6detail15normal_iteratorINSA_10device_ptrIyEEEEPS6_PKS6_NS0_5tupleIJNSA_16discard_iteratorINSA_11use_defaultEEES6_EEENSJ_IJSG_SG_EEENS0_18inequality_wrapperINSA_8equal_toIyEEEEPmJS6_EEE10hipError_tPvRmT3_T4_T5_T6_T7_T9_mT8_P12ihipStream_tbDpT10_ENKUlT_T0_E_clISt17integral_constantIbLb1EES1C_IbLb0EEEEDaS18_S19_EUlS18_E_NS1_11comp_targetILNS1_3genE10ELNS1_11target_archE1200ELNS1_3gpuE4ELNS1_3repE0EEENS1_30default_config_static_selectorELNS0_4arch9wavefront6targetE1EEEvT1_.uses_vcc, 0
	.set _ZN7rocprim17ROCPRIM_400000_NS6detail17trampoline_kernelINS0_14default_configENS1_25partition_config_selectorILNS1_17partition_subalgoE8EyNS0_10empty_typeEbEEZZNS1_14partition_implILS5_8ELb0ES3_jN6thrust23THRUST_200600_302600_NS6detail15normal_iteratorINSA_10device_ptrIyEEEEPS6_PKS6_NS0_5tupleIJNSA_16discard_iteratorINSA_11use_defaultEEES6_EEENSJ_IJSG_SG_EEENS0_18inequality_wrapperINSA_8equal_toIyEEEEPmJS6_EEE10hipError_tPvRmT3_T4_T5_T6_T7_T9_mT8_P12ihipStream_tbDpT10_ENKUlT_T0_E_clISt17integral_constantIbLb1EES1C_IbLb0EEEEDaS18_S19_EUlS18_E_NS1_11comp_targetILNS1_3genE10ELNS1_11target_archE1200ELNS1_3gpuE4ELNS1_3repE0EEENS1_30default_config_static_selectorELNS0_4arch9wavefront6targetE1EEEvT1_.uses_flat_scratch, 0
	.set _ZN7rocprim17ROCPRIM_400000_NS6detail17trampoline_kernelINS0_14default_configENS1_25partition_config_selectorILNS1_17partition_subalgoE8EyNS0_10empty_typeEbEEZZNS1_14partition_implILS5_8ELb0ES3_jN6thrust23THRUST_200600_302600_NS6detail15normal_iteratorINSA_10device_ptrIyEEEEPS6_PKS6_NS0_5tupleIJNSA_16discard_iteratorINSA_11use_defaultEEES6_EEENSJ_IJSG_SG_EEENS0_18inequality_wrapperINSA_8equal_toIyEEEEPmJS6_EEE10hipError_tPvRmT3_T4_T5_T6_T7_T9_mT8_P12ihipStream_tbDpT10_ENKUlT_T0_E_clISt17integral_constantIbLb1EES1C_IbLb0EEEEDaS18_S19_EUlS18_E_NS1_11comp_targetILNS1_3genE10ELNS1_11target_archE1200ELNS1_3gpuE4ELNS1_3repE0EEENS1_30default_config_static_selectorELNS0_4arch9wavefront6targetE1EEEvT1_.has_dyn_sized_stack, 0
	.set _ZN7rocprim17ROCPRIM_400000_NS6detail17trampoline_kernelINS0_14default_configENS1_25partition_config_selectorILNS1_17partition_subalgoE8EyNS0_10empty_typeEbEEZZNS1_14partition_implILS5_8ELb0ES3_jN6thrust23THRUST_200600_302600_NS6detail15normal_iteratorINSA_10device_ptrIyEEEEPS6_PKS6_NS0_5tupleIJNSA_16discard_iteratorINSA_11use_defaultEEES6_EEENSJ_IJSG_SG_EEENS0_18inequality_wrapperINSA_8equal_toIyEEEEPmJS6_EEE10hipError_tPvRmT3_T4_T5_T6_T7_T9_mT8_P12ihipStream_tbDpT10_ENKUlT_T0_E_clISt17integral_constantIbLb1EES1C_IbLb0EEEEDaS18_S19_EUlS18_E_NS1_11comp_targetILNS1_3genE10ELNS1_11target_archE1200ELNS1_3gpuE4ELNS1_3repE0EEENS1_30default_config_static_selectorELNS0_4arch9wavefront6targetE1EEEvT1_.has_recursion, 0
	.set _ZN7rocprim17ROCPRIM_400000_NS6detail17trampoline_kernelINS0_14default_configENS1_25partition_config_selectorILNS1_17partition_subalgoE8EyNS0_10empty_typeEbEEZZNS1_14partition_implILS5_8ELb0ES3_jN6thrust23THRUST_200600_302600_NS6detail15normal_iteratorINSA_10device_ptrIyEEEEPS6_PKS6_NS0_5tupleIJNSA_16discard_iteratorINSA_11use_defaultEEES6_EEENSJ_IJSG_SG_EEENS0_18inequality_wrapperINSA_8equal_toIyEEEEPmJS6_EEE10hipError_tPvRmT3_T4_T5_T6_T7_T9_mT8_P12ihipStream_tbDpT10_ENKUlT_T0_E_clISt17integral_constantIbLb1EES1C_IbLb0EEEEDaS18_S19_EUlS18_E_NS1_11comp_targetILNS1_3genE10ELNS1_11target_archE1200ELNS1_3gpuE4ELNS1_3repE0EEENS1_30default_config_static_selectorELNS0_4arch9wavefront6targetE1EEEvT1_.has_indirect_call, 0
	.section	.AMDGPU.csdata,"",@progbits
; Kernel info:
; codeLenInByte = 0
; TotalNumSgprs: 4
; NumVgprs: 0
; ScratchSize: 0
; MemoryBound: 0
; FloatMode: 240
; IeeeMode: 1
; LDSByteSize: 0 bytes/workgroup (compile time only)
; SGPRBlocks: 0
; VGPRBlocks: 0
; NumSGPRsForWavesPerEU: 4
; NumVGPRsForWavesPerEU: 1
; Occupancy: 10
; WaveLimiterHint : 0
; COMPUTE_PGM_RSRC2:SCRATCH_EN: 0
; COMPUTE_PGM_RSRC2:USER_SGPR: 6
; COMPUTE_PGM_RSRC2:TRAP_HANDLER: 0
; COMPUTE_PGM_RSRC2:TGID_X_EN: 1
; COMPUTE_PGM_RSRC2:TGID_Y_EN: 0
; COMPUTE_PGM_RSRC2:TGID_Z_EN: 0
; COMPUTE_PGM_RSRC2:TIDIG_COMP_CNT: 0
	.section	.text._ZN7rocprim17ROCPRIM_400000_NS6detail17trampoline_kernelINS0_14default_configENS1_25partition_config_selectorILNS1_17partition_subalgoE8EyNS0_10empty_typeEbEEZZNS1_14partition_implILS5_8ELb0ES3_jN6thrust23THRUST_200600_302600_NS6detail15normal_iteratorINSA_10device_ptrIyEEEEPS6_PKS6_NS0_5tupleIJNSA_16discard_iteratorINSA_11use_defaultEEES6_EEENSJ_IJSG_SG_EEENS0_18inequality_wrapperINSA_8equal_toIyEEEEPmJS6_EEE10hipError_tPvRmT3_T4_T5_T6_T7_T9_mT8_P12ihipStream_tbDpT10_ENKUlT_T0_E_clISt17integral_constantIbLb1EES1C_IbLb0EEEEDaS18_S19_EUlS18_E_NS1_11comp_targetILNS1_3genE9ELNS1_11target_archE1100ELNS1_3gpuE3ELNS1_3repE0EEENS1_30default_config_static_selectorELNS0_4arch9wavefront6targetE1EEEvT1_,"axG",@progbits,_ZN7rocprim17ROCPRIM_400000_NS6detail17trampoline_kernelINS0_14default_configENS1_25partition_config_selectorILNS1_17partition_subalgoE8EyNS0_10empty_typeEbEEZZNS1_14partition_implILS5_8ELb0ES3_jN6thrust23THRUST_200600_302600_NS6detail15normal_iteratorINSA_10device_ptrIyEEEEPS6_PKS6_NS0_5tupleIJNSA_16discard_iteratorINSA_11use_defaultEEES6_EEENSJ_IJSG_SG_EEENS0_18inequality_wrapperINSA_8equal_toIyEEEEPmJS6_EEE10hipError_tPvRmT3_T4_T5_T6_T7_T9_mT8_P12ihipStream_tbDpT10_ENKUlT_T0_E_clISt17integral_constantIbLb1EES1C_IbLb0EEEEDaS18_S19_EUlS18_E_NS1_11comp_targetILNS1_3genE9ELNS1_11target_archE1100ELNS1_3gpuE3ELNS1_3repE0EEENS1_30default_config_static_selectorELNS0_4arch9wavefront6targetE1EEEvT1_,comdat
	.protected	_ZN7rocprim17ROCPRIM_400000_NS6detail17trampoline_kernelINS0_14default_configENS1_25partition_config_selectorILNS1_17partition_subalgoE8EyNS0_10empty_typeEbEEZZNS1_14partition_implILS5_8ELb0ES3_jN6thrust23THRUST_200600_302600_NS6detail15normal_iteratorINSA_10device_ptrIyEEEEPS6_PKS6_NS0_5tupleIJNSA_16discard_iteratorINSA_11use_defaultEEES6_EEENSJ_IJSG_SG_EEENS0_18inequality_wrapperINSA_8equal_toIyEEEEPmJS6_EEE10hipError_tPvRmT3_T4_T5_T6_T7_T9_mT8_P12ihipStream_tbDpT10_ENKUlT_T0_E_clISt17integral_constantIbLb1EES1C_IbLb0EEEEDaS18_S19_EUlS18_E_NS1_11comp_targetILNS1_3genE9ELNS1_11target_archE1100ELNS1_3gpuE3ELNS1_3repE0EEENS1_30default_config_static_selectorELNS0_4arch9wavefront6targetE1EEEvT1_ ; -- Begin function _ZN7rocprim17ROCPRIM_400000_NS6detail17trampoline_kernelINS0_14default_configENS1_25partition_config_selectorILNS1_17partition_subalgoE8EyNS0_10empty_typeEbEEZZNS1_14partition_implILS5_8ELb0ES3_jN6thrust23THRUST_200600_302600_NS6detail15normal_iteratorINSA_10device_ptrIyEEEEPS6_PKS6_NS0_5tupleIJNSA_16discard_iteratorINSA_11use_defaultEEES6_EEENSJ_IJSG_SG_EEENS0_18inequality_wrapperINSA_8equal_toIyEEEEPmJS6_EEE10hipError_tPvRmT3_T4_T5_T6_T7_T9_mT8_P12ihipStream_tbDpT10_ENKUlT_T0_E_clISt17integral_constantIbLb1EES1C_IbLb0EEEEDaS18_S19_EUlS18_E_NS1_11comp_targetILNS1_3genE9ELNS1_11target_archE1100ELNS1_3gpuE3ELNS1_3repE0EEENS1_30default_config_static_selectorELNS0_4arch9wavefront6targetE1EEEvT1_
	.globl	_ZN7rocprim17ROCPRIM_400000_NS6detail17trampoline_kernelINS0_14default_configENS1_25partition_config_selectorILNS1_17partition_subalgoE8EyNS0_10empty_typeEbEEZZNS1_14partition_implILS5_8ELb0ES3_jN6thrust23THRUST_200600_302600_NS6detail15normal_iteratorINSA_10device_ptrIyEEEEPS6_PKS6_NS0_5tupleIJNSA_16discard_iteratorINSA_11use_defaultEEES6_EEENSJ_IJSG_SG_EEENS0_18inequality_wrapperINSA_8equal_toIyEEEEPmJS6_EEE10hipError_tPvRmT3_T4_T5_T6_T7_T9_mT8_P12ihipStream_tbDpT10_ENKUlT_T0_E_clISt17integral_constantIbLb1EES1C_IbLb0EEEEDaS18_S19_EUlS18_E_NS1_11comp_targetILNS1_3genE9ELNS1_11target_archE1100ELNS1_3gpuE3ELNS1_3repE0EEENS1_30default_config_static_selectorELNS0_4arch9wavefront6targetE1EEEvT1_
	.p2align	8
	.type	_ZN7rocprim17ROCPRIM_400000_NS6detail17trampoline_kernelINS0_14default_configENS1_25partition_config_selectorILNS1_17partition_subalgoE8EyNS0_10empty_typeEbEEZZNS1_14partition_implILS5_8ELb0ES3_jN6thrust23THRUST_200600_302600_NS6detail15normal_iteratorINSA_10device_ptrIyEEEEPS6_PKS6_NS0_5tupleIJNSA_16discard_iteratorINSA_11use_defaultEEES6_EEENSJ_IJSG_SG_EEENS0_18inequality_wrapperINSA_8equal_toIyEEEEPmJS6_EEE10hipError_tPvRmT3_T4_T5_T6_T7_T9_mT8_P12ihipStream_tbDpT10_ENKUlT_T0_E_clISt17integral_constantIbLb1EES1C_IbLb0EEEEDaS18_S19_EUlS18_E_NS1_11comp_targetILNS1_3genE9ELNS1_11target_archE1100ELNS1_3gpuE3ELNS1_3repE0EEENS1_30default_config_static_selectorELNS0_4arch9wavefront6targetE1EEEvT1_,@function
_ZN7rocprim17ROCPRIM_400000_NS6detail17trampoline_kernelINS0_14default_configENS1_25partition_config_selectorILNS1_17partition_subalgoE8EyNS0_10empty_typeEbEEZZNS1_14partition_implILS5_8ELb0ES3_jN6thrust23THRUST_200600_302600_NS6detail15normal_iteratorINSA_10device_ptrIyEEEEPS6_PKS6_NS0_5tupleIJNSA_16discard_iteratorINSA_11use_defaultEEES6_EEENSJ_IJSG_SG_EEENS0_18inequality_wrapperINSA_8equal_toIyEEEEPmJS6_EEE10hipError_tPvRmT3_T4_T5_T6_T7_T9_mT8_P12ihipStream_tbDpT10_ENKUlT_T0_E_clISt17integral_constantIbLb1EES1C_IbLb0EEEEDaS18_S19_EUlS18_E_NS1_11comp_targetILNS1_3genE9ELNS1_11target_archE1100ELNS1_3gpuE3ELNS1_3repE0EEENS1_30default_config_static_selectorELNS0_4arch9wavefront6targetE1EEEvT1_: ; @_ZN7rocprim17ROCPRIM_400000_NS6detail17trampoline_kernelINS0_14default_configENS1_25partition_config_selectorILNS1_17partition_subalgoE8EyNS0_10empty_typeEbEEZZNS1_14partition_implILS5_8ELb0ES3_jN6thrust23THRUST_200600_302600_NS6detail15normal_iteratorINSA_10device_ptrIyEEEEPS6_PKS6_NS0_5tupleIJNSA_16discard_iteratorINSA_11use_defaultEEES6_EEENSJ_IJSG_SG_EEENS0_18inequality_wrapperINSA_8equal_toIyEEEEPmJS6_EEE10hipError_tPvRmT3_T4_T5_T6_T7_T9_mT8_P12ihipStream_tbDpT10_ENKUlT_T0_E_clISt17integral_constantIbLb1EES1C_IbLb0EEEEDaS18_S19_EUlS18_E_NS1_11comp_targetILNS1_3genE9ELNS1_11target_archE1100ELNS1_3gpuE3ELNS1_3repE0EEENS1_30default_config_static_selectorELNS0_4arch9wavefront6targetE1EEEvT1_
; %bb.0:
	.section	.rodata,"a",@progbits
	.p2align	6, 0x0
	.amdhsa_kernel _ZN7rocprim17ROCPRIM_400000_NS6detail17trampoline_kernelINS0_14default_configENS1_25partition_config_selectorILNS1_17partition_subalgoE8EyNS0_10empty_typeEbEEZZNS1_14partition_implILS5_8ELb0ES3_jN6thrust23THRUST_200600_302600_NS6detail15normal_iteratorINSA_10device_ptrIyEEEEPS6_PKS6_NS0_5tupleIJNSA_16discard_iteratorINSA_11use_defaultEEES6_EEENSJ_IJSG_SG_EEENS0_18inequality_wrapperINSA_8equal_toIyEEEEPmJS6_EEE10hipError_tPvRmT3_T4_T5_T6_T7_T9_mT8_P12ihipStream_tbDpT10_ENKUlT_T0_E_clISt17integral_constantIbLb1EES1C_IbLb0EEEEDaS18_S19_EUlS18_E_NS1_11comp_targetILNS1_3genE9ELNS1_11target_archE1100ELNS1_3gpuE3ELNS1_3repE0EEENS1_30default_config_static_selectorELNS0_4arch9wavefront6targetE1EEEvT1_
		.amdhsa_group_segment_fixed_size 0
		.amdhsa_private_segment_fixed_size 0
		.amdhsa_kernarg_size 120
		.amdhsa_user_sgpr_count 6
		.amdhsa_user_sgpr_private_segment_buffer 1
		.amdhsa_user_sgpr_dispatch_ptr 0
		.amdhsa_user_sgpr_queue_ptr 0
		.amdhsa_user_sgpr_kernarg_segment_ptr 1
		.amdhsa_user_sgpr_dispatch_id 0
		.amdhsa_user_sgpr_flat_scratch_init 0
		.amdhsa_user_sgpr_private_segment_size 0
		.amdhsa_uses_dynamic_stack 0
		.amdhsa_system_sgpr_private_segment_wavefront_offset 0
		.amdhsa_system_sgpr_workgroup_id_x 1
		.amdhsa_system_sgpr_workgroup_id_y 0
		.amdhsa_system_sgpr_workgroup_id_z 0
		.amdhsa_system_sgpr_workgroup_info 0
		.amdhsa_system_vgpr_workitem_id 0
		.amdhsa_next_free_vgpr 1
		.amdhsa_next_free_sgpr 0
		.amdhsa_reserve_vcc 0
		.amdhsa_reserve_flat_scratch 0
		.amdhsa_float_round_mode_32 0
		.amdhsa_float_round_mode_16_64 0
		.amdhsa_float_denorm_mode_32 3
		.amdhsa_float_denorm_mode_16_64 3
		.amdhsa_dx10_clamp 1
		.amdhsa_ieee_mode 1
		.amdhsa_fp16_overflow 0
		.amdhsa_exception_fp_ieee_invalid_op 0
		.amdhsa_exception_fp_denorm_src 0
		.amdhsa_exception_fp_ieee_div_zero 0
		.amdhsa_exception_fp_ieee_overflow 0
		.amdhsa_exception_fp_ieee_underflow 0
		.amdhsa_exception_fp_ieee_inexact 0
		.amdhsa_exception_int_div_zero 0
	.end_amdhsa_kernel
	.section	.text._ZN7rocprim17ROCPRIM_400000_NS6detail17trampoline_kernelINS0_14default_configENS1_25partition_config_selectorILNS1_17partition_subalgoE8EyNS0_10empty_typeEbEEZZNS1_14partition_implILS5_8ELb0ES3_jN6thrust23THRUST_200600_302600_NS6detail15normal_iteratorINSA_10device_ptrIyEEEEPS6_PKS6_NS0_5tupleIJNSA_16discard_iteratorINSA_11use_defaultEEES6_EEENSJ_IJSG_SG_EEENS0_18inequality_wrapperINSA_8equal_toIyEEEEPmJS6_EEE10hipError_tPvRmT3_T4_T5_T6_T7_T9_mT8_P12ihipStream_tbDpT10_ENKUlT_T0_E_clISt17integral_constantIbLb1EES1C_IbLb0EEEEDaS18_S19_EUlS18_E_NS1_11comp_targetILNS1_3genE9ELNS1_11target_archE1100ELNS1_3gpuE3ELNS1_3repE0EEENS1_30default_config_static_selectorELNS0_4arch9wavefront6targetE1EEEvT1_,"axG",@progbits,_ZN7rocprim17ROCPRIM_400000_NS6detail17trampoline_kernelINS0_14default_configENS1_25partition_config_selectorILNS1_17partition_subalgoE8EyNS0_10empty_typeEbEEZZNS1_14partition_implILS5_8ELb0ES3_jN6thrust23THRUST_200600_302600_NS6detail15normal_iteratorINSA_10device_ptrIyEEEEPS6_PKS6_NS0_5tupleIJNSA_16discard_iteratorINSA_11use_defaultEEES6_EEENSJ_IJSG_SG_EEENS0_18inequality_wrapperINSA_8equal_toIyEEEEPmJS6_EEE10hipError_tPvRmT3_T4_T5_T6_T7_T9_mT8_P12ihipStream_tbDpT10_ENKUlT_T0_E_clISt17integral_constantIbLb1EES1C_IbLb0EEEEDaS18_S19_EUlS18_E_NS1_11comp_targetILNS1_3genE9ELNS1_11target_archE1100ELNS1_3gpuE3ELNS1_3repE0EEENS1_30default_config_static_selectorELNS0_4arch9wavefront6targetE1EEEvT1_,comdat
.Lfunc_end555:
	.size	_ZN7rocprim17ROCPRIM_400000_NS6detail17trampoline_kernelINS0_14default_configENS1_25partition_config_selectorILNS1_17partition_subalgoE8EyNS0_10empty_typeEbEEZZNS1_14partition_implILS5_8ELb0ES3_jN6thrust23THRUST_200600_302600_NS6detail15normal_iteratorINSA_10device_ptrIyEEEEPS6_PKS6_NS0_5tupleIJNSA_16discard_iteratorINSA_11use_defaultEEES6_EEENSJ_IJSG_SG_EEENS0_18inequality_wrapperINSA_8equal_toIyEEEEPmJS6_EEE10hipError_tPvRmT3_T4_T5_T6_T7_T9_mT8_P12ihipStream_tbDpT10_ENKUlT_T0_E_clISt17integral_constantIbLb1EES1C_IbLb0EEEEDaS18_S19_EUlS18_E_NS1_11comp_targetILNS1_3genE9ELNS1_11target_archE1100ELNS1_3gpuE3ELNS1_3repE0EEENS1_30default_config_static_selectorELNS0_4arch9wavefront6targetE1EEEvT1_, .Lfunc_end555-_ZN7rocprim17ROCPRIM_400000_NS6detail17trampoline_kernelINS0_14default_configENS1_25partition_config_selectorILNS1_17partition_subalgoE8EyNS0_10empty_typeEbEEZZNS1_14partition_implILS5_8ELb0ES3_jN6thrust23THRUST_200600_302600_NS6detail15normal_iteratorINSA_10device_ptrIyEEEEPS6_PKS6_NS0_5tupleIJNSA_16discard_iteratorINSA_11use_defaultEEES6_EEENSJ_IJSG_SG_EEENS0_18inequality_wrapperINSA_8equal_toIyEEEEPmJS6_EEE10hipError_tPvRmT3_T4_T5_T6_T7_T9_mT8_P12ihipStream_tbDpT10_ENKUlT_T0_E_clISt17integral_constantIbLb1EES1C_IbLb0EEEEDaS18_S19_EUlS18_E_NS1_11comp_targetILNS1_3genE9ELNS1_11target_archE1100ELNS1_3gpuE3ELNS1_3repE0EEENS1_30default_config_static_selectorELNS0_4arch9wavefront6targetE1EEEvT1_
                                        ; -- End function
	.set _ZN7rocprim17ROCPRIM_400000_NS6detail17trampoline_kernelINS0_14default_configENS1_25partition_config_selectorILNS1_17partition_subalgoE8EyNS0_10empty_typeEbEEZZNS1_14partition_implILS5_8ELb0ES3_jN6thrust23THRUST_200600_302600_NS6detail15normal_iteratorINSA_10device_ptrIyEEEEPS6_PKS6_NS0_5tupleIJNSA_16discard_iteratorINSA_11use_defaultEEES6_EEENSJ_IJSG_SG_EEENS0_18inequality_wrapperINSA_8equal_toIyEEEEPmJS6_EEE10hipError_tPvRmT3_T4_T5_T6_T7_T9_mT8_P12ihipStream_tbDpT10_ENKUlT_T0_E_clISt17integral_constantIbLb1EES1C_IbLb0EEEEDaS18_S19_EUlS18_E_NS1_11comp_targetILNS1_3genE9ELNS1_11target_archE1100ELNS1_3gpuE3ELNS1_3repE0EEENS1_30default_config_static_selectorELNS0_4arch9wavefront6targetE1EEEvT1_.num_vgpr, 0
	.set _ZN7rocprim17ROCPRIM_400000_NS6detail17trampoline_kernelINS0_14default_configENS1_25partition_config_selectorILNS1_17partition_subalgoE8EyNS0_10empty_typeEbEEZZNS1_14partition_implILS5_8ELb0ES3_jN6thrust23THRUST_200600_302600_NS6detail15normal_iteratorINSA_10device_ptrIyEEEEPS6_PKS6_NS0_5tupleIJNSA_16discard_iteratorINSA_11use_defaultEEES6_EEENSJ_IJSG_SG_EEENS0_18inequality_wrapperINSA_8equal_toIyEEEEPmJS6_EEE10hipError_tPvRmT3_T4_T5_T6_T7_T9_mT8_P12ihipStream_tbDpT10_ENKUlT_T0_E_clISt17integral_constantIbLb1EES1C_IbLb0EEEEDaS18_S19_EUlS18_E_NS1_11comp_targetILNS1_3genE9ELNS1_11target_archE1100ELNS1_3gpuE3ELNS1_3repE0EEENS1_30default_config_static_selectorELNS0_4arch9wavefront6targetE1EEEvT1_.num_agpr, 0
	.set _ZN7rocprim17ROCPRIM_400000_NS6detail17trampoline_kernelINS0_14default_configENS1_25partition_config_selectorILNS1_17partition_subalgoE8EyNS0_10empty_typeEbEEZZNS1_14partition_implILS5_8ELb0ES3_jN6thrust23THRUST_200600_302600_NS6detail15normal_iteratorINSA_10device_ptrIyEEEEPS6_PKS6_NS0_5tupleIJNSA_16discard_iteratorINSA_11use_defaultEEES6_EEENSJ_IJSG_SG_EEENS0_18inequality_wrapperINSA_8equal_toIyEEEEPmJS6_EEE10hipError_tPvRmT3_T4_T5_T6_T7_T9_mT8_P12ihipStream_tbDpT10_ENKUlT_T0_E_clISt17integral_constantIbLb1EES1C_IbLb0EEEEDaS18_S19_EUlS18_E_NS1_11comp_targetILNS1_3genE9ELNS1_11target_archE1100ELNS1_3gpuE3ELNS1_3repE0EEENS1_30default_config_static_selectorELNS0_4arch9wavefront6targetE1EEEvT1_.numbered_sgpr, 0
	.set _ZN7rocprim17ROCPRIM_400000_NS6detail17trampoline_kernelINS0_14default_configENS1_25partition_config_selectorILNS1_17partition_subalgoE8EyNS0_10empty_typeEbEEZZNS1_14partition_implILS5_8ELb0ES3_jN6thrust23THRUST_200600_302600_NS6detail15normal_iteratorINSA_10device_ptrIyEEEEPS6_PKS6_NS0_5tupleIJNSA_16discard_iteratorINSA_11use_defaultEEES6_EEENSJ_IJSG_SG_EEENS0_18inequality_wrapperINSA_8equal_toIyEEEEPmJS6_EEE10hipError_tPvRmT3_T4_T5_T6_T7_T9_mT8_P12ihipStream_tbDpT10_ENKUlT_T0_E_clISt17integral_constantIbLb1EES1C_IbLb0EEEEDaS18_S19_EUlS18_E_NS1_11comp_targetILNS1_3genE9ELNS1_11target_archE1100ELNS1_3gpuE3ELNS1_3repE0EEENS1_30default_config_static_selectorELNS0_4arch9wavefront6targetE1EEEvT1_.num_named_barrier, 0
	.set _ZN7rocprim17ROCPRIM_400000_NS6detail17trampoline_kernelINS0_14default_configENS1_25partition_config_selectorILNS1_17partition_subalgoE8EyNS0_10empty_typeEbEEZZNS1_14partition_implILS5_8ELb0ES3_jN6thrust23THRUST_200600_302600_NS6detail15normal_iteratorINSA_10device_ptrIyEEEEPS6_PKS6_NS0_5tupleIJNSA_16discard_iteratorINSA_11use_defaultEEES6_EEENSJ_IJSG_SG_EEENS0_18inequality_wrapperINSA_8equal_toIyEEEEPmJS6_EEE10hipError_tPvRmT3_T4_T5_T6_T7_T9_mT8_P12ihipStream_tbDpT10_ENKUlT_T0_E_clISt17integral_constantIbLb1EES1C_IbLb0EEEEDaS18_S19_EUlS18_E_NS1_11comp_targetILNS1_3genE9ELNS1_11target_archE1100ELNS1_3gpuE3ELNS1_3repE0EEENS1_30default_config_static_selectorELNS0_4arch9wavefront6targetE1EEEvT1_.private_seg_size, 0
	.set _ZN7rocprim17ROCPRIM_400000_NS6detail17trampoline_kernelINS0_14default_configENS1_25partition_config_selectorILNS1_17partition_subalgoE8EyNS0_10empty_typeEbEEZZNS1_14partition_implILS5_8ELb0ES3_jN6thrust23THRUST_200600_302600_NS6detail15normal_iteratorINSA_10device_ptrIyEEEEPS6_PKS6_NS0_5tupleIJNSA_16discard_iteratorINSA_11use_defaultEEES6_EEENSJ_IJSG_SG_EEENS0_18inequality_wrapperINSA_8equal_toIyEEEEPmJS6_EEE10hipError_tPvRmT3_T4_T5_T6_T7_T9_mT8_P12ihipStream_tbDpT10_ENKUlT_T0_E_clISt17integral_constantIbLb1EES1C_IbLb0EEEEDaS18_S19_EUlS18_E_NS1_11comp_targetILNS1_3genE9ELNS1_11target_archE1100ELNS1_3gpuE3ELNS1_3repE0EEENS1_30default_config_static_selectorELNS0_4arch9wavefront6targetE1EEEvT1_.uses_vcc, 0
	.set _ZN7rocprim17ROCPRIM_400000_NS6detail17trampoline_kernelINS0_14default_configENS1_25partition_config_selectorILNS1_17partition_subalgoE8EyNS0_10empty_typeEbEEZZNS1_14partition_implILS5_8ELb0ES3_jN6thrust23THRUST_200600_302600_NS6detail15normal_iteratorINSA_10device_ptrIyEEEEPS6_PKS6_NS0_5tupleIJNSA_16discard_iteratorINSA_11use_defaultEEES6_EEENSJ_IJSG_SG_EEENS0_18inequality_wrapperINSA_8equal_toIyEEEEPmJS6_EEE10hipError_tPvRmT3_T4_T5_T6_T7_T9_mT8_P12ihipStream_tbDpT10_ENKUlT_T0_E_clISt17integral_constantIbLb1EES1C_IbLb0EEEEDaS18_S19_EUlS18_E_NS1_11comp_targetILNS1_3genE9ELNS1_11target_archE1100ELNS1_3gpuE3ELNS1_3repE0EEENS1_30default_config_static_selectorELNS0_4arch9wavefront6targetE1EEEvT1_.uses_flat_scratch, 0
	.set _ZN7rocprim17ROCPRIM_400000_NS6detail17trampoline_kernelINS0_14default_configENS1_25partition_config_selectorILNS1_17partition_subalgoE8EyNS0_10empty_typeEbEEZZNS1_14partition_implILS5_8ELb0ES3_jN6thrust23THRUST_200600_302600_NS6detail15normal_iteratorINSA_10device_ptrIyEEEEPS6_PKS6_NS0_5tupleIJNSA_16discard_iteratorINSA_11use_defaultEEES6_EEENSJ_IJSG_SG_EEENS0_18inequality_wrapperINSA_8equal_toIyEEEEPmJS6_EEE10hipError_tPvRmT3_T4_T5_T6_T7_T9_mT8_P12ihipStream_tbDpT10_ENKUlT_T0_E_clISt17integral_constantIbLb1EES1C_IbLb0EEEEDaS18_S19_EUlS18_E_NS1_11comp_targetILNS1_3genE9ELNS1_11target_archE1100ELNS1_3gpuE3ELNS1_3repE0EEENS1_30default_config_static_selectorELNS0_4arch9wavefront6targetE1EEEvT1_.has_dyn_sized_stack, 0
	.set _ZN7rocprim17ROCPRIM_400000_NS6detail17trampoline_kernelINS0_14default_configENS1_25partition_config_selectorILNS1_17partition_subalgoE8EyNS0_10empty_typeEbEEZZNS1_14partition_implILS5_8ELb0ES3_jN6thrust23THRUST_200600_302600_NS6detail15normal_iteratorINSA_10device_ptrIyEEEEPS6_PKS6_NS0_5tupleIJNSA_16discard_iteratorINSA_11use_defaultEEES6_EEENSJ_IJSG_SG_EEENS0_18inequality_wrapperINSA_8equal_toIyEEEEPmJS6_EEE10hipError_tPvRmT3_T4_T5_T6_T7_T9_mT8_P12ihipStream_tbDpT10_ENKUlT_T0_E_clISt17integral_constantIbLb1EES1C_IbLb0EEEEDaS18_S19_EUlS18_E_NS1_11comp_targetILNS1_3genE9ELNS1_11target_archE1100ELNS1_3gpuE3ELNS1_3repE0EEENS1_30default_config_static_selectorELNS0_4arch9wavefront6targetE1EEEvT1_.has_recursion, 0
	.set _ZN7rocprim17ROCPRIM_400000_NS6detail17trampoline_kernelINS0_14default_configENS1_25partition_config_selectorILNS1_17partition_subalgoE8EyNS0_10empty_typeEbEEZZNS1_14partition_implILS5_8ELb0ES3_jN6thrust23THRUST_200600_302600_NS6detail15normal_iteratorINSA_10device_ptrIyEEEEPS6_PKS6_NS0_5tupleIJNSA_16discard_iteratorINSA_11use_defaultEEES6_EEENSJ_IJSG_SG_EEENS0_18inequality_wrapperINSA_8equal_toIyEEEEPmJS6_EEE10hipError_tPvRmT3_T4_T5_T6_T7_T9_mT8_P12ihipStream_tbDpT10_ENKUlT_T0_E_clISt17integral_constantIbLb1EES1C_IbLb0EEEEDaS18_S19_EUlS18_E_NS1_11comp_targetILNS1_3genE9ELNS1_11target_archE1100ELNS1_3gpuE3ELNS1_3repE0EEENS1_30default_config_static_selectorELNS0_4arch9wavefront6targetE1EEEvT1_.has_indirect_call, 0
	.section	.AMDGPU.csdata,"",@progbits
; Kernel info:
; codeLenInByte = 0
; TotalNumSgprs: 4
; NumVgprs: 0
; ScratchSize: 0
; MemoryBound: 0
; FloatMode: 240
; IeeeMode: 1
; LDSByteSize: 0 bytes/workgroup (compile time only)
; SGPRBlocks: 0
; VGPRBlocks: 0
; NumSGPRsForWavesPerEU: 4
; NumVGPRsForWavesPerEU: 1
; Occupancy: 10
; WaveLimiterHint : 0
; COMPUTE_PGM_RSRC2:SCRATCH_EN: 0
; COMPUTE_PGM_RSRC2:USER_SGPR: 6
; COMPUTE_PGM_RSRC2:TRAP_HANDLER: 0
; COMPUTE_PGM_RSRC2:TGID_X_EN: 1
; COMPUTE_PGM_RSRC2:TGID_Y_EN: 0
; COMPUTE_PGM_RSRC2:TGID_Z_EN: 0
; COMPUTE_PGM_RSRC2:TIDIG_COMP_CNT: 0
	.section	.text._ZN7rocprim17ROCPRIM_400000_NS6detail17trampoline_kernelINS0_14default_configENS1_25partition_config_selectorILNS1_17partition_subalgoE8EyNS0_10empty_typeEbEEZZNS1_14partition_implILS5_8ELb0ES3_jN6thrust23THRUST_200600_302600_NS6detail15normal_iteratorINSA_10device_ptrIyEEEEPS6_PKS6_NS0_5tupleIJNSA_16discard_iteratorINSA_11use_defaultEEES6_EEENSJ_IJSG_SG_EEENS0_18inequality_wrapperINSA_8equal_toIyEEEEPmJS6_EEE10hipError_tPvRmT3_T4_T5_T6_T7_T9_mT8_P12ihipStream_tbDpT10_ENKUlT_T0_E_clISt17integral_constantIbLb1EES1C_IbLb0EEEEDaS18_S19_EUlS18_E_NS1_11comp_targetILNS1_3genE8ELNS1_11target_archE1030ELNS1_3gpuE2ELNS1_3repE0EEENS1_30default_config_static_selectorELNS0_4arch9wavefront6targetE1EEEvT1_,"axG",@progbits,_ZN7rocprim17ROCPRIM_400000_NS6detail17trampoline_kernelINS0_14default_configENS1_25partition_config_selectorILNS1_17partition_subalgoE8EyNS0_10empty_typeEbEEZZNS1_14partition_implILS5_8ELb0ES3_jN6thrust23THRUST_200600_302600_NS6detail15normal_iteratorINSA_10device_ptrIyEEEEPS6_PKS6_NS0_5tupleIJNSA_16discard_iteratorINSA_11use_defaultEEES6_EEENSJ_IJSG_SG_EEENS0_18inequality_wrapperINSA_8equal_toIyEEEEPmJS6_EEE10hipError_tPvRmT3_T4_T5_T6_T7_T9_mT8_P12ihipStream_tbDpT10_ENKUlT_T0_E_clISt17integral_constantIbLb1EES1C_IbLb0EEEEDaS18_S19_EUlS18_E_NS1_11comp_targetILNS1_3genE8ELNS1_11target_archE1030ELNS1_3gpuE2ELNS1_3repE0EEENS1_30default_config_static_selectorELNS0_4arch9wavefront6targetE1EEEvT1_,comdat
	.protected	_ZN7rocprim17ROCPRIM_400000_NS6detail17trampoline_kernelINS0_14default_configENS1_25partition_config_selectorILNS1_17partition_subalgoE8EyNS0_10empty_typeEbEEZZNS1_14partition_implILS5_8ELb0ES3_jN6thrust23THRUST_200600_302600_NS6detail15normal_iteratorINSA_10device_ptrIyEEEEPS6_PKS6_NS0_5tupleIJNSA_16discard_iteratorINSA_11use_defaultEEES6_EEENSJ_IJSG_SG_EEENS0_18inequality_wrapperINSA_8equal_toIyEEEEPmJS6_EEE10hipError_tPvRmT3_T4_T5_T6_T7_T9_mT8_P12ihipStream_tbDpT10_ENKUlT_T0_E_clISt17integral_constantIbLb1EES1C_IbLb0EEEEDaS18_S19_EUlS18_E_NS1_11comp_targetILNS1_3genE8ELNS1_11target_archE1030ELNS1_3gpuE2ELNS1_3repE0EEENS1_30default_config_static_selectorELNS0_4arch9wavefront6targetE1EEEvT1_ ; -- Begin function _ZN7rocprim17ROCPRIM_400000_NS6detail17trampoline_kernelINS0_14default_configENS1_25partition_config_selectorILNS1_17partition_subalgoE8EyNS0_10empty_typeEbEEZZNS1_14partition_implILS5_8ELb0ES3_jN6thrust23THRUST_200600_302600_NS6detail15normal_iteratorINSA_10device_ptrIyEEEEPS6_PKS6_NS0_5tupleIJNSA_16discard_iteratorINSA_11use_defaultEEES6_EEENSJ_IJSG_SG_EEENS0_18inequality_wrapperINSA_8equal_toIyEEEEPmJS6_EEE10hipError_tPvRmT3_T4_T5_T6_T7_T9_mT8_P12ihipStream_tbDpT10_ENKUlT_T0_E_clISt17integral_constantIbLb1EES1C_IbLb0EEEEDaS18_S19_EUlS18_E_NS1_11comp_targetILNS1_3genE8ELNS1_11target_archE1030ELNS1_3gpuE2ELNS1_3repE0EEENS1_30default_config_static_selectorELNS0_4arch9wavefront6targetE1EEEvT1_
	.globl	_ZN7rocprim17ROCPRIM_400000_NS6detail17trampoline_kernelINS0_14default_configENS1_25partition_config_selectorILNS1_17partition_subalgoE8EyNS0_10empty_typeEbEEZZNS1_14partition_implILS5_8ELb0ES3_jN6thrust23THRUST_200600_302600_NS6detail15normal_iteratorINSA_10device_ptrIyEEEEPS6_PKS6_NS0_5tupleIJNSA_16discard_iteratorINSA_11use_defaultEEES6_EEENSJ_IJSG_SG_EEENS0_18inequality_wrapperINSA_8equal_toIyEEEEPmJS6_EEE10hipError_tPvRmT3_T4_T5_T6_T7_T9_mT8_P12ihipStream_tbDpT10_ENKUlT_T0_E_clISt17integral_constantIbLb1EES1C_IbLb0EEEEDaS18_S19_EUlS18_E_NS1_11comp_targetILNS1_3genE8ELNS1_11target_archE1030ELNS1_3gpuE2ELNS1_3repE0EEENS1_30default_config_static_selectorELNS0_4arch9wavefront6targetE1EEEvT1_
	.p2align	8
	.type	_ZN7rocprim17ROCPRIM_400000_NS6detail17trampoline_kernelINS0_14default_configENS1_25partition_config_selectorILNS1_17partition_subalgoE8EyNS0_10empty_typeEbEEZZNS1_14partition_implILS5_8ELb0ES3_jN6thrust23THRUST_200600_302600_NS6detail15normal_iteratorINSA_10device_ptrIyEEEEPS6_PKS6_NS0_5tupleIJNSA_16discard_iteratorINSA_11use_defaultEEES6_EEENSJ_IJSG_SG_EEENS0_18inequality_wrapperINSA_8equal_toIyEEEEPmJS6_EEE10hipError_tPvRmT3_T4_T5_T6_T7_T9_mT8_P12ihipStream_tbDpT10_ENKUlT_T0_E_clISt17integral_constantIbLb1EES1C_IbLb0EEEEDaS18_S19_EUlS18_E_NS1_11comp_targetILNS1_3genE8ELNS1_11target_archE1030ELNS1_3gpuE2ELNS1_3repE0EEENS1_30default_config_static_selectorELNS0_4arch9wavefront6targetE1EEEvT1_,@function
_ZN7rocprim17ROCPRIM_400000_NS6detail17trampoline_kernelINS0_14default_configENS1_25partition_config_selectorILNS1_17partition_subalgoE8EyNS0_10empty_typeEbEEZZNS1_14partition_implILS5_8ELb0ES3_jN6thrust23THRUST_200600_302600_NS6detail15normal_iteratorINSA_10device_ptrIyEEEEPS6_PKS6_NS0_5tupleIJNSA_16discard_iteratorINSA_11use_defaultEEES6_EEENSJ_IJSG_SG_EEENS0_18inequality_wrapperINSA_8equal_toIyEEEEPmJS6_EEE10hipError_tPvRmT3_T4_T5_T6_T7_T9_mT8_P12ihipStream_tbDpT10_ENKUlT_T0_E_clISt17integral_constantIbLb1EES1C_IbLb0EEEEDaS18_S19_EUlS18_E_NS1_11comp_targetILNS1_3genE8ELNS1_11target_archE1030ELNS1_3gpuE2ELNS1_3repE0EEENS1_30default_config_static_selectorELNS0_4arch9wavefront6targetE1EEEvT1_: ; @_ZN7rocprim17ROCPRIM_400000_NS6detail17trampoline_kernelINS0_14default_configENS1_25partition_config_selectorILNS1_17partition_subalgoE8EyNS0_10empty_typeEbEEZZNS1_14partition_implILS5_8ELb0ES3_jN6thrust23THRUST_200600_302600_NS6detail15normal_iteratorINSA_10device_ptrIyEEEEPS6_PKS6_NS0_5tupleIJNSA_16discard_iteratorINSA_11use_defaultEEES6_EEENSJ_IJSG_SG_EEENS0_18inequality_wrapperINSA_8equal_toIyEEEEPmJS6_EEE10hipError_tPvRmT3_T4_T5_T6_T7_T9_mT8_P12ihipStream_tbDpT10_ENKUlT_T0_E_clISt17integral_constantIbLb1EES1C_IbLb0EEEEDaS18_S19_EUlS18_E_NS1_11comp_targetILNS1_3genE8ELNS1_11target_archE1030ELNS1_3gpuE2ELNS1_3repE0EEENS1_30default_config_static_selectorELNS0_4arch9wavefront6targetE1EEEvT1_
; %bb.0:
	.section	.rodata,"a",@progbits
	.p2align	6, 0x0
	.amdhsa_kernel _ZN7rocprim17ROCPRIM_400000_NS6detail17trampoline_kernelINS0_14default_configENS1_25partition_config_selectorILNS1_17partition_subalgoE8EyNS0_10empty_typeEbEEZZNS1_14partition_implILS5_8ELb0ES3_jN6thrust23THRUST_200600_302600_NS6detail15normal_iteratorINSA_10device_ptrIyEEEEPS6_PKS6_NS0_5tupleIJNSA_16discard_iteratorINSA_11use_defaultEEES6_EEENSJ_IJSG_SG_EEENS0_18inequality_wrapperINSA_8equal_toIyEEEEPmJS6_EEE10hipError_tPvRmT3_T4_T5_T6_T7_T9_mT8_P12ihipStream_tbDpT10_ENKUlT_T0_E_clISt17integral_constantIbLb1EES1C_IbLb0EEEEDaS18_S19_EUlS18_E_NS1_11comp_targetILNS1_3genE8ELNS1_11target_archE1030ELNS1_3gpuE2ELNS1_3repE0EEENS1_30default_config_static_selectorELNS0_4arch9wavefront6targetE1EEEvT1_
		.amdhsa_group_segment_fixed_size 0
		.amdhsa_private_segment_fixed_size 0
		.amdhsa_kernarg_size 120
		.amdhsa_user_sgpr_count 6
		.amdhsa_user_sgpr_private_segment_buffer 1
		.amdhsa_user_sgpr_dispatch_ptr 0
		.amdhsa_user_sgpr_queue_ptr 0
		.amdhsa_user_sgpr_kernarg_segment_ptr 1
		.amdhsa_user_sgpr_dispatch_id 0
		.amdhsa_user_sgpr_flat_scratch_init 0
		.amdhsa_user_sgpr_private_segment_size 0
		.amdhsa_uses_dynamic_stack 0
		.amdhsa_system_sgpr_private_segment_wavefront_offset 0
		.amdhsa_system_sgpr_workgroup_id_x 1
		.amdhsa_system_sgpr_workgroup_id_y 0
		.amdhsa_system_sgpr_workgroup_id_z 0
		.amdhsa_system_sgpr_workgroup_info 0
		.amdhsa_system_vgpr_workitem_id 0
		.amdhsa_next_free_vgpr 1
		.amdhsa_next_free_sgpr 0
		.amdhsa_reserve_vcc 0
		.amdhsa_reserve_flat_scratch 0
		.amdhsa_float_round_mode_32 0
		.amdhsa_float_round_mode_16_64 0
		.amdhsa_float_denorm_mode_32 3
		.amdhsa_float_denorm_mode_16_64 3
		.amdhsa_dx10_clamp 1
		.amdhsa_ieee_mode 1
		.amdhsa_fp16_overflow 0
		.amdhsa_exception_fp_ieee_invalid_op 0
		.amdhsa_exception_fp_denorm_src 0
		.amdhsa_exception_fp_ieee_div_zero 0
		.amdhsa_exception_fp_ieee_overflow 0
		.amdhsa_exception_fp_ieee_underflow 0
		.amdhsa_exception_fp_ieee_inexact 0
		.amdhsa_exception_int_div_zero 0
	.end_amdhsa_kernel
	.section	.text._ZN7rocprim17ROCPRIM_400000_NS6detail17trampoline_kernelINS0_14default_configENS1_25partition_config_selectorILNS1_17partition_subalgoE8EyNS0_10empty_typeEbEEZZNS1_14partition_implILS5_8ELb0ES3_jN6thrust23THRUST_200600_302600_NS6detail15normal_iteratorINSA_10device_ptrIyEEEEPS6_PKS6_NS0_5tupleIJNSA_16discard_iteratorINSA_11use_defaultEEES6_EEENSJ_IJSG_SG_EEENS0_18inequality_wrapperINSA_8equal_toIyEEEEPmJS6_EEE10hipError_tPvRmT3_T4_T5_T6_T7_T9_mT8_P12ihipStream_tbDpT10_ENKUlT_T0_E_clISt17integral_constantIbLb1EES1C_IbLb0EEEEDaS18_S19_EUlS18_E_NS1_11comp_targetILNS1_3genE8ELNS1_11target_archE1030ELNS1_3gpuE2ELNS1_3repE0EEENS1_30default_config_static_selectorELNS0_4arch9wavefront6targetE1EEEvT1_,"axG",@progbits,_ZN7rocprim17ROCPRIM_400000_NS6detail17trampoline_kernelINS0_14default_configENS1_25partition_config_selectorILNS1_17partition_subalgoE8EyNS0_10empty_typeEbEEZZNS1_14partition_implILS5_8ELb0ES3_jN6thrust23THRUST_200600_302600_NS6detail15normal_iteratorINSA_10device_ptrIyEEEEPS6_PKS6_NS0_5tupleIJNSA_16discard_iteratorINSA_11use_defaultEEES6_EEENSJ_IJSG_SG_EEENS0_18inequality_wrapperINSA_8equal_toIyEEEEPmJS6_EEE10hipError_tPvRmT3_T4_T5_T6_T7_T9_mT8_P12ihipStream_tbDpT10_ENKUlT_T0_E_clISt17integral_constantIbLb1EES1C_IbLb0EEEEDaS18_S19_EUlS18_E_NS1_11comp_targetILNS1_3genE8ELNS1_11target_archE1030ELNS1_3gpuE2ELNS1_3repE0EEENS1_30default_config_static_selectorELNS0_4arch9wavefront6targetE1EEEvT1_,comdat
.Lfunc_end556:
	.size	_ZN7rocprim17ROCPRIM_400000_NS6detail17trampoline_kernelINS0_14default_configENS1_25partition_config_selectorILNS1_17partition_subalgoE8EyNS0_10empty_typeEbEEZZNS1_14partition_implILS5_8ELb0ES3_jN6thrust23THRUST_200600_302600_NS6detail15normal_iteratorINSA_10device_ptrIyEEEEPS6_PKS6_NS0_5tupleIJNSA_16discard_iteratorINSA_11use_defaultEEES6_EEENSJ_IJSG_SG_EEENS0_18inequality_wrapperINSA_8equal_toIyEEEEPmJS6_EEE10hipError_tPvRmT3_T4_T5_T6_T7_T9_mT8_P12ihipStream_tbDpT10_ENKUlT_T0_E_clISt17integral_constantIbLb1EES1C_IbLb0EEEEDaS18_S19_EUlS18_E_NS1_11comp_targetILNS1_3genE8ELNS1_11target_archE1030ELNS1_3gpuE2ELNS1_3repE0EEENS1_30default_config_static_selectorELNS0_4arch9wavefront6targetE1EEEvT1_, .Lfunc_end556-_ZN7rocprim17ROCPRIM_400000_NS6detail17trampoline_kernelINS0_14default_configENS1_25partition_config_selectorILNS1_17partition_subalgoE8EyNS0_10empty_typeEbEEZZNS1_14partition_implILS5_8ELb0ES3_jN6thrust23THRUST_200600_302600_NS6detail15normal_iteratorINSA_10device_ptrIyEEEEPS6_PKS6_NS0_5tupleIJNSA_16discard_iteratorINSA_11use_defaultEEES6_EEENSJ_IJSG_SG_EEENS0_18inequality_wrapperINSA_8equal_toIyEEEEPmJS6_EEE10hipError_tPvRmT3_T4_T5_T6_T7_T9_mT8_P12ihipStream_tbDpT10_ENKUlT_T0_E_clISt17integral_constantIbLb1EES1C_IbLb0EEEEDaS18_S19_EUlS18_E_NS1_11comp_targetILNS1_3genE8ELNS1_11target_archE1030ELNS1_3gpuE2ELNS1_3repE0EEENS1_30default_config_static_selectorELNS0_4arch9wavefront6targetE1EEEvT1_
                                        ; -- End function
	.set _ZN7rocprim17ROCPRIM_400000_NS6detail17trampoline_kernelINS0_14default_configENS1_25partition_config_selectorILNS1_17partition_subalgoE8EyNS0_10empty_typeEbEEZZNS1_14partition_implILS5_8ELb0ES3_jN6thrust23THRUST_200600_302600_NS6detail15normal_iteratorINSA_10device_ptrIyEEEEPS6_PKS6_NS0_5tupleIJNSA_16discard_iteratorINSA_11use_defaultEEES6_EEENSJ_IJSG_SG_EEENS0_18inequality_wrapperINSA_8equal_toIyEEEEPmJS6_EEE10hipError_tPvRmT3_T4_T5_T6_T7_T9_mT8_P12ihipStream_tbDpT10_ENKUlT_T0_E_clISt17integral_constantIbLb1EES1C_IbLb0EEEEDaS18_S19_EUlS18_E_NS1_11comp_targetILNS1_3genE8ELNS1_11target_archE1030ELNS1_3gpuE2ELNS1_3repE0EEENS1_30default_config_static_selectorELNS0_4arch9wavefront6targetE1EEEvT1_.num_vgpr, 0
	.set _ZN7rocprim17ROCPRIM_400000_NS6detail17trampoline_kernelINS0_14default_configENS1_25partition_config_selectorILNS1_17partition_subalgoE8EyNS0_10empty_typeEbEEZZNS1_14partition_implILS5_8ELb0ES3_jN6thrust23THRUST_200600_302600_NS6detail15normal_iteratorINSA_10device_ptrIyEEEEPS6_PKS6_NS0_5tupleIJNSA_16discard_iteratorINSA_11use_defaultEEES6_EEENSJ_IJSG_SG_EEENS0_18inequality_wrapperINSA_8equal_toIyEEEEPmJS6_EEE10hipError_tPvRmT3_T4_T5_T6_T7_T9_mT8_P12ihipStream_tbDpT10_ENKUlT_T0_E_clISt17integral_constantIbLb1EES1C_IbLb0EEEEDaS18_S19_EUlS18_E_NS1_11comp_targetILNS1_3genE8ELNS1_11target_archE1030ELNS1_3gpuE2ELNS1_3repE0EEENS1_30default_config_static_selectorELNS0_4arch9wavefront6targetE1EEEvT1_.num_agpr, 0
	.set _ZN7rocprim17ROCPRIM_400000_NS6detail17trampoline_kernelINS0_14default_configENS1_25partition_config_selectorILNS1_17partition_subalgoE8EyNS0_10empty_typeEbEEZZNS1_14partition_implILS5_8ELb0ES3_jN6thrust23THRUST_200600_302600_NS6detail15normal_iteratorINSA_10device_ptrIyEEEEPS6_PKS6_NS0_5tupleIJNSA_16discard_iteratorINSA_11use_defaultEEES6_EEENSJ_IJSG_SG_EEENS0_18inequality_wrapperINSA_8equal_toIyEEEEPmJS6_EEE10hipError_tPvRmT3_T4_T5_T6_T7_T9_mT8_P12ihipStream_tbDpT10_ENKUlT_T0_E_clISt17integral_constantIbLb1EES1C_IbLb0EEEEDaS18_S19_EUlS18_E_NS1_11comp_targetILNS1_3genE8ELNS1_11target_archE1030ELNS1_3gpuE2ELNS1_3repE0EEENS1_30default_config_static_selectorELNS0_4arch9wavefront6targetE1EEEvT1_.numbered_sgpr, 0
	.set _ZN7rocprim17ROCPRIM_400000_NS6detail17trampoline_kernelINS0_14default_configENS1_25partition_config_selectorILNS1_17partition_subalgoE8EyNS0_10empty_typeEbEEZZNS1_14partition_implILS5_8ELb0ES3_jN6thrust23THRUST_200600_302600_NS6detail15normal_iteratorINSA_10device_ptrIyEEEEPS6_PKS6_NS0_5tupleIJNSA_16discard_iteratorINSA_11use_defaultEEES6_EEENSJ_IJSG_SG_EEENS0_18inequality_wrapperINSA_8equal_toIyEEEEPmJS6_EEE10hipError_tPvRmT3_T4_T5_T6_T7_T9_mT8_P12ihipStream_tbDpT10_ENKUlT_T0_E_clISt17integral_constantIbLb1EES1C_IbLb0EEEEDaS18_S19_EUlS18_E_NS1_11comp_targetILNS1_3genE8ELNS1_11target_archE1030ELNS1_3gpuE2ELNS1_3repE0EEENS1_30default_config_static_selectorELNS0_4arch9wavefront6targetE1EEEvT1_.num_named_barrier, 0
	.set _ZN7rocprim17ROCPRIM_400000_NS6detail17trampoline_kernelINS0_14default_configENS1_25partition_config_selectorILNS1_17partition_subalgoE8EyNS0_10empty_typeEbEEZZNS1_14partition_implILS5_8ELb0ES3_jN6thrust23THRUST_200600_302600_NS6detail15normal_iteratorINSA_10device_ptrIyEEEEPS6_PKS6_NS0_5tupleIJNSA_16discard_iteratorINSA_11use_defaultEEES6_EEENSJ_IJSG_SG_EEENS0_18inequality_wrapperINSA_8equal_toIyEEEEPmJS6_EEE10hipError_tPvRmT3_T4_T5_T6_T7_T9_mT8_P12ihipStream_tbDpT10_ENKUlT_T0_E_clISt17integral_constantIbLb1EES1C_IbLb0EEEEDaS18_S19_EUlS18_E_NS1_11comp_targetILNS1_3genE8ELNS1_11target_archE1030ELNS1_3gpuE2ELNS1_3repE0EEENS1_30default_config_static_selectorELNS0_4arch9wavefront6targetE1EEEvT1_.private_seg_size, 0
	.set _ZN7rocprim17ROCPRIM_400000_NS6detail17trampoline_kernelINS0_14default_configENS1_25partition_config_selectorILNS1_17partition_subalgoE8EyNS0_10empty_typeEbEEZZNS1_14partition_implILS5_8ELb0ES3_jN6thrust23THRUST_200600_302600_NS6detail15normal_iteratorINSA_10device_ptrIyEEEEPS6_PKS6_NS0_5tupleIJNSA_16discard_iteratorINSA_11use_defaultEEES6_EEENSJ_IJSG_SG_EEENS0_18inequality_wrapperINSA_8equal_toIyEEEEPmJS6_EEE10hipError_tPvRmT3_T4_T5_T6_T7_T9_mT8_P12ihipStream_tbDpT10_ENKUlT_T0_E_clISt17integral_constantIbLb1EES1C_IbLb0EEEEDaS18_S19_EUlS18_E_NS1_11comp_targetILNS1_3genE8ELNS1_11target_archE1030ELNS1_3gpuE2ELNS1_3repE0EEENS1_30default_config_static_selectorELNS0_4arch9wavefront6targetE1EEEvT1_.uses_vcc, 0
	.set _ZN7rocprim17ROCPRIM_400000_NS6detail17trampoline_kernelINS0_14default_configENS1_25partition_config_selectorILNS1_17partition_subalgoE8EyNS0_10empty_typeEbEEZZNS1_14partition_implILS5_8ELb0ES3_jN6thrust23THRUST_200600_302600_NS6detail15normal_iteratorINSA_10device_ptrIyEEEEPS6_PKS6_NS0_5tupleIJNSA_16discard_iteratorINSA_11use_defaultEEES6_EEENSJ_IJSG_SG_EEENS0_18inequality_wrapperINSA_8equal_toIyEEEEPmJS6_EEE10hipError_tPvRmT3_T4_T5_T6_T7_T9_mT8_P12ihipStream_tbDpT10_ENKUlT_T0_E_clISt17integral_constantIbLb1EES1C_IbLb0EEEEDaS18_S19_EUlS18_E_NS1_11comp_targetILNS1_3genE8ELNS1_11target_archE1030ELNS1_3gpuE2ELNS1_3repE0EEENS1_30default_config_static_selectorELNS0_4arch9wavefront6targetE1EEEvT1_.uses_flat_scratch, 0
	.set _ZN7rocprim17ROCPRIM_400000_NS6detail17trampoline_kernelINS0_14default_configENS1_25partition_config_selectorILNS1_17partition_subalgoE8EyNS0_10empty_typeEbEEZZNS1_14partition_implILS5_8ELb0ES3_jN6thrust23THRUST_200600_302600_NS6detail15normal_iteratorINSA_10device_ptrIyEEEEPS6_PKS6_NS0_5tupleIJNSA_16discard_iteratorINSA_11use_defaultEEES6_EEENSJ_IJSG_SG_EEENS0_18inequality_wrapperINSA_8equal_toIyEEEEPmJS6_EEE10hipError_tPvRmT3_T4_T5_T6_T7_T9_mT8_P12ihipStream_tbDpT10_ENKUlT_T0_E_clISt17integral_constantIbLb1EES1C_IbLb0EEEEDaS18_S19_EUlS18_E_NS1_11comp_targetILNS1_3genE8ELNS1_11target_archE1030ELNS1_3gpuE2ELNS1_3repE0EEENS1_30default_config_static_selectorELNS0_4arch9wavefront6targetE1EEEvT1_.has_dyn_sized_stack, 0
	.set _ZN7rocprim17ROCPRIM_400000_NS6detail17trampoline_kernelINS0_14default_configENS1_25partition_config_selectorILNS1_17partition_subalgoE8EyNS0_10empty_typeEbEEZZNS1_14partition_implILS5_8ELb0ES3_jN6thrust23THRUST_200600_302600_NS6detail15normal_iteratorINSA_10device_ptrIyEEEEPS6_PKS6_NS0_5tupleIJNSA_16discard_iteratorINSA_11use_defaultEEES6_EEENSJ_IJSG_SG_EEENS0_18inequality_wrapperINSA_8equal_toIyEEEEPmJS6_EEE10hipError_tPvRmT3_T4_T5_T6_T7_T9_mT8_P12ihipStream_tbDpT10_ENKUlT_T0_E_clISt17integral_constantIbLb1EES1C_IbLb0EEEEDaS18_S19_EUlS18_E_NS1_11comp_targetILNS1_3genE8ELNS1_11target_archE1030ELNS1_3gpuE2ELNS1_3repE0EEENS1_30default_config_static_selectorELNS0_4arch9wavefront6targetE1EEEvT1_.has_recursion, 0
	.set _ZN7rocprim17ROCPRIM_400000_NS6detail17trampoline_kernelINS0_14default_configENS1_25partition_config_selectorILNS1_17partition_subalgoE8EyNS0_10empty_typeEbEEZZNS1_14partition_implILS5_8ELb0ES3_jN6thrust23THRUST_200600_302600_NS6detail15normal_iteratorINSA_10device_ptrIyEEEEPS6_PKS6_NS0_5tupleIJNSA_16discard_iteratorINSA_11use_defaultEEES6_EEENSJ_IJSG_SG_EEENS0_18inequality_wrapperINSA_8equal_toIyEEEEPmJS6_EEE10hipError_tPvRmT3_T4_T5_T6_T7_T9_mT8_P12ihipStream_tbDpT10_ENKUlT_T0_E_clISt17integral_constantIbLb1EES1C_IbLb0EEEEDaS18_S19_EUlS18_E_NS1_11comp_targetILNS1_3genE8ELNS1_11target_archE1030ELNS1_3gpuE2ELNS1_3repE0EEENS1_30default_config_static_selectorELNS0_4arch9wavefront6targetE1EEEvT1_.has_indirect_call, 0
	.section	.AMDGPU.csdata,"",@progbits
; Kernel info:
; codeLenInByte = 0
; TotalNumSgprs: 4
; NumVgprs: 0
; ScratchSize: 0
; MemoryBound: 0
; FloatMode: 240
; IeeeMode: 1
; LDSByteSize: 0 bytes/workgroup (compile time only)
; SGPRBlocks: 0
; VGPRBlocks: 0
; NumSGPRsForWavesPerEU: 4
; NumVGPRsForWavesPerEU: 1
; Occupancy: 10
; WaveLimiterHint : 0
; COMPUTE_PGM_RSRC2:SCRATCH_EN: 0
; COMPUTE_PGM_RSRC2:USER_SGPR: 6
; COMPUTE_PGM_RSRC2:TRAP_HANDLER: 0
; COMPUTE_PGM_RSRC2:TGID_X_EN: 1
; COMPUTE_PGM_RSRC2:TGID_Y_EN: 0
; COMPUTE_PGM_RSRC2:TGID_Z_EN: 0
; COMPUTE_PGM_RSRC2:TIDIG_COMP_CNT: 0
	.section	.text._ZN7rocprim17ROCPRIM_400000_NS6detail17trampoline_kernelINS0_14default_configENS1_25partition_config_selectorILNS1_17partition_subalgoE8EyNS0_10empty_typeEbEEZZNS1_14partition_implILS5_8ELb0ES3_jN6thrust23THRUST_200600_302600_NS6detail15normal_iteratorINSA_10device_ptrIyEEEEPS6_PKS6_NS0_5tupleIJNSA_16discard_iteratorINSA_11use_defaultEEES6_EEENSJ_IJSG_SG_EEENS0_18inequality_wrapperINSA_8equal_toIyEEEEPmJS6_EEE10hipError_tPvRmT3_T4_T5_T6_T7_T9_mT8_P12ihipStream_tbDpT10_ENKUlT_T0_E_clISt17integral_constantIbLb0EES1C_IbLb1EEEEDaS18_S19_EUlS18_E_NS1_11comp_targetILNS1_3genE0ELNS1_11target_archE4294967295ELNS1_3gpuE0ELNS1_3repE0EEENS1_30default_config_static_selectorELNS0_4arch9wavefront6targetE1EEEvT1_,"axG",@progbits,_ZN7rocprim17ROCPRIM_400000_NS6detail17trampoline_kernelINS0_14default_configENS1_25partition_config_selectorILNS1_17partition_subalgoE8EyNS0_10empty_typeEbEEZZNS1_14partition_implILS5_8ELb0ES3_jN6thrust23THRUST_200600_302600_NS6detail15normal_iteratorINSA_10device_ptrIyEEEEPS6_PKS6_NS0_5tupleIJNSA_16discard_iteratorINSA_11use_defaultEEES6_EEENSJ_IJSG_SG_EEENS0_18inequality_wrapperINSA_8equal_toIyEEEEPmJS6_EEE10hipError_tPvRmT3_T4_T5_T6_T7_T9_mT8_P12ihipStream_tbDpT10_ENKUlT_T0_E_clISt17integral_constantIbLb0EES1C_IbLb1EEEEDaS18_S19_EUlS18_E_NS1_11comp_targetILNS1_3genE0ELNS1_11target_archE4294967295ELNS1_3gpuE0ELNS1_3repE0EEENS1_30default_config_static_selectorELNS0_4arch9wavefront6targetE1EEEvT1_,comdat
	.protected	_ZN7rocprim17ROCPRIM_400000_NS6detail17trampoline_kernelINS0_14default_configENS1_25partition_config_selectorILNS1_17partition_subalgoE8EyNS0_10empty_typeEbEEZZNS1_14partition_implILS5_8ELb0ES3_jN6thrust23THRUST_200600_302600_NS6detail15normal_iteratorINSA_10device_ptrIyEEEEPS6_PKS6_NS0_5tupleIJNSA_16discard_iteratorINSA_11use_defaultEEES6_EEENSJ_IJSG_SG_EEENS0_18inequality_wrapperINSA_8equal_toIyEEEEPmJS6_EEE10hipError_tPvRmT3_T4_T5_T6_T7_T9_mT8_P12ihipStream_tbDpT10_ENKUlT_T0_E_clISt17integral_constantIbLb0EES1C_IbLb1EEEEDaS18_S19_EUlS18_E_NS1_11comp_targetILNS1_3genE0ELNS1_11target_archE4294967295ELNS1_3gpuE0ELNS1_3repE0EEENS1_30default_config_static_selectorELNS0_4arch9wavefront6targetE1EEEvT1_ ; -- Begin function _ZN7rocprim17ROCPRIM_400000_NS6detail17trampoline_kernelINS0_14default_configENS1_25partition_config_selectorILNS1_17partition_subalgoE8EyNS0_10empty_typeEbEEZZNS1_14partition_implILS5_8ELb0ES3_jN6thrust23THRUST_200600_302600_NS6detail15normal_iteratorINSA_10device_ptrIyEEEEPS6_PKS6_NS0_5tupleIJNSA_16discard_iteratorINSA_11use_defaultEEES6_EEENSJ_IJSG_SG_EEENS0_18inequality_wrapperINSA_8equal_toIyEEEEPmJS6_EEE10hipError_tPvRmT3_T4_T5_T6_T7_T9_mT8_P12ihipStream_tbDpT10_ENKUlT_T0_E_clISt17integral_constantIbLb0EES1C_IbLb1EEEEDaS18_S19_EUlS18_E_NS1_11comp_targetILNS1_3genE0ELNS1_11target_archE4294967295ELNS1_3gpuE0ELNS1_3repE0EEENS1_30default_config_static_selectorELNS0_4arch9wavefront6targetE1EEEvT1_
	.globl	_ZN7rocprim17ROCPRIM_400000_NS6detail17trampoline_kernelINS0_14default_configENS1_25partition_config_selectorILNS1_17partition_subalgoE8EyNS0_10empty_typeEbEEZZNS1_14partition_implILS5_8ELb0ES3_jN6thrust23THRUST_200600_302600_NS6detail15normal_iteratorINSA_10device_ptrIyEEEEPS6_PKS6_NS0_5tupleIJNSA_16discard_iteratorINSA_11use_defaultEEES6_EEENSJ_IJSG_SG_EEENS0_18inequality_wrapperINSA_8equal_toIyEEEEPmJS6_EEE10hipError_tPvRmT3_T4_T5_T6_T7_T9_mT8_P12ihipStream_tbDpT10_ENKUlT_T0_E_clISt17integral_constantIbLb0EES1C_IbLb1EEEEDaS18_S19_EUlS18_E_NS1_11comp_targetILNS1_3genE0ELNS1_11target_archE4294967295ELNS1_3gpuE0ELNS1_3repE0EEENS1_30default_config_static_selectorELNS0_4arch9wavefront6targetE1EEEvT1_
	.p2align	8
	.type	_ZN7rocprim17ROCPRIM_400000_NS6detail17trampoline_kernelINS0_14default_configENS1_25partition_config_selectorILNS1_17partition_subalgoE8EyNS0_10empty_typeEbEEZZNS1_14partition_implILS5_8ELb0ES3_jN6thrust23THRUST_200600_302600_NS6detail15normal_iteratorINSA_10device_ptrIyEEEEPS6_PKS6_NS0_5tupleIJNSA_16discard_iteratorINSA_11use_defaultEEES6_EEENSJ_IJSG_SG_EEENS0_18inequality_wrapperINSA_8equal_toIyEEEEPmJS6_EEE10hipError_tPvRmT3_T4_T5_T6_T7_T9_mT8_P12ihipStream_tbDpT10_ENKUlT_T0_E_clISt17integral_constantIbLb0EES1C_IbLb1EEEEDaS18_S19_EUlS18_E_NS1_11comp_targetILNS1_3genE0ELNS1_11target_archE4294967295ELNS1_3gpuE0ELNS1_3repE0EEENS1_30default_config_static_selectorELNS0_4arch9wavefront6targetE1EEEvT1_,@function
_ZN7rocprim17ROCPRIM_400000_NS6detail17trampoline_kernelINS0_14default_configENS1_25partition_config_selectorILNS1_17partition_subalgoE8EyNS0_10empty_typeEbEEZZNS1_14partition_implILS5_8ELb0ES3_jN6thrust23THRUST_200600_302600_NS6detail15normal_iteratorINSA_10device_ptrIyEEEEPS6_PKS6_NS0_5tupleIJNSA_16discard_iteratorINSA_11use_defaultEEES6_EEENSJ_IJSG_SG_EEENS0_18inequality_wrapperINSA_8equal_toIyEEEEPmJS6_EEE10hipError_tPvRmT3_T4_T5_T6_T7_T9_mT8_P12ihipStream_tbDpT10_ENKUlT_T0_E_clISt17integral_constantIbLb0EES1C_IbLb1EEEEDaS18_S19_EUlS18_E_NS1_11comp_targetILNS1_3genE0ELNS1_11target_archE4294967295ELNS1_3gpuE0ELNS1_3repE0EEENS1_30default_config_static_selectorELNS0_4arch9wavefront6targetE1EEEvT1_: ; @_ZN7rocprim17ROCPRIM_400000_NS6detail17trampoline_kernelINS0_14default_configENS1_25partition_config_selectorILNS1_17partition_subalgoE8EyNS0_10empty_typeEbEEZZNS1_14partition_implILS5_8ELb0ES3_jN6thrust23THRUST_200600_302600_NS6detail15normal_iteratorINSA_10device_ptrIyEEEEPS6_PKS6_NS0_5tupleIJNSA_16discard_iteratorINSA_11use_defaultEEES6_EEENSJ_IJSG_SG_EEENS0_18inequality_wrapperINSA_8equal_toIyEEEEPmJS6_EEE10hipError_tPvRmT3_T4_T5_T6_T7_T9_mT8_P12ihipStream_tbDpT10_ENKUlT_T0_E_clISt17integral_constantIbLb0EES1C_IbLb1EEEEDaS18_S19_EUlS18_E_NS1_11comp_targetILNS1_3genE0ELNS1_11target_archE4294967295ELNS1_3gpuE0ELNS1_3repE0EEENS1_30default_config_static_selectorELNS0_4arch9wavefront6targetE1EEEvT1_
; %bb.0:
	.section	.rodata,"a",@progbits
	.p2align	6, 0x0
	.amdhsa_kernel _ZN7rocprim17ROCPRIM_400000_NS6detail17trampoline_kernelINS0_14default_configENS1_25partition_config_selectorILNS1_17partition_subalgoE8EyNS0_10empty_typeEbEEZZNS1_14partition_implILS5_8ELb0ES3_jN6thrust23THRUST_200600_302600_NS6detail15normal_iteratorINSA_10device_ptrIyEEEEPS6_PKS6_NS0_5tupleIJNSA_16discard_iteratorINSA_11use_defaultEEES6_EEENSJ_IJSG_SG_EEENS0_18inequality_wrapperINSA_8equal_toIyEEEEPmJS6_EEE10hipError_tPvRmT3_T4_T5_T6_T7_T9_mT8_P12ihipStream_tbDpT10_ENKUlT_T0_E_clISt17integral_constantIbLb0EES1C_IbLb1EEEEDaS18_S19_EUlS18_E_NS1_11comp_targetILNS1_3genE0ELNS1_11target_archE4294967295ELNS1_3gpuE0ELNS1_3repE0EEENS1_30default_config_static_selectorELNS0_4arch9wavefront6targetE1EEEvT1_
		.amdhsa_group_segment_fixed_size 0
		.amdhsa_private_segment_fixed_size 0
		.amdhsa_kernarg_size 136
		.amdhsa_user_sgpr_count 6
		.amdhsa_user_sgpr_private_segment_buffer 1
		.amdhsa_user_sgpr_dispatch_ptr 0
		.amdhsa_user_sgpr_queue_ptr 0
		.amdhsa_user_sgpr_kernarg_segment_ptr 1
		.amdhsa_user_sgpr_dispatch_id 0
		.amdhsa_user_sgpr_flat_scratch_init 0
		.amdhsa_user_sgpr_private_segment_size 0
		.amdhsa_uses_dynamic_stack 0
		.amdhsa_system_sgpr_private_segment_wavefront_offset 0
		.amdhsa_system_sgpr_workgroup_id_x 1
		.amdhsa_system_sgpr_workgroup_id_y 0
		.amdhsa_system_sgpr_workgroup_id_z 0
		.amdhsa_system_sgpr_workgroup_info 0
		.amdhsa_system_vgpr_workitem_id 0
		.amdhsa_next_free_vgpr 1
		.amdhsa_next_free_sgpr 0
		.amdhsa_reserve_vcc 0
		.amdhsa_reserve_flat_scratch 0
		.amdhsa_float_round_mode_32 0
		.amdhsa_float_round_mode_16_64 0
		.amdhsa_float_denorm_mode_32 3
		.amdhsa_float_denorm_mode_16_64 3
		.amdhsa_dx10_clamp 1
		.amdhsa_ieee_mode 1
		.amdhsa_fp16_overflow 0
		.amdhsa_exception_fp_ieee_invalid_op 0
		.amdhsa_exception_fp_denorm_src 0
		.amdhsa_exception_fp_ieee_div_zero 0
		.amdhsa_exception_fp_ieee_overflow 0
		.amdhsa_exception_fp_ieee_underflow 0
		.amdhsa_exception_fp_ieee_inexact 0
		.amdhsa_exception_int_div_zero 0
	.end_amdhsa_kernel
	.section	.text._ZN7rocprim17ROCPRIM_400000_NS6detail17trampoline_kernelINS0_14default_configENS1_25partition_config_selectorILNS1_17partition_subalgoE8EyNS0_10empty_typeEbEEZZNS1_14partition_implILS5_8ELb0ES3_jN6thrust23THRUST_200600_302600_NS6detail15normal_iteratorINSA_10device_ptrIyEEEEPS6_PKS6_NS0_5tupleIJNSA_16discard_iteratorINSA_11use_defaultEEES6_EEENSJ_IJSG_SG_EEENS0_18inequality_wrapperINSA_8equal_toIyEEEEPmJS6_EEE10hipError_tPvRmT3_T4_T5_T6_T7_T9_mT8_P12ihipStream_tbDpT10_ENKUlT_T0_E_clISt17integral_constantIbLb0EES1C_IbLb1EEEEDaS18_S19_EUlS18_E_NS1_11comp_targetILNS1_3genE0ELNS1_11target_archE4294967295ELNS1_3gpuE0ELNS1_3repE0EEENS1_30default_config_static_selectorELNS0_4arch9wavefront6targetE1EEEvT1_,"axG",@progbits,_ZN7rocprim17ROCPRIM_400000_NS6detail17trampoline_kernelINS0_14default_configENS1_25partition_config_selectorILNS1_17partition_subalgoE8EyNS0_10empty_typeEbEEZZNS1_14partition_implILS5_8ELb0ES3_jN6thrust23THRUST_200600_302600_NS6detail15normal_iteratorINSA_10device_ptrIyEEEEPS6_PKS6_NS0_5tupleIJNSA_16discard_iteratorINSA_11use_defaultEEES6_EEENSJ_IJSG_SG_EEENS0_18inequality_wrapperINSA_8equal_toIyEEEEPmJS6_EEE10hipError_tPvRmT3_T4_T5_T6_T7_T9_mT8_P12ihipStream_tbDpT10_ENKUlT_T0_E_clISt17integral_constantIbLb0EES1C_IbLb1EEEEDaS18_S19_EUlS18_E_NS1_11comp_targetILNS1_3genE0ELNS1_11target_archE4294967295ELNS1_3gpuE0ELNS1_3repE0EEENS1_30default_config_static_selectorELNS0_4arch9wavefront6targetE1EEEvT1_,comdat
.Lfunc_end557:
	.size	_ZN7rocprim17ROCPRIM_400000_NS6detail17trampoline_kernelINS0_14default_configENS1_25partition_config_selectorILNS1_17partition_subalgoE8EyNS0_10empty_typeEbEEZZNS1_14partition_implILS5_8ELb0ES3_jN6thrust23THRUST_200600_302600_NS6detail15normal_iteratorINSA_10device_ptrIyEEEEPS6_PKS6_NS0_5tupleIJNSA_16discard_iteratorINSA_11use_defaultEEES6_EEENSJ_IJSG_SG_EEENS0_18inequality_wrapperINSA_8equal_toIyEEEEPmJS6_EEE10hipError_tPvRmT3_T4_T5_T6_T7_T9_mT8_P12ihipStream_tbDpT10_ENKUlT_T0_E_clISt17integral_constantIbLb0EES1C_IbLb1EEEEDaS18_S19_EUlS18_E_NS1_11comp_targetILNS1_3genE0ELNS1_11target_archE4294967295ELNS1_3gpuE0ELNS1_3repE0EEENS1_30default_config_static_selectorELNS0_4arch9wavefront6targetE1EEEvT1_, .Lfunc_end557-_ZN7rocprim17ROCPRIM_400000_NS6detail17trampoline_kernelINS0_14default_configENS1_25partition_config_selectorILNS1_17partition_subalgoE8EyNS0_10empty_typeEbEEZZNS1_14partition_implILS5_8ELb0ES3_jN6thrust23THRUST_200600_302600_NS6detail15normal_iteratorINSA_10device_ptrIyEEEEPS6_PKS6_NS0_5tupleIJNSA_16discard_iteratorINSA_11use_defaultEEES6_EEENSJ_IJSG_SG_EEENS0_18inequality_wrapperINSA_8equal_toIyEEEEPmJS6_EEE10hipError_tPvRmT3_T4_T5_T6_T7_T9_mT8_P12ihipStream_tbDpT10_ENKUlT_T0_E_clISt17integral_constantIbLb0EES1C_IbLb1EEEEDaS18_S19_EUlS18_E_NS1_11comp_targetILNS1_3genE0ELNS1_11target_archE4294967295ELNS1_3gpuE0ELNS1_3repE0EEENS1_30default_config_static_selectorELNS0_4arch9wavefront6targetE1EEEvT1_
                                        ; -- End function
	.set _ZN7rocprim17ROCPRIM_400000_NS6detail17trampoline_kernelINS0_14default_configENS1_25partition_config_selectorILNS1_17partition_subalgoE8EyNS0_10empty_typeEbEEZZNS1_14partition_implILS5_8ELb0ES3_jN6thrust23THRUST_200600_302600_NS6detail15normal_iteratorINSA_10device_ptrIyEEEEPS6_PKS6_NS0_5tupleIJNSA_16discard_iteratorINSA_11use_defaultEEES6_EEENSJ_IJSG_SG_EEENS0_18inequality_wrapperINSA_8equal_toIyEEEEPmJS6_EEE10hipError_tPvRmT3_T4_T5_T6_T7_T9_mT8_P12ihipStream_tbDpT10_ENKUlT_T0_E_clISt17integral_constantIbLb0EES1C_IbLb1EEEEDaS18_S19_EUlS18_E_NS1_11comp_targetILNS1_3genE0ELNS1_11target_archE4294967295ELNS1_3gpuE0ELNS1_3repE0EEENS1_30default_config_static_selectorELNS0_4arch9wavefront6targetE1EEEvT1_.num_vgpr, 0
	.set _ZN7rocprim17ROCPRIM_400000_NS6detail17trampoline_kernelINS0_14default_configENS1_25partition_config_selectorILNS1_17partition_subalgoE8EyNS0_10empty_typeEbEEZZNS1_14partition_implILS5_8ELb0ES3_jN6thrust23THRUST_200600_302600_NS6detail15normal_iteratorINSA_10device_ptrIyEEEEPS6_PKS6_NS0_5tupleIJNSA_16discard_iteratorINSA_11use_defaultEEES6_EEENSJ_IJSG_SG_EEENS0_18inequality_wrapperINSA_8equal_toIyEEEEPmJS6_EEE10hipError_tPvRmT3_T4_T5_T6_T7_T9_mT8_P12ihipStream_tbDpT10_ENKUlT_T0_E_clISt17integral_constantIbLb0EES1C_IbLb1EEEEDaS18_S19_EUlS18_E_NS1_11comp_targetILNS1_3genE0ELNS1_11target_archE4294967295ELNS1_3gpuE0ELNS1_3repE0EEENS1_30default_config_static_selectorELNS0_4arch9wavefront6targetE1EEEvT1_.num_agpr, 0
	.set _ZN7rocprim17ROCPRIM_400000_NS6detail17trampoline_kernelINS0_14default_configENS1_25partition_config_selectorILNS1_17partition_subalgoE8EyNS0_10empty_typeEbEEZZNS1_14partition_implILS5_8ELb0ES3_jN6thrust23THRUST_200600_302600_NS6detail15normal_iteratorINSA_10device_ptrIyEEEEPS6_PKS6_NS0_5tupleIJNSA_16discard_iteratorINSA_11use_defaultEEES6_EEENSJ_IJSG_SG_EEENS0_18inequality_wrapperINSA_8equal_toIyEEEEPmJS6_EEE10hipError_tPvRmT3_T4_T5_T6_T7_T9_mT8_P12ihipStream_tbDpT10_ENKUlT_T0_E_clISt17integral_constantIbLb0EES1C_IbLb1EEEEDaS18_S19_EUlS18_E_NS1_11comp_targetILNS1_3genE0ELNS1_11target_archE4294967295ELNS1_3gpuE0ELNS1_3repE0EEENS1_30default_config_static_selectorELNS0_4arch9wavefront6targetE1EEEvT1_.numbered_sgpr, 0
	.set _ZN7rocprim17ROCPRIM_400000_NS6detail17trampoline_kernelINS0_14default_configENS1_25partition_config_selectorILNS1_17partition_subalgoE8EyNS0_10empty_typeEbEEZZNS1_14partition_implILS5_8ELb0ES3_jN6thrust23THRUST_200600_302600_NS6detail15normal_iteratorINSA_10device_ptrIyEEEEPS6_PKS6_NS0_5tupleIJNSA_16discard_iteratorINSA_11use_defaultEEES6_EEENSJ_IJSG_SG_EEENS0_18inequality_wrapperINSA_8equal_toIyEEEEPmJS6_EEE10hipError_tPvRmT3_T4_T5_T6_T7_T9_mT8_P12ihipStream_tbDpT10_ENKUlT_T0_E_clISt17integral_constantIbLb0EES1C_IbLb1EEEEDaS18_S19_EUlS18_E_NS1_11comp_targetILNS1_3genE0ELNS1_11target_archE4294967295ELNS1_3gpuE0ELNS1_3repE0EEENS1_30default_config_static_selectorELNS0_4arch9wavefront6targetE1EEEvT1_.num_named_barrier, 0
	.set _ZN7rocprim17ROCPRIM_400000_NS6detail17trampoline_kernelINS0_14default_configENS1_25partition_config_selectorILNS1_17partition_subalgoE8EyNS0_10empty_typeEbEEZZNS1_14partition_implILS5_8ELb0ES3_jN6thrust23THRUST_200600_302600_NS6detail15normal_iteratorINSA_10device_ptrIyEEEEPS6_PKS6_NS0_5tupleIJNSA_16discard_iteratorINSA_11use_defaultEEES6_EEENSJ_IJSG_SG_EEENS0_18inequality_wrapperINSA_8equal_toIyEEEEPmJS6_EEE10hipError_tPvRmT3_T4_T5_T6_T7_T9_mT8_P12ihipStream_tbDpT10_ENKUlT_T0_E_clISt17integral_constantIbLb0EES1C_IbLb1EEEEDaS18_S19_EUlS18_E_NS1_11comp_targetILNS1_3genE0ELNS1_11target_archE4294967295ELNS1_3gpuE0ELNS1_3repE0EEENS1_30default_config_static_selectorELNS0_4arch9wavefront6targetE1EEEvT1_.private_seg_size, 0
	.set _ZN7rocprim17ROCPRIM_400000_NS6detail17trampoline_kernelINS0_14default_configENS1_25partition_config_selectorILNS1_17partition_subalgoE8EyNS0_10empty_typeEbEEZZNS1_14partition_implILS5_8ELb0ES3_jN6thrust23THRUST_200600_302600_NS6detail15normal_iteratorINSA_10device_ptrIyEEEEPS6_PKS6_NS0_5tupleIJNSA_16discard_iteratorINSA_11use_defaultEEES6_EEENSJ_IJSG_SG_EEENS0_18inequality_wrapperINSA_8equal_toIyEEEEPmJS6_EEE10hipError_tPvRmT3_T4_T5_T6_T7_T9_mT8_P12ihipStream_tbDpT10_ENKUlT_T0_E_clISt17integral_constantIbLb0EES1C_IbLb1EEEEDaS18_S19_EUlS18_E_NS1_11comp_targetILNS1_3genE0ELNS1_11target_archE4294967295ELNS1_3gpuE0ELNS1_3repE0EEENS1_30default_config_static_selectorELNS0_4arch9wavefront6targetE1EEEvT1_.uses_vcc, 0
	.set _ZN7rocprim17ROCPRIM_400000_NS6detail17trampoline_kernelINS0_14default_configENS1_25partition_config_selectorILNS1_17partition_subalgoE8EyNS0_10empty_typeEbEEZZNS1_14partition_implILS5_8ELb0ES3_jN6thrust23THRUST_200600_302600_NS6detail15normal_iteratorINSA_10device_ptrIyEEEEPS6_PKS6_NS0_5tupleIJNSA_16discard_iteratorINSA_11use_defaultEEES6_EEENSJ_IJSG_SG_EEENS0_18inequality_wrapperINSA_8equal_toIyEEEEPmJS6_EEE10hipError_tPvRmT3_T4_T5_T6_T7_T9_mT8_P12ihipStream_tbDpT10_ENKUlT_T0_E_clISt17integral_constantIbLb0EES1C_IbLb1EEEEDaS18_S19_EUlS18_E_NS1_11comp_targetILNS1_3genE0ELNS1_11target_archE4294967295ELNS1_3gpuE0ELNS1_3repE0EEENS1_30default_config_static_selectorELNS0_4arch9wavefront6targetE1EEEvT1_.uses_flat_scratch, 0
	.set _ZN7rocprim17ROCPRIM_400000_NS6detail17trampoline_kernelINS0_14default_configENS1_25partition_config_selectorILNS1_17partition_subalgoE8EyNS0_10empty_typeEbEEZZNS1_14partition_implILS5_8ELb0ES3_jN6thrust23THRUST_200600_302600_NS6detail15normal_iteratorINSA_10device_ptrIyEEEEPS6_PKS6_NS0_5tupleIJNSA_16discard_iteratorINSA_11use_defaultEEES6_EEENSJ_IJSG_SG_EEENS0_18inequality_wrapperINSA_8equal_toIyEEEEPmJS6_EEE10hipError_tPvRmT3_T4_T5_T6_T7_T9_mT8_P12ihipStream_tbDpT10_ENKUlT_T0_E_clISt17integral_constantIbLb0EES1C_IbLb1EEEEDaS18_S19_EUlS18_E_NS1_11comp_targetILNS1_3genE0ELNS1_11target_archE4294967295ELNS1_3gpuE0ELNS1_3repE0EEENS1_30default_config_static_selectorELNS0_4arch9wavefront6targetE1EEEvT1_.has_dyn_sized_stack, 0
	.set _ZN7rocprim17ROCPRIM_400000_NS6detail17trampoline_kernelINS0_14default_configENS1_25partition_config_selectorILNS1_17partition_subalgoE8EyNS0_10empty_typeEbEEZZNS1_14partition_implILS5_8ELb0ES3_jN6thrust23THRUST_200600_302600_NS6detail15normal_iteratorINSA_10device_ptrIyEEEEPS6_PKS6_NS0_5tupleIJNSA_16discard_iteratorINSA_11use_defaultEEES6_EEENSJ_IJSG_SG_EEENS0_18inequality_wrapperINSA_8equal_toIyEEEEPmJS6_EEE10hipError_tPvRmT3_T4_T5_T6_T7_T9_mT8_P12ihipStream_tbDpT10_ENKUlT_T0_E_clISt17integral_constantIbLb0EES1C_IbLb1EEEEDaS18_S19_EUlS18_E_NS1_11comp_targetILNS1_3genE0ELNS1_11target_archE4294967295ELNS1_3gpuE0ELNS1_3repE0EEENS1_30default_config_static_selectorELNS0_4arch9wavefront6targetE1EEEvT1_.has_recursion, 0
	.set _ZN7rocprim17ROCPRIM_400000_NS6detail17trampoline_kernelINS0_14default_configENS1_25partition_config_selectorILNS1_17partition_subalgoE8EyNS0_10empty_typeEbEEZZNS1_14partition_implILS5_8ELb0ES3_jN6thrust23THRUST_200600_302600_NS6detail15normal_iteratorINSA_10device_ptrIyEEEEPS6_PKS6_NS0_5tupleIJNSA_16discard_iteratorINSA_11use_defaultEEES6_EEENSJ_IJSG_SG_EEENS0_18inequality_wrapperINSA_8equal_toIyEEEEPmJS6_EEE10hipError_tPvRmT3_T4_T5_T6_T7_T9_mT8_P12ihipStream_tbDpT10_ENKUlT_T0_E_clISt17integral_constantIbLb0EES1C_IbLb1EEEEDaS18_S19_EUlS18_E_NS1_11comp_targetILNS1_3genE0ELNS1_11target_archE4294967295ELNS1_3gpuE0ELNS1_3repE0EEENS1_30default_config_static_selectorELNS0_4arch9wavefront6targetE1EEEvT1_.has_indirect_call, 0
	.section	.AMDGPU.csdata,"",@progbits
; Kernel info:
; codeLenInByte = 0
; TotalNumSgprs: 4
; NumVgprs: 0
; ScratchSize: 0
; MemoryBound: 0
; FloatMode: 240
; IeeeMode: 1
; LDSByteSize: 0 bytes/workgroup (compile time only)
; SGPRBlocks: 0
; VGPRBlocks: 0
; NumSGPRsForWavesPerEU: 4
; NumVGPRsForWavesPerEU: 1
; Occupancy: 10
; WaveLimiterHint : 0
; COMPUTE_PGM_RSRC2:SCRATCH_EN: 0
; COMPUTE_PGM_RSRC2:USER_SGPR: 6
; COMPUTE_PGM_RSRC2:TRAP_HANDLER: 0
; COMPUTE_PGM_RSRC2:TGID_X_EN: 1
; COMPUTE_PGM_RSRC2:TGID_Y_EN: 0
; COMPUTE_PGM_RSRC2:TGID_Z_EN: 0
; COMPUTE_PGM_RSRC2:TIDIG_COMP_CNT: 0
	.section	.text._ZN7rocprim17ROCPRIM_400000_NS6detail17trampoline_kernelINS0_14default_configENS1_25partition_config_selectorILNS1_17partition_subalgoE8EyNS0_10empty_typeEbEEZZNS1_14partition_implILS5_8ELb0ES3_jN6thrust23THRUST_200600_302600_NS6detail15normal_iteratorINSA_10device_ptrIyEEEEPS6_PKS6_NS0_5tupleIJNSA_16discard_iteratorINSA_11use_defaultEEES6_EEENSJ_IJSG_SG_EEENS0_18inequality_wrapperINSA_8equal_toIyEEEEPmJS6_EEE10hipError_tPvRmT3_T4_T5_T6_T7_T9_mT8_P12ihipStream_tbDpT10_ENKUlT_T0_E_clISt17integral_constantIbLb0EES1C_IbLb1EEEEDaS18_S19_EUlS18_E_NS1_11comp_targetILNS1_3genE5ELNS1_11target_archE942ELNS1_3gpuE9ELNS1_3repE0EEENS1_30default_config_static_selectorELNS0_4arch9wavefront6targetE1EEEvT1_,"axG",@progbits,_ZN7rocprim17ROCPRIM_400000_NS6detail17trampoline_kernelINS0_14default_configENS1_25partition_config_selectorILNS1_17partition_subalgoE8EyNS0_10empty_typeEbEEZZNS1_14partition_implILS5_8ELb0ES3_jN6thrust23THRUST_200600_302600_NS6detail15normal_iteratorINSA_10device_ptrIyEEEEPS6_PKS6_NS0_5tupleIJNSA_16discard_iteratorINSA_11use_defaultEEES6_EEENSJ_IJSG_SG_EEENS0_18inequality_wrapperINSA_8equal_toIyEEEEPmJS6_EEE10hipError_tPvRmT3_T4_T5_T6_T7_T9_mT8_P12ihipStream_tbDpT10_ENKUlT_T0_E_clISt17integral_constantIbLb0EES1C_IbLb1EEEEDaS18_S19_EUlS18_E_NS1_11comp_targetILNS1_3genE5ELNS1_11target_archE942ELNS1_3gpuE9ELNS1_3repE0EEENS1_30default_config_static_selectorELNS0_4arch9wavefront6targetE1EEEvT1_,comdat
	.protected	_ZN7rocprim17ROCPRIM_400000_NS6detail17trampoline_kernelINS0_14default_configENS1_25partition_config_selectorILNS1_17partition_subalgoE8EyNS0_10empty_typeEbEEZZNS1_14partition_implILS5_8ELb0ES3_jN6thrust23THRUST_200600_302600_NS6detail15normal_iteratorINSA_10device_ptrIyEEEEPS6_PKS6_NS0_5tupleIJNSA_16discard_iteratorINSA_11use_defaultEEES6_EEENSJ_IJSG_SG_EEENS0_18inequality_wrapperINSA_8equal_toIyEEEEPmJS6_EEE10hipError_tPvRmT3_T4_T5_T6_T7_T9_mT8_P12ihipStream_tbDpT10_ENKUlT_T0_E_clISt17integral_constantIbLb0EES1C_IbLb1EEEEDaS18_S19_EUlS18_E_NS1_11comp_targetILNS1_3genE5ELNS1_11target_archE942ELNS1_3gpuE9ELNS1_3repE0EEENS1_30default_config_static_selectorELNS0_4arch9wavefront6targetE1EEEvT1_ ; -- Begin function _ZN7rocprim17ROCPRIM_400000_NS6detail17trampoline_kernelINS0_14default_configENS1_25partition_config_selectorILNS1_17partition_subalgoE8EyNS0_10empty_typeEbEEZZNS1_14partition_implILS5_8ELb0ES3_jN6thrust23THRUST_200600_302600_NS6detail15normal_iteratorINSA_10device_ptrIyEEEEPS6_PKS6_NS0_5tupleIJNSA_16discard_iteratorINSA_11use_defaultEEES6_EEENSJ_IJSG_SG_EEENS0_18inequality_wrapperINSA_8equal_toIyEEEEPmJS6_EEE10hipError_tPvRmT3_T4_T5_T6_T7_T9_mT8_P12ihipStream_tbDpT10_ENKUlT_T0_E_clISt17integral_constantIbLb0EES1C_IbLb1EEEEDaS18_S19_EUlS18_E_NS1_11comp_targetILNS1_3genE5ELNS1_11target_archE942ELNS1_3gpuE9ELNS1_3repE0EEENS1_30default_config_static_selectorELNS0_4arch9wavefront6targetE1EEEvT1_
	.globl	_ZN7rocprim17ROCPRIM_400000_NS6detail17trampoline_kernelINS0_14default_configENS1_25partition_config_selectorILNS1_17partition_subalgoE8EyNS0_10empty_typeEbEEZZNS1_14partition_implILS5_8ELb0ES3_jN6thrust23THRUST_200600_302600_NS6detail15normal_iteratorINSA_10device_ptrIyEEEEPS6_PKS6_NS0_5tupleIJNSA_16discard_iteratorINSA_11use_defaultEEES6_EEENSJ_IJSG_SG_EEENS0_18inequality_wrapperINSA_8equal_toIyEEEEPmJS6_EEE10hipError_tPvRmT3_T4_T5_T6_T7_T9_mT8_P12ihipStream_tbDpT10_ENKUlT_T0_E_clISt17integral_constantIbLb0EES1C_IbLb1EEEEDaS18_S19_EUlS18_E_NS1_11comp_targetILNS1_3genE5ELNS1_11target_archE942ELNS1_3gpuE9ELNS1_3repE0EEENS1_30default_config_static_selectorELNS0_4arch9wavefront6targetE1EEEvT1_
	.p2align	8
	.type	_ZN7rocprim17ROCPRIM_400000_NS6detail17trampoline_kernelINS0_14default_configENS1_25partition_config_selectorILNS1_17partition_subalgoE8EyNS0_10empty_typeEbEEZZNS1_14partition_implILS5_8ELb0ES3_jN6thrust23THRUST_200600_302600_NS6detail15normal_iteratorINSA_10device_ptrIyEEEEPS6_PKS6_NS0_5tupleIJNSA_16discard_iteratorINSA_11use_defaultEEES6_EEENSJ_IJSG_SG_EEENS0_18inequality_wrapperINSA_8equal_toIyEEEEPmJS6_EEE10hipError_tPvRmT3_T4_T5_T6_T7_T9_mT8_P12ihipStream_tbDpT10_ENKUlT_T0_E_clISt17integral_constantIbLb0EES1C_IbLb1EEEEDaS18_S19_EUlS18_E_NS1_11comp_targetILNS1_3genE5ELNS1_11target_archE942ELNS1_3gpuE9ELNS1_3repE0EEENS1_30default_config_static_selectorELNS0_4arch9wavefront6targetE1EEEvT1_,@function
_ZN7rocprim17ROCPRIM_400000_NS6detail17trampoline_kernelINS0_14default_configENS1_25partition_config_selectorILNS1_17partition_subalgoE8EyNS0_10empty_typeEbEEZZNS1_14partition_implILS5_8ELb0ES3_jN6thrust23THRUST_200600_302600_NS6detail15normal_iteratorINSA_10device_ptrIyEEEEPS6_PKS6_NS0_5tupleIJNSA_16discard_iteratorINSA_11use_defaultEEES6_EEENSJ_IJSG_SG_EEENS0_18inequality_wrapperINSA_8equal_toIyEEEEPmJS6_EEE10hipError_tPvRmT3_T4_T5_T6_T7_T9_mT8_P12ihipStream_tbDpT10_ENKUlT_T0_E_clISt17integral_constantIbLb0EES1C_IbLb1EEEEDaS18_S19_EUlS18_E_NS1_11comp_targetILNS1_3genE5ELNS1_11target_archE942ELNS1_3gpuE9ELNS1_3repE0EEENS1_30default_config_static_selectorELNS0_4arch9wavefront6targetE1EEEvT1_: ; @_ZN7rocprim17ROCPRIM_400000_NS6detail17trampoline_kernelINS0_14default_configENS1_25partition_config_selectorILNS1_17partition_subalgoE8EyNS0_10empty_typeEbEEZZNS1_14partition_implILS5_8ELb0ES3_jN6thrust23THRUST_200600_302600_NS6detail15normal_iteratorINSA_10device_ptrIyEEEEPS6_PKS6_NS0_5tupleIJNSA_16discard_iteratorINSA_11use_defaultEEES6_EEENSJ_IJSG_SG_EEENS0_18inequality_wrapperINSA_8equal_toIyEEEEPmJS6_EEE10hipError_tPvRmT3_T4_T5_T6_T7_T9_mT8_P12ihipStream_tbDpT10_ENKUlT_T0_E_clISt17integral_constantIbLb0EES1C_IbLb1EEEEDaS18_S19_EUlS18_E_NS1_11comp_targetILNS1_3genE5ELNS1_11target_archE942ELNS1_3gpuE9ELNS1_3repE0EEENS1_30default_config_static_selectorELNS0_4arch9wavefront6targetE1EEEvT1_
; %bb.0:
	.section	.rodata,"a",@progbits
	.p2align	6, 0x0
	.amdhsa_kernel _ZN7rocprim17ROCPRIM_400000_NS6detail17trampoline_kernelINS0_14default_configENS1_25partition_config_selectorILNS1_17partition_subalgoE8EyNS0_10empty_typeEbEEZZNS1_14partition_implILS5_8ELb0ES3_jN6thrust23THRUST_200600_302600_NS6detail15normal_iteratorINSA_10device_ptrIyEEEEPS6_PKS6_NS0_5tupleIJNSA_16discard_iteratorINSA_11use_defaultEEES6_EEENSJ_IJSG_SG_EEENS0_18inequality_wrapperINSA_8equal_toIyEEEEPmJS6_EEE10hipError_tPvRmT3_T4_T5_T6_T7_T9_mT8_P12ihipStream_tbDpT10_ENKUlT_T0_E_clISt17integral_constantIbLb0EES1C_IbLb1EEEEDaS18_S19_EUlS18_E_NS1_11comp_targetILNS1_3genE5ELNS1_11target_archE942ELNS1_3gpuE9ELNS1_3repE0EEENS1_30default_config_static_selectorELNS0_4arch9wavefront6targetE1EEEvT1_
		.amdhsa_group_segment_fixed_size 0
		.amdhsa_private_segment_fixed_size 0
		.amdhsa_kernarg_size 136
		.amdhsa_user_sgpr_count 6
		.amdhsa_user_sgpr_private_segment_buffer 1
		.amdhsa_user_sgpr_dispatch_ptr 0
		.amdhsa_user_sgpr_queue_ptr 0
		.amdhsa_user_sgpr_kernarg_segment_ptr 1
		.amdhsa_user_sgpr_dispatch_id 0
		.amdhsa_user_sgpr_flat_scratch_init 0
		.amdhsa_user_sgpr_private_segment_size 0
		.amdhsa_uses_dynamic_stack 0
		.amdhsa_system_sgpr_private_segment_wavefront_offset 0
		.amdhsa_system_sgpr_workgroup_id_x 1
		.amdhsa_system_sgpr_workgroup_id_y 0
		.amdhsa_system_sgpr_workgroup_id_z 0
		.amdhsa_system_sgpr_workgroup_info 0
		.amdhsa_system_vgpr_workitem_id 0
		.amdhsa_next_free_vgpr 1
		.amdhsa_next_free_sgpr 0
		.amdhsa_reserve_vcc 0
		.amdhsa_reserve_flat_scratch 0
		.amdhsa_float_round_mode_32 0
		.amdhsa_float_round_mode_16_64 0
		.amdhsa_float_denorm_mode_32 3
		.amdhsa_float_denorm_mode_16_64 3
		.amdhsa_dx10_clamp 1
		.amdhsa_ieee_mode 1
		.amdhsa_fp16_overflow 0
		.amdhsa_exception_fp_ieee_invalid_op 0
		.amdhsa_exception_fp_denorm_src 0
		.amdhsa_exception_fp_ieee_div_zero 0
		.amdhsa_exception_fp_ieee_overflow 0
		.amdhsa_exception_fp_ieee_underflow 0
		.amdhsa_exception_fp_ieee_inexact 0
		.amdhsa_exception_int_div_zero 0
	.end_amdhsa_kernel
	.section	.text._ZN7rocprim17ROCPRIM_400000_NS6detail17trampoline_kernelINS0_14default_configENS1_25partition_config_selectorILNS1_17partition_subalgoE8EyNS0_10empty_typeEbEEZZNS1_14partition_implILS5_8ELb0ES3_jN6thrust23THRUST_200600_302600_NS6detail15normal_iteratorINSA_10device_ptrIyEEEEPS6_PKS6_NS0_5tupleIJNSA_16discard_iteratorINSA_11use_defaultEEES6_EEENSJ_IJSG_SG_EEENS0_18inequality_wrapperINSA_8equal_toIyEEEEPmJS6_EEE10hipError_tPvRmT3_T4_T5_T6_T7_T9_mT8_P12ihipStream_tbDpT10_ENKUlT_T0_E_clISt17integral_constantIbLb0EES1C_IbLb1EEEEDaS18_S19_EUlS18_E_NS1_11comp_targetILNS1_3genE5ELNS1_11target_archE942ELNS1_3gpuE9ELNS1_3repE0EEENS1_30default_config_static_selectorELNS0_4arch9wavefront6targetE1EEEvT1_,"axG",@progbits,_ZN7rocprim17ROCPRIM_400000_NS6detail17trampoline_kernelINS0_14default_configENS1_25partition_config_selectorILNS1_17partition_subalgoE8EyNS0_10empty_typeEbEEZZNS1_14partition_implILS5_8ELb0ES3_jN6thrust23THRUST_200600_302600_NS6detail15normal_iteratorINSA_10device_ptrIyEEEEPS6_PKS6_NS0_5tupleIJNSA_16discard_iteratorINSA_11use_defaultEEES6_EEENSJ_IJSG_SG_EEENS0_18inequality_wrapperINSA_8equal_toIyEEEEPmJS6_EEE10hipError_tPvRmT3_T4_T5_T6_T7_T9_mT8_P12ihipStream_tbDpT10_ENKUlT_T0_E_clISt17integral_constantIbLb0EES1C_IbLb1EEEEDaS18_S19_EUlS18_E_NS1_11comp_targetILNS1_3genE5ELNS1_11target_archE942ELNS1_3gpuE9ELNS1_3repE0EEENS1_30default_config_static_selectorELNS0_4arch9wavefront6targetE1EEEvT1_,comdat
.Lfunc_end558:
	.size	_ZN7rocprim17ROCPRIM_400000_NS6detail17trampoline_kernelINS0_14default_configENS1_25partition_config_selectorILNS1_17partition_subalgoE8EyNS0_10empty_typeEbEEZZNS1_14partition_implILS5_8ELb0ES3_jN6thrust23THRUST_200600_302600_NS6detail15normal_iteratorINSA_10device_ptrIyEEEEPS6_PKS6_NS0_5tupleIJNSA_16discard_iteratorINSA_11use_defaultEEES6_EEENSJ_IJSG_SG_EEENS0_18inequality_wrapperINSA_8equal_toIyEEEEPmJS6_EEE10hipError_tPvRmT3_T4_T5_T6_T7_T9_mT8_P12ihipStream_tbDpT10_ENKUlT_T0_E_clISt17integral_constantIbLb0EES1C_IbLb1EEEEDaS18_S19_EUlS18_E_NS1_11comp_targetILNS1_3genE5ELNS1_11target_archE942ELNS1_3gpuE9ELNS1_3repE0EEENS1_30default_config_static_selectorELNS0_4arch9wavefront6targetE1EEEvT1_, .Lfunc_end558-_ZN7rocprim17ROCPRIM_400000_NS6detail17trampoline_kernelINS0_14default_configENS1_25partition_config_selectorILNS1_17partition_subalgoE8EyNS0_10empty_typeEbEEZZNS1_14partition_implILS5_8ELb0ES3_jN6thrust23THRUST_200600_302600_NS6detail15normal_iteratorINSA_10device_ptrIyEEEEPS6_PKS6_NS0_5tupleIJNSA_16discard_iteratorINSA_11use_defaultEEES6_EEENSJ_IJSG_SG_EEENS0_18inequality_wrapperINSA_8equal_toIyEEEEPmJS6_EEE10hipError_tPvRmT3_T4_T5_T6_T7_T9_mT8_P12ihipStream_tbDpT10_ENKUlT_T0_E_clISt17integral_constantIbLb0EES1C_IbLb1EEEEDaS18_S19_EUlS18_E_NS1_11comp_targetILNS1_3genE5ELNS1_11target_archE942ELNS1_3gpuE9ELNS1_3repE0EEENS1_30default_config_static_selectorELNS0_4arch9wavefront6targetE1EEEvT1_
                                        ; -- End function
	.set _ZN7rocprim17ROCPRIM_400000_NS6detail17trampoline_kernelINS0_14default_configENS1_25partition_config_selectorILNS1_17partition_subalgoE8EyNS0_10empty_typeEbEEZZNS1_14partition_implILS5_8ELb0ES3_jN6thrust23THRUST_200600_302600_NS6detail15normal_iteratorINSA_10device_ptrIyEEEEPS6_PKS6_NS0_5tupleIJNSA_16discard_iteratorINSA_11use_defaultEEES6_EEENSJ_IJSG_SG_EEENS0_18inequality_wrapperINSA_8equal_toIyEEEEPmJS6_EEE10hipError_tPvRmT3_T4_T5_T6_T7_T9_mT8_P12ihipStream_tbDpT10_ENKUlT_T0_E_clISt17integral_constantIbLb0EES1C_IbLb1EEEEDaS18_S19_EUlS18_E_NS1_11comp_targetILNS1_3genE5ELNS1_11target_archE942ELNS1_3gpuE9ELNS1_3repE0EEENS1_30default_config_static_selectorELNS0_4arch9wavefront6targetE1EEEvT1_.num_vgpr, 0
	.set _ZN7rocprim17ROCPRIM_400000_NS6detail17trampoline_kernelINS0_14default_configENS1_25partition_config_selectorILNS1_17partition_subalgoE8EyNS0_10empty_typeEbEEZZNS1_14partition_implILS5_8ELb0ES3_jN6thrust23THRUST_200600_302600_NS6detail15normal_iteratorINSA_10device_ptrIyEEEEPS6_PKS6_NS0_5tupleIJNSA_16discard_iteratorINSA_11use_defaultEEES6_EEENSJ_IJSG_SG_EEENS0_18inequality_wrapperINSA_8equal_toIyEEEEPmJS6_EEE10hipError_tPvRmT3_T4_T5_T6_T7_T9_mT8_P12ihipStream_tbDpT10_ENKUlT_T0_E_clISt17integral_constantIbLb0EES1C_IbLb1EEEEDaS18_S19_EUlS18_E_NS1_11comp_targetILNS1_3genE5ELNS1_11target_archE942ELNS1_3gpuE9ELNS1_3repE0EEENS1_30default_config_static_selectorELNS0_4arch9wavefront6targetE1EEEvT1_.num_agpr, 0
	.set _ZN7rocprim17ROCPRIM_400000_NS6detail17trampoline_kernelINS0_14default_configENS1_25partition_config_selectorILNS1_17partition_subalgoE8EyNS0_10empty_typeEbEEZZNS1_14partition_implILS5_8ELb0ES3_jN6thrust23THRUST_200600_302600_NS6detail15normal_iteratorINSA_10device_ptrIyEEEEPS6_PKS6_NS0_5tupleIJNSA_16discard_iteratorINSA_11use_defaultEEES6_EEENSJ_IJSG_SG_EEENS0_18inequality_wrapperINSA_8equal_toIyEEEEPmJS6_EEE10hipError_tPvRmT3_T4_T5_T6_T7_T9_mT8_P12ihipStream_tbDpT10_ENKUlT_T0_E_clISt17integral_constantIbLb0EES1C_IbLb1EEEEDaS18_S19_EUlS18_E_NS1_11comp_targetILNS1_3genE5ELNS1_11target_archE942ELNS1_3gpuE9ELNS1_3repE0EEENS1_30default_config_static_selectorELNS0_4arch9wavefront6targetE1EEEvT1_.numbered_sgpr, 0
	.set _ZN7rocprim17ROCPRIM_400000_NS6detail17trampoline_kernelINS0_14default_configENS1_25partition_config_selectorILNS1_17partition_subalgoE8EyNS0_10empty_typeEbEEZZNS1_14partition_implILS5_8ELb0ES3_jN6thrust23THRUST_200600_302600_NS6detail15normal_iteratorINSA_10device_ptrIyEEEEPS6_PKS6_NS0_5tupleIJNSA_16discard_iteratorINSA_11use_defaultEEES6_EEENSJ_IJSG_SG_EEENS0_18inequality_wrapperINSA_8equal_toIyEEEEPmJS6_EEE10hipError_tPvRmT3_T4_T5_T6_T7_T9_mT8_P12ihipStream_tbDpT10_ENKUlT_T0_E_clISt17integral_constantIbLb0EES1C_IbLb1EEEEDaS18_S19_EUlS18_E_NS1_11comp_targetILNS1_3genE5ELNS1_11target_archE942ELNS1_3gpuE9ELNS1_3repE0EEENS1_30default_config_static_selectorELNS0_4arch9wavefront6targetE1EEEvT1_.num_named_barrier, 0
	.set _ZN7rocprim17ROCPRIM_400000_NS6detail17trampoline_kernelINS0_14default_configENS1_25partition_config_selectorILNS1_17partition_subalgoE8EyNS0_10empty_typeEbEEZZNS1_14partition_implILS5_8ELb0ES3_jN6thrust23THRUST_200600_302600_NS6detail15normal_iteratorINSA_10device_ptrIyEEEEPS6_PKS6_NS0_5tupleIJNSA_16discard_iteratorINSA_11use_defaultEEES6_EEENSJ_IJSG_SG_EEENS0_18inequality_wrapperINSA_8equal_toIyEEEEPmJS6_EEE10hipError_tPvRmT3_T4_T5_T6_T7_T9_mT8_P12ihipStream_tbDpT10_ENKUlT_T0_E_clISt17integral_constantIbLb0EES1C_IbLb1EEEEDaS18_S19_EUlS18_E_NS1_11comp_targetILNS1_3genE5ELNS1_11target_archE942ELNS1_3gpuE9ELNS1_3repE0EEENS1_30default_config_static_selectorELNS0_4arch9wavefront6targetE1EEEvT1_.private_seg_size, 0
	.set _ZN7rocprim17ROCPRIM_400000_NS6detail17trampoline_kernelINS0_14default_configENS1_25partition_config_selectorILNS1_17partition_subalgoE8EyNS0_10empty_typeEbEEZZNS1_14partition_implILS5_8ELb0ES3_jN6thrust23THRUST_200600_302600_NS6detail15normal_iteratorINSA_10device_ptrIyEEEEPS6_PKS6_NS0_5tupleIJNSA_16discard_iteratorINSA_11use_defaultEEES6_EEENSJ_IJSG_SG_EEENS0_18inequality_wrapperINSA_8equal_toIyEEEEPmJS6_EEE10hipError_tPvRmT3_T4_T5_T6_T7_T9_mT8_P12ihipStream_tbDpT10_ENKUlT_T0_E_clISt17integral_constantIbLb0EES1C_IbLb1EEEEDaS18_S19_EUlS18_E_NS1_11comp_targetILNS1_3genE5ELNS1_11target_archE942ELNS1_3gpuE9ELNS1_3repE0EEENS1_30default_config_static_selectorELNS0_4arch9wavefront6targetE1EEEvT1_.uses_vcc, 0
	.set _ZN7rocprim17ROCPRIM_400000_NS6detail17trampoline_kernelINS0_14default_configENS1_25partition_config_selectorILNS1_17partition_subalgoE8EyNS0_10empty_typeEbEEZZNS1_14partition_implILS5_8ELb0ES3_jN6thrust23THRUST_200600_302600_NS6detail15normal_iteratorINSA_10device_ptrIyEEEEPS6_PKS6_NS0_5tupleIJNSA_16discard_iteratorINSA_11use_defaultEEES6_EEENSJ_IJSG_SG_EEENS0_18inequality_wrapperINSA_8equal_toIyEEEEPmJS6_EEE10hipError_tPvRmT3_T4_T5_T6_T7_T9_mT8_P12ihipStream_tbDpT10_ENKUlT_T0_E_clISt17integral_constantIbLb0EES1C_IbLb1EEEEDaS18_S19_EUlS18_E_NS1_11comp_targetILNS1_3genE5ELNS1_11target_archE942ELNS1_3gpuE9ELNS1_3repE0EEENS1_30default_config_static_selectorELNS0_4arch9wavefront6targetE1EEEvT1_.uses_flat_scratch, 0
	.set _ZN7rocprim17ROCPRIM_400000_NS6detail17trampoline_kernelINS0_14default_configENS1_25partition_config_selectorILNS1_17partition_subalgoE8EyNS0_10empty_typeEbEEZZNS1_14partition_implILS5_8ELb0ES3_jN6thrust23THRUST_200600_302600_NS6detail15normal_iteratorINSA_10device_ptrIyEEEEPS6_PKS6_NS0_5tupleIJNSA_16discard_iteratorINSA_11use_defaultEEES6_EEENSJ_IJSG_SG_EEENS0_18inequality_wrapperINSA_8equal_toIyEEEEPmJS6_EEE10hipError_tPvRmT3_T4_T5_T6_T7_T9_mT8_P12ihipStream_tbDpT10_ENKUlT_T0_E_clISt17integral_constantIbLb0EES1C_IbLb1EEEEDaS18_S19_EUlS18_E_NS1_11comp_targetILNS1_3genE5ELNS1_11target_archE942ELNS1_3gpuE9ELNS1_3repE0EEENS1_30default_config_static_selectorELNS0_4arch9wavefront6targetE1EEEvT1_.has_dyn_sized_stack, 0
	.set _ZN7rocprim17ROCPRIM_400000_NS6detail17trampoline_kernelINS0_14default_configENS1_25partition_config_selectorILNS1_17partition_subalgoE8EyNS0_10empty_typeEbEEZZNS1_14partition_implILS5_8ELb0ES3_jN6thrust23THRUST_200600_302600_NS6detail15normal_iteratorINSA_10device_ptrIyEEEEPS6_PKS6_NS0_5tupleIJNSA_16discard_iteratorINSA_11use_defaultEEES6_EEENSJ_IJSG_SG_EEENS0_18inequality_wrapperINSA_8equal_toIyEEEEPmJS6_EEE10hipError_tPvRmT3_T4_T5_T6_T7_T9_mT8_P12ihipStream_tbDpT10_ENKUlT_T0_E_clISt17integral_constantIbLb0EES1C_IbLb1EEEEDaS18_S19_EUlS18_E_NS1_11comp_targetILNS1_3genE5ELNS1_11target_archE942ELNS1_3gpuE9ELNS1_3repE0EEENS1_30default_config_static_selectorELNS0_4arch9wavefront6targetE1EEEvT1_.has_recursion, 0
	.set _ZN7rocprim17ROCPRIM_400000_NS6detail17trampoline_kernelINS0_14default_configENS1_25partition_config_selectorILNS1_17partition_subalgoE8EyNS0_10empty_typeEbEEZZNS1_14partition_implILS5_8ELb0ES3_jN6thrust23THRUST_200600_302600_NS6detail15normal_iteratorINSA_10device_ptrIyEEEEPS6_PKS6_NS0_5tupleIJNSA_16discard_iteratorINSA_11use_defaultEEES6_EEENSJ_IJSG_SG_EEENS0_18inequality_wrapperINSA_8equal_toIyEEEEPmJS6_EEE10hipError_tPvRmT3_T4_T5_T6_T7_T9_mT8_P12ihipStream_tbDpT10_ENKUlT_T0_E_clISt17integral_constantIbLb0EES1C_IbLb1EEEEDaS18_S19_EUlS18_E_NS1_11comp_targetILNS1_3genE5ELNS1_11target_archE942ELNS1_3gpuE9ELNS1_3repE0EEENS1_30default_config_static_selectorELNS0_4arch9wavefront6targetE1EEEvT1_.has_indirect_call, 0
	.section	.AMDGPU.csdata,"",@progbits
; Kernel info:
; codeLenInByte = 0
; TotalNumSgprs: 4
; NumVgprs: 0
; ScratchSize: 0
; MemoryBound: 0
; FloatMode: 240
; IeeeMode: 1
; LDSByteSize: 0 bytes/workgroup (compile time only)
; SGPRBlocks: 0
; VGPRBlocks: 0
; NumSGPRsForWavesPerEU: 4
; NumVGPRsForWavesPerEU: 1
; Occupancy: 10
; WaveLimiterHint : 0
; COMPUTE_PGM_RSRC2:SCRATCH_EN: 0
; COMPUTE_PGM_RSRC2:USER_SGPR: 6
; COMPUTE_PGM_RSRC2:TRAP_HANDLER: 0
; COMPUTE_PGM_RSRC2:TGID_X_EN: 1
; COMPUTE_PGM_RSRC2:TGID_Y_EN: 0
; COMPUTE_PGM_RSRC2:TGID_Z_EN: 0
; COMPUTE_PGM_RSRC2:TIDIG_COMP_CNT: 0
	.section	.text._ZN7rocprim17ROCPRIM_400000_NS6detail17trampoline_kernelINS0_14default_configENS1_25partition_config_selectorILNS1_17partition_subalgoE8EyNS0_10empty_typeEbEEZZNS1_14partition_implILS5_8ELb0ES3_jN6thrust23THRUST_200600_302600_NS6detail15normal_iteratorINSA_10device_ptrIyEEEEPS6_PKS6_NS0_5tupleIJNSA_16discard_iteratorINSA_11use_defaultEEES6_EEENSJ_IJSG_SG_EEENS0_18inequality_wrapperINSA_8equal_toIyEEEEPmJS6_EEE10hipError_tPvRmT3_T4_T5_T6_T7_T9_mT8_P12ihipStream_tbDpT10_ENKUlT_T0_E_clISt17integral_constantIbLb0EES1C_IbLb1EEEEDaS18_S19_EUlS18_E_NS1_11comp_targetILNS1_3genE4ELNS1_11target_archE910ELNS1_3gpuE8ELNS1_3repE0EEENS1_30default_config_static_selectorELNS0_4arch9wavefront6targetE1EEEvT1_,"axG",@progbits,_ZN7rocprim17ROCPRIM_400000_NS6detail17trampoline_kernelINS0_14default_configENS1_25partition_config_selectorILNS1_17partition_subalgoE8EyNS0_10empty_typeEbEEZZNS1_14partition_implILS5_8ELb0ES3_jN6thrust23THRUST_200600_302600_NS6detail15normal_iteratorINSA_10device_ptrIyEEEEPS6_PKS6_NS0_5tupleIJNSA_16discard_iteratorINSA_11use_defaultEEES6_EEENSJ_IJSG_SG_EEENS0_18inequality_wrapperINSA_8equal_toIyEEEEPmJS6_EEE10hipError_tPvRmT3_T4_T5_T6_T7_T9_mT8_P12ihipStream_tbDpT10_ENKUlT_T0_E_clISt17integral_constantIbLb0EES1C_IbLb1EEEEDaS18_S19_EUlS18_E_NS1_11comp_targetILNS1_3genE4ELNS1_11target_archE910ELNS1_3gpuE8ELNS1_3repE0EEENS1_30default_config_static_selectorELNS0_4arch9wavefront6targetE1EEEvT1_,comdat
	.protected	_ZN7rocprim17ROCPRIM_400000_NS6detail17trampoline_kernelINS0_14default_configENS1_25partition_config_selectorILNS1_17partition_subalgoE8EyNS0_10empty_typeEbEEZZNS1_14partition_implILS5_8ELb0ES3_jN6thrust23THRUST_200600_302600_NS6detail15normal_iteratorINSA_10device_ptrIyEEEEPS6_PKS6_NS0_5tupleIJNSA_16discard_iteratorINSA_11use_defaultEEES6_EEENSJ_IJSG_SG_EEENS0_18inequality_wrapperINSA_8equal_toIyEEEEPmJS6_EEE10hipError_tPvRmT3_T4_T5_T6_T7_T9_mT8_P12ihipStream_tbDpT10_ENKUlT_T0_E_clISt17integral_constantIbLb0EES1C_IbLb1EEEEDaS18_S19_EUlS18_E_NS1_11comp_targetILNS1_3genE4ELNS1_11target_archE910ELNS1_3gpuE8ELNS1_3repE0EEENS1_30default_config_static_selectorELNS0_4arch9wavefront6targetE1EEEvT1_ ; -- Begin function _ZN7rocprim17ROCPRIM_400000_NS6detail17trampoline_kernelINS0_14default_configENS1_25partition_config_selectorILNS1_17partition_subalgoE8EyNS0_10empty_typeEbEEZZNS1_14partition_implILS5_8ELb0ES3_jN6thrust23THRUST_200600_302600_NS6detail15normal_iteratorINSA_10device_ptrIyEEEEPS6_PKS6_NS0_5tupleIJNSA_16discard_iteratorINSA_11use_defaultEEES6_EEENSJ_IJSG_SG_EEENS0_18inequality_wrapperINSA_8equal_toIyEEEEPmJS6_EEE10hipError_tPvRmT3_T4_T5_T6_T7_T9_mT8_P12ihipStream_tbDpT10_ENKUlT_T0_E_clISt17integral_constantIbLb0EES1C_IbLb1EEEEDaS18_S19_EUlS18_E_NS1_11comp_targetILNS1_3genE4ELNS1_11target_archE910ELNS1_3gpuE8ELNS1_3repE0EEENS1_30default_config_static_selectorELNS0_4arch9wavefront6targetE1EEEvT1_
	.globl	_ZN7rocprim17ROCPRIM_400000_NS6detail17trampoline_kernelINS0_14default_configENS1_25partition_config_selectorILNS1_17partition_subalgoE8EyNS0_10empty_typeEbEEZZNS1_14partition_implILS5_8ELb0ES3_jN6thrust23THRUST_200600_302600_NS6detail15normal_iteratorINSA_10device_ptrIyEEEEPS6_PKS6_NS0_5tupleIJNSA_16discard_iteratorINSA_11use_defaultEEES6_EEENSJ_IJSG_SG_EEENS0_18inequality_wrapperINSA_8equal_toIyEEEEPmJS6_EEE10hipError_tPvRmT3_T4_T5_T6_T7_T9_mT8_P12ihipStream_tbDpT10_ENKUlT_T0_E_clISt17integral_constantIbLb0EES1C_IbLb1EEEEDaS18_S19_EUlS18_E_NS1_11comp_targetILNS1_3genE4ELNS1_11target_archE910ELNS1_3gpuE8ELNS1_3repE0EEENS1_30default_config_static_selectorELNS0_4arch9wavefront6targetE1EEEvT1_
	.p2align	8
	.type	_ZN7rocprim17ROCPRIM_400000_NS6detail17trampoline_kernelINS0_14default_configENS1_25partition_config_selectorILNS1_17partition_subalgoE8EyNS0_10empty_typeEbEEZZNS1_14partition_implILS5_8ELb0ES3_jN6thrust23THRUST_200600_302600_NS6detail15normal_iteratorINSA_10device_ptrIyEEEEPS6_PKS6_NS0_5tupleIJNSA_16discard_iteratorINSA_11use_defaultEEES6_EEENSJ_IJSG_SG_EEENS0_18inequality_wrapperINSA_8equal_toIyEEEEPmJS6_EEE10hipError_tPvRmT3_T4_T5_T6_T7_T9_mT8_P12ihipStream_tbDpT10_ENKUlT_T0_E_clISt17integral_constantIbLb0EES1C_IbLb1EEEEDaS18_S19_EUlS18_E_NS1_11comp_targetILNS1_3genE4ELNS1_11target_archE910ELNS1_3gpuE8ELNS1_3repE0EEENS1_30default_config_static_selectorELNS0_4arch9wavefront6targetE1EEEvT1_,@function
_ZN7rocprim17ROCPRIM_400000_NS6detail17trampoline_kernelINS0_14default_configENS1_25partition_config_selectorILNS1_17partition_subalgoE8EyNS0_10empty_typeEbEEZZNS1_14partition_implILS5_8ELb0ES3_jN6thrust23THRUST_200600_302600_NS6detail15normal_iteratorINSA_10device_ptrIyEEEEPS6_PKS6_NS0_5tupleIJNSA_16discard_iteratorINSA_11use_defaultEEES6_EEENSJ_IJSG_SG_EEENS0_18inequality_wrapperINSA_8equal_toIyEEEEPmJS6_EEE10hipError_tPvRmT3_T4_T5_T6_T7_T9_mT8_P12ihipStream_tbDpT10_ENKUlT_T0_E_clISt17integral_constantIbLb0EES1C_IbLb1EEEEDaS18_S19_EUlS18_E_NS1_11comp_targetILNS1_3genE4ELNS1_11target_archE910ELNS1_3gpuE8ELNS1_3repE0EEENS1_30default_config_static_selectorELNS0_4arch9wavefront6targetE1EEEvT1_: ; @_ZN7rocprim17ROCPRIM_400000_NS6detail17trampoline_kernelINS0_14default_configENS1_25partition_config_selectorILNS1_17partition_subalgoE8EyNS0_10empty_typeEbEEZZNS1_14partition_implILS5_8ELb0ES3_jN6thrust23THRUST_200600_302600_NS6detail15normal_iteratorINSA_10device_ptrIyEEEEPS6_PKS6_NS0_5tupleIJNSA_16discard_iteratorINSA_11use_defaultEEES6_EEENSJ_IJSG_SG_EEENS0_18inequality_wrapperINSA_8equal_toIyEEEEPmJS6_EEE10hipError_tPvRmT3_T4_T5_T6_T7_T9_mT8_P12ihipStream_tbDpT10_ENKUlT_T0_E_clISt17integral_constantIbLb0EES1C_IbLb1EEEEDaS18_S19_EUlS18_E_NS1_11comp_targetILNS1_3genE4ELNS1_11target_archE910ELNS1_3gpuE8ELNS1_3repE0EEENS1_30default_config_static_selectorELNS0_4arch9wavefront6targetE1EEEvT1_
; %bb.0:
	.section	.rodata,"a",@progbits
	.p2align	6, 0x0
	.amdhsa_kernel _ZN7rocprim17ROCPRIM_400000_NS6detail17trampoline_kernelINS0_14default_configENS1_25partition_config_selectorILNS1_17partition_subalgoE8EyNS0_10empty_typeEbEEZZNS1_14partition_implILS5_8ELb0ES3_jN6thrust23THRUST_200600_302600_NS6detail15normal_iteratorINSA_10device_ptrIyEEEEPS6_PKS6_NS0_5tupleIJNSA_16discard_iteratorINSA_11use_defaultEEES6_EEENSJ_IJSG_SG_EEENS0_18inequality_wrapperINSA_8equal_toIyEEEEPmJS6_EEE10hipError_tPvRmT3_T4_T5_T6_T7_T9_mT8_P12ihipStream_tbDpT10_ENKUlT_T0_E_clISt17integral_constantIbLb0EES1C_IbLb1EEEEDaS18_S19_EUlS18_E_NS1_11comp_targetILNS1_3genE4ELNS1_11target_archE910ELNS1_3gpuE8ELNS1_3repE0EEENS1_30default_config_static_selectorELNS0_4arch9wavefront6targetE1EEEvT1_
		.amdhsa_group_segment_fixed_size 0
		.amdhsa_private_segment_fixed_size 0
		.amdhsa_kernarg_size 136
		.amdhsa_user_sgpr_count 6
		.amdhsa_user_sgpr_private_segment_buffer 1
		.amdhsa_user_sgpr_dispatch_ptr 0
		.amdhsa_user_sgpr_queue_ptr 0
		.amdhsa_user_sgpr_kernarg_segment_ptr 1
		.amdhsa_user_sgpr_dispatch_id 0
		.amdhsa_user_sgpr_flat_scratch_init 0
		.amdhsa_user_sgpr_private_segment_size 0
		.amdhsa_uses_dynamic_stack 0
		.amdhsa_system_sgpr_private_segment_wavefront_offset 0
		.amdhsa_system_sgpr_workgroup_id_x 1
		.amdhsa_system_sgpr_workgroup_id_y 0
		.amdhsa_system_sgpr_workgroup_id_z 0
		.amdhsa_system_sgpr_workgroup_info 0
		.amdhsa_system_vgpr_workitem_id 0
		.amdhsa_next_free_vgpr 1
		.amdhsa_next_free_sgpr 0
		.amdhsa_reserve_vcc 0
		.amdhsa_reserve_flat_scratch 0
		.amdhsa_float_round_mode_32 0
		.amdhsa_float_round_mode_16_64 0
		.amdhsa_float_denorm_mode_32 3
		.amdhsa_float_denorm_mode_16_64 3
		.amdhsa_dx10_clamp 1
		.amdhsa_ieee_mode 1
		.amdhsa_fp16_overflow 0
		.amdhsa_exception_fp_ieee_invalid_op 0
		.amdhsa_exception_fp_denorm_src 0
		.amdhsa_exception_fp_ieee_div_zero 0
		.amdhsa_exception_fp_ieee_overflow 0
		.amdhsa_exception_fp_ieee_underflow 0
		.amdhsa_exception_fp_ieee_inexact 0
		.amdhsa_exception_int_div_zero 0
	.end_amdhsa_kernel
	.section	.text._ZN7rocprim17ROCPRIM_400000_NS6detail17trampoline_kernelINS0_14default_configENS1_25partition_config_selectorILNS1_17partition_subalgoE8EyNS0_10empty_typeEbEEZZNS1_14partition_implILS5_8ELb0ES3_jN6thrust23THRUST_200600_302600_NS6detail15normal_iteratorINSA_10device_ptrIyEEEEPS6_PKS6_NS0_5tupleIJNSA_16discard_iteratorINSA_11use_defaultEEES6_EEENSJ_IJSG_SG_EEENS0_18inequality_wrapperINSA_8equal_toIyEEEEPmJS6_EEE10hipError_tPvRmT3_T4_T5_T6_T7_T9_mT8_P12ihipStream_tbDpT10_ENKUlT_T0_E_clISt17integral_constantIbLb0EES1C_IbLb1EEEEDaS18_S19_EUlS18_E_NS1_11comp_targetILNS1_3genE4ELNS1_11target_archE910ELNS1_3gpuE8ELNS1_3repE0EEENS1_30default_config_static_selectorELNS0_4arch9wavefront6targetE1EEEvT1_,"axG",@progbits,_ZN7rocprim17ROCPRIM_400000_NS6detail17trampoline_kernelINS0_14default_configENS1_25partition_config_selectorILNS1_17partition_subalgoE8EyNS0_10empty_typeEbEEZZNS1_14partition_implILS5_8ELb0ES3_jN6thrust23THRUST_200600_302600_NS6detail15normal_iteratorINSA_10device_ptrIyEEEEPS6_PKS6_NS0_5tupleIJNSA_16discard_iteratorINSA_11use_defaultEEES6_EEENSJ_IJSG_SG_EEENS0_18inequality_wrapperINSA_8equal_toIyEEEEPmJS6_EEE10hipError_tPvRmT3_T4_T5_T6_T7_T9_mT8_P12ihipStream_tbDpT10_ENKUlT_T0_E_clISt17integral_constantIbLb0EES1C_IbLb1EEEEDaS18_S19_EUlS18_E_NS1_11comp_targetILNS1_3genE4ELNS1_11target_archE910ELNS1_3gpuE8ELNS1_3repE0EEENS1_30default_config_static_selectorELNS0_4arch9wavefront6targetE1EEEvT1_,comdat
.Lfunc_end559:
	.size	_ZN7rocprim17ROCPRIM_400000_NS6detail17trampoline_kernelINS0_14default_configENS1_25partition_config_selectorILNS1_17partition_subalgoE8EyNS0_10empty_typeEbEEZZNS1_14partition_implILS5_8ELb0ES3_jN6thrust23THRUST_200600_302600_NS6detail15normal_iteratorINSA_10device_ptrIyEEEEPS6_PKS6_NS0_5tupleIJNSA_16discard_iteratorINSA_11use_defaultEEES6_EEENSJ_IJSG_SG_EEENS0_18inequality_wrapperINSA_8equal_toIyEEEEPmJS6_EEE10hipError_tPvRmT3_T4_T5_T6_T7_T9_mT8_P12ihipStream_tbDpT10_ENKUlT_T0_E_clISt17integral_constantIbLb0EES1C_IbLb1EEEEDaS18_S19_EUlS18_E_NS1_11comp_targetILNS1_3genE4ELNS1_11target_archE910ELNS1_3gpuE8ELNS1_3repE0EEENS1_30default_config_static_selectorELNS0_4arch9wavefront6targetE1EEEvT1_, .Lfunc_end559-_ZN7rocprim17ROCPRIM_400000_NS6detail17trampoline_kernelINS0_14default_configENS1_25partition_config_selectorILNS1_17partition_subalgoE8EyNS0_10empty_typeEbEEZZNS1_14partition_implILS5_8ELb0ES3_jN6thrust23THRUST_200600_302600_NS6detail15normal_iteratorINSA_10device_ptrIyEEEEPS6_PKS6_NS0_5tupleIJNSA_16discard_iteratorINSA_11use_defaultEEES6_EEENSJ_IJSG_SG_EEENS0_18inequality_wrapperINSA_8equal_toIyEEEEPmJS6_EEE10hipError_tPvRmT3_T4_T5_T6_T7_T9_mT8_P12ihipStream_tbDpT10_ENKUlT_T0_E_clISt17integral_constantIbLb0EES1C_IbLb1EEEEDaS18_S19_EUlS18_E_NS1_11comp_targetILNS1_3genE4ELNS1_11target_archE910ELNS1_3gpuE8ELNS1_3repE0EEENS1_30default_config_static_selectorELNS0_4arch9wavefront6targetE1EEEvT1_
                                        ; -- End function
	.set _ZN7rocprim17ROCPRIM_400000_NS6detail17trampoline_kernelINS0_14default_configENS1_25partition_config_selectorILNS1_17partition_subalgoE8EyNS0_10empty_typeEbEEZZNS1_14partition_implILS5_8ELb0ES3_jN6thrust23THRUST_200600_302600_NS6detail15normal_iteratorINSA_10device_ptrIyEEEEPS6_PKS6_NS0_5tupleIJNSA_16discard_iteratorINSA_11use_defaultEEES6_EEENSJ_IJSG_SG_EEENS0_18inequality_wrapperINSA_8equal_toIyEEEEPmJS6_EEE10hipError_tPvRmT3_T4_T5_T6_T7_T9_mT8_P12ihipStream_tbDpT10_ENKUlT_T0_E_clISt17integral_constantIbLb0EES1C_IbLb1EEEEDaS18_S19_EUlS18_E_NS1_11comp_targetILNS1_3genE4ELNS1_11target_archE910ELNS1_3gpuE8ELNS1_3repE0EEENS1_30default_config_static_selectorELNS0_4arch9wavefront6targetE1EEEvT1_.num_vgpr, 0
	.set _ZN7rocprim17ROCPRIM_400000_NS6detail17trampoline_kernelINS0_14default_configENS1_25partition_config_selectorILNS1_17partition_subalgoE8EyNS0_10empty_typeEbEEZZNS1_14partition_implILS5_8ELb0ES3_jN6thrust23THRUST_200600_302600_NS6detail15normal_iteratorINSA_10device_ptrIyEEEEPS6_PKS6_NS0_5tupleIJNSA_16discard_iteratorINSA_11use_defaultEEES6_EEENSJ_IJSG_SG_EEENS0_18inequality_wrapperINSA_8equal_toIyEEEEPmJS6_EEE10hipError_tPvRmT3_T4_T5_T6_T7_T9_mT8_P12ihipStream_tbDpT10_ENKUlT_T0_E_clISt17integral_constantIbLb0EES1C_IbLb1EEEEDaS18_S19_EUlS18_E_NS1_11comp_targetILNS1_3genE4ELNS1_11target_archE910ELNS1_3gpuE8ELNS1_3repE0EEENS1_30default_config_static_selectorELNS0_4arch9wavefront6targetE1EEEvT1_.num_agpr, 0
	.set _ZN7rocprim17ROCPRIM_400000_NS6detail17trampoline_kernelINS0_14default_configENS1_25partition_config_selectorILNS1_17partition_subalgoE8EyNS0_10empty_typeEbEEZZNS1_14partition_implILS5_8ELb0ES3_jN6thrust23THRUST_200600_302600_NS6detail15normal_iteratorINSA_10device_ptrIyEEEEPS6_PKS6_NS0_5tupleIJNSA_16discard_iteratorINSA_11use_defaultEEES6_EEENSJ_IJSG_SG_EEENS0_18inequality_wrapperINSA_8equal_toIyEEEEPmJS6_EEE10hipError_tPvRmT3_T4_T5_T6_T7_T9_mT8_P12ihipStream_tbDpT10_ENKUlT_T0_E_clISt17integral_constantIbLb0EES1C_IbLb1EEEEDaS18_S19_EUlS18_E_NS1_11comp_targetILNS1_3genE4ELNS1_11target_archE910ELNS1_3gpuE8ELNS1_3repE0EEENS1_30default_config_static_selectorELNS0_4arch9wavefront6targetE1EEEvT1_.numbered_sgpr, 0
	.set _ZN7rocprim17ROCPRIM_400000_NS6detail17trampoline_kernelINS0_14default_configENS1_25partition_config_selectorILNS1_17partition_subalgoE8EyNS0_10empty_typeEbEEZZNS1_14partition_implILS5_8ELb0ES3_jN6thrust23THRUST_200600_302600_NS6detail15normal_iteratorINSA_10device_ptrIyEEEEPS6_PKS6_NS0_5tupleIJNSA_16discard_iteratorINSA_11use_defaultEEES6_EEENSJ_IJSG_SG_EEENS0_18inequality_wrapperINSA_8equal_toIyEEEEPmJS6_EEE10hipError_tPvRmT3_T4_T5_T6_T7_T9_mT8_P12ihipStream_tbDpT10_ENKUlT_T0_E_clISt17integral_constantIbLb0EES1C_IbLb1EEEEDaS18_S19_EUlS18_E_NS1_11comp_targetILNS1_3genE4ELNS1_11target_archE910ELNS1_3gpuE8ELNS1_3repE0EEENS1_30default_config_static_selectorELNS0_4arch9wavefront6targetE1EEEvT1_.num_named_barrier, 0
	.set _ZN7rocprim17ROCPRIM_400000_NS6detail17trampoline_kernelINS0_14default_configENS1_25partition_config_selectorILNS1_17partition_subalgoE8EyNS0_10empty_typeEbEEZZNS1_14partition_implILS5_8ELb0ES3_jN6thrust23THRUST_200600_302600_NS6detail15normal_iteratorINSA_10device_ptrIyEEEEPS6_PKS6_NS0_5tupleIJNSA_16discard_iteratorINSA_11use_defaultEEES6_EEENSJ_IJSG_SG_EEENS0_18inequality_wrapperINSA_8equal_toIyEEEEPmJS6_EEE10hipError_tPvRmT3_T4_T5_T6_T7_T9_mT8_P12ihipStream_tbDpT10_ENKUlT_T0_E_clISt17integral_constantIbLb0EES1C_IbLb1EEEEDaS18_S19_EUlS18_E_NS1_11comp_targetILNS1_3genE4ELNS1_11target_archE910ELNS1_3gpuE8ELNS1_3repE0EEENS1_30default_config_static_selectorELNS0_4arch9wavefront6targetE1EEEvT1_.private_seg_size, 0
	.set _ZN7rocprim17ROCPRIM_400000_NS6detail17trampoline_kernelINS0_14default_configENS1_25partition_config_selectorILNS1_17partition_subalgoE8EyNS0_10empty_typeEbEEZZNS1_14partition_implILS5_8ELb0ES3_jN6thrust23THRUST_200600_302600_NS6detail15normal_iteratorINSA_10device_ptrIyEEEEPS6_PKS6_NS0_5tupleIJNSA_16discard_iteratorINSA_11use_defaultEEES6_EEENSJ_IJSG_SG_EEENS0_18inequality_wrapperINSA_8equal_toIyEEEEPmJS6_EEE10hipError_tPvRmT3_T4_T5_T6_T7_T9_mT8_P12ihipStream_tbDpT10_ENKUlT_T0_E_clISt17integral_constantIbLb0EES1C_IbLb1EEEEDaS18_S19_EUlS18_E_NS1_11comp_targetILNS1_3genE4ELNS1_11target_archE910ELNS1_3gpuE8ELNS1_3repE0EEENS1_30default_config_static_selectorELNS0_4arch9wavefront6targetE1EEEvT1_.uses_vcc, 0
	.set _ZN7rocprim17ROCPRIM_400000_NS6detail17trampoline_kernelINS0_14default_configENS1_25partition_config_selectorILNS1_17partition_subalgoE8EyNS0_10empty_typeEbEEZZNS1_14partition_implILS5_8ELb0ES3_jN6thrust23THRUST_200600_302600_NS6detail15normal_iteratorINSA_10device_ptrIyEEEEPS6_PKS6_NS0_5tupleIJNSA_16discard_iteratorINSA_11use_defaultEEES6_EEENSJ_IJSG_SG_EEENS0_18inequality_wrapperINSA_8equal_toIyEEEEPmJS6_EEE10hipError_tPvRmT3_T4_T5_T6_T7_T9_mT8_P12ihipStream_tbDpT10_ENKUlT_T0_E_clISt17integral_constantIbLb0EES1C_IbLb1EEEEDaS18_S19_EUlS18_E_NS1_11comp_targetILNS1_3genE4ELNS1_11target_archE910ELNS1_3gpuE8ELNS1_3repE0EEENS1_30default_config_static_selectorELNS0_4arch9wavefront6targetE1EEEvT1_.uses_flat_scratch, 0
	.set _ZN7rocprim17ROCPRIM_400000_NS6detail17trampoline_kernelINS0_14default_configENS1_25partition_config_selectorILNS1_17partition_subalgoE8EyNS0_10empty_typeEbEEZZNS1_14partition_implILS5_8ELb0ES3_jN6thrust23THRUST_200600_302600_NS6detail15normal_iteratorINSA_10device_ptrIyEEEEPS6_PKS6_NS0_5tupleIJNSA_16discard_iteratorINSA_11use_defaultEEES6_EEENSJ_IJSG_SG_EEENS0_18inequality_wrapperINSA_8equal_toIyEEEEPmJS6_EEE10hipError_tPvRmT3_T4_T5_T6_T7_T9_mT8_P12ihipStream_tbDpT10_ENKUlT_T0_E_clISt17integral_constantIbLb0EES1C_IbLb1EEEEDaS18_S19_EUlS18_E_NS1_11comp_targetILNS1_3genE4ELNS1_11target_archE910ELNS1_3gpuE8ELNS1_3repE0EEENS1_30default_config_static_selectorELNS0_4arch9wavefront6targetE1EEEvT1_.has_dyn_sized_stack, 0
	.set _ZN7rocprim17ROCPRIM_400000_NS6detail17trampoline_kernelINS0_14default_configENS1_25partition_config_selectorILNS1_17partition_subalgoE8EyNS0_10empty_typeEbEEZZNS1_14partition_implILS5_8ELb0ES3_jN6thrust23THRUST_200600_302600_NS6detail15normal_iteratorINSA_10device_ptrIyEEEEPS6_PKS6_NS0_5tupleIJNSA_16discard_iteratorINSA_11use_defaultEEES6_EEENSJ_IJSG_SG_EEENS0_18inequality_wrapperINSA_8equal_toIyEEEEPmJS6_EEE10hipError_tPvRmT3_T4_T5_T6_T7_T9_mT8_P12ihipStream_tbDpT10_ENKUlT_T0_E_clISt17integral_constantIbLb0EES1C_IbLb1EEEEDaS18_S19_EUlS18_E_NS1_11comp_targetILNS1_3genE4ELNS1_11target_archE910ELNS1_3gpuE8ELNS1_3repE0EEENS1_30default_config_static_selectorELNS0_4arch9wavefront6targetE1EEEvT1_.has_recursion, 0
	.set _ZN7rocprim17ROCPRIM_400000_NS6detail17trampoline_kernelINS0_14default_configENS1_25partition_config_selectorILNS1_17partition_subalgoE8EyNS0_10empty_typeEbEEZZNS1_14partition_implILS5_8ELb0ES3_jN6thrust23THRUST_200600_302600_NS6detail15normal_iteratorINSA_10device_ptrIyEEEEPS6_PKS6_NS0_5tupleIJNSA_16discard_iteratorINSA_11use_defaultEEES6_EEENSJ_IJSG_SG_EEENS0_18inequality_wrapperINSA_8equal_toIyEEEEPmJS6_EEE10hipError_tPvRmT3_T4_T5_T6_T7_T9_mT8_P12ihipStream_tbDpT10_ENKUlT_T0_E_clISt17integral_constantIbLb0EES1C_IbLb1EEEEDaS18_S19_EUlS18_E_NS1_11comp_targetILNS1_3genE4ELNS1_11target_archE910ELNS1_3gpuE8ELNS1_3repE0EEENS1_30default_config_static_selectorELNS0_4arch9wavefront6targetE1EEEvT1_.has_indirect_call, 0
	.section	.AMDGPU.csdata,"",@progbits
; Kernel info:
; codeLenInByte = 0
; TotalNumSgprs: 4
; NumVgprs: 0
; ScratchSize: 0
; MemoryBound: 0
; FloatMode: 240
; IeeeMode: 1
; LDSByteSize: 0 bytes/workgroup (compile time only)
; SGPRBlocks: 0
; VGPRBlocks: 0
; NumSGPRsForWavesPerEU: 4
; NumVGPRsForWavesPerEU: 1
; Occupancy: 10
; WaveLimiterHint : 0
; COMPUTE_PGM_RSRC2:SCRATCH_EN: 0
; COMPUTE_PGM_RSRC2:USER_SGPR: 6
; COMPUTE_PGM_RSRC2:TRAP_HANDLER: 0
; COMPUTE_PGM_RSRC2:TGID_X_EN: 1
; COMPUTE_PGM_RSRC2:TGID_Y_EN: 0
; COMPUTE_PGM_RSRC2:TGID_Z_EN: 0
; COMPUTE_PGM_RSRC2:TIDIG_COMP_CNT: 0
	.section	.text._ZN7rocprim17ROCPRIM_400000_NS6detail17trampoline_kernelINS0_14default_configENS1_25partition_config_selectorILNS1_17partition_subalgoE8EyNS0_10empty_typeEbEEZZNS1_14partition_implILS5_8ELb0ES3_jN6thrust23THRUST_200600_302600_NS6detail15normal_iteratorINSA_10device_ptrIyEEEEPS6_PKS6_NS0_5tupleIJNSA_16discard_iteratorINSA_11use_defaultEEES6_EEENSJ_IJSG_SG_EEENS0_18inequality_wrapperINSA_8equal_toIyEEEEPmJS6_EEE10hipError_tPvRmT3_T4_T5_T6_T7_T9_mT8_P12ihipStream_tbDpT10_ENKUlT_T0_E_clISt17integral_constantIbLb0EES1C_IbLb1EEEEDaS18_S19_EUlS18_E_NS1_11comp_targetILNS1_3genE3ELNS1_11target_archE908ELNS1_3gpuE7ELNS1_3repE0EEENS1_30default_config_static_selectorELNS0_4arch9wavefront6targetE1EEEvT1_,"axG",@progbits,_ZN7rocprim17ROCPRIM_400000_NS6detail17trampoline_kernelINS0_14default_configENS1_25partition_config_selectorILNS1_17partition_subalgoE8EyNS0_10empty_typeEbEEZZNS1_14partition_implILS5_8ELb0ES3_jN6thrust23THRUST_200600_302600_NS6detail15normal_iteratorINSA_10device_ptrIyEEEEPS6_PKS6_NS0_5tupleIJNSA_16discard_iteratorINSA_11use_defaultEEES6_EEENSJ_IJSG_SG_EEENS0_18inequality_wrapperINSA_8equal_toIyEEEEPmJS6_EEE10hipError_tPvRmT3_T4_T5_T6_T7_T9_mT8_P12ihipStream_tbDpT10_ENKUlT_T0_E_clISt17integral_constantIbLb0EES1C_IbLb1EEEEDaS18_S19_EUlS18_E_NS1_11comp_targetILNS1_3genE3ELNS1_11target_archE908ELNS1_3gpuE7ELNS1_3repE0EEENS1_30default_config_static_selectorELNS0_4arch9wavefront6targetE1EEEvT1_,comdat
	.protected	_ZN7rocprim17ROCPRIM_400000_NS6detail17trampoline_kernelINS0_14default_configENS1_25partition_config_selectorILNS1_17partition_subalgoE8EyNS0_10empty_typeEbEEZZNS1_14partition_implILS5_8ELb0ES3_jN6thrust23THRUST_200600_302600_NS6detail15normal_iteratorINSA_10device_ptrIyEEEEPS6_PKS6_NS0_5tupleIJNSA_16discard_iteratorINSA_11use_defaultEEES6_EEENSJ_IJSG_SG_EEENS0_18inequality_wrapperINSA_8equal_toIyEEEEPmJS6_EEE10hipError_tPvRmT3_T4_T5_T6_T7_T9_mT8_P12ihipStream_tbDpT10_ENKUlT_T0_E_clISt17integral_constantIbLb0EES1C_IbLb1EEEEDaS18_S19_EUlS18_E_NS1_11comp_targetILNS1_3genE3ELNS1_11target_archE908ELNS1_3gpuE7ELNS1_3repE0EEENS1_30default_config_static_selectorELNS0_4arch9wavefront6targetE1EEEvT1_ ; -- Begin function _ZN7rocprim17ROCPRIM_400000_NS6detail17trampoline_kernelINS0_14default_configENS1_25partition_config_selectorILNS1_17partition_subalgoE8EyNS0_10empty_typeEbEEZZNS1_14partition_implILS5_8ELb0ES3_jN6thrust23THRUST_200600_302600_NS6detail15normal_iteratorINSA_10device_ptrIyEEEEPS6_PKS6_NS0_5tupleIJNSA_16discard_iteratorINSA_11use_defaultEEES6_EEENSJ_IJSG_SG_EEENS0_18inequality_wrapperINSA_8equal_toIyEEEEPmJS6_EEE10hipError_tPvRmT3_T4_T5_T6_T7_T9_mT8_P12ihipStream_tbDpT10_ENKUlT_T0_E_clISt17integral_constantIbLb0EES1C_IbLb1EEEEDaS18_S19_EUlS18_E_NS1_11comp_targetILNS1_3genE3ELNS1_11target_archE908ELNS1_3gpuE7ELNS1_3repE0EEENS1_30default_config_static_selectorELNS0_4arch9wavefront6targetE1EEEvT1_
	.globl	_ZN7rocprim17ROCPRIM_400000_NS6detail17trampoline_kernelINS0_14default_configENS1_25partition_config_selectorILNS1_17partition_subalgoE8EyNS0_10empty_typeEbEEZZNS1_14partition_implILS5_8ELb0ES3_jN6thrust23THRUST_200600_302600_NS6detail15normal_iteratorINSA_10device_ptrIyEEEEPS6_PKS6_NS0_5tupleIJNSA_16discard_iteratorINSA_11use_defaultEEES6_EEENSJ_IJSG_SG_EEENS0_18inequality_wrapperINSA_8equal_toIyEEEEPmJS6_EEE10hipError_tPvRmT3_T4_T5_T6_T7_T9_mT8_P12ihipStream_tbDpT10_ENKUlT_T0_E_clISt17integral_constantIbLb0EES1C_IbLb1EEEEDaS18_S19_EUlS18_E_NS1_11comp_targetILNS1_3genE3ELNS1_11target_archE908ELNS1_3gpuE7ELNS1_3repE0EEENS1_30default_config_static_selectorELNS0_4arch9wavefront6targetE1EEEvT1_
	.p2align	8
	.type	_ZN7rocprim17ROCPRIM_400000_NS6detail17trampoline_kernelINS0_14default_configENS1_25partition_config_selectorILNS1_17partition_subalgoE8EyNS0_10empty_typeEbEEZZNS1_14partition_implILS5_8ELb0ES3_jN6thrust23THRUST_200600_302600_NS6detail15normal_iteratorINSA_10device_ptrIyEEEEPS6_PKS6_NS0_5tupleIJNSA_16discard_iteratorINSA_11use_defaultEEES6_EEENSJ_IJSG_SG_EEENS0_18inequality_wrapperINSA_8equal_toIyEEEEPmJS6_EEE10hipError_tPvRmT3_T4_T5_T6_T7_T9_mT8_P12ihipStream_tbDpT10_ENKUlT_T0_E_clISt17integral_constantIbLb0EES1C_IbLb1EEEEDaS18_S19_EUlS18_E_NS1_11comp_targetILNS1_3genE3ELNS1_11target_archE908ELNS1_3gpuE7ELNS1_3repE0EEENS1_30default_config_static_selectorELNS0_4arch9wavefront6targetE1EEEvT1_,@function
_ZN7rocprim17ROCPRIM_400000_NS6detail17trampoline_kernelINS0_14default_configENS1_25partition_config_selectorILNS1_17partition_subalgoE8EyNS0_10empty_typeEbEEZZNS1_14partition_implILS5_8ELb0ES3_jN6thrust23THRUST_200600_302600_NS6detail15normal_iteratorINSA_10device_ptrIyEEEEPS6_PKS6_NS0_5tupleIJNSA_16discard_iteratorINSA_11use_defaultEEES6_EEENSJ_IJSG_SG_EEENS0_18inequality_wrapperINSA_8equal_toIyEEEEPmJS6_EEE10hipError_tPvRmT3_T4_T5_T6_T7_T9_mT8_P12ihipStream_tbDpT10_ENKUlT_T0_E_clISt17integral_constantIbLb0EES1C_IbLb1EEEEDaS18_S19_EUlS18_E_NS1_11comp_targetILNS1_3genE3ELNS1_11target_archE908ELNS1_3gpuE7ELNS1_3repE0EEENS1_30default_config_static_selectorELNS0_4arch9wavefront6targetE1EEEvT1_: ; @_ZN7rocprim17ROCPRIM_400000_NS6detail17trampoline_kernelINS0_14default_configENS1_25partition_config_selectorILNS1_17partition_subalgoE8EyNS0_10empty_typeEbEEZZNS1_14partition_implILS5_8ELb0ES3_jN6thrust23THRUST_200600_302600_NS6detail15normal_iteratorINSA_10device_ptrIyEEEEPS6_PKS6_NS0_5tupleIJNSA_16discard_iteratorINSA_11use_defaultEEES6_EEENSJ_IJSG_SG_EEENS0_18inequality_wrapperINSA_8equal_toIyEEEEPmJS6_EEE10hipError_tPvRmT3_T4_T5_T6_T7_T9_mT8_P12ihipStream_tbDpT10_ENKUlT_T0_E_clISt17integral_constantIbLb0EES1C_IbLb1EEEEDaS18_S19_EUlS18_E_NS1_11comp_targetILNS1_3genE3ELNS1_11target_archE908ELNS1_3gpuE7ELNS1_3repE0EEENS1_30default_config_static_selectorELNS0_4arch9wavefront6targetE1EEEvT1_
; %bb.0:
	.section	.rodata,"a",@progbits
	.p2align	6, 0x0
	.amdhsa_kernel _ZN7rocprim17ROCPRIM_400000_NS6detail17trampoline_kernelINS0_14default_configENS1_25partition_config_selectorILNS1_17partition_subalgoE8EyNS0_10empty_typeEbEEZZNS1_14partition_implILS5_8ELb0ES3_jN6thrust23THRUST_200600_302600_NS6detail15normal_iteratorINSA_10device_ptrIyEEEEPS6_PKS6_NS0_5tupleIJNSA_16discard_iteratorINSA_11use_defaultEEES6_EEENSJ_IJSG_SG_EEENS0_18inequality_wrapperINSA_8equal_toIyEEEEPmJS6_EEE10hipError_tPvRmT3_T4_T5_T6_T7_T9_mT8_P12ihipStream_tbDpT10_ENKUlT_T0_E_clISt17integral_constantIbLb0EES1C_IbLb1EEEEDaS18_S19_EUlS18_E_NS1_11comp_targetILNS1_3genE3ELNS1_11target_archE908ELNS1_3gpuE7ELNS1_3repE0EEENS1_30default_config_static_selectorELNS0_4arch9wavefront6targetE1EEEvT1_
		.amdhsa_group_segment_fixed_size 0
		.amdhsa_private_segment_fixed_size 0
		.amdhsa_kernarg_size 136
		.amdhsa_user_sgpr_count 6
		.amdhsa_user_sgpr_private_segment_buffer 1
		.amdhsa_user_sgpr_dispatch_ptr 0
		.amdhsa_user_sgpr_queue_ptr 0
		.amdhsa_user_sgpr_kernarg_segment_ptr 1
		.amdhsa_user_sgpr_dispatch_id 0
		.amdhsa_user_sgpr_flat_scratch_init 0
		.amdhsa_user_sgpr_private_segment_size 0
		.amdhsa_uses_dynamic_stack 0
		.amdhsa_system_sgpr_private_segment_wavefront_offset 0
		.amdhsa_system_sgpr_workgroup_id_x 1
		.amdhsa_system_sgpr_workgroup_id_y 0
		.amdhsa_system_sgpr_workgroup_id_z 0
		.amdhsa_system_sgpr_workgroup_info 0
		.amdhsa_system_vgpr_workitem_id 0
		.amdhsa_next_free_vgpr 1
		.amdhsa_next_free_sgpr 0
		.amdhsa_reserve_vcc 0
		.amdhsa_reserve_flat_scratch 0
		.amdhsa_float_round_mode_32 0
		.amdhsa_float_round_mode_16_64 0
		.amdhsa_float_denorm_mode_32 3
		.amdhsa_float_denorm_mode_16_64 3
		.amdhsa_dx10_clamp 1
		.amdhsa_ieee_mode 1
		.amdhsa_fp16_overflow 0
		.amdhsa_exception_fp_ieee_invalid_op 0
		.amdhsa_exception_fp_denorm_src 0
		.amdhsa_exception_fp_ieee_div_zero 0
		.amdhsa_exception_fp_ieee_overflow 0
		.amdhsa_exception_fp_ieee_underflow 0
		.amdhsa_exception_fp_ieee_inexact 0
		.amdhsa_exception_int_div_zero 0
	.end_amdhsa_kernel
	.section	.text._ZN7rocprim17ROCPRIM_400000_NS6detail17trampoline_kernelINS0_14default_configENS1_25partition_config_selectorILNS1_17partition_subalgoE8EyNS0_10empty_typeEbEEZZNS1_14partition_implILS5_8ELb0ES3_jN6thrust23THRUST_200600_302600_NS6detail15normal_iteratorINSA_10device_ptrIyEEEEPS6_PKS6_NS0_5tupleIJNSA_16discard_iteratorINSA_11use_defaultEEES6_EEENSJ_IJSG_SG_EEENS0_18inequality_wrapperINSA_8equal_toIyEEEEPmJS6_EEE10hipError_tPvRmT3_T4_T5_T6_T7_T9_mT8_P12ihipStream_tbDpT10_ENKUlT_T0_E_clISt17integral_constantIbLb0EES1C_IbLb1EEEEDaS18_S19_EUlS18_E_NS1_11comp_targetILNS1_3genE3ELNS1_11target_archE908ELNS1_3gpuE7ELNS1_3repE0EEENS1_30default_config_static_selectorELNS0_4arch9wavefront6targetE1EEEvT1_,"axG",@progbits,_ZN7rocprim17ROCPRIM_400000_NS6detail17trampoline_kernelINS0_14default_configENS1_25partition_config_selectorILNS1_17partition_subalgoE8EyNS0_10empty_typeEbEEZZNS1_14partition_implILS5_8ELb0ES3_jN6thrust23THRUST_200600_302600_NS6detail15normal_iteratorINSA_10device_ptrIyEEEEPS6_PKS6_NS0_5tupleIJNSA_16discard_iteratorINSA_11use_defaultEEES6_EEENSJ_IJSG_SG_EEENS0_18inequality_wrapperINSA_8equal_toIyEEEEPmJS6_EEE10hipError_tPvRmT3_T4_T5_T6_T7_T9_mT8_P12ihipStream_tbDpT10_ENKUlT_T0_E_clISt17integral_constantIbLb0EES1C_IbLb1EEEEDaS18_S19_EUlS18_E_NS1_11comp_targetILNS1_3genE3ELNS1_11target_archE908ELNS1_3gpuE7ELNS1_3repE0EEENS1_30default_config_static_selectorELNS0_4arch9wavefront6targetE1EEEvT1_,comdat
.Lfunc_end560:
	.size	_ZN7rocprim17ROCPRIM_400000_NS6detail17trampoline_kernelINS0_14default_configENS1_25partition_config_selectorILNS1_17partition_subalgoE8EyNS0_10empty_typeEbEEZZNS1_14partition_implILS5_8ELb0ES3_jN6thrust23THRUST_200600_302600_NS6detail15normal_iteratorINSA_10device_ptrIyEEEEPS6_PKS6_NS0_5tupleIJNSA_16discard_iteratorINSA_11use_defaultEEES6_EEENSJ_IJSG_SG_EEENS0_18inequality_wrapperINSA_8equal_toIyEEEEPmJS6_EEE10hipError_tPvRmT3_T4_T5_T6_T7_T9_mT8_P12ihipStream_tbDpT10_ENKUlT_T0_E_clISt17integral_constantIbLb0EES1C_IbLb1EEEEDaS18_S19_EUlS18_E_NS1_11comp_targetILNS1_3genE3ELNS1_11target_archE908ELNS1_3gpuE7ELNS1_3repE0EEENS1_30default_config_static_selectorELNS0_4arch9wavefront6targetE1EEEvT1_, .Lfunc_end560-_ZN7rocprim17ROCPRIM_400000_NS6detail17trampoline_kernelINS0_14default_configENS1_25partition_config_selectorILNS1_17partition_subalgoE8EyNS0_10empty_typeEbEEZZNS1_14partition_implILS5_8ELb0ES3_jN6thrust23THRUST_200600_302600_NS6detail15normal_iteratorINSA_10device_ptrIyEEEEPS6_PKS6_NS0_5tupleIJNSA_16discard_iteratorINSA_11use_defaultEEES6_EEENSJ_IJSG_SG_EEENS0_18inequality_wrapperINSA_8equal_toIyEEEEPmJS6_EEE10hipError_tPvRmT3_T4_T5_T6_T7_T9_mT8_P12ihipStream_tbDpT10_ENKUlT_T0_E_clISt17integral_constantIbLb0EES1C_IbLb1EEEEDaS18_S19_EUlS18_E_NS1_11comp_targetILNS1_3genE3ELNS1_11target_archE908ELNS1_3gpuE7ELNS1_3repE0EEENS1_30default_config_static_selectorELNS0_4arch9wavefront6targetE1EEEvT1_
                                        ; -- End function
	.set _ZN7rocprim17ROCPRIM_400000_NS6detail17trampoline_kernelINS0_14default_configENS1_25partition_config_selectorILNS1_17partition_subalgoE8EyNS0_10empty_typeEbEEZZNS1_14partition_implILS5_8ELb0ES3_jN6thrust23THRUST_200600_302600_NS6detail15normal_iteratorINSA_10device_ptrIyEEEEPS6_PKS6_NS0_5tupleIJNSA_16discard_iteratorINSA_11use_defaultEEES6_EEENSJ_IJSG_SG_EEENS0_18inequality_wrapperINSA_8equal_toIyEEEEPmJS6_EEE10hipError_tPvRmT3_T4_T5_T6_T7_T9_mT8_P12ihipStream_tbDpT10_ENKUlT_T0_E_clISt17integral_constantIbLb0EES1C_IbLb1EEEEDaS18_S19_EUlS18_E_NS1_11comp_targetILNS1_3genE3ELNS1_11target_archE908ELNS1_3gpuE7ELNS1_3repE0EEENS1_30default_config_static_selectorELNS0_4arch9wavefront6targetE1EEEvT1_.num_vgpr, 0
	.set _ZN7rocprim17ROCPRIM_400000_NS6detail17trampoline_kernelINS0_14default_configENS1_25partition_config_selectorILNS1_17partition_subalgoE8EyNS0_10empty_typeEbEEZZNS1_14partition_implILS5_8ELb0ES3_jN6thrust23THRUST_200600_302600_NS6detail15normal_iteratorINSA_10device_ptrIyEEEEPS6_PKS6_NS0_5tupleIJNSA_16discard_iteratorINSA_11use_defaultEEES6_EEENSJ_IJSG_SG_EEENS0_18inequality_wrapperINSA_8equal_toIyEEEEPmJS6_EEE10hipError_tPvRmT3_T4_T5_T6_T7_T9_mT8_P12ihipStream_tbDpT10_ENKUlT_T0_E_clISt17integral_constantIbLb0EES1C_IbLb1EEEEDaS18_S19_EUlS18_E_NS1_11comp_targetILNS1_3genE3ELNS1_11target_archE908ELNS1_3gpuE7ELNS1_3repE0EEENS1_30default_config_static_selectorELNS0_4arch9wavefront6targetE1EEEvT1_.num_agpr, 0
	.set _ZN7rocprim17ROCPRIM_400000_NS6detail17trampoline_kernelINS0_14default_configENS1_25partition_config_selectorILNS1_17partition_subalgoE8EyNS0_10empty_typeEbEEZZNS1_14partition_implILS5_8ELb0ES3_jN6thrust23THRUST_200600_302600_NS6detail15normal_iteratorINSA_10device_ptrIyEEEEPS6_PKS6_NS0_5tupleIJNSA_16discard_iteratorINSA_11use_defaultEEES6_EEENSJ_IJSG_SG_EEENS0_18inequality_wrapperINSA_8equal_toIyEEEEPmJS6_EEE10hipError_tPvRmT3_T4_T5_T6_T7_T9_mT8_P12ihipStream_tbDpT10_ENKUlT_T0_E_clISt17integral_constantIbLb0EES1C_IbLb1EEEEDaS18_S19_EUlS18_E_NS1_11comp_targetILNS1_3genE3ELNS1_11target_archE908ELNS1_3gpuE7ELNS1_3repE0EEENS1_30default_config_static_selectorELNS0_4arch9wavefront6targetE1EEEvT1_.numbered_sgpr, 0
	.set _ZN7rocprim17ROCPRIM_400000_NS6detail17trampoline_kernelINS0_14default_configENS1_25partition_config_selectorILNS1_17partition_subalgoE8EyNS0_10empty_typeEbEEZZNS1_14partition_implILS5_8ELb0ES3_jN6thrust23THRUST_200600_302600_NS6detail15normal_iteratorINSA_10device_ptrIyEEEEPS6_PKS6_NS0_5tupleIJNSA_16discard_iteratorINSA_11use_defaultEEES6_EEENSJ_IJSG_SG_EEENS0_18inequality_wrapperINSA_8equal_toIyEEEEPmJS6_EEE10hipError_tPvRmT3_T4_T5_T6_T7_T9_mT8_P12ihipStream_tbDpT10_ENKUlT_T0_E_clISt17integral_constantIbLb0EES1C_IbLb1EEEEDaS18_S19_EUlS18_E_NS1_11comp_targetILNS1_3genE3ELNS1_11target_archE908ELNS1_3gpuE7ELNS1_3repE0EEENS1_30default_config_static_selectorELNS0_4arch9wavefront6targetE1EEEvT1_.num_named_barrier, 0
	.set _ZN7rocprim17ROCPRIM_400000_NS6detail17trampoline_kernelINS0_14default_configENS1_25partition_config_selectorILNS1_17partition_subalgoE8EyNS0_10empty_typeEbEEZZNS1_14partition_implILS5_8ELb0ES3_jN6thrust23THRUST_200600_302600_NS6detail15normal_iteratorINSA_10device_ptrIyEEEEPS6_PKS6_NS0_5tupleIJNSA_16discard_iteratorINSA_11use_defaultEEES6_EEENSJ_IJSG_SG_EEENS0_18inequality_wrapperINSA_8equal_toIyEEEEPmJS6_EEE10hipError_tPvRmT3_T4_T5_T6_T7_T9_mT8_P12ihipStream_tbDpT10_ENKUlT_T0_E_clISt17integral_constantIbLb0EES1C_IbLb1EEEEDaS18_S19_EUlS18_E_NS1_11comp_targetILNS1_3genE3ELNS1_11target_archE908ELNS1_3gpuE7ELNS1_3repE0EEENS1_30default_config_static_selectorELNS0_4arch9wavefront6targetE1EEEvT1_.private_seg_size, 0
	.set _ZN7rocprim17ROCPRIM_400000_NS6detail17trampoline_kernelINS0_14default_configENS1_25partition_config_selectorILNS1_17partition_subalgoE8EyNS0_10empty_typeEbEEZZNS1_14partition_implILS5_8ELb0ES3_jN6thrust23THRUST_200600_302600_NS6detail15normal_iteratorINSA_10device_ptrIyEEEEPS6_PKS6_NS0_5tupleIJNSA_16discard_iteratorINSA_11use_defaultEEES6_EEENSJ_IJSG_SG_EEENS0_18inequality_wrapperINSA_8equal_toIyEEEEPmJS6_EEE10hipError_tPvRmT3_T4_T5_T6_T7_T9_mT8_P12ihipStream_tbDpT10_ENKUlT_T0_E_clISt17integral_constantIbLb0EES1C_IbLb1EEEEDaS18_S19_EUlS18_E_NS1_11comp_targetILNS1_3genE3ELNS1_11target_archE908ELNS1_3gpuE7ELNS1_3repE0EEENS1_30default_config_static_selectorELNS0_4arch9wavefront6targetE1EEEvT1_.uses_vcc, 0
	.set _ZN7rocprim17ROCPRIM_400000_NS6detail17trampoline_kernelINS0_14default_configENS1_25partition_config_selectorILNS1_17partition_subalgoE8EyNS0_10empty_typeEbEEZZNS1_14partition_implILS5_8ELb0ES3_jN6thrust23THRUST_200600_302600_NS6detail15normal_iteratorINSA_10device_ptrIyEEEEPS6_PKS6_NS0_5tupleIJNSA_16discard_iteratorINSA_11use_defaultEEES6_EEENSJ_IJSG_SG_EEENS0_18inequality_wrapperINSA_8equal_toIyEEEEPmJS6_EEE10hipError_tPvRmT3_T4_T5_T6_T7_T9_mT8_P12ihipStream_tbDpT10_ENKUlT_T0_E_clISt17integral_constantIbLb0EES1C_IbLb1EEEEDaS18_S19_EUlS18_E_NS1_11comp_targetILNS1_3genE3ELNS1_11target_archE908ELNS1_3gpuE7ELNS1_3repE0EEENS1_30default_config_static_selectorELNS0_4arch9wavefront6targetE1EEEvT1_.uses_flat_scratch, 0
	.set _ZN7rocprim17ROCPRIM_400000_NS6detail17trampoline_kernelINS0_14default_configENS1_25partition_config_selectorILNS1_17partition_subalgoE8EyNS0_10empty_typeEbEEZZNS1_14partition_implILS5_8ELb0ES3_jN6thrust23THRUST_200600_302600_NS6detail15normal_iteratorINSA_10device_ptrIyEEEEPS6_PKS6_NS0_5tupleIJNSA_16discard_iteratorINSA_11use_defaultEEES6_EEENSJ_IJSG_SG_EEENS0_18inequality_wrapperINSA_8equal_toIyEEEEPmJS6_EEE10hipError_tPvRmT3_T4_T5_T6_T7_T9_mT8_P12ihipStream_tbDpT10_ENKUlT_T0_E_clISt17integral_constantIbLb0EES1C_IbLb1EEEEDaS18_S19_EUlS18_E_NS1_11comp_targetILNS1_3genE3ELNS1_11target_archE908ELNS1_3gpuE7ELNS1_3repE0EEENS1_30default_config_static_selectorELNS0_4arch9wavefront6targetE1EEEvT1_.has_dyn_sized_stack, 0
	.set _ZN7rocprim17ROCPRIM_400000_NS6detail17trampoline_kernelINS0_14default_configENS1_25partition_config_selectorILNS1_17partition_subalgoE8EyNS0_10empty_typeEbEEZZNS1_14partition_implILS5_8ELb0ES3_jN6thrust23THRUST_200600_302600_NS6detail15normal_iteratorINSA_10device_ptrIyEEEEPS6_PKS6_NS0_5tupleIJNSA_16discard_iteratorINSA_11use_defaultEEES6_EEENSJ_IJSG_SG_EEENS0_18inequality_wrapperINSA_8equal_toIyEEEEPmJS6_EEE10hipError_tPvRmT3_T4_T5_T6_T7_T9_mT8_P12ihipStream_tbDpT10_ENKUlT_T0_E_clISt17integral_constantIbLb0EES1C_IbLb1EEEEDaS18_S19_EUlS18_E_NS1_11comp_targetILNS1_3genE3ELNS1_11target_archE908ELNS1_3gpuE7ELNS1_3repE0EEENS1_30default_config_static_selectorELNS0_4arch9wavefront6targetE1EEEvT1_.has_recursion, 0
	.set _ZN7rocprim17ROCPRIM_400000_NS6detail17trampoline_kernelINS0_14default_configENS1_25partition_config_selectorILNS1_17partition_subalgoE8EyNS0_10empty_typeEbEEZZNS1_14partition_implILS5_8ELb0ES3_jN6thrust23THRUST_200600_302600_NS6detail15normal_iteratorINSA_10device_ptrIyEEEEPS6_PKS6_NS0_5tupleIJNSA_16discard_iteratorINSA_11use_defaultEEES6_EEENSJ_IJSG_SG_EEENS0_18inequality_wrapperINSA_8equal_toIyEEEEPmJS6_EEE10hipError_tPvRmT3_T4_T5_T6_T7_T9_mT8_P12ihipStream_tbDpT10_ENKUlT_T0_E_clISt17integral_constantIbLb0EES1C_IbLb1EEEEDaS18_S19_EUlS18_E_NS1_11comp_targetILNS1_3genE3ELNS1_11target_archE908ELNS1_3gpuE7ELNS1_3repE0EEENS1_30default_config_static_selectorELNS0_4arch9wavefront6targetE1EEEvT1_.has_indirect_call, 0
	.section	.AMDGPU.csdata,"",@progbits
; Kernel info:
; codeLenInByte = 0
; TotalNumSgprs: 4
; NumVgprs: 0
; ScratchSize: 0
; MemoryBound: 0
; FloatMode: 240
; IeeeMode: 1
; LDSByteSize: 0 bytes/workgroup (compile time only)
; SGPRBlocks: 0
; VGPRBlocks: 0
; NumSGPRsForWavesPerEU: 4
; NumVGPRsForWavesPerEU: 1
; Occupancy: 10
; WaveLimiterHint : 0
; COMPUTE_PGM_RSRC2:SCRATCH_EN: 0
; COMPUTE_PGM_RSRC2:USER_SGPR: 6
; COMPUTE_PGM_RSRC2:TRAP_HANDLER: 0
; COMPUTE_PGM_RSRC2:TGID_X_EN: 1
; COMPUTE_PGM_RSRC2:TGID_Y_EN: 0
; COMPUTE_PGM_RSRC2:TGID_Z_EN: 0
; COMPUTE_PGM_RSRC2:TIDIG_COMP_CNT: 0
	.section	.text._ZN7rocprim17ROCPRIM_400000_NS6detail17trampoline_kernelINS0_14default_configENS1_25partition_config_selectorILNS1_17partition_subalgoE8EyNS0_10empty_typeEbEEZZNS1_14partition_implILS5_8ELb0ES3_jN6thrust23THRUST_200600_302600_NS6detail15normal_iteratorINSA_10device_ptrIyEEEEPS6_PKS6_NS0_5tupleIJNSA_16discard_iteratorINSA_11use_defaultEEES6_EEENSJ_IJSG_SG_EEENS0_18inequality_wrapperINSA_8equal_toIyEEEEPmJS6_EEE10hipError_tPvRmT3_T4_T5_T6_T7_T9_mT8_P12ihipStream_tbDpT10_ENKUlT_T0_E_clISt17integral_constantIbLb0EES1C_IbLb1EEEEDaS18_S19_EUlS18_E_NS1_11comp_targetILNS1_3genE2ELNS1_11target_archE906ELNS1_3gpuE6ELNS1_3repE0EEENS1_30default_config_static_selectorELNS0_4arch9wavefront6targetE1EEEvT1_,"axG",@progbits,_ZN7rocprim17ROCPRIM_400000_NS6detail17trampoline_kernelINS0_14default_configENS1_25partition_config_selectorILNS1_17partition_subalgoE8EyNS0_10empty_typeEbEEZZNS1_14partition_implILS5_8ELb0ES3_jN6thrust23THRUST_200600_302600_NS6detail15normal_iteratorINSA_10device_ptrIyEEEEPS6_PKS6_NS0_5tupleIJNSA_16discard_iteratorINSA_11use_defaultEEES6_EEENSJ_IJSG_SG_EEENS0_18inequality_wrapperINSA_8equal_toIyEEEEPmJS6_EEE10hipError_tPvRmT3_T4_T5_T6_T7_T9_mT8_P12ihipStream_tbDpT10_ENKUlT_T0_E_clISt17integral_constantIbLb0EES1C_IbLb1EEEEDaS18_S19_EUlS18_E_NS1_11comp_targetILNS1_3genE2ELNS1_11target_archE906ELNS1_3gpuE6ELNS1_3repE0EEENS1_30default_config_static_selectorELNS0_4arch9wavefront6targetE1EEEvT1_,comdat
	.protected	_ZN7rocprim17ROCPRIM_400000_NS6detail17trampoline_kernelINS0_14default_configENS1_25partition_config_selectorILNS1_17partition_subalgoE8EyNS0_10empty_typeEbEEZZNS1_14partition_implILS5_8ELb0ES3_jN6thrust23THRUST_200600_302600_NS6detail15normal_iteratorINSA_10device_ptrIyEEEEPS6_PKS6_NS0_5tupleIJNSA_16discard_iteratorINSA_11use_defaultEEES6_EEENSJ_IJSG_SG_EEENS0_18inequality_wrapperINSA_8equal_toIyEEEEPmJS6_EEE10hipError_tPvRmT3_T4_T5_T6_T7_T9_mT8_P12ihipStream_tbDpT10_ENKUlT_T0_E_clISt17integral_constantIbLb0EES1C_IbLb1EEEEDaS18_S19_EUlS18_E_NS1_11comp_targetILNS1_3genE2ELNS1_11target_archE906ELNS1_3gpuE6ELNS1_3repE0EEENS1_30default_config_static_selectorELNS0_4arch9wavefront6targetE1EEEvT1_ ; -- Begin function _ZN7rocprim17ROCPRIM_400000_NS6detail17trampoline_kernelINS0_14default_configENS1_25partition_config_selectorILNS1_17partition_subalgoE8EyNS0_10empty_typeEbEEZZNS1_14partition_implILS5_8ELb0ES3_jN6thrust23THRUST_200600_302600_NS6detail15normal_iteratorINSA_10device_ptrIyEEEEPS6_PKS6_NS0_5tupleIJNSA_16discard_iteratorINSA_11use_defaultEEES6_EEENSJ_IJSG_SG_EEENS0_18inequality_wrapperINSA_8equal_toIyEEEEPmJS6_EEE10hipError_tPvRmT3_T4_T5_T6_T7_T9_mT8_P12ihipStream_tbDpT10_ENKUlT_T0_E_clISt17integral_constantIbLb0EES1C_IbLb1EEEEDaS18_S19_EUlS18_E_NS1_11comp_targetILNS1_3genE2ELNS1_11target_archE906ELNS1_3gpuE6ELNS1_3repE0EEENS1_30default_config_static_selectorELNS0_4arch9wavefront6targetE1EEEvT1_
	.globl	_ZN7rocprim17ROCPRIM_400000_NS6detail17trampoline_kernelINS0_14default_configENS1_25partition_config_selectorILNS1_17partition_subalgoE8EyNS0_10empty_typeEbEEZZNS1_14partition_implILS5_8ELb0ES3_jN6thrust23THRUST_200600_302600_NS6detail15normal_iteratorINSA_10device_ptrIyEEEEPS6_PKS6_NS0_5tupleIJNSA_16discard_iteratorINSA_11use_defaultEEES6_EEENSJ_IJSG_SG_EEENS0_18inequality_wrapperINSA_8equal_toIyEEEEPmJS6_EEE10hipError_tPvRmT3_T4_T5_T6_T7_T9_mT8_P12ihipStream_tbDpT10_ENKUlT_T0_E_clISt17integral_constantIbLb0EES1C_IbLb1EEEEDaS18_S19_EUlS18_E_NS1_11comp_targetILNS1_3genE2ELNS1_11target_archE906ELNS1_3gpuE6ELNS1_3repE0EEENS1_30default_config_static_selectorELNS0_4arch9wavefront6targetE1EEEvT1_
	.p2align	8
	.type	_ZN7rocprim17ROCPRIM_400000_NS6detail17trampoline_kernelINS0_14default_configENS1_25partition_config_selectorILNS1_17partition_subalgoE8EyNS0_10empty_typeEbEEZZNS1_14partition_implILS5_8ELb0ES3_jN6thrust23THRUST_200600_302600_NS6detail15normal_iteratorINSA_10device_ptrIyEEEEPS6_PKS6_NS0_5tupleIJNSA_16discard_iteratorINSA_11use_defaultEEES6_EEENSJ_IJSG_SG_EEENS0_18inequality_wrapperINSA_8equal_toIyEEEEPmJS6_EEE10hipError_tPvRmT3_T4_T5_T6_T7_T9_mT8_P12ihipStream_tbDpT10_ENKUlT_T0_E_clISt17integral_constantIbLb0EES1C_IbLb1EEEEDaS18_S19_EUlS18_E_NS1_11comp_targetILNS1_3genE2ELNS1_11target_archE906ELNS1_3gpuE6ELNS1_3repE0EEENS1_30default_config_static_selectorELNS0_4arch9wavefront6targetE1EEEvT1_,@function
_ZN7rocprim17ROCPRIM_400000_NS6detail17trampoline_kernelINS0_14default_configENS1_25partition_config_selectorILNS1_17partition_subalgoE8EyNS0_10empty_typeEbEEZZNS1_14partition_implILS5_8ELb0ES3_jN6thrust23THRUST_200600_302600_NS6detail15normal_iteratorINSA_10device_ptrIyEEEEPS6_PKS6_NS0_5tupleIJNSA_16discard_iteratorINSA_11use_defaultEEES6_EEENSJ_IJSG_SG_EEENS0_18inequality_wrapperINSA_8equal_toIyEEEEPmJS6_EEE10hipError_tPvRmT3_T4_T5_T6_T7_T9_mT8_P12ihipStream_tbDpT10_ENKUlT_T0_E_clISt17integral_constantIbLb0EES1C_IbLb1EEEEDaS18_S19_EUlS18_E_NS1_11comp_targetILNS1_3genE2ELNS1_11target_archE906ELNS1_3gpuE6ELNS1_3repE0EEENS1_30default_config_static_selectorELNS0_4arch9wavefront6targetE1EEEvT1_: ; @_ZN7rocprim17ROCPRIM_400000_NS6detail17trampoline_kernelINS0_14default_configENS1_25partition_config_selectorILNS1_17partition_subalgoE8EyNS0_10empty_typeEbEEZZNS1_14partition_implILS5_8ELb0ES3_jN6thrust23THRUST_200600_302600_NS6detail15normal_iteratorINSA_10device_ptrIyEEEEPS6_PKS6_NS0_5tupleIJNSA_16discard_iteratorINSA_11use_defaultEEES6_EEENSJ_IJSG_SG_EEENS0_18inequality_wrapperINSA_8equal_toIyEEEEPmJS6_EEE10hipError_tPvRmT3_T4_T5_T6_T7_T9_mT8_P12ihipStream_tbDpT10_ENKUlT_T0_E_clISt17integral_constantIbLb0EES1C_IbLb1EEEEDaS18_S19_EUlS18_E_NS1_11comp_targetILNS1_3genE2ELNS1_11target_archE906ELNS1_3gpuE6ELNS1_3repE0EEENS1_30default_config_static_selectorELNS0_4arch9wavefront6targetE1EEEvT1_
; %bb.0:
	s_load_dwordx2 s[6:7], s[4:5], 0x58
	s_load_dwordx4 s[20:23], s[4:5], 0x48
	s_load_dwordx2 s[24:25], s[4:5], 0x68
	v_cmp_ne_u32_e64 s[2:3], 0, v0
	v_cmp_eq_u32_e64 s[0:1], 0, v0
	s_and_saveexec_b64 s[8:9], s[0:1]
	s_cbranch_execz .LBB561_4
; %bb.1:
	s_mov_b64 s[12:13], exec
	v_mbcnt_lo_u32_b32 v1, s12, 0
	v_mbcnt_hi_u32_b32 v1, s13, v1
	v_cmp_eq_u32_e32 vcc, 0, v1
                                        ; implicit-def: $vgpr2
	s_and_saveexec_b64 s[10:11], vcc
	s_cbranch_execz .LBB561_3
; %bb.2:
	s_load_dwordx2 s[14:15], s[4:5], 0x78
	s_bcnt1_i32_b64 s12, s[12:13]
	v_mov_b32_e32 v2, 0
	v_mov_b32_e32 v3, s12
	s_waitcnt lgkmcnt(0)
	global_atomic_add v2, v2, v3, s[14:15] glc
.LBB561_3:
	s_or_b64 exec, exec, s[10:11]
	s_waitcnt vmcnt(0)
	v_readfirstlane_b32 s10, v2
	v_add_u32_e32 v1, s10, v1
	v_mov_b32_e32 v2, 0
	ds_write_b32 v2, v1
.LBB561_4:
	s_or_b64 exec, exec, s[8:9]
	v_mov_b32_e32 v2, 0
	s_load_dwordx4 s[8:11], s[4:5], 0x8
	s_load_dword s12, s[4:5], 0x70
	s_waitcnt lgkmcnt(0)
	s_barrier
	ds_read_b32 v1, v2
	s_waitcnt lgkmcnt(0)
	s_barrier
	global_load_dwordx2 v[17:18], v2, s[22:23]
	s_lshl_b64 s[4:5], s[10:11], 3
	s_add_u32 s8, s8, s4
	s_movk_i32 s4, 0x700
	v_readfirstlane_b32 s33, v1
	v_mul_lo_u32 v1, v1, s4
	s_mul_i32 s4, s12, 0x700
	s_addc_u32 s9, s9, s5
	s_add_i32 s5, s4, s10
	s_add_i32 s13, s12, -1
	s_sub_i32 s34, s6, s5
	s_add_u32 s4, s10, s4
	s_addc_u32 s5, s11, 0
	v_mov_b32_e32 v3, s4
	v_mov_b32_e32 v4, s5
	v_cmp_le_u64_e32 vcc, s[6:7], v[3:4]
	s_cmp_eq_u32 s33, s13
	v_lshlrev_b64 v[1:2], 3, v[1:2]
	s_cselect_b64 s[22:23], -1, 0
	s_and_b64 s[16:17], vcc, s[22:23]
	v_mov_b32_e32 v3, s9
	v_add_co_u32_e32 v19, vcc, s8, v1
	s_xor_b64 s[6:7], s[16:17], -1
	v_addc_co_u32_e32 v20, vcc, v3, v2, vcc
	s_mov_b64 s[4:5], -1
	s_and_b64 vcc, exec, s[6:7]
	v_lshlrev_b32_e32 v22, 3, v0
	s_cbranch_vccz .LBB561_6
; %bb.5:
	v_add_co_u32_e32 v1, vcc, v19, v22
	v_addc_co_u32_e32 v2, vcc, 0, v20, vcc
	v_add_co_u32_e32 v3, vcc, 0x1000, v1
	v_addc_co_u32_e32 v4, vcc, 0, v2, vcc
	flat_load_dwordx2 v[5:6], v[1:2]
	flat_load_dwordx2 v[7:8], v[1:2] offset:2048
	flat_load_dwordx2 v[9:10], v[3:4]
	flat_load_dwordx2 v[11:12], v[3:4] offset:2048
	v_add_co_u32_e32 v3, vcc, 0x2000, v1
	v_addc_co_u32_e32 v4, vcc, 0, v2, vcc
	v_add_co_u32_e32 v1, vcc, 0x3000, v1
	v_addc_co_u32_e32 v2, vcc, 0, v2, vcc
	flat_load_dwordx2 v[13:14], v[3:4]
	flat_load_dwordx2 v[15:16], v[3:4] offset:2048
	flat_load_dwordx2 v[23:24], v[1:2]
	s_mov_b64 s[4:5], 0
	s_waitcnt vmcnt(0) lgkmcnt(0)
	ds_write2st64_b64 v22, v[5:6], v[7:8] offset1:4
	ds_write2st64_b64 v22, v[9:10], v[11:12] offset0:8 offset1:12
	ds_write2st64_b64 v22, v[13:14], v[15:16] offset0:16 offset1:20
	ds_write_b64 v22, v[23:24] offset:12288
	s_waitcnt lgkmcnt(0)
	s_barrier
.LBB561_6:
	s_andn2_b64 vcc, exec, s[4:5]
	s_addk_i32 s34, 0x700
	s_cbranch_vccnz .LBB561_22
; %bb.7:
	v_mov_b32_e32 v1, 0
	v_cmp_gt_u32_e32 vcc, s34, v0
	v_mov_b32_e32 v2, v1
	v_mov_b32_e32 v3, v1
	;; [unrolled: 1-line block ×13, first 2 shown]
	s_and_saveexec_b64 s[4:5], vcc
	s_cbranch_execz .LBB561_9
; %bb.8:
	v_add_co_u32_e32 v2, vcc, v19, v22
	v_addc_co_u32_e32 v3, vcc, 0, v20, vcc
	flat_load_dwordx2 v[2:3], v[2:3]
	v_mov_b32_e32 v4, v1
	v_mov_b32_e32 v5, v1
	;; [unrolled: 1-line block ×12, first 2 shown]
	s_waitcnt vmcnt(0) lgkmcnt(0)
	v_mov_b32_e32 v1, v2
	v_mov_b32_e32 v2, v3
	v_mov_b32_e32 v3, v4
	v_mov_b32_e32 v4, v5
	v_mov_b32_e32 v5, v6
	v_mov_b32_e32 v6, v7
	v_mov_b32_e32 v7, v8
	v_mov_b32_e32 v8, v9
	v_mov_b32_e32 v9, v10
	v_mov_b32_e32 v10, v11
	v_mov_b32_e32 v11, v12
	v_mov_b32_e32 v12, v13
	v_mov_b32_e32 v13, v14
	v_mov_b32_e32 v14, v15
	v_mov_b32_e32 v15, v16
	v_mov_b32_e32 v16, v17
.LBB561_9:
	s_or_b64 exec, exec, s[4:5]
	v_or_b32_e32 v15, 0x100, v0
	v_cmp_gt_u32_e32 vcc, s34, v15
	s_and_saveexec_b64 s[4:5], vcc
	s_cbranch_execz .LBB561_11
; %bb.10:
	v_add_co_u32_e32 v3, vcc, v19, v22
	v_addc_co_u32_e32 v4, vcc, 0, v20, vcc
	flat_load_dwordx2 v[3:4], v[3:4] offset:2048
.LBB561_11:
	s_or_b64 exec, exec, s[4:5]
	v_or_b32_e32 v15, 0x200, v0
	v_cmp_gt_u32_e32 vcc, s34, v15
	s_and_saveexec_b64 s[4:5], vcc
	s_cbranch_execz .LBB561_13
; %bb.12:
	v_lshlrev_b32_e32 v5, 3, v15
	v_add_co_u32_e32 v5, vcc, v19, v5
	v_addc_co_u32_e32 v6, vcc, 0, v20, vcc
	flat_load_dwordx2 v[5:6], v[5:6]
.LBB561_13:
	s_or_b64 exec, exec, s[4:5]
	v_or_b32_e32 v15, 0x300, v0
	v_cmp_gt_u32_e32 vcc, s34, v15
	s_and_saveexec_b64 s[4:5], vcc
	s_cbranch_execz .LBB561_15
; %bb.14:
	v_lshlrev_b32_e32 v7, 3, v15
	v_add_co_u32_e32 v7, vcc, v19, v7
	v_addc_co_u32_e32 v8, vcc, 0, v20, vcc
	flat_load_dwordx2 v[7:8], v[7:8]
.LBB561_15:
	;; [unrolled: 11-line block ×5, first 2 shown]
	s_or_b64 exec, exec, s[4:5]
	s_waitcnt vmcnt(0) lgkmcnt(0)
	ds_write2st64_b64 v22, v[1:2], v[3:4] offset1:4
	ds_write2st64_b64 v22, v[5:6], v[7:8] offset0:8 offset1:12
	ds_write2st64_b64 v22, v[9:10], v[11:12] offset0:16 offset1:20
	ds_write_b64 v22, v[13:14] offset:12288
	s_waitcnt lgkmcnt(0)
	s_barrier
.LBB561_22:
	v_mul_u32_u24_e32 v21, 7, v0
	v_lshlrev_b32_e32 v23, 3, v21
	ds_read2_b64 v[9:12], v23 offset1:1
	ds_read2_b64 v[5:8], v23 offset0:2 offset1:3
	ds_read2_b64 v[1:4], v23 offset0:4 offset1:5
	ds_read_b64 v[13:14], v23 offset:48
	s_cmp_lg_u32 s33, 0
	s_cselect_b64 s[18:19], -1, 0
	s_cmp_lg_u64 s[10:11], 0
	s_cselect_b64 s[4:5], -1, 0
	s_or_b64 s[4:5], s[4:5], s[18:19]
	s_mov_b64 s[26:27], 0
	s_and_b64 vcc, exec, s[4:5]
	s_waitcnt vmcnt(0) lgkmcnt(0)
	s_barrier
	s_cbranch_vccz .LBB561_27
; %bb.23:
	v_add_co_u32_e32 v15, vcc, -8, v19
	v_addc_co_u32_e32 v16, vcc, -1, v20, vcc
	flat_load_dwordx2 v[15:16], v[15:16]
	s_and_b64 vcc, exec, s[6:7]
	ds_write_b64 v22, v[13:14]
	s_cbranch_vccz .LBB561_28
; %bb.24:
	s_waitcnt vmcnt(0) lgkmcnt(0)
	v_mov_b32_e32 v20, v16
	v_mov_b32_e32 v19, v15
	s_barrier
	s_and_saveexec_b64 s[4:5], s[2:3]
; %bb.25:
	v_add_u32_e32 v19, -8, v22
	ds_read_b64 v[19:20], v19
; %bb.26:
	s_or_b64 exec, exec, s[4:5]
	v_cmp_ne_u64_e32 vcc, v[3:4], v[13:14]
	s_waitcnt lgkmcnt(0)
	v_cmp_ne_u64_e64 s[28:29], v[19:20], v[9:10]
	v_cndmask_b32_e64 v27, 0, 1, vcc
	v_cmp_ne_u64_e32 vcc, v[1:2], v[3:4]
	v_cndmask_b32_e64 v28, 0, 1, vcc
	v_cmp_ne_u64_e32 vcc, v[7:8], v[1:2]
	;; [unrolled: 2-line block ×5, first 2 shown]
	v_cndmask_b32_e64 v32, 0, 1, vcc
	s_branch .LBB561_32
.LBB561_27:
                                        ; implicit-def: $sgpr28_sgpr29
                                        ; implicit-def: $vgpr27
                                        ; implicit-def: $vgpr28
                                        ; implicit-def: $vgpr29
                                        ; implicit-def: $vgpr30
                                        ; implicit-def: $vgpr31
                                        ; implicit-def: $vgpr32
	s_branch .LBB561_33
.LBB561_28:
                                        ; implicit-def: $sgpr28_sgpr29
                                        ; implicit-def: $vgpr27
                                        ; implicit-def: $vgpr28
                                        ; implicit-def: $vgpr29
                                        ; implicit-def: $vgpr30
                                        ; implicit-def: $vgpr31
                                        ; implicit-def: $vgpr32
	s_cbranch_execz .LBB561_32
; %bb.29:
	s_waitcnt vmcnt(0) lgkmcnt(0)
	s_barrier
	s_and_saveexec_b64 s[4:5], s[2:3]
; %bb.30:
	v_add_u32_e32 v15, -8, v22
	ds_read_b64 v[15:16], v15
; %bb.31:
	s_or_b64 exec, exec, s[4:5]
	v_add_u32_e32 v19, 6, v21
	v_cmp_ne_u64_e32 vcc, v[3:4], v[13:14]
	v_cmp_gt_u32_e64 s[4:5], s34, v19
	s_and_b64 s[4:5], s[4:5], vcc
	v_add_u32_e32 v19, 5, v21
	v_cmp_ne_u64_e32 vcc, v[1:2], v[3:4]
	v_cndmask_b32_e64 v27, 0, 1, s[4:5]
	v_cmp_gt_u32_e64 s[4:5], s34, v19
	s_and_b64 s[4:5], s[4:5], vcc
	v_add_u32_e32 v19, 4, v21
	v_cmp_ne_u64_e32 vcc, v[7:8], v[1:2]
	v_cndmask_b32_e64 v28, 0, 1, s[4:5]
	;; [unrolled: 5-line block ×5, first 2 shown]
	v_cmp_gt_u32_e64 s[4:5], s34, v19
	s_and_b64 s[4:5], s[4:5], vcc
	s_waitcnt lgkmcnt(0)
	v_cmp_ne_u64_e32 vcc, v[15:16], v[9:10]
	v_cndmask_b32_e64 v32, 0, 1, s[4:5]
	v_cmp_gt_u32_e64 s[4:5], s34, v21
	s_and_b64 s[28:29], s[4:5], vcc
.LBB561_32:
	s_mov_b64 s[26:27], -1
	s_cbranch_execnz .LBB561_41
.LBB561_33:
	s_movk_i32 s4, 0xffd0
	s_waitcnt vmcnt(0) lgkmcnt(0)
	v_mad_i32_i24 v15, v0, s4, v23
	s_and_b64 vcc, exec, s[6:7]
	v_cmp_ne_u64_e64 s[4:5], v[3:4], v[13:14]
	v_cmp_ne_u64_e64 s[6:7], v[1:2], v[3:4]
	;; [unrolled: 1-line block ×6, first 2 shown]
	ds_write_b64 v15, v[13:14]
	s_cbranch_vccz .LBB561_37
; %bb.34:
	s_waitcnt lgkmcnt(0)
	s_barrier
                                        ; implicit-def: $sgpr28_sgpr29
	s_and_saveexec_b64 s[30:31], s[2:3]
	s_xor_b64 s[30:31], exec, s[30:31]
	s_cbranch_execz .LBB561_36
; %bb.35:
	v_add_u32_e32 v16, -8, v15
	ds_read_b64 v[19:20], v16
	s_or_b64 s[26:27], s[26:27], exec
	s_waitcnt lgkmcnt(0)
	v_cmp_ne_u64_e64 s[28:29], v[19:20], v[9:10]
.LBB561_36:
	s_or_b64 exec, exec, s[30:31]
	v_cndmask_b32_e64 v27, 0, 1, s[4:5]
	v_cndmask_b32_e64 v28, 0, 1, s[6:7]
	;; [unrolled: 1-line block ×6, first 2 shown]
	s_branch .LBB561_41
.LBB561_37:
                                        ; implicit-def: $sgpr28_sgpr29
                                        ; implicit-def: $vgpr27
                                        ; implicit-def: $vgpr28
                                        ; implicit-def: $vgpr29
                                        ; implicit-def: $vgpr30
                                        ; implicit-def: $vgpr31
                                        ; implicit-def: $vgpr32
	s_cbranch_execz .LBB561_41
; %bb.38:
	v_add_u32_e32 v16, 6, v21
	v_cmp_ne_u64_e32 vcc, v[3:4], v[13:14]
	v_cmp_gt_u32_e64 s[4:5], s34, v16
	s_and_b64 s[6:7], s[4:5], vcc
	v_add_u32_e32 v16, 5, v21
	v_cmp_ne_u64_e32 vcc, v[1:2], v[3:4]
	v_cmp_gt_u32_e64 s[4:5], s34, v16
	s_and_b64 s[8:9], s[4:5], vcc
	;; [unrolled: 4-line block ×6, first 2 shown]
	s_waitcnt lgkmcnt(0)
	s_barrier
                                        ; implicit-def: $sgpr28_sgpr29
	s_and_saveexec_b64 s[30:31], s[2:3]
	s_cbranch_execz .LBB561_40
; %bb.39:
	v_add_u32_e32 v15, -8, v15
	ds_read_b64 v[15:16], v15
	v_cmp_gt_u32_e64 s[2:3], s34, v21
	s_or_b64 s[26:27], s[26:27], exec
	s_waitcnt lgkmcnt(0)
	v_cmp_ne_u64_e32 vcc, v[15:16], v[9:10]
	s_and_b64 s[28:29], s[2:3], vcc
.LBB561_40:
	s_or_b64 exec, exec, s[30:31]
	v_cndmask_b32_e64 v27, 0, 1, s[6:7]
	v_cndmask_b32_e64 v28, 0, 1, s[8:9]
	;; [unrolled: 1-line block ×6, first 2 shown]
.LBB561_41:
	v_mov_b32_e32 v34, 1
	s_and_saveexec_b64 s[2:3], s[26:27]
; %bb.42:
	v_cndmask_b32_e64 v34, 0, 1, s[28:29]
; %bb.43:
	s_or_b64 exec, exec, s[2:3]
	s_andn2_b64 vcc, exec, s[16:17]
	s_cbranch_vccnz .LBB561_45
; %bb.44:
	v_cmp_gt_u32_e32 vcc, s34, v21
	s_waitcnt vmcnt(0) lgkmcnt(0)
	v_add_u32_e32 v15, 1, v21
	v_cndmask_b32_e32 v34, 0, v34, vcc
	v_cmp_gt_u32_e32 vcc, s34, v15
	v_add_u32_e32 v15, 2, v21
	v_cndmask_b32_e32 v32, 0, v32, vcc
	v_cmp_gt_u32_e32 vcc, s34, v15
	;; [unrolled: 3-line block ×6, first 2 shown]
	v_cndmask_b32_e32 v27, 0, v27, vcc
.LBB561_45:
	v_and_b32_e32 v39, 0xffff, v34
	v_and_b32_e32 v38, 0xff, v32
	;; [unrolled: 1-line block ×5, first 2 shown]
	s_waitcnt vmcnt(0) lgkmcnt(0)
	v_add3_u32 v16, v38, v39, v37
	v_and_b32_e32 v33, 0xff, v28
	v_and_b32_e32 v15, 0xff, v27
	v_add3_u32 v16, v16, v36, v35
	v_add3_u32 v42, v16, v33, v15
	v_mbcnt_lo_u32_b32 v15, -1, 0
	v_mbcnt_hi_u32_b32 v40, -1, v15
	v_and_b32_e32 v15, 15, v40
	v_cmp_eq_u32_e64 s[14:15], 0, v15
	v_cmp_lt_u32_e64 s[12:13], 1, v15
	v_cmp_lt_u32_e64 s[10:11], 3, v15
	;; [unrolled: 1-line block ×3, first 2 shown]
	v_and_b32_e32 v15, 16, v40
	v_cmp_eq_u32_e64 s[6:7], 0, v15
	v_or_b32_e32 v15, 63, v0
	v_cmp_lt_u32_e64 s[2:3], 31, v40
	v_lshrrev_b32_e32 v41, 6, v0
	v_cmp_eq_u32_e64 s[4:5], v0, v15
	s_and_b64 vcc, exec, s[18:19]
	s_barrier
	s_cbranch_vccz .LBB561_67
; %bb.46:
	v_mov_b32_dpp v15, v42 row_shr:1 row_mask:0xf bank_mask:0xf
	v_cndmask_b32_e64 v15, v15, 0, s[14:15]
	v_add_u32_e32 v15, v15, v42
	s_nop 1
	v_mov_b32_dpp v16, v15 row_shr:2 row_mask:0xf bank_mask:0xf
	v_cndmask_b32_e64 v16, 0, v16, s[12:13]
	v_add_u32_e32 v15, v15, v16
	s_nop 1
	;; [unrolled: 4-line block ×4, first 2 shown]
	v_mov_b32_dpp v16, v15 row_bcast:15 row_mask:0xf bank_mask:0xf
	v_cndmask_b32_e64 v16, v16, 0, s[6:7]
	v_add_u32_e32 v15, v15, v16
	s_nop 1
	v_mov_b32_dpp v16, v15 row_bcast:31 row_mask:0xf bank_mask:0xf
	v_cndmask_b32_e64 v16, 0, v16, s[2:3]
	v_add_u32_e32 v15, v15, v16
	s_and_saveexec_b64 s[16:17], s[4:5]
; %bb.47:
	v_lshlrev_b32_e32 v16, 2, v41
	ds_write_b32 v16, v15
; %bb.48:
	s_or_b64 exec, exec, s[16:17]
	v_cmp_gt_u32_e32 vcc, 4, v0
	s_waitcnt lgkmcnt(0)
	s_barrier
	s_and_saveexec_b64 s[16:17], vcc
	s_cbranch_execz .LBB561_50
; %bb.49:
	v_lshlrev_b32_e32 v16, 2, v0
	ds_read_b32 v19, v16
	v_and_b32_e32 v20, 3, v40
	v_cmp_ne_u32_e32 vcc, 0, v20
	s_waitcnt lgkmcnt(0)
	v_mov_b32_dpp v21, v19 row_shr:1 row_mask:0xf bank_mask:0xf
	v_cndmask_b32_e32 v21, 0, v21, vcc
	v_add_u32_e32 v19, v21, v19
	v_cmp_lt_u32_e32 vcc, 1, v20
	s_nop 0
	v_mov_b32_dpp v21, v19 row_shr:2 row_mask:0xf bank_mask:0xf
	v_cndmask_b32_e32 v20, 0, v21, vcc
	v_add_u32_e32 v19, v19, v20
	ds_write_b32 v16, v19
.LBB561_50:
	s_or_b64 exec, exec, s[16:17]
	v_cmp_gt_u32_e32 vcc, 64, v0
	v_cmp_lt_u32_e64 s[16:17], 63, v0
	s_waitcnt lgkmcnt(0)
	s_barrier
                                        ; implicit-def: $vgpr43
	s_and_saveexec_b64 s[18:19], s[16:17]
	s_cbranch_execz .LBB561_52
; %bb.51:
	v_lshl_add_u32 v16, v41, 2, -4
	ds_read_b32 v43, v16
	s_waitcnt lgkmcnt(0)
	v_add_u32_e32 v15, v43, v15
.LBB561_52:
	s_or_b64 exec, exec, s[18:19]
	v_subrev_co_u32_e64 v16, s[16:17], 1, v40
	v_and_b32_e32 v19, 64, v40
	v_cmp_lt_i32_e64 s[18:19], v16, v19
	v_cndmask_b32_e64 v16, v16, v40, s[18:19]
	v_lshlrev_b32_e32 v16, 2, v16
	ds_bpermute_b32 v44, v16, v15
	s_and_saveexec_b64 s[18:19], vcc
	s_cbranch_execz .LBB561_72
; %bb.53:
	v_mov_b32_e32 v23, 0
	ds_read_b32 v15, v23 offset:12
	s_and_saveexec_b64 s[26:27], s[16:17]
	s_cbranch_execz .LBB561_55
; %bb.54:
	s_add_i32 s28, s33, 64
	s_mov_b32 s29, 0
	s_lshl_b64 s[28:29], s[28:29], 3
	s_add_u32 s28, s24, s28
	v_mov_b32_e32 v16, 1
	s_addc_u32 s29, s25, s29
	s_waitcnt lgkmcnt(0)
	global_store_dwordx2 v23, v[15:16], s[28:29]
.LBB561_55:
	s_or_b64 exec, exec, s[26:27]
	v_xad_u32 v19, v40, -1, s33
	v_add_u32_e32 v22, 64, v19
	v_lshlrev_b64 v[20:21], 3, v[22:23]
	v_mov_b32_e32 v16, s25
	v_add_co_u32_e32 v24, vcc, s24, v20
	v_addc_co_u32_e32 v25, vcc, v16, v21, vcc
	global_load_dwordx2 v[21:22], v[24:25], off glc
	s_waitcnt vmcnt(0)
	v_cmp_eq_u16_sdwa s[28:29], v22, v23 src0_sel:BYTE_0 src1_sel:DWORD
	s_and_saveexec_b64 s[26:27], s[28:29]
	s_cbranch_execz .LBB561_59
; %bb.56:
	s_mov_b64 s[28:29], 0
	v_mov_b32_e32 v16, 0
.LBB561_57:                             ; =>This Inner Loop Header: Depth=1
	global_load_dwordx2 v[21:22], v[24:25], off glc
	s_waitcnt vmcnt(0)
	v_cmp_ne_u16_sdwa s[30:31], v22, v16 src0_sel:BYTE_0 src1_sel:DWORD
	s_or_b64 s[28:29], s[30:31], s[28:29]
	s_andn2_b64 exec, exec, s[28:29]
	s_cbranch_execnz .LBB561_57
; %bb.58:
	s_or_b64 exec, exec, s[28:29]
.LBB561_59:
	s_or_b64 exec, exec, s[26:27]
	v_and_b32_e32 v46, 63, v40
	v_mov_b32_e32 v45, 2
	v_lshlrev_b64 v[23:24], v40, -1
	v_cmp_ne_u32_e32 vcc, 63, v46
	v_cmp_eq_u16_sdwa s[26:27], v22, v45 src0_sel:BYTE_0 src1_sel:DWORD
	v_addc_co_u32_e32 v25, vcc, 0, v40, vcc
	v_and_b32_e32 v16, s27, v24
	v_lshlrev_b32_e32 v47, 2, v25
	v_or_b32_e32 v16, 0x80000000, v16
	ds_bpermute_b32 v25, v47, v21
	v_and_b32_e32 v20, s26, v23
	v_ffbl_b32_e32 v16, v16
	v_add_u32_e32 v16, 32, v16
	v_ffbl_b32_e32 v20, v20
	v_min_u32_e32 v16, v20, v16
	v_cmp_lt_u32_e32 vcc, v46, v16
	s_waitcnt lgkmcnt(0)
	v_cndmask_b32_e32 v20, 0, v25, vcc
	v_cmp_gt_u32_e32 vcc, 62, v46
	v_add_u32_e32 v20, v20, v21
	v_cndmask_b32_e64 v21, 0, 2, vcc
	v_add_lshl_u32 v48, v21, v40, 2
	ds_bpermute_b32 v21, v48, v20
	v_add_u32_e32 v49, 2, v46
	v_cmp_le_u32_e32 vcc, v49, v16
	v_add_u32_e32 v51, 4, v46
	v_add_u32_e32 v53, 8, v46
	s_waitcnt lgkmcnt(0)
	v_cndmask_b32_e32 v21, 0, v21, vcc
	v_cmp_gt_u32_e32 vcc, 60, v46
	v_add_u32_e32 v20, v20, v21
	v_cndmask_b32_e64 v21, 0, 4, vcc
	v_add_lshl_u32 v50, v21, v40, 2
	ds_bpermute_b32 v21, v50, v20
	v_cmp_le_u32_e32 vcc, v51, v16
	v_add_u32_e32 v55, 16, v46
	v_add_u32_e32 v57, 32, v46
	s_waitcnt lgkmcnt(0)
	v_cndmask_b32_e32 v21, 0, v21, vcc
	v_cmp_gt_u32_e32 vcc, 56, v46
	v_add_u32_e32 v20, v20, v21
	v_cndmask_b32_e64 v21, 0, 8, vcc
	v_add_lshl_u32 v52, v21, v40, 2
	ds_bpermute_b32 v21, v52, v20
	v_cmp_le_u32_e32 vcc, v53, v16
	s_waitcnt lgkmcnt(0)
	v_cndmask_b32_e32 v21, 0, v21, vcc
	v_cmp_gt_u32_e32 vcc, 48, v46
	v_add_u32_e32 v20, v20, v21
	v_cndmask_b32_e64 v21, 0, 16, vcc
	v_add_lshl_u32 v54, v21, v40, 2
	ds_bpermute_b32 v21, v54, v20
	v_cmp_le_u32_e32 vcc, v55, v16
	s_waitcnt lgkmcnt(0)
	v_cndmask_b32_e32 v21, 0, v21, vcc
	v_add_u32_e32 v20, v20, v21
	v_mov_b32_e32 v21, 0x80
	v_lshl_or_b32 v56, v40, 2, v21
	ds_bpermute_b32 v21, v56, v20
	v_cmp_le_u32_e32 vcc, v57, v16
	s_waitcnt lgkmcnt(0)
	v_cndmask_b32_e32 v16, 0, v21, vcc
	v_add_u32_e32 v21, v20, v16
	v_mov_b32_e32 v20, 0
	s_branch .LBB561_62
.LBB561_60:                             ;   in Loop: Header=BB561_62 Depth=1
	s_or_b64 exec, exec, s[26:27]
	v_cmp_eq_u16_sdwa s[26:27], v22, v45 src0_sel:BYTE_0 src1_sel:DWORD
	v_and_b32_e32 v25, s27, v24
	v_or_b32_e32 v25, 0x80000000, v25
	ds_bpermute_b32 v58, v47, v21
	v_and_b32_e32 v26, s26, v23
	v_ffbl_b32_e32 v25, v25
	v_add_u32_e32 v25, 32, v25
	v_ffbl_b32_e32 v26, v26
	v_min_u32_e32 v25, v26, v25
	v_cmp_lt_u32_e32 vcc, v46, v25
	s_waitcnt lgkmcnt(0)
	v_cndmask_b32_e32 v26, 0, v58, vcc
	v_add_u32_e32 v21, v26, v21
	ds_bpermute_b32 v26, v48, v21
	v_cmp_le_u32_e32 vcc, v49, v25
	v_subrev_u32_e32 v19, 64, v19
	s_mov_b64 s[26:27], 0
	s_waitcnt lgkmcnt(0)
	v_cndmask_b32_e32 v26, 0, v26, vcc
	v_add_u32_e32 v21, v21, v26
	ds_bpermute_b32 v26, v50, v21
	v_cmp_le_u32_e32 vcc, v51, v25
	s_waitcnt lgkmcnt(0)
	v_cndmask_b32_e32 v26, 0, v26, vcc
	v_add_u32_e32 v21, v21, v26
	ds_bpermute_b32 v26, v52, v21
	v_cmp_le_u32_e32 vcc, v53, v25
	;; [unrolled: 5-line block ×4, first 2 shown]
	s_waitcnt lgkmcnt(0)
	v_cndmask_b32_e32 v25, 0, v26, vcc
	v_add3_u32 v21, v25, v16, v21
.LBB561_61:                             ;   in Loop: Header=BB561_62 Depth=1
	s_and_b64 vcc, exec, s[26:27]
	s_cbranch_vccnz .LBB561_68
.LBB561_62:                             ; =>This Loop Header: Depth=1
                                        ;     Child Loop BB561_65 Depth 2
	v_cmp_ne_u16_sdwa s[26:27], v22, v45 src0_sel:BYTE_0 src1_sel:DWORD
	v_mov_b32_e32 v16, v21
	s_cmp_lg_u64 s[26:27], exec
	s_mov_b64 s[26:27], -1
                                        ; implicit-def: $vgpr21
                                        ; implicit-def: $vgpr22
	s_cbranch_scc1 .LBB561_61
; %bb.63:                               ;   in Loop: Header=BB561_62 Depth=1
	v_lshlrev_b64 v[21:22], 3, v[19:20]
	v_mov_b32_e32 v26, s25
	v_add_co_u32_e32 v25, vcc, s24, v21
	v_addc_co_u32_e32 v26, vcc, v26, v22, vcc
	global_load_dwordx2 v[21:22], v[25:26], off glc
	s_waitcnt vmcnt(0)
	v_cmp_eq_u16_sdwa s[28:29], v22, v20 src0_sel:BYTE_0 src1_sel:DWORD
	s_and_saveexec_b64 s[26:27], s[28:29]
	s_cbranch_execz .LBB561_60
; %bb.64:                               ;   in Loop: Header=BB561_62 Depth=1
	s_mov_b64 s[28:29], 0
.LBB561_65:                             ;   Parent Loop BB561_62 Depth=1
                                        ; =>  This Inner Loop Header: Depth=2
	global_load_dwordx2 v[21:22], v[25:26], off glc
	s_waitcnt vmcnt(0)
	v_cmp_ne_u16_sdwa s[30:31], v22, v20 src0_sel:BYTE_0 src1_sel:DWORD
	s_or_b64 s[28:29], s[30:31], s[28:29]
	s_andn2_b64 exec, exec, s[28:29]
	s_cbranch_execnz .LBB561_65
; %bb.66:                               ;   in Loop: Header=BB561_62 Depth=1
	s_or_b64 exec, exec, s[28:29]
	s_branch .LBB561_60
.LBB561_67:
                                        ; implicit-def: $vgpr16
                                        ; implicit-def: $vgpr19
	s_cbranch_execnz .LBB561_73
	s_branch .LBB561_82
.LBB561_68:
	s_and_saveexec_b64 s[26:27], s[16:17]
	s_cbranch_execz .LBB561_70
; %bb.69:
	s_add_i32 s28, s33, 64
	s_mov_b32 s29, 0
	s_lshl_b64 s[28:29], s[28:29], 3
	s_add_u32 s28, s24, s28
	v_add_u32_e32 v19, v16, v15
	v_mov_b32_e32 v20, 2
	s_addc_u32 s29, s25, s29
	v_mov_b32_e32 v21, 0
	global_store_dwordx2 v21, v[19:20], s[28:29]
	ds_write_b64 v21, v[15:16] offset:14336
.LBB561_70:
	s_or_b64 exec, exec, s[26:27]
	s_and_b64 exec, exec, s[0:1]
; %bb.71:
	v_mov_b32_e32 v15, 0
	ds_write_b32 v15, v16 offset:12
.LBB561_72:
	s_or_b64 exec, exec, s[18:19]
	v_mov_b32_e32 v15, 0
	s_waitcnt vmcnt(0) lgkmcnt(0)
	s_barrier
	ds_read_b32 v19, v15 offset:12
	s_waitcnt lgkmcnt(0)
	s_barrier
	ds_read_b64 v[15:16], v15 offset:14336
	v_cndmask_b32_e64 v20, v44, v43, s[16:17]
	v_cndmask_b32_e64 v20, v20, 0, s[0:1]
	v_add_u32_e32 v19, v19, v20
	s_branch .LBB561_82
.LBB561_73:
	s_waitcnt lgkmcnt(0)
	v_mov_b32_dpp v15, v42 row_shr:1 row_mask:0xf bank_mask:0xf
	v_cndmask_b32_e64 v15, v15, 0, s[14:15]
	v_add_u32_e32 v15, v15, v42
	s_nop 1
	v_mov_b32_dpp v16, v15 row_shr:2 row_mask:0xf bank_mask:0xf
	v_cndmask_b32_e64 v16, 0, v16, s[12:13]
	v_add_u32_e32 v15, v15, v16
	s_nop 1
	;; [unrolled: 4-line block ×4, first 2 shown]
	v_mov_b32_dpp v16, v15 row_bcast:15 row_mask:0xf bank_mask:0xf
	v_cndmask_b32_e64 v16, v16, 0, s[6:7]
	v_add_u32_e32 v15, v15, v16
	s_nop 1
	v_mov_b32_dpp v16, v15 row_bcast:31 row_mask:0xf bank_mask:0xf
	v_cndmask_b32_e64 v16, 0, v16, s[2:3]
	v_add_u32_e32 v15, v15, v16
	s_and_saveexec_b64 s[2:3], s[4:5]
; %bb.74:
	v_lshlrev_b32_e32 v16, 2, v41
	ds_write_b32 v16, v15
; %bb.75:
	s_or_b64 exec, exec, s[2:3]
	v_cmp_gt_u32_e32 vcc, 4, v0
	s_waitcnt lgkmcnt(0)
	s_barrier
	s_and_saveexec_b64 s[2:3], vcc
	s_cbranch_execz .LBB561_77
; %bb.76:
	v_lshlrev_b32_e32 v16, 2, v0
	ds_read_b32 v19, v16
	v_and_b32_e32 v20, 3, v40
	v_cmp_ne_u32_e32 vcc, 0, v20
	s_waitcnt lgkmcnt(0)
	v_mov_b32_dpp v21, v19 row_shr:1 row_mask:0xf bank_mask:0xf
	v_cndmask_b32_e32 v21, 0, v21, vcc
	v_add_u32_e32 v19, v21, v19
	v_cmp_lt_u32_e32 vcc, 1, v20
	s_nop 0
	v_mov_b32_dpp v21, v19 row_shr:2 row_mask:0xf bank_mask:0xf
	v_cndmask_b32_e32 v20, 0, v21, vcc
	v_add_u32_e32 v19, v19, v20
	ds_write_b32 v16, v19
.LBB561_77:
	s_or_b64 exec, exec, s[2:3]
	v_cmp_lt_u32_e32 vcc, 63, v0
	v_mov_b32_e32 v16, 0
	v_mov_b32_e32 v0, 0
	s_waitcnt lgkmcnt(0)
	s_barrier
	s_and_saveexec_b64 s[2:3], vcc
; %bb.78:
	v_lshl_add_u32 v0, v41, 2, -4
	ds_read_b32 v0, v0
; %bb.79:
	s_or_b64 exec, exec, s[2:3]
	v_subrev_co_u32_e32 v19, vcc, 1, v40
	v_and_b32_e32 v20, 64, v40
	v_cmp_lt_i32_e64 s[2:3], v19, v20
	v_cndmask_b32_e64 v19, v19, v40, s[2:3]
	s_waitcnt lgkmcnt(0)
	v_add_u32_e32 v15, v0, v15
	v_lshlrev_b32_e32 v19, 2, v19
	ds_bpermute_b32 v19, v19, v15
	ds_read_b32 v15, v16 offset:12
	s_and_saveexec_b64 s[2:3], s[0:1]
	s_cbranch_execz .LBB561_81
; %bb.80:
	v_mov_b32_e32 v20, 0
	v_mov_b32_e32 v16, 2
	s_waitcnt lgkmcnt(0)
	global_store_dwordx2 v20, v[15:16], s[24:25] offset:512
.LBB561_81:
	s_or_b64 exec, exec, s[2:3]
	s_waitcnt lgkmcnt(1)
	v_cndmask_b32_e32 v0, v19, v0, vcc
	v_cndmask_b32_e64 v19, v0, 0, s[0:1]
	s_waitcnt vmcnt(0) lgkmcnt(0)
	s_barrier
	v_mov_b32_e32 v16, 0
.LBB561_82:
	s_movk_i32 s2, 0x101
	s_waitcnt lgkmcnt(0)
	v_cmp_gt_u32_e32 vcc, s2, v15
	s_cbranch_vccz .LBB561_85
; %bb.83:
	s_and_b64 s[0:1], s[0:1], s[22:23]
	s_and_saveexec_b64 s[2:3], s[0:1]
	s_cbranch_execnz .LBB561_100
.LBB561_84:
	s_endpgm
.LBB561_85:
	v_and_b32_e32 v0, 1, v34
	v_cmp_eq_u32_e32 vcc, 1, v0
	s_and_saveexec_b64 s[2:3], vcc
; %bb.86:
	v_sub_u32_e32 v0, v19, v16
	v_lshlrev_b32_e32 v0, 3, v0
	ds_write_b64 v0, v[9:10]
; %bb.87:
	s_or_b64 exec, exec, s[2:3]
	v_and_b32_e32 v9, 1, v32
	v_add_u32_e32 v0, v19, v39
	v_cmp_eq_u32_e32 vcc, 1, v9
	s_and_saveexec_b64 s[2:3], vcc
; %bb.88:
	v_sub_u32_e32 v9, v0, v16
	v_lshlrev_b32_e32 v9, 3, v9
	ds_write_b64 v9, v[11:12]
; %bb.89:
	s_or_b64 exec, exec, s[2:3]
	v_and_b32_e32 v9, 1, v31
	v_add_u32_e32 v0, v0, v38
	v_cmp_eq_u32_e32 vcc, 1, v9
	s_and_saveexec_b64 s[2:3], vcc
; %bb.90:
	v_sub_u32_e32 v9, v0, v16
	v_lshlrev_b32_e32 v9, 3, v9
	ds_write_b64 v9, v[5:6]
; %bb.91:
	s_or_b64 exec, exec, s[2:3]
	v_and_b32_e32 v5, 1, v30
	v_add_u32_e32 v0, v0, v37
	v_cmp_eq_u32_e32 vcc, 1, v5
	s_and_saveexec_b64 s[2:3], vcc
; %bb.92:
	v_sub_u32_e32 v5, v0, v16
	v_lshlrev_b32_e32 v5, 3, v5
	ds_write_b64 v5, v[7:8]
; %bb.93:
	s_or_b64 exec, exec, s[2:3]
	v_and_b32_e32 v5, 1, v29
	v_add_u32_e32 v0, v0, v36
	v_cmp_eq_u32_e32 vcc, 1, v5
	s_and_saveexec_b64 s[2:3], vcc
; %bb.94:
	v_sub_u32_e32 v5, v0, v16
	v_lshlrev_b32_e32 v5, 3, v5
	ds_write_b64 v5, v[1:2]
; %bb.95:
	s_or_b64 exec, exec, s[2:3]
	v_and_b32_e32 v1, 1, v28
	v_add_u32_e32 v0, v0, v35
	v_cmp_eq_u32_e32 vcc, 1, v1
	s_and_saveexec_b64 s[2:3], vcc
; %bb.96:
	v_sub_u32_e32 v1, v0, v16
	v_lshlrev_b32_e32 v1, 3, v1
	ds_write_b64 v1, v[3:4]
; %bb.97:
	s_or_b64 exec, exec, s[2:3]
	v_and_b32_e32 v1, 1, v27
	v_cmp_eq_u32_e32 vcc, 1, v1
	s_and_saveexec_b64 s[2:3], vcc
; %bb.98:
	v_sub_u32_e32 v1, v33, v16
	v_lshlrev_b32_e32 v0, 3, v0
	v_lshl_add_u32 v0, v1, 3, v0
	ds_write_b64 v0, v[13:14]
; %bb.99:
	s_or_b64 exec, exec, s[2:3]
	s_waitcnt lgkmcnt(0)
	s_barrier
	s_and_b64 s[0:1], s[0:1], s[22:23]
	s_and_saveexec_b64 s[2:3], s[0:1]
	s_cbranch_execz .LBB561_84
.LBB561_100:
	v_add_co_u32_e32 v0, vcc, v17, v15
	v_addc_co_u32_e32 v1, vcc, 0, v18, vcc
	v_add_co_u32_e32 v0, vcc, v0, v16
	v_mov_b32_e32 v2, 0
	v_addc_co_u32_e32 v1, vcc, 0, v1, vcc
	global_store_dwordx2 v2, v[0:1], s[20:21]
	s_endpgm
	.section	.rodata,"a",@progbits
	.p2align	6, 0x0
	.amdhsa_kernel _ZN7rocprim17ROCPRIM_400000_NS6detail17trampoline_kernelINS0_14default_configENS1_25partition_config_selectorILNS1_17partition_subalgoE8EyNS0_10empty_typeEbEEZZNS1_14partition_implILS5_8ELb0ES3_jN6thrust23THRUST_200600_302600_NS6detail15normal_iteratorINSA_10device_ptrIyEEEEPS6_PKS6_NS0_5tupleIJNSA_16discard_iteratorINSA_11use_defaultEEES6_EEENSJ_IJSG_SG_EEENS0_18inequality_wrapperINSA_8equal_toIyEEEEPmJS6_EEE10hipError_tPvRmT3_T4_T5_T6_T7_T9_mT8_P12ihipStream_tbDpT10_ENKUlT_T0_E_clISt17integral_constantIbLb0EES1C_IbLb1EEEEDaS18_S19_EUlS18_E_NS1_11comp_targetILNS1_3genE2ELNS1_11target_archE906ELNS1_3gpuE6ELNS1_3repE0EEENS1_30default_config_static_selectorELNS0_4arch9wavefront6targetE1EEEvT1_
		.amdhsa_group_segment_fixed_size 14344
		.amdhsa_private_segment_fixed_size 0
		.amdhsa_kernarg_size 136
		.amdhsa_user_sgpr_count 6
		.amdhsa_user_sgpr_private_segment_buffer 1
		.amdhsa_user_sgpr_dispatch_ptr 0
		.amdhsa_user_sgpr_queue_ptr 0
		.amdhsa_user_sgpr_kernarg_segment_ptr 1
		.amdhsa_user_sgpr_dispatch_id 0
		.amdhsa_user_sgpr_flat_scratch_init 0
		.amdhsa_user_sgpr_private_segment_size 0
		.amdhsa_uses_dynamic_stack 0
		.amdhsa_system_sgpr_private_segment_wavefront_offset 0
		.amdhsa_system_sgpr_workgroup_id_x 1
		.amdhsa_system_sgpr_workgroup_id_y 0
		.amdhsa_system_sgpr_workgroup_id_z 0
		.amdhsa_system_sgpr_workgroup_info 0
		.amdhsa_system_vgpr_workitem_id 0
		.amdhsa_next_free_vgpr 59
		.amdhsa_next_free_sgpr 98
		.amdhsa_reserve_vcc 1
		.amdhsa_reserve_flat_scratch 0
		.amdhsa_float_round_mode_32 0
		.amdhsa_float_round_mode_16_64 0
		.amdhsa_float_denorm_mode_32 3
		.amdhsa_float_denorm_mode_16_64 3
		.amdhsa_dx10_clamp 1
		.amdhsa_ieee_mode 1
		.amdhsa_fp16_overflow 0
		.amdhsa_exception_fp_ieee_invalid_op 0
		.amdhsa_exception_fp_denorm_src 0
		.amdhsa_exception_fp_ieee_div_zero 0
		.amdhsa_exception_fp_ieee_overflow 0
		.amdhsa_exception_fp_ieee_underflow 0
		.amdhsa_exception_fp_ieee_inexact 0
		.amdhsa_exception_int_div_zero 0
	.end_amdhsa_kernel
	.section	.text._ZN7rocprim17ROCPRIM_400000_NS6detail17trampoline_kernelINS0_14default_configENS1_25partition_config_selectorILNS1_17partition_subalgoE8EyNS0_10empty_typeEbEEZZNS1_14partition_implILS5_8ELb0ES3_jN6thrust23THRUST_200600_302600_NS6detail15normal_iteratorINSA_10device_ptrIyEEEEPS6_PKS6_NS0_5tupleIJNSA_16discard_iteratorINSA_11use_defaultEEES6_EEENSJ_IJSG_SG_EEENS0_18inequality_wrapperINSA_8equal_toIyEEEEPmJS6_EEE10hipError_tPvRmT3_T4_T5_T6_T7_T9_mT8_P12ihipStream_tbDpT10_ENKUlT_T0_E_clISt17integral_constantIbLb0EES1C_IbLb1EEEEDaS18_S19_EUlS18_E_NS1_11comp_targetILNS1_3genE2ELNS1_11target_archE906ELNS1_3gpuE6ELNS1_3repE0EEENS1_30default_config_static_selectorELNS0_4arch9wavefront6targetE1EEEvT1_,"axG",@progbits,_ZN7rocprim17ROCPRIM_400000_NS6detail17trampoline_kernelINS0_14default_configENS1_25partition_config_selectorILNS1_17partition_subalgoE8EyNS0_10empty_typeEbEEZZNS1_14partition_implILS5_8ELb0ES3_jN6thrust23THRUST_200600_302600_NS6detail15normal_iteratorINSA_10device_ptrIyEEEEPS6_PKS6_NS0_5tupleIJNSA_16discard_iteratorINSA_11use_defaultEEES6_EEENSJ_IJSG_SG_EEENS0_18inequality_wrapperINSA_8equal_toIyEEEEPmJS6_EEE10hipError_tPvRmT3_T4_T5_T6_T7_T9_mT8_P12ihipStream_tbDpT10_ENKUlT_T0_E_clISt17integral_constantIbLb0EES1C_IbLb1EEEEDaS18_S19_EUlS18_E_NS1_11comp_targetILNS1_3genE2ELNS1_11target_archE906ELNS1_3gpuE6ELNS1_3repE0EEENS1_30default_config_static_selectorELNS0_4arch9wavefront6targetE1EEEvT1_,comdat
.Lfunc_end561:
	.size	_ZN7rocprim17ROCPRIM_400000_NS6detail17trampoline_kernelINS0_14default_configENS1_25partition_config_selectorILNS1_17partition_subalgoE8EyNS0_10empty_typeEbEEZZNS1_14partition_implILS5_8ELb0ES3_jN6thrust23THRUST_200600_302600_NS6detail15normal_iteratorINSA_10device_ptrIyEEEEPS6_PKS6_NS0_5tupleIJNSA_16discard_iteratorINSA_11use_defaultEEES6_EEENSJ_IJSG_SG_EEENS0_18inequality_wrapperINSA_8equal_toIyEEEEPmJS6_EEE10hipError_tPvRmT3_T4_T5_T6_T7_T9_mT8_P12ihipStream_tbDpT10_ENKUlT_T0_E_clISt17integral_constantIbLb0EES1C_IbLb1EEEEDaS18_S19_EUlS18_E_NS1_11comp_targetILNS1_3genE2ELNS1_11target_archE906ELNS1_3gpuE6ELNS1_3repE0EEENS1_30default_config_static_selectorELNS0_4arch9wavefront6targetE1EEEvT1_, .Lfunc_end561-_ZN7rocprim17ROCPRIM_400000_NS6detail17trampoline_kernelINS0_14default_configENS1_25partition_config_selectorILNS1_17partition_subalgoE8EyNS0_10empty_typeEbEEZZNS1_14partition_implILS5_8ELb0ES3_jN6thrust23THRUST_200600_302600_NS6detail15normal_iteratorINSA_10device_ptrIyEEEEPS6_PKS6_NS0_5tupleIJNSA_16discard_iteratorINSA_11use_defaultEEES6_EEENSJ_IJSG_SG_EEENS0_18inequality_wrapperINSA_8equal_toIyEEEEPmJS6_EEE10hipError_tPvRmT3_T4_T5_T6_T7_T9_mT8_P12ihipStream_tbDpT10_ENKUlT_T0_E_clISt17integral_constantIbLb0EES1C_IbLb1EEEEDaS18_S19_EUlS18_E_NS1_11comp_targetILNS1_3genE2ELNS1_11target_archE906ELNS1_3gpuE6ELNS1_3repE0EEENS1_30default_config_static_selectorELNS0_4arch9wavefront6targetE1EEEvT1_
                                        ; -- End function
	.set _ZN7rocprim17ROCPRIM_400000_NS6detail17trampoline_kernelINS0_14default_configENS1_25partition_config_selectorILNS1_17partition_subalgoE8EyNS0_10empty_typeEbEEZZNS1_14partition_implILS5_8ELb0ES3_jN6thrust23THRUST_200600_302600_NS6detail15normal_iteratorINSA_10device_ptrIyEEEEPS6_PKS6_NS0_5tupleIJNSA_16discard_iteratorINSA_11use_defaultEEES6_EEENSJ_IJSG_SG_EEENS0_18inequality_wrapperINSA_8equal_toIyEEEEPmJS6_EEE10hipError_tPvRmT3_T4_T5_T6_T7_T9_mT8_P12ihipStream_tbDpT10_ENKUlT_T0_E_clISt17integral_constantIbLb0EES1C_IbLb1EEEEDaS18_S19_EUlS18_E_NS1_11comp_targetILNS1_3genE2ELNS1_11target_archE906ELNS1_3gpuE6ELNS1_3repE0EEENS1_30default_config_static_selectorELNS0_4arch9wavefront6targetE1EEEvT1_.num_vgpr, 59
	.set _ZN7rocprim17ROCPRIM_400000_NS6detail17trampoline_kernelINS0_14default_configENS1_25partition_config_selectorILNS1_17partition_subalgoE8EyNS0_10empty_typeEbEEZZNS1_14partition_implILS5_8ELb0ES3_jN6thrust23THRUST_200600_302600_NS6detail15normal_iteratorINSA_10device_ptrIyEEEEPS6_PKS6_NS0_5tupleIJNSA_16discard_iteratorINSA_11use_defaultEEES6_EEENSJ_IJSG_SG_EEENS0_18inequality_wrapperINSA_8equal_toIyEEEEPmJS6_EEE10hipError_tPvRmT3_T4_T5_T6_T7_T9_mT8_P12ihipStream_tbDpT10_ENKUlT_T0_E_clISt17integral_constantIbLb0EES1C_IbLb1EEEEDaS18_S19_EUlS18_E_NS1_11comp_targetILNS1_3genE2ELNS1_11target_archE906ELNS1_3gpuE6ELNS1_3repE0EEENS1_30default_config_static_selectorELNS0_4arch9wavefront6targetE1EEEvT1_.num_agpr, 0
	.set _ZN7rocprim17ROCPRIM_400000_NS6detail17trampoline_kernelINS0_14default_configENS1_25partition_config_selectorILNS1_17partition_subalgoE8EyNS0_10empty_typeEbEEZZNS1_14partition_implILS5_8ELb0ES3_jN6thrust23THRUST_200600_302600_NS6detail15normal_iteratorINSA_10device_ptrIyEEEEPS6_PKS6_NS0_5tupleIJNSA_16discard_iteratorINSA_11use_defaultEEES6_EEENSJ_IJSG_SG_EEENS0_18inequality_wrapperINSA_8equal_toIyEEEEPmJS6_EEE10hipError_tPvRmT3_T4_T5_T6_T7_T9_mT8_P12ihipStream_tbDpT10_ENKUlT_T0_E_clISt17integral_constantIbLb0EES1C_IbLb1EEEEDaS18_S19_EUlS18_E_NS1_11comp_targetILNS1_3genE2ELNS1_11target_archE906ELNS1_3gpuE6ELNS1_3repE0EEENS1_30default_config_static_selectorELNS0_4arch9wavefront6targetE1EEEvT1_.numbered_sgpr, 35
	.set _ZN7rocprim17ROCPRIM_400000_NS6detail17trampoline_kernelINS0_14default_configENS1_25partition_config_selectorILNS1_17partition_subalgoE8EyNS0_10empty_typeEbEEZZNS1_14partition_implILS5_8ELb0ES3_jN6thrust23THRUST_200600_302600_NS6detail15normal_iteratorINSA_10device_ptrIyEEEEPS6_PKS6_NS0_5tupleIJNSA_16discard_iteratorINSA_11use_defaultEEES6_EEENSJ_IJSG_SG_EEENS0_18inequality_wrapperINSA_8equal_toIyEEEEPmJS6_EEE10hipError_tPvRmT3_T4_T5_T6_T7_T9_mT8_P12ihipStream_tbDpT10_ENKUlT_T0_E_clISt17integral_constantIbLb0EES1C_IbLb1EEEEDaS18_S19_EUlS18_E_NS1_11comp_targetILNS1_3genE2ELNS1_11target_archE906ELNS1_3gpuE6ELNS1_3repE0EEENS1_30default_config_static_selectorELNS0_4arch9wavefront6targetE1EEEvT1_.num_named_barrier, 0
	.set _ZN7rocprim17ROCPRIM_400000_NS6detail17trampoline_kernelINS0_14default_configENS1_25partition_config_selectorILNS1_17partition_subalgoE8EyNS0_10empty_typeEbEEZZNS1_14partition_implILS5_8ELb0ES3_jN6thrust23THRUST_200600_302600_NS6detail15normal_iteratorINSA_10device_ptrIyEEEEPS6_PKS6_NS0_5tupleIJNSA_16discard_iteratorINSA_11use_defaultEEES6_EEENSJ_IJSG_SG_EEENS0_18inequality_wrapperINSA_8equal_toIyEEEEPmJS6_EEE10hipError_tPvRmT3_T4_T5_T6_T7_T9_mT8_P12ihipStream_tbDpT10_ENKUlT_T0_E_clISt17integral_constantIbLb0EES1C_IbLb1EEEEDaS18_S19_EUlS18_E_NS1_11comp_targetILNS1_3genE2ELNS1_11target_archE906ELNS1_3gpuE6ELNS1_3repE0EEENS1_30default_config_static_selectorELNS0_4arch9wavefront6targetE1EEEvT1_.private_seg_size, 0
	.set _ZN7rocprim17ROCPRIM_400000_NS6detail17trampoline_kernelINS0_14default_configENS1_25partition_config_selectorILNS1_17partition_subalgoE8EyNS0_10empty_typeEbEEZZNS1_14partition_implILS5_8ELb0ES3_jN6thrust23THRUST_200600_302600_NS6detail15normal_iteratorINSA_10device_ptrIyEEEEPS6_PKS6_NS0_5tupleIJNSA_16discard_iteratorINSA_11use_defaultEEES6_EEENSJ_IJSG_SG_EEENS0_18inequality_wrapperINSA_8equal_toIyEEEEPmJS6_EEE10hipError_tPvRmT3_T4_T5_T6_T7_T9_mT8_P12ihipStream_tbDpT10_ENKUlT_T0_E_clISt17integral_constantIbLb0EES1C_IbLb1EEEEDaS18_S19_EUlS18_E_NS1_11comp_targetILNS1_3genE2ELNS1_11target_archE906ELNS1_3gpuE6ELNS1_3repE0EEENS1_30default_config_static_selectorELNS0_4arch9wavefront6targetE1EEEvT1_.uses_vcc, 1
	.set _ZN7rocprim17ROCPRIM_400000_NS6detail17trampoline_kernelINS0_14default_configENS1_25partition_config_selectorILNS1_17partition_subalgoE8EyNS0_10empty_typeEbEEZZNS1_14partition_implILS5_8ELb0ES3_jN6thrust23THRUST_200600_302600_NS6detail15normal_iteratorINSA_10device_ptrIyEEEEPS6_PKS6_NS0_5tupleIJNSA_16discard_iteratorINSA_11use_defaultEEES6_EEENSJ_IJSG_SG_EEENS0_18inequality_wrapperINSA_8equal_toIyEEEEPmJS6_EEE10hipError_tPvRmT3_T4_T5_T6_T7_T9_mT8_P12ihipStream_tbDpT10_ENKUlT_T0_E_clISt17integral_constantIbLb0EES1C_IbLb1EEEEDaS18_S19_EUlS18_E_NS1_11comp_targetILNS1_3genE2ELNS1_11target_archE906ELNS1_3gpuE6ELNS1_3repE0EEENS1_30default_config_static_selectorELNS0_4arch9wavefront6targetE1EEEvT1_.uses_flat_scratch, 0
	.set _ZN7rocprim17ROCPRIM_400000_NS6detail17trampoline_kernelINS0_14default_configENS1_25partition_config_selectorILNS1_17partition_subalgoE8EyNS0_10empty_typeEbEEZZNS1_14partition_implILS5_8ELb0ES3_jN6thrust23THRUST_200600_302600_NS6detail15normal_iteratorINSA_10device_ptrIyEEEEPS6_PKS6_NS0_5tupleIJNSA_16discard_iteratorINSA_11use_defaultEEES6_EEENSJ_IJSG_SG_EEENS0_18inequality_wrapperINSA_8equal_toIyEEEEPmJS6_EEE10hipError_tPvRmT3_T4_T5_T6_T7_T9_mT8_P12ihipStream_tbDpT10_ENKUlT_T0_E_clISt17integral_constantIbLb0EES1C_IbLb1EEEEDaS18_S19_EUlS18_E_NS1_11comp_targetILNS1_3genE2ELNS1_11target_archE906ELNS1_3gpuE6ELNS1_3repE0EEENS1_30default_config_static_selectorELNS0_4arch9wavefront6targetE1EEEvT1_.has_dyn_sized_stack, 0
	.set _ZN7rocprim17ROCPRIM_400000_NS6detail17trampoline_kernelINS0_14default_configENS1_25partition_config_selectorILNS1_17partition_subalgoE8EyNS0_10empty_typeEbEEZZNS1_14partition_implILS5_8ELb0ES3_jN6thrust23THRUST_200600_302600_NS6detail15normal_iteratorINSA_10device_ptrIyEEEEPS6_PKS6_NS0_5tupleIJNSA_16discard_iteratorINSA_11use_defaultEEES6_EEENSJ_IJSG_SG_EEENS0_18inequality_wrapperINSA_8equal_toIyEEEEPmJS6_EEE10hipError_tPvRmT3_T4_T5_T6_T7_T9_mT8_P12ihipStream_tbDpT10_ENKUlT_T0_E_clISt17integral_constantIbLb0EES1C_IbLb1EEEEDaS18_S19_EUlS18_E_NS1_11comp_targetILNS1_3genE2ELNS1_11target_archE906ELNS1_3gpuE6ELNS1_3repE0EEENS1_30default_config_static_selectorELNS0_4arch9wavefront6targetE1EEEvT1_.has_recursion, 0
	.set _ZN7rocprim17ROCPRIM_400000_NS6detail17trampoline_kernelINS0_14default_configENS1_25partition_config_selectorILNS1_17partition_subalgoE8EyNS0_10empty_typeEbEEZZNS1_14partition_implILS5_8ELb0ES3_jN6thrust23THRUST_200600_302600_NS6detail15normal_iteratorINSA_10device_ptrIyEEEEPS6_PKS6_NS0_5tupleIJNSA_16discard_iteratorINSA_11use_defaultEEES6_EEENSJ_IJSG_SG_EEENS0_18inequality_wrapperINSA_8equal_toIyEEEEPmJS6_EEE10hipError_tPvRmT3_T4_T5_T6_T7_T9_mT8_P12ihipStream_tbDpT10_ENKUlT_T0_E_clISt17integral_constantIbLb0EES1C_IbLb1EEEEDaS18_S19_EUlS18_E_NS1_11comp_targetILNS1_3genE2ELNS1_11target_archE906ELNS1_3gpuE6ELNS1_3repE0EEENS1_30default_config_static_selectorELNS0_4arch9wavefront6targetE1EEEvT1_.has_indirect_call, 0
	.section	.AMDGPU.csdata,"",@progbits
; Kernel info:
; codeLenInByte = 4248
; TotalNumSgprs: 39
; NumVgprs: 59
; ScratchSize: 0
; MemoryBound: 0
; FloatMode: 240
; IeeeMode: 1
; LDSByteSize: 14344 bytes/workgroup (compile time only)
; SGPRBlocks: 12
; VGPRBlocks: 14
; NumSGPRsForWavesPerEU: 102
; NumVGPRsForWavesPerEU: 59
; Occupancy: 4
; WaveLimiterHint : 1
; COMPUTE_PGM_RSRC2:SCRATCH_EN: 0
; COMPUTE_PGM_RSRC2:USER_SGPR: 6
; COMPUTE_PGM_RSRC2:TRAP_HANDLER: 0
; COMPUTE_PGM_RSRC2:TGID_X_EN: 1
; COMPUTE_PGM_RSRC2:TGID_Y_EN: 0
; COMPUTE_PGM_RSRC2:TGID_Z_EN: 0
; COMPUTE_PGM_RSRC2:TIDIG_COMP_CNT: 0
	.section	.text._ZN7rocprim17ROCPRIM_400000_NS6detail17trampoline_kernelINS0_14default_configENS1_25partition_config_selectorILNS1_17partition_subalgoE8EyNS0_10empty_typeEbEEZZNS1_14partition_implILS5_8ELb0ES3_jN6thrust23THRUST_200600_302600_NS6detail15normal_iteratorINSA_10device_ptrIyEEEEPS6_PKS6_NS0_5tupleIJNSA_16discard_iteratorINSA_11use_defaultEEES6_EEENSJ_IJSG_SG_EEENS0_18inequality_wrapperINSA_8equal_toIyEEEEPmJS6_EEE10hipError_tPvRmT3_T4_T5_T6_T7_T9_mT8_P12ihipStream_tbDpT10_ENKUlT_T0_E_clISt17integral_constantIbLb0EES1C_IbLb1EEEEDaS18_S19_EUlS18_E_NS1_11comp_targetILNS1_3genE10ELNS1_11target_archE1200ELNS1_3gpuE4ELNS1_3repE0EEENS1_30default_config_static_selectorELNS0_4arch9wavefront6targetE1EEEvT1_,"axG",@progbits,_ZN7rocprim17ROCPRIM_400000_NS6detail17trampoline_kernelINS0_14default_configENS1_25partition_config_selectorILNS1_17partition_subalgoE8EyNS0_10empty_typeEbEEZZNS1_14partition_implILS5_8ELb0ES3_jN6thrust23THRUST_200600_302600_NS6detail15normal_iteratorINSA_10device_ptrIyEEEEPS6_PKS6_NS0_5tupleIJNSA_16discard_iteratorINSA_11use_defaultEEES6_EEENSJ_IJSG_SG_EEENS0_18inequality_wrapperINSA_8equal_toIyEEEEPmJS6_EEE10hipError_tPvRmT3_T4_T5_T6_T7_T9_mT8_P12ihipStream_tbDpT10_ENKUlT_T0_E_clISt17integral_constantIbLb0EES1C_IbLb1EEEEDaS18_S19_EUlS18_E_NS1_11comp_targetILNS1_3genE10ELNS1_11target_archE1200ELNS1_3gpuE4ELNS1_3repE0EEENS1_30default_config_static_selectorELNS0_4arch9wavefront6targetE1EEEvT1_,comdat
	.protected	_ZN7rocprim17ROCPRIM_400000_NS6detail17trampoline_kernelINS0_14default_configENS1_25partition_config_selectorILNS1_17partition_subalgoE8EyNS0_10empty_typeEbEEZZNS1_14partition_implILS5_8ELb0ES3_jN6thrust23THRUST_200600_302600_NS6detail15normal_iteratorINSA_10device_ptrIyEEEEPS6_PKS6_NS0_5tupleIJNSA_16discard_iteratorINSA_11use_defaultEEES6_EEENSJ_IJSG_SG_EEENS0_18inequality_wrapperINSA_8equal_toIyEEEEPmJS6_EEE10hipError_tPvRmT3_T4_T5_T6_T7_T9_mT8_P12ihipStream_tbDpT10_ENKUlT_T0_E_clISt17integral_constantIbLb0EES1C_IbLb1EEEEDaS18_S19_EUlS18_E_NS1_11comp_targetILNS1_3genE10ELNS1_11target_archE1200ELNS1_3gpuE4ELNS1_3repE0EEENS1_30default_config_static_selectorELNS0_4arch9wavefront6targetE1EEEvT1_ ; -- Begin function _ZN7rocprim17ROCPRIM_400000_NS6detail17trampoline_kernelINS0_14default_configENS1_25partition_config_selectorILNS1_17partition_subalgoE8EyNS0_10empty_typeEbEEZZNS1_14partition_implILS5_8ELb0ES3_jN6thrust23THRUST_200600_302600_NS6detail15normal_iteratorINSA_10device_ptrIyEEEEPS6_PKS6_NS0_5tupleIJNSA_16discard_iteratorINSA_11use_defaultEEES6_EEENSJ_IJSG_SG_EEENS0_18inequality_wrapperINSA_8equal_toIyEEEEPmJS6_EEE10hipError_tPvRmT3_T4_T5_T6_T7_T9_mT8_P12ihipStream_tbDpT10_ENKUlT_T0_E_clISt17integral_constantIbLb0EES1C_IbLb1EEEEDaS18_S19_EUlS18_E_NS1_11comp_targetILNS1_3genE10ELNS1_11target_archE1200ELNS1_3gpuE4ELNS1_3repE0EEENS1_30default_config_static_selectorELNS0_4arch9wavefront6targetE1EEEvT1_
	.globl	_ZN7rocprim17ROCPRIM_400000_NS6detail17trampoline_kernelINS0_14default_configENS1_25partition_config_selectorILNS1_17partition_subalgoE8EyNS0_10empty_typeEbEEZZNS1_14partition_implILS5_8ELb0ES3_jN6thrust23THRUST_200600_302600_NS6detail15normal_iteratorINSA_10device_ptrIyEEEEPS6_PKS6_NS0_5tupleIJNSA_16discard_iteratorINSA_11use_defaultEEES6_EEENSJ_IJSG_SG_EEENS0_18inequality_wrapperINSA_8equal_toIyEEEEPmJS6_EEE10hipError_tPvRmT3_T4_T5_T6_T7_T9_mT8_P12ihipStream_tbDpT10_ENKUlT_T0_E_clISt17integral_constantIbLb0EES1C_IbLb1EEEEDaS18_S19_EUlS18_E_NS1_11comp_targetILNS1_3genE10ELNS1_11target_archE1200ELNS1_3gpuE4ELNS1_3repE0EEENS1_30default_config_static_selectorELNS0_4arch9wavefront6targetE1EEEvT1_
	.p2align	8
	.type	_ZN7rocprim17ROCPRIM_400000_NS6detail17trampoline_kernelINS0_14default_configENS1_25partition_config_selectorILNS1_17partition_subalgoE8EyNS0_10empty_typeEbEEZZNS1_14partition_implILS5_8ELb0ES3_jN6thrust23THRUST_200600_302600_NS6detail15normal_iteratorINSA_10device_ptrIyEEEEPS6_PKS6_NS0_5tupleIJNSA_16discard_iteratorINSA_11use_defaultEEES6_EEENSJ_IJSG_SG_EEENS0_18inequality_wrapperINSA_8equal_toIyEEEEPmJS6_EEE10hipError_tPvRmT3_T4_T5_T6_T7_T9_mT8_P12ihipStream_tbDpT10_ENKUlT_T0_E_clISt17integral_constantIbLb0EES1C_IbLb1EEEEDaS18_S19_EUlS18_E_NS1_11comp_targetILNS1_3genE10ELNS1_11target_archE1200ELNS1_3gpuE4ELNS1_3repE0EEENS1_30default_config_static_selectorELNS0_4arch9wavefront6targetE1EEEvT1_,@function
_ZN7rocprim17ROCPRIM_400000_NS6detail17trampoline_kernelINS0_14default_configENS1_25partition_config_selectorILNS1_17partition_subalgoE8EyNS0_10empty_typeEbEEZZNS1_14partition_implILS5_8ELb0ES3_jN6thrust23THRUST_200600_302600_NS6detail15normal_iteratorINSA_10device_ptrIyEEEEPS6_PKS6_NS0_5tupleIJNSA_16discard_iteratorINSA_11use_defaultEEES6_EEENSJ_IJSG_SG_EEENS0_18inequality_wrapperINSA_8equal_toIyEEEEPmJS6_EEE10hipError_tPvRmT3_T4_T5_T6_T7_T9_mT8_P12ihipStream_tbDpT10_ENKUlT_T0_E_clISt17integral_constantIbLb0EES1C_IbLb1EEEEDaS18_S19_EUlS18_E_NS1_11comp_targetILNS1_3genE10ELNS1_11target_archE1200ELNS1_3gpuE4ELNS1_3repE0EEENS1_30default_config_static_selectorELNS0_4arch9wavefront6targetE1EEEvT1_: ; @_ZN7rocprim17ROCPRIM_400000_NS6detail17trampoline_kernelINS0_14default_configENS1_25partition_config_selectorILNS1_17partition_subalgoE8EyNS0_10empty_typeEbEEZZNS1_14partition_implILS5_8ELb0ES3_jN6thrust23THRUST_200600_302600_NS6detail15normal_iteratorINSA_10device_ptrIyEEEEPS6_PKS6_NS0_5tupleIJNSA_16discard_iteratorINSA_11use_defaultEEES6_EEENSJ_IJSG_SG_EEENS0_18inequality_wrapperINSA_8equal_toIyEEEEPmJS6_EEE10hipError_tPvRmT3_T4_T5_T6_T7_T9_mT8_P12ihipStream_tbDpT10_ENKUlT_T0_E_clISt17integral_constantIbLb0EES1C_IbLb1EEEEDaS18_S19_EUlS18_E_NS1_11comp_targetILNS1_3genE10ELNS1_11target_archE1200ELNS1_3gpuE4ELNS1_3repE0EEENS1_30default_config_static_selectorELNS0_4arch9wavefront6targetE1EEEvT1_
; %bb.0:
	.section	.rodata,"a",@progbits
	.p2align	6, 0x0
	.amdhsa_kernel _ZN7rocprim17ROCPRIM_400000_NS6detail17trampoline_kernelINS0_14default_configENS1_25partition_config_selectorILNS1_17partition_subalgoE8EyNS0_10empty_typeEbEEZZNS1_14partition_implILS5_8ELb0ES3_jN6thrust23THRUST_200600_302600_NS6detail15normal_iteratorINSA_10device_ptrIyEEEEPS6_PKS6_NS0_5tupleIJNSA_16discard_iteratorINSA_11use_defaultEEES6_EEENSJ_IJSG_SG_EEENS0_18inequality_wrapperINSA_8equal_toIyEEEEPmJS6_EEE10hipError_tPvRmT3_T4_T5_T6_T7_T9_mT8_P12ihipStream_tbDpT10_ENKUlT_T0_E_clISt17integral_constantIbLb0EES1C_IbLb1EEEEDaS18_S19_EUlS18_E_NS1_11comp_targetILNS1_3genE10ELNS1_11target_archE1200ELNS1_3gpuE4ELNS1_3repE0EEENS1_30default_config_static_selectorELNS0_4arch9wavefront6targetE1EEEvT1_
		.amdhsa_group_segment_fixed_size 0
		.amdhsa_private_segment_fixed_size 0
		.amdhsa_kernarg_size 136
		.amdhsa_user_sgpr_count 6
		.amdhsa_user_sgpr_private_segment_buffer 1
		.amdhsa_user_sgpr_dispatch_ptr 0
		.amdhsa_user_sgpr_queue_ptr 0
		.amdhsa_user_sgpr_kernarg_segment_ptr 1
		.amdhsa_user_sgpr_dispatch_id 0
		.amdhsa_user_sgpr_flat_scratch_init 0
		.amdhsa_user_sgpr_private_segment_size 0
		.amdhsa_uses_dynamic_stack 0
		.amdhsa_system_sgpr_private_segment_wavefront_offset 0
		.amdhsa_system_sgpr_workgroup_id_x 1
		.amdhsa_system_sgpr_workgroup_id_y 0
		.amdhsa_system_sgpr_workgroup_id_z 0
		.amdhsa_system_sgpr_workgroup_info 0
		.amdhsa_system_vgpr_workitem_id 0
		.amdhsa_next_free_vgpr 1
		.amdhsa_next_free_sgpr 0
		.amdhsa_reserve_vcc 0
		.amdhsa_reserve_flat_scratch 0
		.amdhsa_float_round_mode_32 0
		.amdhsa_float_round_mode_16_64 0
		.amdhsa_float_denorm_mode_32 3
		.amdhsa_float_denorm_mode_16_64 3
		.amdhsa_dx10_clamp 1
		.amdhsa_ieee_mode 1
		.amdhsa_fp16_overflow 0
		.amdhsa_exception_fp_ieee_invalid_op 0
		.amdhsa_exception_fp_denorm_src 0
		.amdhsa_exception_fp_ieee_div_zero 0
		.amdhsa_exception_fp_ieee_overflow 0
		.amdhsa_exception_fp_ieee_underflow 0
		.amdhsa_exception_fp_ieee_inexact 0
		.amdhsa_exception_int_div_zero 0
	.end_amdhsa_kernel
	.section	.text._ZN7rocprim17ROCPRIM_400000_NS6detail17trampoline_kernelINS0_14default_configENS1_25partition_config_selectorILNS1_17partition_subalgoE8EyNS0_10empty_typeEbEEZZNS1_14partition_implILS5_8ELb0ES3_jN6thrust23THRUST_200600_302600_NS6detail15normal_iteratorINSA_10device_ptrIyEEEEPS6_PKS6_NS0_5tupleIJNSA_16discard_iteratorINSA_11use_defaultEEES6_EEENSJ_IJSG_SG_EEENS0_18inequality_wrapperINSA_8equal_toIyEEEEPmJS6_EEE10hipError_tPvRmT3_T4_T5_T6_T7_T9_mT8_P12ihipStream_tbDpT10_ENKUlT_T0_E_clISt17integral_constantIbLb0EES1C_IbLb1EEEEDaS18_S19_EUlS18_E_NS1_11comp_targetILNS1_3genE10ELNS1_11target_archE1200ELNS1_3gpuE4ELNS1_3repE0EEENS1_30default_config_static_selectorELNS0_4arch9wavefront6targetE1EEEvT1_,"axG",@progbits,_ZN7rocprim17ROCPRIM_400000_NS6detail17trampoline_kernelINS0_14default_configENS1_25partition_config_selectorILNS1_17partition_subalgoE8EyNS0_10empty_typeEbEEZZNS1_14partition_implILS5_8ELb0ES3_jN6thrust23THRUST_200600_302600_NS6detail15normal_iteratorINSA_10device_ptrIyEEEEPS6_PKS6_NS0_5tupleIJNSA_16discard_iteratorINSA_11use_defaultEEES6_EEENSJ_IJSG_SG_EEENS0_18inequality_wrapperINSA_8equal_toIyEEEEPmJS6_EEE10hipError_tPvRmT3_T4_T5_T6_T7_T9_mT8_P12ihipStream_tbDpT10_ENKUlT_T0_E_clISt17integral_constantIbLb0EES1C_IbLb1EEEEDaS18_S19_EUlS18_E_NS1_11comp_targetILNS1_3genE10ELNS1_11target_archE1200ELNS1_3gpuE4ELNS1_3repE0EEENS1_30default_config_static_selectorELNS0_4arch9wavefront6targetE1EEEvT1_,comdat
.Lfunc_end562:
	.size	_ZN7rocprim17ROCPRIM_400000_NS6detail17trampoline_kernelINS0_14default_configENS1_25partition_config_selectorILNS1_17partition_subalgoE8EyNS0_10empty_typeEbEEZZNS1_14partition_implILS5_8ELb0ES3_jN6thrust23THRUST_200600_302600_NS6detail15normal_iteratorINSA_10device_ptrIyEEEEPS6_PKS6_NS0_5tupleIJNSA_16discard_iteratorINSA_11use_defaultEEES6_EEENSJ_IJSG_SG_EEENS0_18inequality_wrapperINSA_8equal_toIyEEEEPmJS6_EEE10hipError_tPvRmT3_T4_T5_T6_T7_T9_mT8_P12ihipStream_tbDpT10_ENKUlT_T0_E_clISt17integral_constantIbLb0EES1C_IbLb1EEEEDaS18_S19_EUlS18_E_NS1_11comp_targetILNS1_3genE10ELNS1_11target_archE1200ELNS1_3gpuE4ELNS1_3repE0EEENS1_30default_config_static_selectorELNS0_4arch9wavefront6targetE1EEEvT1_, .Lfunc_end562-_ZN7rocprim17ROCPRIM_400000_NS6detail17trampoline_kernelINS0_14default_configENS1_25partition_config_selectorILNS1_17partition_subalgoE8EyNS0_10empty_typeEbEEZZNS1_14partition_implILS5_8ELb0ES3_jN6thrust23THRUST_200600_302600_NS6detail15normal_iteratorINSA_10device_ptrIyEEEEPS6_PKS6_NS0_5tupleIJNSA_16discard_iteratorINSA_11use_defaultEEES6_EEENSJ_IJSG_SG_EEENS0_18inequality_wrapperINSA_8equal_toIyEEEEPmJS6_EEE10hipError_tPvRmT3_T4_T5_T6_T7_T9_mT8_P12ihipStream_tbDpT10_ENKUlT_T0_E_clISt17integral_constantIbLb0EES1C_IbLb1EEEEDaS18_S19_EUlS18_E_NS1_11comp_targetILNS1_3genE10ELNS1_11target_archE1200ELNS1_3gpuE4ELNS1_3repE0EEENS1_30default_config_static_selectorELNS0_4arch9wavefront6targetE1EEEvT1_
                                        ; -- End function
	.set _ZN7rocprim17ROCPRIM_400000_NS6detail17trampoline_kernelINS0_14default_configENS1_25partition_config_selectorILNS1_17partition_subalgoE8EyNS0_10empty_typeEbEEZZNS1_14partition_implILS5_8ELb0ES3_jN6thrust23THRUST_200600_302600_NS6detail15normal_iteratorINSA_10device_ptrIyEEEEPS6_PKS6_NS0_5tupleIJNSA_16discard_iteratorINSA_11use_defaultEEES6_EEENSJ_IJSG_SG_EEENS0_18inequality_wrapperINSA_8equal_toIyEEEEPmJS6_EEE10hipError_tPvRmT3_T4_T5_T6_T7_T9_mT8_P12ihipStream_tbDpT10_ENKUlT_T0_E_clISt17integral_constantIbLb0EES1C_IbLb1EEEEDaS18_S19_EUlS18_E_NS1_11comp_targetILNS1_3genE10ELNS1_11target_archE1200ELNS1_3gpuE4ELNS1_3repE0EEENS1_30default_config_static_selectorELNS0_4arch9wavefront6targetE1EEEvT1_.num_vgpr, 0
	.set _ZN7rocprim17ROCPRIM_400000_NS6detail17trampoline_kernelINS0_14default_configENS1_25partition_config_selectorILNS1_17partition_subalgoE8EyNS0_10empty_typeEbEEZZNS1_14partition_implILS5_8ELb0ES3_jN6thrust23THRUST_200600_302600_NS6detail15normal_iteratorINSA_10device_ptrIyEEEEPS6_PKS6_NS0_5tupleIJNSA_16discard_iteratorINSA_11use_defaultEEES6_EEENSJ_IJSG_SG_EEENS0_18inequality_wrapperINSA_8equal_toIyEEEEPmJS6_EEE10hipError_tPvRmT3_T4_T5_T6_T7_T9_mT8_P12ihipStream_tbDpT10_ENKUlT_T0_E_clISt17integral_constantIbLb0EES1C_IbLb1EEEEDaS18_S19_EUlS18_E_NS1_11comp_targetILNS1_3genE10ELNS1_11target_archE1200ELNS1_3gpuE4ELNS1_3repE0EEENS1_30default_config_static_selectorELNS0_4arch9wavefront6targetE1EEEvT1_.num_agpr, 0
	.set _ZN7rocprim17ROCPRIM_400000_NS6detail17trampoline_kernelINS0_14default_configENS1_25partition_config_selectorILNS1_17partition_subalgoE8EyNS0_10empty_typeEbEEZZNS1_14partition_implILS5_8ELb0ES3_jN6thrust23THRUST_200600_302600_NS6detail15normal_iteratorINSA_10device_ptrIyEEEEPS6_PKS6_NS0_5tupleIJNSA_16discard_iteratorINSA_11use_defaultEEES6_EEENSJ_IJSG_SG_EEENS0_18inequality_wrapperINSA_8equal_toIyEEEEPmJS6_EEE10hipError_tPvRmT3_T4_T5_T6_T7_T9_mT8_P12ihipStream_tbDpT10_ENKUlT_T0_E_clISt17integral_constantIbLb0EES1C_IbLb1EEEEDaS18_S19_EUlS18_E_NS1_11comp_targetILNS1_3genE10ELNS1_11target_archE1200ELNS1_3gpuE4ELNS1_3repE0EEENS1_30default_config_static_selectorELNS0_4arch9wavefront6targetE1EEEvT1_.numbered_sgpr, 0
	.set _ZN7rocprim17ROCPRIM_400000_NS6detail17trampoline_kernelINS0_14default_configENS1_25partition_config_selectorILNS1_17partition_subalgoE8EyNS0_10empty_typeEbEEZZNS1_14partition_implILS5_8ELb0ES3_jN6thrust23THRUST_200600_302600_NS6detail15normal_iteratorINSA_10device_ptrIyEEEEPS6_PKS6_NS0_5tupleIJNSA_16discard_iteratorINSA_11use_defaultEEES6_EEENSJ_IJSG_SG_EEENS0_18inequality_wrapperINSA_8equal_toIyEEEEPmJS6_EEE10hipError_tPvRmT3_T4_T5_T6_T7_T9_mT8_P12ihipStream_tbDpT10_ENKUlT_T0_E_clISt17integral_constantIbLb0EES1C_IbLb1EEEEDaS18_S19_EUlS18_E_NS1_11comp_targetILNS1_3genE10ELNS1_11target_archE1200ELNS1_3gpuE4ELNS1_3repE0EEENS1_30default_config_static_selectorELNS0_4arch9wavefront6targetE1EEEvT1_.num_named_barrier, 0
	.set _ZN7rocprim17ROCPRIM_400000_NS6detail17trampoline_kernelINS0_14default_configENS1_25partition_config_selectorILNS1_17partition_subalgoE8EyNS0_10empty_typeEbEEZZNS1_14partition_implILS5_8ELb0ES3_jN6thrust23THRUST_200600_302600_NS6detail15normal_iteratorINSA_10device_ptrIyEEEEPS6_PKS6_NS0_5tupleIJNSA_16discard_iteratorINSA_11use_defaultEEES6_EEENSJ_IJSG_SG_EEENS0_18inequality_wrapperINSA_8equal_toIyEEEEPmJS6_EEE10hipError_tPvRmT3_T4_T5_T6_T7_T9_mT8_P12ihipStream_tbDpT10_ENKUlT_T0_E_clISt17integral_constantIbLb0EES1C_IbLb1EEEEDaS18_S19_EUlS18_E_NS1_11comp_targetILNS1_3genE10ELNS1_11target_archE1200ELNS1_3gpuE4ELNS1_3repE0EEENS1_30default_config_static_selectorELNS0_4arch9wavefront6targetE1EEEvT1_.private_seg_size, 0
	.set _ZN7rocprim17ROCPRIM_400000_NS6detail17trampoline_kernelINS0_14default_configENS1_25partition_config_selectorILNS1_17partition_subalgoE8EyNS0_10empty_typeEbEEZZNS1_14partition_implILS5_8ELb0ES3_jN6thrust23THRUST_200600_302600_NS6detail15normal_iteratorINSA_10device_ptrIyEEEEPS6_PKS6_NS0_5tupleIJNSA_16discard_iteratorINSA_11use_defaultEEES6_EEENSJ_IJSG_SG_EEENS0_18inequality_wrapperINSA_8equal_toIyEEEEPmJS6_EEE10hipError_tPvRmT3_T4_T5_T6_T7_T9_mT8_P12ihipStream_tbDpT10_ENKUlT_T0_E_clISt17integral_constantIbLb0EES1C_IbLb1EEEEDaS18_S19_EUlS18_E_NS1_11comp_targetILNS1_3genE10ELNS1_11target_archE1200ELNS1_3gpuE4ELNS1_3repE0EEENS1_30default_config_static_selectorELNS0_4arch9wavefront6targetE1EEEvT1_.uses_vcc, 0
	.set _ZN7rocprim17ROCPRIM_400000_NS6detail17trampoline_kernelINS0_14default_configENS1_25partition_config_selectorILNS1_17partition_subalgoE8EyNS0_10empty_typeEbEEZZNS1_14partition_implILS5_8ELb0ES3_jN6thrust23THRUST_200600_302600_NS6detail15normal_iteratorINSA_10device_ptrIyEEEEPS6_PKS6_NS0_5tupleIJNSA_16discard_iteratorINSA_11use_defaultEEES6_EEENSJ_IJSG_SG_EEENS0_18inequality_wrapperINSA_8equal_toIyEEEEPmJS6_EEE10hipError_tPvRmT3_T4_T5_T6_T7_T9_mT8_P12ihipStream_tbDpT10_ENKUlT_T0_E_clISt17integral_constantIbLb0EES1C_IbLb1EEEEDaS18_S19_EUlS18_E_NS1_11comp_targetILNS1_3genE10ELNS1_11target_archE1200ELNS1_3gpuE4ELNS1_3repE0EEENS1_30default_config_static_selectorELNS0_4arch9wavefront6targetE1EEEvT1_.uses_flat_scratch, 0
	.set _ZN7rocprim17ROCPRIM_400000_NS6detail17trampoline_kernelINS0_14default_configENS1_25partition_config_selectorILNS1_17partition_subalgoE8EyNS0_10empty_typeEbEEZZNS1_14partition_implILS5_8ELb0ES3_jN6thrust23THRUST_200600_302600_NS6detail15normal_iteratorINSA_10device_ptrIyEEEEPS6_PKS6_NS0_5tupleIJNSA_16discard_iteratorINSA_11use_defaultEEES6_EEENSJ_IJSG_SG_EEENS0_18inequality_wrapperINSA_8equal_toIyEEEEPmJS6_EEE10hipError_tPvRmT3_T4_T5_T6_T7_T9_mT8_P12ihipStream_tbDpT10_ENKUlT_T0_E_clISt17integral_constantIbLb0EES1C_IbLb1EEEEDaS18_S19_EUlS18_E_NS1_11comp_targetILNS1_3genE10ELNS1_11target_archE1200ELNS1_3gpuE4ELNS1_3repE0EEENS1_30default_config_static_selectorELNS0_4arch9wavefront6targetE1EEEvT1_.has_dyn_sized_stack, 0
	.set _ZN7rocprim17ROCPRIM_400000_NS6detail17trampoline_kernelINS0_14default_configENS1_25partition_config_selectorILNS1_17partition_subalgoE8EyNS0_10empty_typeEbEEZZNS1_14partition_implILS5_8ELb0ES3_jN6thrust23THRUST_200600_302600_NS6detail15normal_iteratorINSA_10device_ptrIyEEEEPS6_PKS6_NS0_5tupleIJNSA_16discard_iteratorINSA_11use_defaultEEES6_EEENSJ_IJSG_SG_EEENS0_18inequality_wrapperINSA_8equal_toIyEEEEPmJS6_EEE10hipError_tPvRmT3_T4_T5_T6_T7_T9_mT8_P12ihipStream_tbDpT10_ENKUlT_T0_E_clISt17integral_constantIbLb0EES1C_IbLb1EEEEDaS18_S19_EUlS18_E_NS1_11comp_targetILNS1_3genE10ELNS1_11target_archE1200ELNS1_3gpuE4ELNS1_3repE0EEENS1_30default_config_static_selectorELNS0_4arch9wavefront6targetE1EEEvT1_.has_recursion, 0
	.set _ZN7rocprim17ROCPRIM_400000_NS6detail17trampoline_kernelINS0_14default_configENS1_25partition_config_selectorILNS1_17partition_subalgoE8EyNS0_10empty_typeEbEEZZNS1_14partition_implILS5_8ELb0ES3_jN6thrust23THRUST_200600_302600_NS6detail15normal_iteratorINSA_10device_ptrIyEEEEPS6_PKS6_NS0_5tupleIJNSA_16discard_iteratorINSA_11use_defaultEEES6_EEENSJ_IJSG_SG_EEENS0_18inequality_wrapperINSA_8equal_toIyEEEEPmJS6_EEE10hipError_tPvRmT3_T4_T5_T6_T7_T9_mT8_P12ihipStream_tbDpT10_ENKUlT_T0_E_clISt17integral_constantIbLb0EES1C_IbLb1EEEEDaS18_S19_EUlS18_E_NS1_11comp_targetILNS1_3genE10ELNS1_11target_archE1200ELNS1_3gpuE4ELNS1_3repE0EEENS1_30default_config_static_selectorELNS0_4arch9wavefront6targetE1EEEvT1_.has_indirect_call, 0
	.section	.AMDGPU.csdata,"",@progbits
; Kernel info:
; codeLenInByte = 0
; TotalNumSgprs: 4
; NumVgprs: 0
; ScratchSize: 0
; MemoryBound: 0
; FloatMode: 240
; IeeeMode: 1
; LDSByteSize: 0 bytes/workgroup (compile time only)
; SGPRBlocks: 0
; VGPRBlocks: 0
; NumSGPRsForWavesPerEU: 4
; NumVGPRsForWavesPerEU: 1
; Occupancy: 10
; WaveLimiterHint : 0
; COMPUTE_PGM_RSRC2:SCRATCH_EN: 0
; COMPUTE_PGM_RSRC2:USER_SGPR: 6
; COMPUTE_PGM_RSRC2:TRAP_HANDLER: 0
; COMPUTE_PGM_RSRC2:TGID_X_EN: 1
; COMPUTE_PGM_RSRC2:TGID_Y_EN: 0
; COMPUTE_PGM_RSRC2:TGID_Z_EN: 0
; COMPUTE_PGM_RSRC2:TIDIG_COMP_CNT: 0
	.section	.text._ZN7rocprim17ROCPRIM_400000_NS6detail17trampoline_kernelINS0_14default_configENS1_25partition_config_selectorILNS1_17partition_subalgoE8EyNS0_10empty_typeEbEEZZNS1_14partition_implILS5_8ELb0ES3_jN6thrust23THRUST_200600_302600_NS6detail15normal_iteratorINSA_10device_ptrIyEEEEPS6_PKS6_NS0_5tupleIJNSA_16discard_iteratorINSA_11use_defaultEEES6_EEENSJ_IJSG_SG_EEENS0_18inequality_wrapperINSA_8equal_toIyEEEEPmJS6_EEE10hipError_tPvRmT3_T4_T5_T6_T7_T9_mT8_P12ihipStream_tbDpT10_ENKUlT_T0_E_clISt17integral_constantIbLb0EES1C_IbLb1EEEEDaS18_S19_EUlS18_E_NS1_11comp_targetILNS1_3genE9ELNS1_11target_archE1100ELNS1_3gpuE3ELNS1_3repE0EEENS1_30default_config_static_selectorELNS0_4arch9wavefront6targetE1EEEvT1_,"axG",@progbits,_ZN7rocprim17ROCPRIM_400000_NS6detail17trampoline_kernelINS0_14default_configENS1_25partition_config_selectorILNS1_17partition_subalgoE8EyNS0_10empty_typeEbEEZZNS1_14partition_implILS5_8ELb0ES3_jN6thrust23THRUST_200600_302600_NS6detail15normal_iteratorINSA_10device_ptrIyEEEEPS6_PKS6_NS0_5tupleIJNSA_16discard_iteratorINSA_11use_defaultEEES6_EEENSJ_IJSG_SG_EEENS0_18inequality_wrapperINSA_8equal_toIyEEEEPmJS6_EEE10hipError_tPvRmT3_T4_T5_T6_T7_T9_mT8_P12ihipStream_tbDpT10_ENKUlT_T0_E_clISt17integral_constantIbLb0EES1C_IbLb1EEEEDaS18_S19_EUlS18_E_NS1_11comp_targetILNS1_3genE9ELNS1_11target_archE1100ELNS1_3gpuE3ELNS1_3repE0EEENS1_30default_config_static_selectorELNS0_4arch9wavefront6targetE1EEEvT1_,comdat
	.protected	_ZN7rocprim17ROCPRIM_400000_NS6detail17trampoline_kernelINS0_14default_configENS1_25partition_config_selectorILNS1_17partition_subalgoE8EyNS0_10empty_typeEbEEZZNS1_14partition_implILS5_8ELb0ES3_jN6thrust23THRUST_200600_302600_NS6detail15normal_iteratorINSA_10device_ptrIyEEEEPS6_PKS6_NS0_5tupleIJNSA_16discard_iteratorINSA_11use_defaultEEES6_EEENSJ_IJSG_SG_EEENS0_18inequality_wrapperINSA_8equal_toIyEEEEPmJS6_EEE10hipError_tPvRmT3_T4_T5_T6_T7_T9_mT8_P12ihipStream_tbDpT10_ENKUlT_T0_E_clISt17integral_constantIbLb0EES1C_IbLb1EEEEDaS18_S19_EUlS18_E_NS1_11comp_targetILNS1_3genE9ELNS1_11target_archE1100ELNS1_3gpuE3ELNS1_3repE0EEENS1_30default_config_static_selectorELNS0_4arch9wavefront6targetE1EEEvT1_ ; -- Begin function _ZN7rocprim17ROCPRIM_400000_NS6detail17trampoline_kernelINS0_14default_configENS1_25partition_config_selectorILNS1_17partition_subalgoE8EyNS0_10empty_typeEbEEZZNS1_14partition_implILS5_8ELb0ES3_jN6thrust23THRUST_200600_302600_NS6detail15normal_iteratorINSA_10device_ptrIyEEEEPS6_PKS6_NS0_5tupleIJNSA_16discard_iteratorINSA_11use_defaultEEES6_EEENSJ_IJSG_SG_EEENS0_18inequality_wrapperINSA_8equal_toIyEEEEPmJS6_EEE10hipError_tPvRmT3_T4_T5_T6_T7_T9_mT8_P12ihipStream_tbDpT10_ENKUlT_T0_E_clISt17integral_constantIbLb0EES1C_IbLb1EEEEDaS18_S19_EUlS18_E_NS1_11comp_targetILNS1_3genE9ELNS1_11target_archE1100ELNS1_3gpuE3ELNS1_3repE0EEENS1_30default_config_static_selectorELNS0_4arch9wavefront6targetE1EEEvT1_
	.globl	_ZN7rocprim17ROCPRIM_400000_NS6detail17trampoline_kernelINS0_14default_configENS1_25partition_config_selectorILNS1_17partition_subalgoE8EyNS0_10empty_typeEbEEZZNS1_14partition_implILS5_8ELb0ES3_jN6thrust23THRUST_200600_302600_NS6detail15normal_iteratorINSA_10device_ptrIyEEEEPS6_PKS6_NS0_5tupleIJNSA_16discard_iteratorINSA_11use_defaultEEES6_EEENSJ_IJSG_SG_EEENS0_18inequality_wrapperINSA_8equal_toIyEEEEPmJS6_EEE10hipError_tPvRmT3_T4_T5_T6_T7_T9_mT8_P12ihipStream_tbDpT10_ENKUlT_T0_E_clISt17integral_constantIbLb0EES1C_IbLb1EEEEDaS18_S19_EUlS18_E_NS1_11comp_targetILNS1_3genE9ELNS1_11target_archE1100ELNS1_3gpuE3ELNS1_3repE0EEENS1_30default_config_static_selectorELNS0_4arch9wavefront6targetE1EEEvT1_
	.p2align	8
	.type	_ZN7rocprim17ROCPRIM_400000_NS6detail17trampoline_kernelINS0_14default_configENS1_25partition_config_selectorILNS1_17partition_subalgoE8EyNS0_10empty_typeEbEEZZNS1_14partition_implILS5_8ELb0ES3_jN6thrust23THRUST_200600_302600_NS6detail15normal_iteratorINSA_10device_ptrIyEEEEPS6_PKS6_NS0_5tupleIJNSA_16discard_iteratorINSA_11use_defaultEEES6_EEENSJ_IJSG_SG_EEENS0_18inequality_wrapperINSA_8equal_toIyEEEEPmJS6_EEE10hipError_tPvRmT3_T4_T5_T6_T7_T9_mT8_P12ihipStream_tbDpT10_ENKUlT_T0_E_clISt17integral_constantIbLb0EES1C_IbLb1EEEEDaS18_S19_EUlS18_E_NS1_11comp_targetILNS1_3genE9ELNS1_11target_archE1100ELNS1_3gpuE3ELNS1_3repE0EEENS1_30default_config_static_selectorELNS0_4arch9wavefront6targetE1EEEvT1_,@function
_ZN7rocprim17ROCPRIM_400000_NS6detail17trampoline_kernelINS0_14default_configENS1_25partition_config_selectorILNS1_17partition_subalgoE8EyNS0_10empty_typeEbEEZZNS1_14partition_implILS5_8ELb0ES3_jN6thrust23THRUST_200600_302600_NS6detail15normal_iteratorINSA_10device_ptrIyEEEEPS6_PKS6_NS0_5tupleIJNSA_16discard_iteratorINSA_11use_defaultEEES6_EEENSJ_IJSG_SG_EEENS0_18inequality_wrapperINSA_8equal_toIyEEEEPmJS6_EEE10hipError_tPvRmT3_T4_T5_T6_T7_T9_mT8_P12ihipStream_tbDpT10_ENKUlT_T0_E_clISt17integral_constantIbLb0EES1C_IbLb1EEEEDaS18_S19_EUlS18_E_NS1_11comp_targetILNS1_3genE9ELNS1_11target_archE1100ELNS1_3gpuE3ELNS1_3repE0EEENS1_30default_config_static_selectorELNS0_4arch9wavefront6targetE1EEEvT1_: ; @_ZN7rocprim17ROCPRIM_400000_NS6detail17trampoline_kernelINS0_14default_configENS1_25partition_config_selectorILNS1_17partition_subalgoE8EyNS0_10empty_typeEbEEZZNS1_14partition_implILS5_8ELb0ES3_jN6thrust23THRUST_200600_302600_NS6detail15normal_iteratorINSA_10device_ptrIyEEEEPS6_PKS6_NS0_5tupleIJNSA_16discard_iteratorINSA_11use_defaultEEES6_EEENSJ_IJSG_SG_EEENS0_18inequality_wrapperINSA_8equal_toIyEEEEPmJS6_EEE10hipError_tPvRmT3_T4_T5_T6_T7_T9_mT8_P12ihipStream_tbDpT10_ENKUlT_T0_E_clISt17integral_constantIbLb0EES1C_IbLb1EEEEDaS18_S19_EUlS18_E_NS1_11comp_targetILNS1_3genE9ELNS1_11target_archE1100ELNS1_3gpuE3ELNS1_3repE0EEENS1_30default_config_static_selectorELNS0_4arch9wavefront6targetE1EEEvT1_
; %bb.0:
	.section	.rodata,"a",@progbits
	.p2align	6, 0x0
	.amdhsa_kernel _ZN7rocprim17ROCPRIM_400000_NS6detail17trampoline_kernelINS0_14default_configENS1_25partition_config_selectorILNS1_17partition_subalgoE8EyNS0_10empty_typeEbEEZZNS1_14partition_implILS5_8ELb0ES3_jN6thrust23THRUST_200600_302600_NS6detail15normal_iteratorINSA_10device_ptrIyEEEEPS6_PKS6_NS0_5tupleIJNSA_16discard_iteratorINSA_11use_defaultEEES6_EEENSJ_IJSG_SG_EEENS0_18inequality_wrapperINSA_8equal_toIyEEEEPmJS6_EEE10hipError_tPvRmT3_T4_T5_T6_T7_T9_mT8_P12ihipStream_tbDpT10_ENKUlT_T0_E_clISt17integral_constantIbLb0EES1C_IbLb1EEEEDaS18_S19_EUlS18_E_NS1_11comp_targetILNS1_3genE9ELNS1_11target_archE1100ELNS1_3gpuE3ELNS1_3repE0EEENS1_30default_config_static_selectorELNS0_4arch9wavefront6targetE1EEEvT1_
		.amdhsa_group_segment_fixed_size 0
		.amdhsa_private_segment_fixed_size 0
		.amdhsa_kernarg_size 136
		.amdhsa_user_sgpr_count 6
		.amdhsa_user_sgpr_private_segment_buffer 1
		.amdhsa_user_sgpr_dispatch_ptr 0
		.amdhsa_user_sgpr_queue_ptr 0
		.amdhsa_user_sgpr_kernarg_segment_ptr 1
		.amdhsa_user_sgpr_dispatch_id 0
		.amdhsa_user_sgpr_flat_scratch_init 0
		.amdhsa_user_sgpr_private_segment_size 0
		.amdhsa_uses_dynamic_stack 0
		.amdhsa_system_sgpr_private_segment_wavefront_offset 0
		.amdhsa_system_sgpr_workgroup_id_x 1
		.amdhsa_system_sgpr_workgroup_id_y 0
		.amdhsa_system_sgpr_workgroup_id_z 0
		.amdhsa_system_sgpr_workgroup_info 0
		.amdhsa_system_vgpr_workitem_id 0
		.amdhsa_next_free_vgpr 1
		.amdhsa_next_free_sgpr 0
		.amdhsa_reserve_vcc 0
		.amdhsa_reserve_flat_scratch 0
		.amdhsa_float_round_mode_32 0
		.amdhsa_float_round_mode_16_64 0
		.amdhsa_float_denorm_mode_32 3
		.amdhsa_float_denorm_mode_16_64 3
		.amdhsa_dx10_clamp 1
		.amdhsa_ieee_mode 1
		.amdhsa_fp16_overflow 0
		.amdhsa_exception_fp_ieee_invalid_op 0
		.amdhsa_exception_fp_denorm_src 0
		.amdhsa_exception_fp_ieee_div_zero 0
		.amdhsa_exception_fp_ieee_overflow 0
		.amdhsa_exception_fp_ieee_underflow 0
		.amdhsa_exception_fp_ieee_inexact 0
		.amdhsa_exception_int_div_zero 0
	.end_amdhsa_kernel
	.section	.text._ZN7rocprim17ROCPRIM_400000_NS6detail17trampoline_kernelINS0_14default_configENS1_25partition_config_selectorILNS1_17partition_subalgoE8EyNS0_10empty_typeEbEEZZNS1_14partition_implILS5_8ELb0ES3_jN6thrust23THRUST_200600_302600_NS6detail15normal_iteratorINSA_10device_ptrIyEEEEPS6_PKS6_NS0_5tupleIJNSA_16discard_iteratorINSA_11use_defaultEEES6_EEENSJ_IJSG_SG_EEENS0_18inequality_wrapperINSA_8equal_toIyEEEEPmJS6_EEE10hipError_tPvRmT3_T4_T5_T6_T7_T9_mT8_P12ihipStream_tbDpT10_ENKUlT_T0_E_clISt17integral_constantIbLb0EES1C_IbLb1EEEEDaS18_S19_EUlS18_E_NS1_11comp_targetILNS1_3genE9ELNS1_11target_archE1100ELNS1_3gpuE3ELNS1_3repE0EEENS1_30default_config_static_selectorELNS0_4arch9wavefront6targetE1EEEvT1_,"axG",@progbits,_ZN7rocprim17ROCPRIM_400000_NS6detail17trampoline_kernelINS0_14default_configENS1_25partition_config_selectorILNS1_17partition_subalgoE8EyNS0_10empty_typeEbEEZZNS1_14partition_implILS5_8ELb0ES3_jN6thrust23THRUST_200600_302600_NS6detail15normal_iteratorINSA_10device_ptrIyEEEEPS6_PKS6_NS0_5tupleIJNSA_16discard_iteratorINSA_11use_defaultEEES6_EEENSJ_IJSG_SG_EEENS0_18inequality_wrapperINSA_8equal_toIyEEEEPmJS6_EEE10hipError_tPvRmT3_T4_T5_T6_T7_T9_mT8_P12ihipStream_tbDpT10_ENKUlT_T0_E_clISt17integral_constantIbLb0EES1C_IbLb1EEEEDaS18_S19_EUlS18_E_NS1_11comp_targetILNS1_3genE9ELNS1_11target_archE1100ELNS1_3gpuE3ELNS1_3repE0EEENS1_30default_config_static_selectorELNS0_4arch9wavefront6targetE1EEEvT1_,comdat
.Lfunc_end563:
	.size	_ZN7rocprim17ROCPRIM_400000_NS6detail17trampoline_kernelINS0_14default_configENS1_25partition_config_selectorILNS1_17partition_subalgoE8EyNS0_10empty_typeEbEEZZNS1_14partition_implILS5_8ELb0ES3_jN6thrust23THRUST_200600_302600_NS6detail15normal_iteratorINSA_10device_ptrIyEEEEPS6_PKS6_NS0_5tupleIJNSA_16discard_iteratorINSA_11use_defaultEEES6_EEENSJ_IJSG_SG_EEENS0_18inequality_wrapperINSA_8equal_toIyEEEEPmJS6_EEE10hipError_tPvRmT3_T4_T5_T6_T7_T9_mT8_P12ihipStream_tbDpT10_ENKUlT_T0_E_clISt17integral_constantIbLb0EES1C_IbLb1EEEEDaS18_S19_EUlS18_E_NS1_11comp_targetILNS1_3genE9ELNS1_11target_archE1100ELNS1_3gpuE3ELNS1_3repE0EEENS1_30default_config_static_selectorELNS0_4arch9wavefront6targetE1EEEvT1_, .Lfunc_end563-_ZN7rocprim17ROCPRIM_400000_NS6detail17trampoline_kernelINS0_14default_configENS1_25partition_config_selectorILNS1_17partition_subalgoE8EyNS0_10empty_typeEbEEZZNS1_14partition_implILS5_8ELb0ES3_jN6thrust23THRUST_200600_302600_NS6detail15normal_iteratorINSA_10device_ptrIyEEEEPS6_PKS6_NS0_5tupleIJNSA_16discard_iteratorINSA_11use_defaultEEES6_EEENSJ_IJSG_SG_EEENS0_18inequality_wrapperINSA_8equal_toIyEEEEPmJS6_EEE10hipError_tPvRmT3_T4_T5_T6_T7_T9_mT8_P12ihipStream_tbDpT10_ENKUlT_T0_E_clISt17integral_constantIbLb0EES1C_IbLb1EEEEDaS18_S19_EUlS18_E_NS1_11comp_targetILNS1_3genE9ELNS1_11target_archE1100ELNS1_3gpuE3ELNS1_3repE0EEENS1_30default_config_static_selectorELNS0_4arch9wavefront6targetE1EEEvT1_
                                        ; -- End function
	.set _ZN7rocprim17ROCPRIM_400000_NS6detail17trampoline_kernelINS0_14default_configENS1_25partition_config_selectorILNS1_17partition_subalgoE8EyNS0_10empty_typeEbEEZZNS1_14partition_implILS5_8ELb0ES3_jN6thrust23THRUST_200600_302600_NS6detail15normal_iteratorINSA_10device_ptrIyEEEEPS6_PKS6_NS0_5tupleIJNSA_16discard_iteratorINSA_11use_defaultEEES6_EEENSJ_IJSG_SG_EEENS0_18inequality_wrapperINSA_8equal_toIyEEEEPmJS6_EEE10hipError_tPvRmT3_T4_T5_T6_T7_T9_mT8_P12ihipStream_tbDpT10_ENKUlT_T0_E_clISt17integral_constantIbLb0EES1C_IbLb1EEEEDaS18_S19_EUlS18_E_NS1_11comp_targetILNS1_3genE9ELNS1_11target_archE1100ELNS1_3gpuE3ELNS1_3repE0EEENS1_30default_config_static_selectorELNS0_4arch9wavefront6targetE1EEEvT1_.num_vgpr, 0
	.set _ZN7rocprim17ROCPRIM_400000_NS6detail17trampoline_kernelINS0_14default_configENS1_25partition_config_selectorILNS1_17partition_subalgoE8EyNS0_10empty_typeEbEEZZNS1_14partition_implILS5_8ELb0ES3_jN6thrust23THRUST_200600_302600_NS6detail15normal_iteratorINSA_10device_ptrIyEEEEPS6_PKS6_NS0_5tupleIJNSA_16discard_iteratorINSA_11use_defaultEEES6_EEENSJ_IJSG_SG_EEENS0_18inequality_wrapperINSA_8equal_toIyEEEEPmJS6_EEE10hipError_tPvRmT3_T4_T5_T6_T7_T9_mT8_P12ihipStream_tbDpT10_ENKUlT_T0_E_clISt17integral_constantIbLb0EES1C_IbLb1EEEEDaS18_S19_EUlS18_E_NS1_11comp_targetILNS1_3genE9ELNS1_11target_archE1100ELNS1_3gpuE3ELNS1_3repE0EEENS1_30default_config_static_selectorELNS0_4arch9wavefront6targetE1EEEvT1_.num_agpr, 0
	.set _ZN7rocprim17ROCPRIM_400000_NS6detail17trampoline_kernelINS0_14default_configENS1_25partition_config_selectorILNS1_17partition_subalgoE8EyNS0_10empty_typeEbEEZZNS1_14partition_implILS5_8ELb0ES3_jN6thrust23THRUST_200600_302600_NS6detail15normal_iteratorINSA_10device_ptrIyEEEEPS6_PKS6_NS0_5tupleIJNSA_16discard_iteratorINSA_11use_defaultEEES6_EEENSJ_IJSG_SG_EEENS0_18inequality_wrapperINSA_8equal_toIyEEEEPmJS6_EEE10hipError_tPvRmT3_T4_T5_T6_T7_T9_mT8_P12ihipStream_tbDpT10_ENKUlT_T0_E_clISt17integral_constantIbLb0EES1C_IbLb1EEEEDaS18_S19_EUlS18_E_NS1_11comp_targetILNS1_3genE9ELNS1_11target_archE1100ELNS1_3gpuE3ELNS1_3repE0EEENS1_30default_config_static_selectorELNS0_4arch9wavefront6targetE1EEEvT1_.numbered_sgpr, 0
	.set _ZN7rocprim17ROCPRIM_400000_NS6detail17trampoline_kernelINS0_14default_configENS1_25partition_config_selectorILNS1_17partition_subalgoE8EyNS0_10empty_typeEbEEZZNS1_14partition_implILS5_8ELb0ES3_jN6thrust23THRUST_200600_302600_NS6detail15normal_iteratorINSA_10device_ptrIyEEEEPS6_PKS6_NS0_5tupleIJNSA_16discard_iteratorINSA_11use_defaultEEES6_EEENSJ_IJSG_SG_EEENS0_18inequality_wrapperINSA_8equal_toIyEEEEPmJS6_EEE10hipError_tPvRmT3_T4_T5_T6_T7_T9_mT8_P12ihipStream_tbDpT10_ENKUlT_T0_E_clISt17integral_constantIbLb0EES1C_IbLb1EEEEDaS18_S19_EUlS18_E_NS1_11comp_targetILNS1_3genE9ELNS1_11target_archE1100ELNS1_3gpuE3ELNS1_3repE0EEENS1_30default_config_static_selectorELNS0_4arch9wavefront6targetE1EEEvT1_.num_named_barrier, 0
	.set _ZN7rocprim17ROCPRIM_400000_NS6detail17trampoline_kernelINS0_14default_configENS1_25partition_config_selectorILNS1_17partition_subalgoE8EyNS0_10empty_typeEbEEZZNS1_14partition_implILS5_8ELb0ES3_jN6thrust23THRUST_200600_302600_NS6detail15normal_iteratorINSA_10device_ptrIyEEEEPS6_PKS6_NS0_5tupleIJNSA_16discard_iteratorINSA_11use_defaultEEES6_EEENSJ_IJSG_SG_EEENS0_18inequality_wrapperINSA_8equal_toIyEEEEPmJS6_EEE10hipError_tPvRmT3_T4_T5_T6_T7_T9_mT8_P12ihipStream_tbDpT10_ENKUlT_T0_E_clISt17integral_constantIbLb0EES1C_IbLb1EEEEDaS18_S19_EUlS18_E_NS1_11comp_targetILNS1_3genE9ELNS1_11target_archE1100ELNS1_3gpuE3ELNS1_3repE0EEENS1_30default_config_static_selectorELNS0_4arch9wavefront6targetE1EEEvT1_.private_seg_size, 0
	.set _ZN7rocprim17ROCPRIM_400000_NS6detail17trampoline_kernelINS0_14default_configENS1_25partition_config_selectorILNS1_17partition_subalgoE8EyNS0_10empty_typeEbEEZZNS1_14partition_implILS5_8ELb0ES3_jN6thrust23THRUST_200600_302600_NS6detail15normal_iteratorINSA_10device_ptrIyEEEEPS6_PKS6_NS0_5tupleIJNSA_16discard_iteratorINSA_11use_defaultEEES6_EEENSJ_IJSG_SG_EEENS0_18inequality_wrapperINSA_8equal_toIyEEEEPmJS6_EEE10hipError_tPvRmT3_T4_T5_T6_T7_T9_mT8_P12ihipStream_tbDpT10_ENKUlT_T0_E_clISt17integral_constantIbLb0EES1C_IbLb1EEEEDaS18_S19_EUlS18_E_NS1_11comp_targetILNS1_3genE9ELNS1_11target_archE1100ELNS1_3gpuE3ELNS1_3repE0EEENS1_30default_config_static_selectorELNS0_4arch9wavefront6targetE1EEEvT1_.uses_vcc, 0
	.set _ZN7rocprim17ROCPRIM_400000_NS6detail17trampoline_kernelINS0_14default_configENS1_25partition_config_selectorILNS1_17partition_subalgoE8EyNS0_10empty_typeEbEEZZNS1_14partition_implILS5_8ELb0ES3_jN6thrust23THRUST_200600_302600_NS6detail15normal_iteratorINSA_10device_ptrIyEEEEPS6_PKS6_NS0_5tupleIJNSA_16discard_iteratorINSA_11use_defaultEEES6_EEENSJ_IJSG_SG_EEENS0_18inequality_wrapperINSA_8equal_toIyEEEEPmJS6_EEE10hipError_tPvRmT3_T4_T5_T6_T7_T9_mT8_P12ihipStream_tbDpT10_ENKUlT_T0_E_clISt17integral_constantIbLb0EES1C_IbLb1EEEEDaS18_S19_EUlS18_E_NS1_11comp_targetILNS1_3genE9ELNS1_11target_archE1100ELNS1_3gpuE3ELNS1_3repE0EEENS1_30default_config_static_selectorELNS0_4arch9wavefront6targetE1EEEvT1_.uses_flat_scratch, 0
	.set _ZN7rocprim17ROCPRIM_400000_NS6detail17trampoline_kernelINS0_14default_configENS1_25partition_config_selectorILNS1_17partition_subalgoE8EyNS0_10empty_typeEbEEZZNS1_14partition_implILS5_8ELb0ES3_jN6thrust23THRUST_200600_302600_NS6detail15normal_iteratorINSA_10device_ptrIyEEEEPS6_PKS6_NS0_5tupleIJNSA_16discard_iteratorINSA_11use_defaultEEES6_EEENSJ_IJSG_SG_EEENS0_18inequality_wrapperINSA_8equal_toIyEEEEPmJS6_EEE10hipError_tPvRmT3_T4_T5_T6_T7_T9_mT8_P12ihipStream_tbDpT10_ENKUlT_T0_E_clISt17integral_constantIbLb0EES1C_IbLb1EEEEDaS18_S19_EUlS18_E_NS1_11comp_targetILNS1_3genE9ELNS1_11target_archE1100ELNS1_3gpuE3ELNS1_3repE0EEENS1_30default_config_static_selectorELNS0_4arch9wavefront6targetE1EEEvT1_.has_dyn_sized_stack, 0
	.set _ZN7rocprim17ROCPRIM_400000_NS6detail17trampoline_kernelINS0_14default_configENS1_25partition_config_selectorILNS1_17partition_subalgoE8EyNS0_10empty_typeEbEEZZNS1_14partition_implILS5_8ELb0ES3_jN6thrust23THRUST_200600_302600_NS6detail15normal_iteratorINSA_10device_ptrIyEEEEPS6_PKS6_NS0_5tupleIJNSA_16discard_iteratorINSA_11use_defaultEEES6_EEENSJ_IJSG_SG_EEENS0_18inequality_wrapperINSA_8equal_toIyEEEEPmJS6_EEE10hipError_tPvRmT3_T4_T5_T6_T7_T9_mT8_P12ihipStream_tbDpT10_ENKUlT_T0_E_clISt17integral_constantIbLb0EES1C_IbLb1EEEEDaS18_S19_EUlS18_E_NS1_11comp_targetILNS1_3genE9ELNS1_11target_archE1100ELNS1_3gpuE3ELNS1_3repE0EEENS1_30default_config_static_selectorELNS0_4arch9wavefront6targetE1EEEvT1_.has_recursion, 0
	.set _ZN7rocprim17ROCPRIM_400000_NS6detail17trampoline_kernelINS0_14default_configENS1_25partition_config_selectorILNS1_17partition_subalgoE8EyNS0_10empty_typeEbEEZZNS1_14partition_implILS5_8ELb0ES3_jN6thrust23THRUST_200600_302600_NS6detail15normal_iteratorINSA_10device_ptrIyEEEEPS6_PKS6_NS0_5tupleIJNSA_16discard_iteratorINSA_11use_defaultEEES6_EEENSJ_IJSG_SG_EEENS0_18inequality_wrapperINSA_8equal_toIyEEEEPmJS6_EEE10hipError_tPvRmT3_T4_T5_T6_T7_T9_mT8_P12ihipStream_tbDpT10_ENKUlT_T0_E_clISt17integral_constantIbLb0EES1C_IbLb1EEEEDaS18_S19_EUlS18_E_NS1_11comp_targetILNS1_3genE9ELNS1_11target_archE1100ELNS1_3gpuE3ELNS1_3repE0EEENS1_30default_config_static_selectorELNS0_4arch9wavefront6targetE1EEEvT1_.has_indirect_call, 0
	.section	.AMDGPU.csdata,"",@progbits
; Kernel info:
; codeLenInByte = 0
; TotalNumSgprs: 4
; NumVgprs: 0
; ScratchSize: 0
; MemoryBound: 0
; FloatMode: 240
; IeeeMode: 1
; LDSByteSize: 0 bytes/workgroup (compile time only)
; SGPRBlocks: 0
; VGPRBlocks: 0
; NumSGPRsForWavesPerEU: 4
; NumVGPRsForWavesPerEU: 1
; Occupancy: 10
; WaveLimiterHint : 0
; COMPUTE_PGM_RSRC2:SCRATCH_EN: 0
; COMPUTE_PGM_RSRC2:USER_SGPR: 6
; COMPUTE_PGM_RSRC2:TRAP_HANDLER: 0
; COMPUTE_PGM_RSRC2:TGID_X_EN: 1
; COMPUTE_PGM_RSRC2:TGID_Y_EN: 0
; COMPUTE_PGM_RSRC2:TGID_Z_EN: 0
; COMPUTE_PGM_RSRC2:TIDIG_COMP_CNT: 0
	.section	.text._ZN7rocprim17ROCPRIM_400000_NS6detail17trampoline_kernelINS0_14default_configENS1_25partition_config_selectorILNS1_17partition_subalgoE8EyNS0_10empty_typeEbEEZZNS1_14partition_implILS5_8ELb0ES3_jN6thrust23THRUST_200600_302600_NS6detail15normal_iteratorINSA_10device_ptrIyEEEEPS6_PKS6_NS0_5tupleIJNSA_16discard_iteratorINSA_11use_defaultEEES6_EEENSJ_IJSG_SG_EEENS0_18inequality_wrapperINSA_8equal_toIyEEEEPmJS6_EEE10hipError_tPvRmT3_T4_T5_T6_T7_T9_mT8_P12ihipStream_tbDpT10_ENKUlT_T0_E_clISt17integral_constantIbLb0EES1C_IbLb1EEEEDaS18_S19_EUlS18_E_NS1_11comp_targetILNS1_3genE8ELNS1_11target_archE1030ELNS1_3gpuE2ELNS1_3repE0EEENS1_30default_config_static_selectorELNS0_4arch9wavefront6targetE1EEEvT1_,"axG",@progbits,_ZN7rocprim17ROCPRIM_400000_NS6detail17trampoline_kernelINS0_14default_configENS1_25partition_config_selectorILNS1_17partition_subalgoE8EyNS0_10empty_typeEbEEZZNS1_14partition_implILS5_8ELb0ES3_jN6thrust23THRUST_200600_302600_NS6detail15normal_iteratorINSA_10device_ptrIyEEEEPS6_PKS6_NS0_5tupleIJNSA_16discard_iteratorINSA_11use_defaultEEES6_EEENSJ_IJSG_SG_EEENS0_18inequality_wrapperINSA_8equal_toIyEEEEPmJS6_EEE10hipError_tPvRmT3_T4_T5_T6_T7_T9_mT8_P12ihipStream_tbDpT10_ENKUlT_T0_E_clISt17integral_constantIbLb0EES1C_IbLb1EEEEDaS18_S19_EUlS18_E_NS1_11comp_targetILNS1_3genE8ELNS1_11target_archE1030ELNS1_3gpuE2ELNS1_3repE0EEENS1_30default_config_static_selectorELNS0_4arch9wavefront6targetE1EEEvT1_,comdat
	.protected	_ZN7rocprim17ROCPRIM_400000_NS6detail17trampoline_kernelINS0_14default_configENS1_25partition_config_selectorILNS1_17partition_subalgoE8EyNS0_10empty_typeEbEEZZNS1_14partition_implILS5_8ELb0ES3_jN6thrust23THRUST_200600_302600_NS6detail15normal_iteratorINSA_10device_ptrIyEEEEPS6_PKS6_NS0_5tupleIJNSA_16discard_iteratorINSA_11use_defaultEEES6_EEENSJ_IJSG_SG_EEENS0_18inequality_wrapperINSA_8equal_toIyEEEEPmJS6_EEE10hipError_tPvRmT3_T4_T5_T6_T7_T9_mT8_P12ihipStream_tbDpT10_ENKUlT_T0_E_clISt17integral_constantIbLb0EES1C_IbLb1EEEEDaS18_S19_EUlS18_E_NS1_11comp_targetILNS1_3genE8ELNS1_11target_archE1030ELNS1_3gpuE2ELNS1_3repE0EEENS1_30default_config_static_selectorELNS0_4arch9wavefront6targetE1EEEvT1_ ; -- Begin function _ZN7rocprim17ROCPRIM_400000_NS6detail17trampoline_kernelINS0_14default_configENS1_25partition_config_selectorILNS1_17partition_subalgoE8EyNS0_10empty_typeEbEEZZNS1_14partition_implILS5_8ELb0ES3_jN6thrust23THRUST_200600_302600_NS6detail15normal_iteratorINSA_10device_ptrIyEEEEPS6_PKS6_NS0_5tupleIJNSA_16discard_iteratorINSA_11use_defaultEEES6_EEENSJ_IJSG_SG_EEENS0_18inequality_wrapperINSA_8equal_toIyEEEEPmJS6_EEE10hipError_tPvRmT3_T4_T5_T6_T7_T9_mT8_P12ihipStream_tbDpT10_ENKUlT_T0_E_clISt17integral_constantIbLb0EES1C_IbLb1EEEEDaS18_S19_EUlS18_E_NS1_11comp_targetILNS1_3genE8ELNS1_11target_archE1030ELNS1_3gpuE2ELNS1_3repE0EEENS1_30default_config_static_selectorELNS0_4arch9wavefront6targetE1EEEvT1_
	.globl	_ZN7rocprim17ROCPRIM_400000_NS6detail17trampoline_kernelINS0_14default_configENS1_25partition_config_selectorILNS1_17partition_subalgoE8EyNS0_10empty_typeEbEEZZNS1_14partition_implILS5_8ELb0ES3_jN6thrust23THRUST_200600_302600_NS6detail15normal_iteratorINSA_10device_ptrIyEEEEPS6_PKS6_NS0_5tupleIJNSA_16discard_iteratorINSA_11use_defaultEEES6_EEENSJ_IJSG_SG_EEENS0_18inequality_wrapperINSA_8equal_toIyEEEEPmJS6_EEE10hipError_tPvRmT3_T4_T5_T6_T7_T9_mT8_P12ihipStream_tbDpT10_ENKUlT_T0_E_clISt17integral_constantIbLb0EES1C_IbLb1EEEEDaS18_S19_EUlS18_E_NS1_11comp_targetILNS1_3genE8ELNS1_11target_archE1030ELNS1_3gpuE2ELNS1_3repE0EEENS1_30default_config_static_selectorELNS0_4arch9wavefront6targetE1EEEvT1_
	.p2align	8
	.type	_ZN7rocprim17ROCPRIM_400000_NS6detail17trampoline_kernelINS0_14default_configENS1_25partition_config_selectorILNS1_17partition_subalgoE8EyNS0_10empty_typeEbEEZZNS1_14partition_implILS5_8ELb0ES3_jN6thrust23THRUST_200600_302600_NS6detail15normal_iteratorINSA_10device_ptrIyEEEEPS6_PKS6_NS0_5tupleIJNSA_16discard_iteratorINSA_11use_defaultEEES6_EEENSJ_IJSG_SG_EEENS0_18inequality_wrapperINSA_8equal_toIyEEEEPmJS6_EEE10hipError_tPvRmT3_T4_T5_T6_T7_T9_mT8_P12ihipStream_tbDpT10_ENKUlT_T0_E_clISt17integral_constantIbLb0EES1C_IbLb1EEEEDaS18_S19_EUlS18_E_NS1_11comp_targetILNS1_3genE8ELNS1_11target_archE1030ELNS1_3gpuE2ELNS1_3repE0EEENS1_30default_config_static_selectorELNS0_4arch9wavefront6targetE1EEEvT1_,@function
_ZN7rocprim17ROCPRIM_400000_NS6detail17trampoline_kernelINS0_14default_configENS1_25partition_config_selectorILNS1_17partition_subalgoE8EyNS0_10empty_typeEbEEZZNS1_14partition_implILS5_8ELb0ES3_jN6thrust23THRUST_200600_302600_NS6detail15normal_iteratorINSA_10device_ptrIyEEEEPS6_PKS6_NS0_5tupleIJNSA_16discard_iteratorINSA_11use_defaultEEES6_EEENSJ_IJSG_SG_EEENS0_18inequality_wrapperINSA_8equal_toIyEEEEPmJS6_EEE10hipError_tPvRmT3_T4_T5_T6_T7_T9_mT8_P12ihipStream_tbDpT10_ENKUlT_T0_E_clISt17integral_constantIbLb0EES1C_IbLb1EEEEDaS18_S19_EUlS18_E_NS1_11comp_targetILNS1_3genE8ELNS1_11target_archE1030ELNS1_3gpuE2ELNS1_3repE0EEENS1_30default_config_static_selectorELNS0_4arch9wavefront6targetE1EEEvT1_: ; @_ZN7rocprim17ROCPRIM_400000_NS6detail17trampoline_kernelINS0_14default_configENS1_25partition_config_selectorILNS1_17partition_subalgoE8EyNS0_10empty_typeEbEEZZNS1_14partition_implILS5_8ELb0ES3_jN6thrust23THRUST_200600_302600_NS6detail15normal_iteratorINSA_10device_ptrIyEEEEPS6_PKS6_NS0_5tupleIJNSA_16discard_iteratorINSA_11use_defaultEEES6_EEENSJ_IJSG_SG_EEENS0_18inequality_wrapperINSA_8equal_toIyEEEEPmJS6_EEE10hipError_tPvRmT3_T4_T5_T6_T7_T9_mT8_P12ihipStream_tbDpT10_ENKUlT_T0_E_clISt17integral_constantIbLb0EES1C_IbLb1EEEEDaS18_S19_EUlS18_E_NS1_11comp_targetILNS1_3genE8ELNS1_11target_archE1030ELNS1_3gpuE2ELNS1_3repE0EEENS1_30default_config_static_selectorELNS0_4arch9wavefront6targetE1EEEvT1_
; %bb.0:
	.section	.rodata,"a",@progbits
	.p2align	6, 0x0
	.amdhsa_kernel _ZN7rocprim17ROCPRIM_400000_NS6detail17trampoline_kernelINS0_14default_configENS1_25partition_config_selectorILNS1_17partition_subalgoE8EyNS0_10empty_typeEbEEZZNS1_14partition_implILS5_8ELb0ES3_jN6thrust23THRUST_200600_302600_NS6detail15normal_iteratorINSA_10device_ptrIyEEEEPS6_PKS6_NS0_5tupleIJNSA_16discard_iteratorINSA_11use_defaultEEES6_EEENSJ_IJSG_SG_EEENS0_18inequality_wrapperINSA_8equal_toIyEEEEPmJS6_EEE10hipError_tPvRmT3_T4_T5_T6_T7_T9_mT8_P12ihipStream_tbDpT10_ENKUlT_T0_E_clISt17integral_constantIbLb0EES1C_IbLb1EEEEDaS18_S19_EUlS18_E_NS1_11comp_targetILNS1_3genE8ELNS1_11target_archE1030ELNS1_3gpuE2ELNS1_3repE0EEENS1_30default_config_static_selectorELNS0_4arch9wavefront6targetE1EEEvT1_
		.amdhsa_group_segment_fixed_size 0
		.amdhsa_private_segment_fixed_size 0
		.amdhsa_kernarg_size 136
		.amdhsa_user_sgpr_count 6
		.amdhsa_user_sgpr_private_segment_buffer 1
		.amdhsa_user_sgpr_dispatch_ptr 0
		.amdhsa_user_sgpr_queue_ptr 0
		.amdhsa_user_sgpr_kernarg_segment_ptr 1
		.amdhsa_user_sgpr_dispatch_id 0
		.amdhsa_user_sgpr_flat_scratch_init 0
		.amdhsa_user_sgpr_private_segment_size 0
		.amdhsa_uses_dynamic_stack 0
		.amdhsa_system_sgpr_private_segment_wavefront_offset 0
		.amdhsa_system_sgpr_workgroup_id_x 1
		.amdhsa_system_sgpr_workgroup_id_y 0
		.amdhsa_system_sgpr_workgroup_id_z 0
		.amdhsa_system_sgpr_workgroup_info 0
		.amdhsa_system_vgpr_workitem_id 0
		.amdhsa_next_free_vgpr 1
		.amdhsa_next_free_sgpr 0
		.amdhsa_reserve_vcc 0
		.amdhsa_reserve_flat_scratch 0
		.amdhsa_float_round_mode_32 0
		.amdhsa_float_round_mode_16_64 0
		.amdhsa_float_denorm_mode_32 3
		.amdhsa_float_denorm_mode_16_64 3
		.amdhsa_dx10_clamp 1
		.amdhsa_ieee_mode 1
		.amdhsa_fp16_overflow 0
		.amdhsa_exception_fp_ieee_invalid_op 0
		.amdhsa_exception_fp_denorm_src 0
		.amdhsa_exception_fp_ieee_div_zero 0
		.amdhsa_exception_fp_ieee_overflow 0
		.amdhsa_exception_fp_ieee_underflow 0
		.amdhsa_exception_fp_ieee_inexact 0
		.amdhsa_exception_int_div_zero 0
	.end_amdhsa_kernel
	.section	.text._ZN7rocprim17ROCPRIM_400000_NS6detail17trampoline_kernelINS0_14default_configENS1_25partition_config_selectorILNS1_17partition_subalgoE8EyNS0_10empty_typeEbEEZZNS1_14partition_implILS5_8ELb0ES3_jN6thrust23THRUST_200600_302600_NS6detail15normal_iteratorINSA_10device_ptrIyEEEEPS6_PKS6_NS0_5tupleIJNSA_16discard_iteratorINSA_11use_defaultEEES6_EEENSJ_IJSG_SG_EEENS0_18inequality_wrapperINSA_8equal_toIyEEEEPmJS6_EEE10hipError_tPvRmT3_T4_T5_T6_T7_T9_mT8_P12ihipStream_tbDpT10_ENKUlT_T0_E_clISt17integral_constantIbLb0EES1C_IbLb1EEEEDaS18_S19_EUlS18_E_NS1_11comp_targetILNS1_3genE8ELNS1_11target_archE1030ELNS1_3gpuE2ELNS1_3repE0EEENS1_30default_config_static_selectorELNS0_4arch9wavefront6targetE1EEEvT1_,"axG",@progbits,_ZN7rocprim17ROCPRIM_400000_NS6detail17trampoline_kernelINS0_14default_configENS1_25partition_config_selectorILNS1_17partition_subalgoE8EyNS0_10empty_typeEbEEZZNS1_14partition_implILS5_8ELb0ES3_jN6thrust23THRUST_200600_302600_NS6detail15normal_iteratorINSA_10device_ptrIyEEEEPS6_PKS6_NS0_5tupleIJNSA_16discard_iteratorINSA_11use_defaultEEES6_EEENSJ_IJSG_SG_EEENS0_18inequality_wrapperINSA_8equal_toIyEEEEPmJS6_EEE10hipError_tPvRmT3_T4_T5_T6_T7_T9_mT8_P12ihipStream_tbDpT10_ENKUlT_T0_E_clISt17integral_constantIbLb0EES1C_IbLb1EEEEDaS18_S19_EUlS18_E_NS1_11comp_targetILNS1_3genE8ELNS1_11target_archE1030ELNS1_3gpuE2ELNS1_3repE0EEENS1_30default_config_static_selectorELNS0_4arch9wavefront6targetE1EEEvT1_,comdat
.Lfunc_end564:
	.size	_ZN7rocprim17ROCPRIM_400000_NS6detail17trampoline_kernelINS0_14default_configENS1_25partition_config_selectorILNS1_17partition_subalgoE8EyNS0_10empty_typeEbEEZZNS1_14partition_implILS5_8ELb0ES3_jN6thrust23THRUST_200600_302600_NS6detail15normal_iteratorINSA_10device_ptrIyEEEEPS6_PKS6_NS0_5tupleIJNSA_16discard_iteratorINSA_11use_defaultEEES6_EEENSJ_IJSG_SG_EEENS0_18inequality_wrapperINSA_8equal_toIyEEEEPmJS6_EEE10hipError_tPvRmT3_T4_T5_T6_T7_T9_mT8_P12ihipStream_tbDpT10_ENKUlT_T0_E_clISt17integral_constantIbLb0EES1C_IbLb1EEEEDaS18_S19_EUlS18_E_NS1_11comp_targetILNS1_3genE8ELNS1_11target_archE1030ELNS1_3gpuE2ELNS1_3repE0EEENS1_30default_config_static_selectorELNS0_4arch9wavefront6targetE1EEEvT1_, .Lfunc_end564-_ZN7rocprim17ROCPRIM_400000_NS6detail17trampoline_kernelINS0_14default_configENS1_25partition_config_selectorILNS1_17partition_subalgoE8EyNS0_10empty_typeEbEEZZNS1_14partition_implILS5_8ELb0ES3_jN6thrust23THRUST_200600_302600_NS6detail15normal_iteratorINSA_10device_ptrIyEEEEPS6_PKS6_NS0_5tupleIJNSA_16discard_iteratorINSA_11use_defaultEEES6_EEENSJ_IJSG_SG_EEENS0_18inequality_wrapperINSA_8equal_toIyEEEEPmJS6_EEE10hipError_tPvRmT3_T4_T5_T6_T7_T9_mT8_P12ihipStream_tbDpT10_ENKUlT_T0_E_clISt17integral_constantIbLb0EES1C_IbLb1EEEEDaS18_S19_EUlS18_E_NS1_11comp_targetILNS1_3genE8ELNS1_11target_archE1030ELNS1_3gpuE2ELNS1_3repE0EEENS1_30default_config_static_selectorELNS0_4arch9wavefront6targetE1EEEvT1_
                                        ; -- End function
	.set _ZN7rocprim17ROCPRIM_400000_NS6detail17trampoline_kernelINS0_14default_configENS1_25partition_config_selectorILNS1_17partition_subalgoE8EyNS0_10empty_typeEbEEZZNS1_14partition_implILS5_8ELb0ES3_jN6thrust23THRUST_200600_302600_NS6detail15normal_iteratorINSA_10device_ptrIyEEEEPS6_PKS6_NS0_5tupleIJNSA_16discard_iteratorINSA_11use_defaultEEES6_EEENSJ_IJSG_SG_EEENS0_18inequality_wrapperINSA_8equal_toIyEEEEPmJS6_EEE10hipError_tPvRmT3_T4_T5_T6_T7_T9_mT8_P12ihipStream_tbDpT10_ENKUlT_T0_E_clISt17integral_constantIbLb0EES1C_IbLb1EEEEDaS18_S19_EUlS18_E_NS1_11comp_targetILNS1_3genE8ELNS1_11target_archE1030ELNS1_3gpuE2ELNS1_3repE0EEENS1_30default_config_static_selectorELNS0_4arch9wavefront6targetE1EEEvT1_.num_vgpr, 0
	.set _ZN7rocprim17ROCPRIM_400000_NS6detail17trampoline_kernelINS0_14default_configENS1_25partition_config_selectorILNS1_17partition_subalgoE8EyNS0_10empty_typeEbEEZZNS1_14partition_implILS5_8ELb0ES3_jN6thrust23THRUST_200600_302600_NS6detail15normal_iteratorINSA_10device_ptrIyEEEEPS6_PKS6_NS0_5tupleIJNSA_16discard_iteratorINSA_11use_defaultEEES6_EEENSJ_IJSG_SG_EEENS0_18inequality_wrapperINSA_8equal_toIyEEEEPmJS6_EEE10hipError_tPvRmT3_T4_T5_T6_T7_T9_mT8_P12ihipStream_tbDpT10_ENKUlT_T0_E_clISt17integral_constantIbLb0EES1C_IbLb1EEEEDaS18_S19_EUlS18_E_NS1_11comp_targetILNS1_3genE8ELNS1_11target_archE1030ELNS1_3gpuE2ELNS1_3repE0EEENS1_30default_config_static_selectorELNS0_4arch9wavefront6targetE1EEEvT1_.num_agpr, 0
	.set _ZN7rocprim17ROCPRIM_400000_NS6detail17trampoline_kernelINS0_14default_configENS1_25partition_config_selectorILNS1_17partition_subalgoE8EyNS0_10empty_typeEbEEZZNS1_14partition_implILS5_8ELb0ES3_jN6thrust23THRUST_200600_302600_NS6detail15normal_iteratorINSA_10device_ptrIyEEEEPS6_PKS6_NS0_5tupleIJNSA_16discard_iteratorINSA_11use_defaultEEES6_EEENSJ_IJSG_SG_EEENS0_18inequality_wrapperINSA_8equal_toIyEEEEPmJS6_EEE10hipError_tPvRmT3_T4_T5_T6_T7_T9_mT8_P12ihipStream_tbDpT10_ENKUlT_T0_E_clISt17integral_constantIbLb0EES1C_IbLb1EEEEDaS18_S19_EUlS18_E_NS1_11comp_targetILNS1_3genE8ELNS1_11target_archE1030ELNS1_3gpuE2ELNS1_3repE0EEENS1_30default_config_static_selectorELNS0_4arch9wavefront6targetE1EEEvT1_.numbered_sgpr, 0
	.set _ZN7rocprim17ROCPRIM_400000_NS6detail17trampoline_kernelINS0_14default_configENS1_25partition_config_selectorILNS1_17partition_subalgoE8EyNS0_10empty_typeEbEEZZNS1_14partition_implILS5_8ELb0ES3_jN6thrust23THRUST_200600_302600_NS6detail15normal_iteratorINSA_10device_ptrIyEEEEPS6_PKS6_NS0_5tupleIJNSA_16discard_iteratorINSA_11use_defaultEEES6_EEENSJ_IJSG_SG_EEENS0_18inequality_wrapperINSA_8equal_toIyEEEEPmJS6_EEE10hipError_tPvRmT3_T4_T5_T6_T7_T9_mT8_P12ihipStream_tbDpT10_ENKUlT_T0_E_clISt17integral_constantIbLb0EES1C_IbLb1EEEEDaS18_S19_EUlS18_E_NS1_11comp_targetILNS1_3genE8ELNS1_11target_archE1030ELNS1_3gpuE2ELNS1_3repE0EEENS1_30default_config_static_selectorELNS0_4arch9wavefront6targetE1EEEvT1_.num_named_barrier, 0
	.set _ZN7rocprim17ROCPRIM_400000_NS6detail17trampoline_kernelINS0_14default_configENS1_25partition_config_selectorILNS1_17partition_subalgoE8EyNS0_10empty_typeEbEEZZNS1_14partition_implILS5_8ELb0ES3_jN6thrust23THRUST_200600_302600_NS6detail15normal_iteratorINSA_10device_ptrIyEEEEPS6_PKS6_NS0_5tupleIJNSA_16discard_iteratorINSA_11use_defaultEEES6_EEENSJ_IJSG_SG_EEENS0_18inequality_wrapperINSA_8equal_toIyEEEEPmJS6_EEE10hipError_tPvRmT3_T4_T5_T6_T7_T9_mT8_P12ihipStream_tbDpT10_ENKUlT_T0_E_clISt17integral_constantIbLb0EES1C_IbLb1EEEEDaS18_S19_EUlS18_E_NS1_11comp_targetILNS1_3genE8ELNS1_11target_archE1030ELNS1_3gpuE2ELNS1_3repE0EEENS1_30default_config_static_selectorELNS0_4arch9wavefront6targetE1EEEvT1_.private_seg_size, 0
	.set _ZN7rocprim17ROCPRIM_400000_NS6detail17trampoline_kernelINS0_14default_configENS1_25partition_config_selectorILNS1_17partition_subalgoE8EyNS0_10empty_typeEbEEZZNS1_14partition_implILS5_8ELb0ES3_jN6thrust23THRUST_200600_302600_NS6detail15normal_iteratorINSA_10device_ptrIyEEEEPS6_PKS6_NS0_5tupleIJNSA_16discard_iteratorINSA_11use_defaultEEES6_EEENSJ_IJSG_SG_EEENS0_18inequality_wrapperINSA_8equal_toIyEEEEPmJS6_EEE10hipError_tPvRmT3_T4_T5_T6_T7_T9_mT8_P12ihipStream_tbDpT10_ENKUlT_T0_E_clISt17integral_constantIbLb0EES1C_IbLb1EEEEDaS18_S19_EUlS18_E_NS1_11comp_targetILNS1_3genE8ELNS1_11target_archE1030ELNS1_3gpuE2ELNS1_3repE0EEENS1_30default_config_static_selectorELNS0_4arch9wavefront6targetE1EEEvT1_.uses_vcc, 0
	.set _ZN7rocprim17ROCPRIM_400000_NS6detail17trampoline_kernelINS0_14default_configENS1_25partition_config_selectorILNS1_17partition_subalgoE8EyNS0_10empty_typeEbEEZZNS1_14partition_implILS5_8ELb0ES3_jN6thrust23THRUST_200600_302600_NS6detail15normal_iteratorINSA_10device_ptrIyEEEEPS6_PKS6_NS0_5tupleIJNSA_16discard_iteratorINSA_11use_defaultEEES6_EEENSJ_IJSG_SG_EEENS0_18inequality_wrapperINSA_8equal_toIyEEEEPmJS6_EEE10hipError_tPvRmT3_T4_T5_T6_T7_T9_mT8_P12ihipStream_tbDpT10_ENKUlT_T0_E_clISt17integral_constantIbLb0EES1C_IbLb1EEEEDaS18_S19_EUlS18_E_NS1_11comp_targetILNS1_3genE8ELNS1_11target_archE1030ELNS1_3gpuE2ELNS1_3repE0EEENS1_30default_config_static_selectorELNS0_4arch9wavefront6targetE1EEEvT1_.uses_flat_scratch, 0
	.set _ZN7rocprim17ROCPRIM_400000_NS6detail17trampoline_kernelINS0_14default_configENS1_25partition_config_selectorILNS1_17partition_subalgoE8EyNS0_10empty_typeEbEEZZNS1_14partition_implILS5_8ELb0ES3_jN6thrust23THRUST_200600_302600_NS6detail15normal_iteratorINSA_10device_ptrIyEEEEPS6_PKS6_NS0_5tupleIJNSA_16discard_iteratorINSA_11use_defaultEEES6_EEENSJ_IJSG_SG_EEENS0_18inequality_wrapperINSA_8equal_toIyEEEEPmJS6_EEE10hipError_tPvRmT3_T4_T5_T6_T7_T9_mT8_P12ihipStream_tbDpT10_ENKUlT_T0_E_clISt17integral_constantIbLb0EES1C_IbLb1EEEEDaS18_S19_EUlS18_E_NS1_11comp_targetILNS1_3genE8ELNS1_11target_archE1030ELNS1_3gpuE2ELNS1_3repE0EEENS1_30default_config_static_selectorELNS0_4arch9wavefront6targetE1EEEvT1_.has_dyn_sized_stack, 0
	.set _ZN7rocprim17ROCPRIM_400000_NS6detail17trampoline_kernelINS0_14default_configENS1_25partition_config_selectorILNS1_17partition_subalgoE8EyNS0_10empty_typeEbEEZZNS1_14partition_implILS5_8ELb0ES3_jN6thrust23THRUST_200600_302600_NS6detail15normal_iteratorINSA_10device_ptrIyEEEEPS6_PKS6_NS0_5tupleIJNSA_16discard_iteratorINSA_11use_defaultEEES6_EEENSJ_IJSG_SG_EEENS0_18inequality_wrapperINSA_8equal_toIyEEEEPmJS6_EEE10hipError_tPvRmT3_T4_T5_T6_T7_T9_mT8_P12ihipStream_tbDpT10_ENKUlT_T0_E_clISt17integral_constantIbLb0EES1C_IbLb1EEEEDaS18_S19_EUlS18_E_NS1_11comp_targetILNS1_3genE8ELNS1_11target_archE1030ELNS1_3gpuE2ELNS1_3repE0EEENS1_30default_config_static_selectorELNS0_4arch9wavefront6targetE1EEEvT1_.has_recursion, 0
	.set _ZN7rocprim17ROCPRIM_400000_NS6detail17trampoline_kernelINS0_14default_configENS1_25partition_config_selectorILNS1_17partition_subalgoE8EyNS0_10empty_typeEbEEZZNS1_14partition_implILS5_8ELb0ES3_jN6thrust23THRUST_200600_302600_NS6detail15normal_iteratorINSA_10device_ptrIyEEEEPS6_PKS6_NS0_5tupleIJNSA_16discard_iteratorINSA_11use_defaultEEES6_EEENSJ_IJSG_SG_EEENS0_18inequality_wrapperINSA_8equal_toIyEEEEPmJS6_EEE10hipError_tPvRmT3_T4_T5_T6_T7_T9_mT8_P12ihipStream_tbDpT10_ENKUlT_T0_E_clISt17integral_constantIbLb0EES1C_IbLb1EEEEDaS18_S19_EUlS18_E_NS1_11comp_targetILNS1_3genE8ELNS1_11target_archE1030ELNS1_3gpuE2ELNS1_3repE0EEENS1_30default_config_static_selectorELNS0_4arch9wavefront6targetE1EEEvT1_.has_indirect_call, 0
	.section	.AMDGPU.csdata,"",@progbits
; Kernel info:
; codeLenInByte = 0
; TotalNumSgprs: 4
; NumVgprs: 0
; ScratchSize: 0
; MemoryBound: 0
; FloatMode: 240
; IeeeMode: 1
; LDSByteSize: 0 bytes/workgroup (compile time only)
; SGPRBlocks: 0
; VGPRBlocks: 0
; NumSGPRsForWavesPerEU: 4
; NumVGPRsForWavesPerEU: 1
; Occupancy: 10
; WaveLimiterHint : 0
; COMPUTE_PGM_RSRC2:SCRATCH_EN: 0
; COMPUTE_PGM_RSRC2:USER_SGPR: 6
; COMPUTE_PGM_RSRC2:TRAP_HANDLER: 0
; COMPUTE_PGM_RSRC2:TGID_X_EN: 1
; COMPUTE_PGM_RSRC2:TGID_Y_EN: 0
; COMPUTE_PGM_RSRC2:TGID_Z_EN: 0
; COMPUTE_PGM_RSRC2:TIDIG_COMP_CNT: 0
	.section	.text._ZN7rocprim17ROCPRIM_400000_NS6detail17trampoline_kernelINS0_14default_configENS1_25partition_config_selectorILNS1_17partition_subalgoE8EjNS0_10empty_typeEbEEZZNS1_14partition_implILS5_8ELb0ES3_jN6thrust23THRUST_200600_302600_NS6detail15normal_iteratorINSA_10device_ptrIjEEEEPS6_PKS6_NS0_5tupleIJNSA_16discard_iteratorINSA_11use_defaultEEES6_EEENSJ_IJSG_SG_EEENS0_18inequality_wrapperINSA_8equal_toIjEEEEPmJS6_EEE10hipError_tPvRmT3_T4_T5_T6_T7_T9_mT8_P12ihipStream_tbDpT10_ENKUlT_T0_E_clISt17integral_constantIbLb0EES1D_EEDaS18_S19_EUlS18_E_NS1_11comp_targetILNS1_3genE0ELNS1_11target_archE4294967295ELNS1_3gpuE0ELNS1_3repE0EEENS1_30default_config_static_selectorELNS0_4arch9wavefront6targetE1EEEvT1_,"axG",@progbits,_ZN7rocprim17ROCPRIM_400000_NS6detail17trampoline_kernelINS0_14default_configENS1_25partition_config_selectorILNS1_17partition_subalgoE8EjNS0_10empty_typeEbEEZZNS1_14partition_implILS5_8ELb0ES3_jN6thrust23THRUST_200600_302600_NS6detail15normal_iteratorINSA_10device_ptrIjEEEEPS6_PKS6_NS0_5tupleIJNSA_16discard_iteratorINSA_11use_defaultEEES6_EEENSJ_IJSG_SG_EEENS0_18inequality_wrapperINSA_8equal_toIjEEEEPmJS6_EEE10hipError_tPvRmT3_T4_T5_T6_T7_T9_mT8_P12ihipStream_tbDpT10_ENKUlT_T0_E_clISt17integral_constantIbLb0EES1D_EEDaS18_S19_EUlS18_E_NS1_11comp_targetILNS1_3genE0ELNS1_11target_archE4294967295ELNS1_3gpuE0ELNS1_3repE0EEENS1_30default_config_static_selectorELNS0_4arch9wavefront6targetE1EEEvT1_,comdat
	.protected	_ZN7rocprim17ROCPRIM_400000_NS6detail17trampoline_kernelINS0_14default_configENS1_25partition_config_selectorILNS1_17partition_subalgoE8EjNS0_10empty_typeEbEEZZNS1_14partition_implILS5_8ELb0ES3_jN6thrust23THRUST_200600_302600_NS6detail15normal_iteratorINSA_10device_ptrIjEEEEPS6_PKS6_NS0_5tupleIJNSA_16discard_iteratorINSA_11use_defaultEEES6_EEENSJ_IJSG_SG_EEENS0_18inequality_wrapperINSA_8equal_toIjEEEEPmJS6_EEE10hipError_tPvRmT3_T4_T5_T6_T7_T9_mT8_P12ihipStream_tbDpT10_ENKUlT_T0_E_clISt17integral_constantIbLb0EES1D_EEDaS18_S19_EUlS18_E_NS1_11comp_targetILNS1_3genE0ELNS1_11target_archE4294967295ELNS1_3gpuE0ELNS1_3repE0EEENS1_30default_config_static_selectorELNS0_4arch9wavefront6targetE1EEEvT1_ ; -- Begin function _ZN7rocprim17ROCPRIM_400000_NS6detail17trampoline_kernelINS0_14default_configENS1_25partition_config_selectorILNS1_17partition_subalgoE8EjNS0_10empty_typeEbEEZZNS1_14partition_implILS5_8ELb0ES3_jN6thrust23THRUST_200600_302600_NS6detail15normal_iteratorINSA_10device_ptrIjEEEEPS6_PKS6_NS0_5tupleIJNSA_16discard_iteratorINSA_11use_defaultEEES6_EEENSJ_IJSG_SG_EEENS0_18inequality_wrapperINSA_8equal_toIjEEEEPmJS6_EEE10hipError_tPvRmT3_T4_T5_T6_T7_T9_mT8_P12ihipStream_tbDpT10_ENKUlT_T0_E_clISt17integral_constantIbLb0EES1D_EEDaS18_S19_EUlS18_E_NS1_11comp_targetILNS1_3genE0ELNS1_11target_archE4294967295ELNS1_3gpuE0ELNS1_3repE0EEENS1_30default_config_static_selectorELNS0_4arch9wavefront6targetE1EEEvT1_
	.globl	_ZN7rocprim17ROCPRIM_400000_NS6detail17trampoline_kernelINS0_14default_configENS1_25partition_config_selectorILNS1_17partition_subalgoE8EjNS0_10empty_typeEbEEZZNS1_14partition_implILS5_8ELb0ES3_jN6thrust23THRUST_200600_302600_NS6detail15normal_iteratorINSA_10device_ptrIjEEEEPS6_PKS6_NS0_5tupleIJNSA_16discard_iteratorINSA_11use_defaultEEES6_EEENSJ_IJSG_SG_EEENS0_18inequality_wrapperINSA_8equal_toIjEEEEPmJS6_EEE10hipError_tPvRmT3_T4_T5_T6_T7_T9_mT8_P12ihipStream_tbDpT10_ENKUlT_T0_E_clISt17integral_constantIbLb0EES1D_EEDaS18_S19_EUlS18_E_NS1_11comp_targetILNS1_3genE0ELNS1_11target_archE4294967295ELNS1_3gpuE0ELNS1_3repE0EEENS1_30default_config_static_selectorELNS0_4arch9wavefront6targetE1EEEvT1_
	.p2align	8
	.type	_ZN7rocprim17ROCPRIM_400000_NS6detail17trampoline_kernelINS0_14default_configENS1_25partition_config_selectorILNS1_17partition_subalgoE8EjNS0_10empty_typeEbEEZZNS1_14partition_implILS5_8ELb0ES3_jN6thrust23THRUST_200600_302600_NS6detail15normal_iteratorINSA_10device_ptrIjEEEEPS6_PKS6_NS0_5tupleIJNSA_16discard_iteratorINSA_11use_defaultEEES6_EEENSJ_IJSG_SG_EEENS0_18inequality_wrapperINSA_8equal_toIjEEEEPmJS6_EEE10hipError_tPvRmT3_T4_T5_T6_T7_T9_mT8_P12ihipStream_tbDpT10_ENKUlT_T0_E_clISt17integral_constantIbLb0EES1D_EEDaS18_S19_EUlS18_E_NS1_11comp_targetILNS1_3genE0ELNS1_11target_archE4294967295ELNS1_3gpuE0ELNS1_3repE0EEENS1_30default_config_static_selectorELNS0_4arch9wavefront6targetE1EEEvT1_,@function
_ZN7rocprim17ROCPRIM_400000_NS6detail17trampoline_kernelINS0_14default_configENS1_25partition_config_selectorILNS1_17partition_subalgoE8EjNS0_10empty_typeEbEEZZNS1_14partition_implILS5_8ELb0ES3_jN6thrust23THRUST_200600_302600_NS6detail15normal_iteratorINSA_10device_ptrIjEEEEPS6_PKS6_NS0_5tupleIJNSA_16discard_iteratorINSA_11use_defaultEEES6_EEENSJ_IJSG_SG_EEENS0_18inequality_wrapperINSA_8equal_toIjEEEEPmJS6_EEE10hipError_tPvRmT3_T4_T5_T6_T7_T9_mT8_P12ihipStream_tbDpT10_ENKUlT_T0_E_clISt17integral_constantIbLb0EES1D_EEDaS18_S19_EUlS18_E_NS1_11comp_targetILNS1_3genE0ELNS1_11target_archE4294967295ELNS1_3gpuE0ELNS1_3repE0EEENS1_30default_config_static_selectorELNS0_4arch9wavefront6targetE1EEEvT1_: ; @_ZN7rocprim17ROCPRIM_400000_NS6detail17trampoline_kernelINS0_14default_configENS1_25partition_config_selectorILNS1_17partition_subalgoE8EjNS0_10empty_typeEbEEZZNS1_14partition_implILS5_8ELb0ES3_jN6thrust23THRUST_200600_302600_NS6detail15normal_iteratorINSA_10device_ptrIjEEEEPS6_PKS6_NS0_5tupleIJNSA_16discard_iteratorINSA_11use_defaultEEES6_EEENSJ_IJSG_SG_EEENS0_18inequality_wrapperINSA_8equal_toIjEEEEPmJS6_EEE10hipError_tPvRmT3_T4_T5_T6_T7_T9_mT8_P12ihipStream_tbDpT10_ENKUlT_T0_E_clISt17integral_constantIbLb0EES1D_EEDaS18_S19_EUlS18_E_NS1_11comp_targetILNS1_3genE0ELNS1_11target_archE4294967295ELNS1_3gpuE0ELNS1_3repE0EEENS1_30default_config_static_selectorELNS0_4arch9wavefront6targetE1EEEvT1_
; %bb.0:
	.section	.rodata,"a",@progbits
	.p2align	6, 0x0
	.amdhsa_kernel _ZN7rocprim17ROCPRIM_400000_NS6detail17trampoline_kernelINS0_14default_configENS1_25partition_config_selectorILNS1_17partition_subalgoE8EjNS0_10empty_typeEbEEZZNS1_14partition_implILS5_8ELb0ES3_jN6thrust23THRUST_200600_302600_NS6detail15normal_iteratorINSA_10device_ptrIjEEEEPS6_PKS6_NS0_5tupleIJNSA_16discard_iteratorINSA_11use_defaultEEES6_EEENSJ_IJSG_SG_EEENS0_18inequality_wrapperINSA_8equal_toIjEEEEPmJS6_EEE10hipError_tPvRmT3_T4_T5_T6_T7_T9_mT8_P12ihipStream_tbDpT10_ENKUlT_T0_E_clISt17integral_constantIbLb0EES1D_EEDaS18_S19_EUlS18_E_NS1_11comp_targetILNS1_3genE0ELNS1_11target_archE4294967295ELNS1_3gpuE0ELNS1_3repE0EEENS1_30default_config_static_selectorELNS0_4arch9wavefront6targetE1EEEvT1_
		.amdhsa_group_segment_fixed_size 0
		.amdhsa_private_segment_fixed_size 0
		.amdhsa_kernarg_size 120
		.amdhsa_user_sgpr_count 6
		.amdhsa_user_sgpr_private_segment_buffer 1
		.amdhsa_user_sgpr_dispatch_ptr 0
		.amdhsa_user_sgpr_queue_ptr 0
		.amdhsa_user_sgpr_kernarg_segment_ptr 1
		.amdhsa_user_sgpr_dispatch_id 0
		.amdhsa_user_sgpr_flat_scratch_init 0
		.amdhsa_user_sgpr_private_segment_size 0
		.amdhsa_uses_dynamic_stack 0
		.amdhsa_system_sgpr_private_segment_wavefront_offset 0
		.amdhsa_system_sgpr_workgroup_id_x 1
		.amdhsa_system_sgpr_workgroup_id_y 0
		.amdhsa_system_sgpr_workgroup_id_z 0
		.amdhsa_system_sgpr_workgroup_info 0
		.amdhsa_system_vgpr_workitem_id 0
		.amdhsa_next_free_vgpr 1
		.amdhsa_next_free_sgpr 0
		.amdhsa_reserve_vcc 0
		.amdhsa_reserve_flat_scratch 0
		.amdhsa_float_round_mode_32 0
		.amdhsa_float_round_mode_16_64 0
		.amdhsa_float_denorm_mode_32 3
		.amdhsa_float_denorm_mode_16_64 3
		.amdhsa_dx10_clamp 1
		.amdhsa_ieee_mode 1
		.amdhsa_fp16_overflow 0
		.amdhsa_exception_fp_ieee_invalid_op 0
		.amdhsa_exception_fp_denorm_src 0
		.amdhsa_exception_fp_ieee_div_zero 0
		.amdhsa_exception_fp_ieee_overflow 0
		.amdhsa_exception_fp_ieee_underflow 0
		.amdhsa_exception_fp_ieee_inexact 0
		.amdhsa_exception_int_div_zero 0
	.end_amdhsa_kernel
	.section	.text._ZN7rocprim17ROCPRIM_400000_NS6detail17trampoline_kernelINS0_14default_configENS1_25partition_config_selectorILNS1_17partition_subalgoE8EjNS0_10empty_typeEbEEZZNS1_14partition_implILS5_8ELb0ES3_jN6thrust23THRUST_200600_302600_NS6detail15normal_iteratorINSA_10device_ptrIjEEEEPS6_PKS6_NS0_5tupleIJNSA_16discard_iteratorINSA_11use_defaultEEES6_EEENSJ_IJSG_SG_EEENS0_18inequality_wrapperINSA_8equal_toIjEEEEPmJS6_EEE10hipError_tPvRmT3_T4_T5_T6_T7_T9_mT8_P12ihipStream_tbDpT10_ENKUlT_T0_E_clISt17integral_constantIbLb0EES1D_EEDaS18_S19_EUlS18_E_NS1_11comp_targetILNS1_3genE0ELNS1_11target_archE4294967295ELNS1_3gpuE0ELNS1_3repE0EEENS1_30default_config_static_selectorELNS0_4arch9wavefront6targetE1EEEvT1_,"axG",@progbits,_ZN7rocprim17ROCPRIM_400000_NS6detail17trampoline_kernelINS0_14default_configENS1_25partition_config_selectorILNS1_17partition_subalgoE8EjNS0_10empty_typeEbEEZZNS1_14partition_implILS5_8ELb0ES3_jN6thrust23THRUST_200600_302600_NS6detail15normal_iteratorINSA_10device_ptrIjEEEEPS6_PKS6_NS0_5tupleIJNSA_16discard_iteratorINSA_11use_defaultEEES6_EEENSJ_IJSG_SG_EEENS0_18inequality_wrapperINSA_8equal_toIjEEEEPmJS6_EEE10hipError_tPvRmT3_T4_T5_T6_T7_T9_mT8_P12ihipStream_tbDpT10_ENKUlT_T0_E_clISt17integral_constantIbLb0EES1D_EEDaS18_S19_EUlS18_E_NS1_11comp_targetILNS1_3genE0ELNS1_11target_archE4294967295ELNS1_3gpuE0ELNS1_3repE0EEENS1_30default_config_static_selectorELNS0_4arch9wavefront6targetE1EEEvT1_,comdat
.Lfunc_end565:
	.size	_ZN7rocprim17ROCPRIM_400000_NS6detail17trampoline_kernelINS0_14default_configENS1_25partition_config_selectorILNS1_17partition_subalgoE8EjNS0_10empty_typeEbEEZZNS1_14partition_implILS5_8ELb0ES3_jN6thrust23THRUST_200600_302600_NS6detail15normal_iteratorINSA_10device_ptrIjEEEEPS6_PKS6_NS0_5tupleIJNSA_16discard_iteratorINSA_11use_defaultEEES6_EEENSJ_IJSG_SG_EEENS0_18inequality_wrapperINSA_8equal_toIjEEEEPmJS6_EEE10hipError_tPvRmT3_T4_T5_T6_T7_T9_mT8_P12ihipStream_tbDpT10_ENKUlT_T0_E_clISt17integral_constantIbLb0EES1D_EEDaS18_S19_EUlS18_E_NS1_11comp_targetILNS1_3genE0ELNS1_11target_archE4294967295ELNS1_3gpuE0ELNS1_3repE0EEENS1_30default_config_static_selectorELNS0_4arch9wavefront6targetE1EEEvT1_, .Lfunc_end565-_ZN7rocprim17ROCPRIM_400000_NS6detail17trampoline_kernelINS0_14default_configENS1_25partition_config_selectorILNS1_17partition_subalgoE8EjNS0_10empty_typeEbEEZZNS1_14partition_implILS5_8ELb0ES3_jN6thrust23THRUST_200600_302600_NS6detail15normal_iteratorINSA_10device_ptrIjEEEEPS6_PKS6_NS0_5tupleIJNSA_16discard_iteratorINSA_11use_defaultEEES6_EEENSJ_IJSG_SG_EEENS0_18inequality_wrapperINSA_8equal_toIjEEEEPmJS6_EEE10hipError_tPvRmT3_T4_T5_T6_T7_T9_mT8_P12ihipStream_tbDpT10_ENKUlT_T0_E_clISt17integral_constantIbLb0EES1D_EEDaS18_S19_EUlS18_E_NS1_11comp_targetILNS1_3genE0ELNS1_11target_archE4294967295ELNS1_3gpuE0ELNS1_3repE0EEENS1_30default_config_static_selectorELNS0_4arch9wavefront6targetE1EEEvT1_
                                        ; -- End function
	.set _ZN7rocprim17ROCPRIM_400000_NS6detail17trampoline_kernelINS0_14default_configENS1_25partition_config_selectorILNS1_17partition_subalgoE8EjNS0_10empty_typeEbEEZZNS1_14partition_implILS5_8ELb0ES3_jN6thrust23THRUST_200600_302600_NS6detail15normal_iteratorINSA_10device_ptrIjEEEEPS6_PKS6_NS0_5tupleIJNSA_16discard_iteratorINSA_11use_defaultEEES6_EEENSJ_IJSG_SG_EEENS0_18inequality_wrapperINSA_8equal_toIjEEEEPmJS6_EEE10hipError_tPvRmT3_T4_T5_T6_T7_T9_mT8_P12ihipStream_tbDpT10_ENKUlT_T0_E_clISt17integral_constantIbLb0EES1D_EEDaS18_S19_EUlS18_E_NS1_11comp_targetILNS1_3genE0ELNS1_11target_archE4294967295ELNS1_3gpuE0ELNS1_3repE0EEENS1_30default_config_static_selectorELNS0_4arch9wavefront6targetE1EEEvT1_.num_vgpr, 0
	.set _ZN7rocprim17ROCPRIM_400000_NS6detail17trampoline_kernelINS0_14default_configENS1_25partition_config_selectorILNS1_17partition_subalgoE8EjNS0_10empty_typeEbEEZZNS1_14partition_implILS5_8ELb0ES3_jN6thrust23THRUST_200600_302600_NS6detail15normal_iteratorINSA_10device_ptrIjEEEEPS6_PKS6_NS0_5tupleIJNSA_16discard_iteratorINSA_11use_defaultEEES6_EEENSJ_IJSG_SG_EEENS0_18inequality_wrapperINSA_8equal_toIjEEEEPmJS6_EEE10hipError_tPvRmT3_T4_T5_T6_T7_T9_mT8_P12ihipStream_tbDpT10_ENKUlT_T0_E_clISt17integral_constantIbLb0EES1D_EEDaS18_S19_EUlS18_E_NS1_11comp_targetILNS1_3genE0ELNS1_11target_archE4294967295ELNS1_3gpuE0ELNS1_3repE0EEENS1_30default_config_static_selectorELNS0_4arch9wavefront6targetE1EEEvT1_.num_agpr, 0
	.set _ZN7rocprim17ROCPRIM_400000_NS6detail17trampoline_kernelINS0_14default_configENS1_25partition_config_selectorILNS1_17partition_subalgoE8EjNS0_10empty_typeEbEEZZNS1_14partition_implILS5_8ELb0ES3_jN6thrust23THRUST_200600_302600_NS6detail15normal_iteratorINSA_10device_ptrIjEEEEPS6_PKS6_NS0_5tupleIJNSA_16discard_iteratorINSA_11use_defaultEEES6_EEENSJ_IJSG_SG_EEENS0_18inequality_wrapperINSA_8equal_toIjEEEEPmJS6_EEE10hipError_tPvRmT3_T4_T5_T6_T7_T9_mT8_P12ihipStream_tbDpT10_ENKUlT_T0_E_clISt17integral_constantIbLb0EES1D_EEDaS18_S19_EUlS18_E_NS1_11comp_targetILNS1_3genE0ELNS1_11target_archE4294967295ELNS1_3gpuE0ELNS1_3repE0EEENS1_30default_config_static_selectorELNS0_4arch9wavefront6targetE1EEEvT1_.numbered_sgpr, 0
	.set _ZN7rocprim17ROCPRIM_400000_NS6detail17trampoline_kernelINS0_14default_configENS1_25partition_config_selectorILNS1_17partition_subalgoE8EjNS0_10empty_typeEbEEZZNS1_14partition_implILS5_8ELb0ES3_jN6thrust23THRUST_200600_302600_NS6detail15normal_iteratorINSA_10device_ptrIjEEEEPS6_PKS6_NS0_5tupleIJNSA_16discard_iteratorINSA_11use_defaultEEES6_EEENSJ_IJSG_SG_EEENS0_18inequality_wrapperINSA_8equal_toIjEEEEPmJS6_EEE10hipError_tPvRmT3_T4_T5_T6_T7_T9_mT8_P12ihipStream_tbDpT10_ENKUlT_T0_E_clISt17integral_constantIbLb0EES1D_EEDaS18_S19_EUlS18_E_NS1_11comp_targetILNS1_3genE0ELNS1_11target_archE4294967295ELNS1_3gpuE0ELNS1_3repE0EEENS1_30default_config_static_selectorELNS0_4arch9wavefront6targetE1EEEvT1_.num_named_barrier, 0
	.set _ZN7rocprim17ROCPRIM_400000_NS6detail17trampoline_kernelINS0_14default_configENS1_25partition_config_selectorILNS1_17partition_subalgoE8EjNS0_10empty_typeEbEEZZNS1_14partition_implILS5_8ELb0ES3_jN6thrust23THRUST_200600_302600_NS6detail15normal_iteratorINSA_10device_ptrIjEEEEPS6_PKS6_NS0_5tupleIJNSA_16discard_iteratorINSA_11use_defaultEEES6_EEENSJ_IJSG_SG_EEENS0_18inequality_wrapperINSA_8equal_toIjEEEEPmJS6_EEE10hipError_tPvRmT3_T4_T5_T6_T7_T9_mT8_P12ihipStream_tbDpT10_ENKUlT_T0_E_clISt17integral_constantIbLb0EES1D_EEDaS18_S19_EUlS18_E_NS1_11comp_targetILNS1_3genE0ELNS1_11target_archE4294967295ELNS1_3gpuE0ELNS1_3repE0EEENS1_30default_config_static_selectorELNS0_4arch9wavefront6targetE1EEEvT1_.private_seg_size, 0
	.set _ZN7rocprim17ROCPRIM_400000_NS6detail17trampoline_kernelINS0_14default_configENS1_25partition_config_selectorILNS1_17partition_subalgoE8EjNS0_10empty_typeEbEEZZNS1_14partition_implILS5_8ELb0ES3_jN6thrust23THRUST_200600_302600_NS6detail15normal_iteratorINSA_10device_ptrIjEEEEPS6_PKS6_NS0_5tupleIJNSA_16discard_iteratorINSA_11use_defaultEEES6_EEENSJ_IJSG_SG_EEENS0_18inequality_wrapperINSA_8equal_toIjEEEEPmJS6_EEE10hipError_tPvRmT3_T4_T5_T6_T7_T9_mT8_P12ihipStream_tbDpT10_ENKUlT_T0_E_clISt17integral_constantIbLb0EES1D_EEDaS18_S19_EUlS18_E_NS1_11comp_targetILNS1_3genE0ELNS1_11target_archE4294967295ELNS1_3gpuE0ELNS1_3repE0EEENS1_30default_config_static_selectorELNS0_4arch9wavefront6targetE1EEEvT1_.uses_vcc, 0
	.set _ZN7rocprim17ROCPRIM_400000_NS6detail17trampoline_kernelINS0_14default_configENS1_25partition_config_selectorILNS1_17partition_subalgoE8EjNS0_10empty_typeEbEEZZNS1_14partition_implILS5_8ELb0ES3_jN6thrust23THRUST_200600_302600_NS6detail15normal_iteratorINSA_10device_ptrIjEEEEPS6_PKS6_NS0_5tupleIJNSA_16discard_iteratorINSA_11use_defaultEEES6_EEENSJ_IJSG_SG_EEENS0_18inequality_wrapperINSA_8equal_toIjEEEEPmJS6_EEE10hipError_tPvRmT3_T4_T5_T6_T7_T9_mT8_P12ihipStream_tbDpT10_ENKUlT_T0_E_clISt17integral_constantIbLb0EES1D_EEDaS18_S19_EUlS18_E_NS1_11comp_targetILNS1_3genE0ELNS1_11target_archE4294967295ELNS1_3gpuE0ELNS1_3repE0EEENS1_30default_config_static_selectorELNS0_4arch9wavefront6targetE1EEEvT1_.uses_flat_scratch, 0
	.set _ZN7rocprim17ROCPRIM_400000_NS6detail17trampoline_kernelINS0_14default_configENS1_25partition_config_selectorILNS1_17partition_subalgoE8EjNS0_10empty_typeEbEEZZNS1_14partition_implILS5_8ELb0ES3_jN6thrust23THRUST_200600_302600_NS6detail15normal_iteratorINSA_10device_ptrIjEEEEPS6_PKS6_NS0_5tupleIJNSA_16discard_iteratorINSA_11use_defaultEEES6_EEENSJ_IJSG_SG_EEENS0_18inequality_wrapperINSA_8equal_toIjEEEEPmJS6_EEE10hipError_tPvRmT3_T4_T5_T6_T7_T9_mT8_P12ihipStream_tbDpT10_ENKUlT_T0_E_clISt17integral_constantIbLb0EES1D_EEDaS18_S19_EUlS18_E_NS1_11comp_targetILNS1_3genE0ELNS1_11target_archE4294967295ELNS1_3gpuE0ELNS1_3repE0EEENS1_30default_config_static_selectorELNS0_4arch9wavefront6targetE1EEEvT1_.has_dyn_sized_stack, 0
	.set _ZN7rocprim17ROCPRIM_400000_NS6detail17trampoline_kernelINS0_14default_configENS1_25partition_config_selectorILNS1_17partition_subalgoE8EjNS0_10empty_typeEbEEZZNS1_14partition_implILS5_8ELb0ES3_jN6thrust23THRUST_200600_302600_NS6detail15normal_iteratorINSA_10device_ptrIjEEEEPS6_PKS6_NS0_5tupleIJNSA_16discard_iteratorINSA_11use_defaultEEES6_EEENSJ_IJSG_SG_EEENS0_18inequality_wrapperINSA_8equal_toIjEEEEPmJS6_EEE10hipError_tPvRmT3_T4_T5_T6_T7_T9_mT8_P12ihipStream_tbDpT10_ENKUlT_T0_E_clISt17integral_constantIbLb0EES1D_EEDaS18_S19_EUlS18_E_NS1_11comp_targetILNS1_3genE0ELNS1_11target_archE4294967295ELNS1_3gpuE0ELNS1_3repE0EEENS1_30default_config_static_selectorELNS0_4arch9wavefront6targetE1EEEvT1_.has_recursion, 0
	.set _ZN7rocprim17ROCPRIM_400000_NS6detail17trampoline_kernelINS0_14default_configENS1_25partition_config_selectorILNS1_17partition_subalgoE8EjNS0_10empty_typeEbEEZZNS1_14partition_implILS5_8ELb0ES3_jN6thrust23THRUST_200600_302600_NS6detail15normal_iteratorINSA_10device_ptrIjEEEEPS6_PKS6_NS0_5tupleIJNSA_16discard_iteratorINSA_11use_defaultEEES6_EEENSJ_IJSG_SG_EEENS0_18inequality_wrapperINSA_8equal_toIjEEEEPmJS6_EEE10hipError_tPvRmT3_T4_T5_T6_T7_T9_mT8_P12ihipStream_tbDpT10_ENKUlT_T0_E_clISt17integral_constantIbLb0EES1D_EEDaS18_S19_EUlS18_E_NS1_11comp_targetILNS1_3genE0ELNS1_11target_archE4294967295ELNS1_3gpuE0ELNS1_3repE0EEENS1_30default_config_static_selectorELNS0_4arch9wavefront6targetE1EEEvT1_.has_indirect_call, 0
	.section	.AMDGPU.csdata,"",@progbits
; Kernel info:
; codeLenInByte = 0
; TotalNumSgprs: 4
; NumVgprs: 0
; ScratchSize: 0
; MemoryBound: 0
; FloatMode: 240
; IeeeMode: 1
; LDSByteSize: 0 bytes/workgroup (compile time only)
; SGPRBlocks: 0
; VGPRBlocks: 0
; NumSGPRsForWavesPerEU: 4
; NumVGPRsForWavesPerEU: 1
; Occupancy: 10
; WaveLimiterHint : 0
; COMPUTE_PGM_RSRC2:SCRATCH_EN: 0
; COMPUTE_PGM_RSRC2:USER_SGPR: 6
; COMPUTE_PGM_RSRC2:TRAP_HANDLER: 0
; COMPUTE_PGM_RSRC2:TGID_X_EN: 1
; COMPUTE_PGM_RSRC2:TGID_Y_EN: 0
; COMPUTE_PGM_RSRC2:TGID_Z_EN: 0
; COMPUTE_PGM_RSRC2:TIDIG_COMP_CNT: 0
	.section	.text._ZN7rocprim17ROCPRIM_400000_NS6detail17trampoline_kernelINS0_14default_configENS1_25partition_config_selectorILNS1_17partition_subalgoE8EjNS0_10empty_typeEbEEZZNS1_14partition_implILS5_8ELb0ES3_jN6thrust23THRUST_200600_302600_NS6detail15normal_iteratorINSA_10device_ptrIjEEEEPS6_PKS6_NS0_5tupleIJNSA_16discard_iteratorINSA_11use_defaultEEES6_EEENSJ_IJSG_SG_EEENS0_18inequality_wrapperINSA_8equal_toIjEEEEPmJS6_EEE10hipError_tPvRmT3_T4_T5_T6_T7_T9_mT8_P12ihipStream_tbDpT10_ENKUlT_T0_E_clISt17integral_constantIbLb0EES1D_EEDaS18_S19_EUlS18_E_NS1_11comp_targetILNS1_3genE5ELNS1_11target_archE942ELNS1_3gpuE9ELNS1_3repE0EEENS1_30default_config_static_selectorELNS0_4arch9wavefront6targetE1EEEvT1_,"axG",@progbits,_ZN7rocprim17ROCPRIM_400000_NS6detail17trampoline_kernelINS0_14default_configENS1_25partition_config_selectorILNS1_17partition_subalgoE8EjNS0_10empty_typeEbEEZZNS1_14partition_implILS5_8ELb0ES3_jN6thrust23THRUST_200600_302600_NS6detail15normal_iteratorINSA_10device_ptrIjEEEEPS6_PKS6_NS0_5tupleIJNSA_16discard_iteratorINSA_11use_defaultEEES6_EEENSJ_IJSG_SG_EEENS0_18inequality_wrapperINSA_8equal_toIjEEEEPmJS6_EEE10hipError_tPvRmT3_T4_T5_T6_T7_T9_mT8_P12ihipStream_tbDpT10_ENKUlT_T0_E_clISt17integral_constantIbLb0EES1D_EEDaS18_S19_EUlS18_E_NS1_11comp_targetILNS1_3genE5ELNS1_11target_archE942ELNS1_3gpuE9ELNS1_3repE0EEENS1_30default_config_static_selectorELNS0_4arch9wavefront6targetE1EEEvT1_,comdat
	.protected	_ZN7rocprim17ROCPRIM_400000_NS6detail17trampoline_kernelINS0_14default_configENS1_25partition_config_selectorILNS1_17partition_subalgoE8EjNS0_10empty_typeEbEEZZNS1_14partition_implILS5_8ELb0ES3_jN6thrust23THRUST_200600_302600_NS6detail15normal_iteratorINSA_10device_ptrIjEEEEPS6_PKS6_NS0_5tupleIJNSA_16discard_iteratorINSA_11use_defaultEEES6_EEENSJ_IJSG_SG_EEENS0_18inequality_wrapperINSA_8equal_toIjEEEEPmJS6_EEE10hipError_tPvRmT3_T4_T5_T6_T7_T9_mT8_P12ihipStream_tbDpT10_ENKUlT_T0_E_clISt17integral_constantIbLb0EES1D_EEDaS18_S19_EUlS18_E_NS1_11comp_targetILNS1_3genE5ELNS1_11target_archE942ELNS1_3gpuE9ELNS1_3repE0EEENS1_30default_config_static_selectorELNS0_4arch9wavefront6targetE1EEEvT1_ ; -- Begin function _ZN7rocprim17ROCPRIM_400000_NS6detail17trampoline_kernelINS0_14default_configENS1_25partition_config_selectorILNS1_17partition_subalgoE8EjNS0_10empty_typeEbEEZZNS1_14partition_implILS5_8ELb0ES3_jN6thrust23THRUST_200600_302600_NS6detail15normal_iteratorINSA_10device_ptrIjEEEEPS6_PKS6_NS0_5tupleIJNSA_16discard_iteratorINSA_11use_defaultEEES6_EEENSJ_IJSG_SG_EEENS0_18inequality_wrapperINSA_8equal_toIjEEEEPmJS6_EEE10hipError_tPvRmT3_T4_T5_T6_T7_T9_mT8_P12ihipStream_tbDpT10_ENKUlT_T0_E_clISt17integral_constantIbLb0EES1D_EEDaS18_S19_EUlS18_E_NS1_11comp_targetILNS1_3genE5ELNS1_11target_archE942ELNS1_3gpuE9ELNS1_3repE0EEENS1_30default_config_static_selectorELNS0_4arch9wavefront6targetE1EEEvT1_
	.globl	_ZN7rocprim17ROCPRIM_400000_NS6detail17trampoline_kernelINS0_14default_configENS1_25partition_config_selectorILNS1_17partition_subalgoE8EjNS0_10empty_typeEbEEZZNS1_14partition_implILS5_8ELb0ES3_jN6thrust23THRUST_200600_302600_NS6detail15normal_iteratorINSA_10device_ptrIjEEEEPS6_PKS6_NS0_5tupleIJNSA_16discard_iteratorINSA_11use_defaultEEES6_EEENSJ_IJSG_SG_EEENS0_18inequality_wrapperINSA_8equal_toIjEEEEPmJS6_EEE10hipError_tPvRmT3_T4_T5_T6_T7_T9_mT8_P12ihipStream_tbDpT10_ENKUlT_T0_E_clISt17integral_constantIbLb0EES1D_EEDaS18_S19_EUlS18_E_NS1_11comp_targetILNS1_3genE5ELNS1_11target_archE942ELNS1_3gpuE9ELNS1_3repE0EEENS1_30default_config_static_selectorELNS0_4arch9wavefront6targetE1EEEvT1_
	.p2align	8
	.type	_ZN7rocprim17ROCPRIM_400000_NS6detail17trampoline_kernelINS0_14default_configENS1_25partition_config_selectorILNS1_17partition_subalgoE8EjNS0_10empty_typeEbEEZZNS1_14partition_implILS5_8ELb0ES3_jN6thrust23THRUST_200600_302600_NS6detail15normal_iteratorINSA_10device_ptrIjEEEEPS6_PKS6_NS0_5tupleIJNSA_16discard_iteratorINSA_11use_defaultEEES6_EEENSJ_IJSG_SG_EEENS0_18inequality_wrapperINSA_8equal_toIjEEEEPmJS6_EEE10hipError_tPvRmT3_T4_T5_T6_T7_T9_mT8_P12ihipStream_tbDpT10_ENKUlT_T0_E_clISt17integral_constantIbLb0EES1D_EEDaS18_S19_EUlS18_E_NS1_11comp_targetILNS1_3genE5ELNS1_11target_archE942ELNS1_3gpuE9ELNS1_3repE0EEENS1_30default_config_static_selectorELNS0_4arch9wavefront6targetE1EEEvT1_,@function
_ZN7rocprim17ROCPRIM_400000_NS6detail17trampoline_kernelINS0_14default_configENS1_25partition_config_selectorILNS1_17partition_subalgoE8EjNS0_10empty_typeEbEEZZNS1_14partition_implILS5_8ELb0ES3_jN6thrust23THRUST_200600_302600_NS6detail15normal_iteratorINSA_10device_ptrIjEEEEPS6_PKS6_NS0_5tupleIJNSA_16discard_iteratorINSA_11use_defaultEEES6_EEENSJ_IJSG_SG_EEENS0_18inequality_wrapperINSA_8equal_toIjEEEEPmJS6_EEE10hipError_tPvRmT3_T4_T5_T6_T7_T9_mT8_P12ihipStream_tbDpT10_ENKUlT_T0_E_clISt17integral_constantIbLb0EES1D_EEDaS18_S19_EUlS18_E_NS1_11comp_targetILNS1_3genE5ELNS1_11target_archE942ELNS1_3gpuE9ELNS1_3repE0EEENS1_30default_config_static_selectorELNS0_4arch9wavefront6targetE1EEEvT1_: ; @_ZN7rocprim17ROCPRIM_400000_NS6detail17trampoline_kernelINS0_14default_configENS1_25partition_config_selectorILNS1_17partition_subalgoE8EjNS0_10empty_typeEbEEZZNS1_14partition_implILS5_8ELb0ES3_jN6thrust23THRUST_200600_302600_NS6detail15normal_iteratorINSA_10device_ptrIjEEEEPS6_PKS6_NS0_5tupleIJNSA_16discard_iteratorINSA_11use_defaultEEES6_EEENSJ_IJSG_SG_EEENS0_18inequality_wrapperINSA_8equal_toIjEEEEPmJS6_EEE10hipError_tPvRmT3_T4_T5_T6_T7_T9_mT8_P12ihipStream_tbDpT10_ENKUlT_T0_E_clISt17integral_constantIbLb0EES1D_EEDaS18_S19_EUlS18_E_NS1_11comp_targetILNS1_3genE5ELNS1_11target_archE942ELNS1_3gpuE9ELNS1_3repE0EEENS1_30default_config_static_selectorELNS0_4arch9wavefront6targetE1EEEvT1_
; %bb.0:
	.section	.rodata,"a",@progbits
	.p2align	6, 0x0
	.amdhsa_kernel _ZN7rocprim17ROCPRIM_400000_NS6detail17trampoline_kernelINS0_14default_configENS1_25partition_config_selectorILNS1_17partition_subalgoE8EjNS0_10empty_typeEbEEZZNS1_14partition_implILS5_8ELb0ES3_jN6thrust23THRUST_200600_302600_NS6detail15normal_iteratorINSA_10device_ptrIjEEEEPS6_PKS6_NS0_5tupleIJNSA_16discard_iteratorINSA_11use_defaultEEES6_EEENSJ_IJSG_SG_EEENS0_18inequality_wrapperINSA_8equal_toIjEEEEPmJS6_EEE10hipError_tPvRmT3_T4_T5_T6_T7_T9_mT8_P12ihipStream_tbDpT10_ENKUlT_T0_E_clISt17integral_constantIbLb0EES1D_EEDaS18_S19_EUlS18_E_NS1_11comp_targetILNS1_3genE5ELNS1_11target_archE942ELNS1_3gpuE9ELNS1_3repE0EEENS1_30default_config_static_selectorELNS0_4arch9wavefront6targetE1EEEvT1_
		.amdhsa_group_segment_fixed_size 0
		.amdhsa_private_segment_fixed_size 0
		.amdhsa_kernarg_size 120
		.amdhsa_user_sgpr_count 6
		.amdhsa_user_sgpr_private_segment_buffer 1
		.amdhsa_user_sgpr_dispatch_ptr 0
		.amdhsa_user_sgpr_queue_ptr 0
		.amdhsa_user_sgpr_kernarg_segment_ptr 1
		.amdhsa_user_sgpr_dispatch_id 0
		.amdhsa_user_sgpr_flat_scratch_init 0
		.amdhsa_user_sgpr_private_segment_size 0
		.amdhsa_uses_dynamic_stack 0
		.amdhsa_system_sgpr_private_segment_wavefront_offset 0
		.amdhsa_system_sgpr_workgroup_id_x 1
		.amdhsa_system_sgpr_workgroup_id_y 0
		.amdhsa_system_sgpr_workgroup_id_z 0
		.amdhsa_system_sgpr_workgroup_info 0
		.amdhsa_system_vgpr_workitem_id 0
		.amdhsa_next_free_vgpr 1
		.amdhsa_next_free_sgpr 0
		.amdhsa_reserve_vcc 0
		.amdhsa_reserve_flat_scratch 0
		.amdhsa_float_round_mode_32 0
		.amdhsa_float_round_mode_16_64 0
		.amdhsa_float_denorm_mode_32 3
		.amdhsa_float_denorm_mode_16_64 3
		.amdhsa_dx10_clamp 1
		.amdhsa_ieee_mode 1
		.amdhsa_fp16_overflow 0
		.amdhsa_exception_fp_ieee_invalid_op 0
		.amdhsa_exception_fp_denorm_src 0
		.amdhsa_exception_fp_ieee_div_zero 0
		.amdhsa_exception_fp_ieee_overflow 0
		.amdhsa_exception_fp_ieee_underflow 0
		.amdhsa_exception_fp_ieee_inexact 0
		.amdhsa_exception_int_div_zero 0
	.end_amdhsa_kernel
	.section	.text._ZN7rocprim17ROCPRIM_400000_NS6detail17trampoline_kernelINS0_14default_configENS1_25partition_config_selectorILNS1_17partition_subalgoE8EjNS0_10empty_typeEbEEZZNS1_14partition_implILS5_8ELb0ES3_jN6thrust23THRUST_200600_302600_NS6detail15normal_iteratorINSA_10device_ptrIjEEEEPS6_PKS6_NS0_5tupleIJNSA_16discard_iteratorINSA_11use_defaultEEES6_EEENSJ_IJSG_SG_EEENS0_18inequality_wrapperINSA_8equal_toIjEEEEPmJS6_EEE10hipError_tPvRmT3_T4_T5_T6_T7_T9_mT8_P12ihipStream_tbDpT10_ENKUlT_T0_E_clISt17integral_constantIbLb0EES1D_EEDaS18_S19_EUlS18_E_NS1_11comp_targetILNS1_3genE5ELNS1_11target_archE942ELNS1_3gpuE9ELNS1_3repE0EEENS1_30default_config_static_selectorELNS0_4arch9wavefront6targetE1EEEvT1_,"axG",@progbits,_ZN7rocprim17ROCPRIM_400000_NS6detail17trampoline_kernelINS0_14default_configENS1_25partition_config_selectorILNS1_17partition_subalgoE8EjNS0_10empty_typeEbEEZZNS1_14partition_implILS5_8ELb0ES3_jN6thrust23THRUST_200600_302600_NS6detail15normal_iteratorINSA_10device_ptrIjEEEEPS6_PKS6_NS0_5tupleIJNSA_16discard_iteratorINSA_11use_defaultEEES6_EEENSJ_IJSG_SG_EEENS0_18inequality_wrapperINSA_8equal_toIjEEEEPmJS6_EEE10hipError_tPvRmT3_T4_T5_T6_T7_T9_mT8_P12ihipStream_tbDpT10_ENKUlT_T0_E_clISt17integral_constantIbLb0EES1D_EEDaS18_S19_EUlS18_E_NS1_11comp_targetILNS1_3genE5ELNS1_11target_archE942ELNS1_3gpuE9ELNS1_3repE0EEENS1_30default_config_static_selectorELNS0_4arch9wavefront6targetE1EEEvT1_,comdat
.Lfunc_end566:
	.size	_ZN7rocprim17ROCPRIM_400000_NS6detail17trampoline_kernelINS0_14default_configENS1_25partition_config_selectorILNS1_17partition_subalgoE8EjNS0_10empty_typeEbEEZZNS1_14partition_implILS5_8ELb0ES3_jN6thrust23THRUST_200600_302600_NS6detail15normal_iteratorINSA_10device_ptrIjEEEEPS6_PKS6_NS0_5tupleIJNSA_16discard_iteratorINSA_11use_defaultEEES6_EEENSJ_IJSG_SG_EEENS0_18inequality_wrapperINSA_8equal_toIjEEEEPmJS6_EEE10hipError_tPvRmT3_T4_T5_T6_T7_T9_mT8_P12ihipStream_tbDpT10_ENKUlT_T0_E_clISt17integral_constantIbLb0EES1D_EEDaS18_S19_EUlS18_E_NS1_11comp_targetILNS1_3genE5ELNS1_11target_archE942ELNS1_3gpuE9ELNS1_3repE0EEENS1_30default_config_static_selectorELNS0_4arch9wavefront6targetE1EEEvT1_, .Lfunc_end566-_ZN7rocprim17ROCPRIM_400000_NS6detail17trampoline_kernelINS0_14default_configENS1_25partition_config_selectorILNS1_17partition_subalgoE8EjNS0_10empty_typeEbEEZZNS1_14partition_implILS5_8ELb0ES3_jN6thrust23THRUST_200600_302600_NS6detail15normal_iteratorINSA_10device_ptrIjEEEEPS6_PKS6_NS0_5tupleIJNSA_16discard_iteratorINSA_11use_defaultEEES6_EEENSJ_IJSG_SG_EEENS0_18inequality_wrapperINSA_8equal_toIjEEEEPmJS6_EEE10hipError_tPvRmT3_T4_T5_T6_T7_T9_mT8_P12ihipStream_tbDpT10_ENKUlT_T0_E_clISt17integral_constantIbLb0EES1D_EEDaS18_S19_EUlS18_E_NS1_11comp_targetILNS1_3genE5ELNS1_11target_archE942ELNS1_3gpuE9ELNS1_3repE0EEENS1_30default_config_static_selectorELNS0_4arch9wavefront6targetE1EEEvT1_
                                        ; -- End function
	.set _ZN7rocprim17ROCPRIM_400000_NS6detail17trampoline_kernelINS0_14default_configENS1_25partition_config_selectorILNS1_17partition_subalgoE8EjNS0_10empty_typeEbEEZZNS1_14partition_implILS5_8ELb0ES3_jN6thrust23THRUST_200600_302600_NS6detail15normal_iteratorINSA_10device_ptrIjEEEEPS6_PKS6_NS0_5tupleIJNSA_16discard_iteratorINSA_11use_defaultEEES6_EEENSJ_IJSG_SG_EEENS0_18inequality_wrapperINSA_8equal_toIjEEEEPmJS6_EEE10hipError_tPvRmT3_T4_T5_T6_T7_T9_mT8_P12ihipStream_tbDpT10_ENKUlT_T0_E_clISt17integral_constantIbLb0EES1D_EEDaS18_S19_EUlS18_E_NS1_11comp_targetILNS1_3genE5ELNS1_11target_archE942ELNS1_3gpuE9ELNS1_3repE0EEENS1_30default_config_static_selectorELNS0_4arch9wavefront6targetE1EEEvT1_.num_vgpr, 0
	.set _ZN7rocprim17ROCPRIM_400000_NS6detail17trampoline_kernelINS0_14default_configENS1_25partition_config_selectorILNS1_17partition_subalgoE8EjNS0_10empty_typeEbEEZZNS1_14partition_implILS5_8ELb0ES3_jN6thrust23THRUST_200600_302600_NS6detail15normal_iteratorINSA_10device_ptrIjEEEEPS6_PKS6_NS0_5tupleIJNSA_16discard_iteratorINSA_11use_defaultEEES6_EEENSJ_IJSG_SG_EEENS0_18inequality_wrapperINSA_8equal_toIjEEEEPmJS6_EEE10hipError_tPvRmT3_T4_T5_T6_T7_T9_mT8_P12ihipStream_tbDpT10_ENKUlT_T0_E_clISt17integral_constantIbLb0EES1D_EEDaS18_S19_EUlS18_E_NS1_11comp_targetILNS1_3genE5ELNS1_11target_archE942ELNS1_3gpuE9ELNS1_3repE0EEENS1_30default_config_static_selectorELNS0_4arch9wavefront6targetE1EEEvT1_.num_agpr, 0
	.set _ZN7rocprim17ROCPRIM_400000_NS6detail17trampoline_kernelINS0_14default_configENS1_25partition_config_selectorILNS1_17partition_subalgoE8EjNS0_10empty_typeEbEEZZNS1_14partition_implILS5_8ELb0ES3_jN6thrust23THRUST_200600_302600_NS6detail15normal_iteratorINSA_10device_ptrIjEEEEPS6_PKS6_NS0_5tupleIJNSA_16discard_iteratorINSA_11use_defaultEEES6_EEENSJ_IJSG_SG_EEENS0_18inequality_wrapperINSA_8equal_toIjEEEEPmJS6_EEE10hipError_tPvRmT3_T4_T5_T6_T7_T9_mT8_P12ihipStream_tbDpT10_ENKUlT_T0_E_clISt17integral_constantIbLb0EES1D_EEDaS18_S19_EUlS18_E_NS1_11comp_targetILNS1_3genE5ELNS1_11target_archE942ELNS1_3gpuE9ELNS1_3repE0EEENS1_30default_config_static_selectorELNS0_4arch9wavefront6targetE1EEEvT1_.numbered_sgpr, 0
	.set _ZN7rocprim17ROCPRIM_400000_NS6detail17trampoline_kernelINS0_14default_configENS1_25partition_config_selectorILNS1_17partition_subalgoE8EjNS0_10empty_typeEbEEZZNS1_14partition_implILS5_8ELb0ES3_jN6thrust23THRUST_200600_302600_NS6detail15normal_iteratorINSA_10device_ptrIjEEEEPS6_PKS6_NS0_5tupleIJNSA_16discard_iteratorINSA_11use_defaultEEES6_EEENSJ_IJSG_SG_EEENS0_18inequality_wrapperINSA_8equal_toIjEEEEPmJS6_EEE10hipError_tPvRmT3_T4_T5_T6_T7_T9_mT8_P12ihipStream_tbDpT10_ENKUlT_T0_E_clISt17integral_constantIbLb0EES1D_EEDaS18_S19_EUlS18_E_NS1_11comp_targetILNS1_3genE5ELNS1_11target_archE942ELNS1_3gpuE9ELNS1_3repE0EEENS1_30default_config_static_selectorELNS0_4arch9wavefront6targetE1EEEvT1_.num_named_barrier, 0
	.set _ZN7rocprim17ROCPRIM_400000_NS6detail17trampoline_kernelINS0_14default_configENS1_25partition_config_selectorILNS1_17partition_subalgoE8EjNS0_10empty_typeEbEEZZNS1_14partition_implILS5_8ELb0ES3_jN6thrust23THRUST_200600_302600_NS6detail15normal_iteratorINSA_10device_ptrIjEEEEPS6_PKS6_NS0_5tupleIJNSA_16discard_iteratorINSA_11use_defaultEEES6_EEENSJ_IJSG_SG_EEENS0_18inequality_wrapperINSA_8equal_toIjEEEEPmJS6_EEE10hipError_tPvRmT3_T4_T5_T6_T7_T9_mT8_P12ihipStream_tbDpT10_ENKUlT_T0_E_clISt17integral_constantIbLb0EES1D_EEDaS18_S19_EUlS18_E_NS1_11comp_targetILNS1_3genE5ELNS1_11target_archE942ELNS1_3gpuE9ELNS1_3repE0EEENS1_30default_config_static_selectorELNS0_4arch9wavefront6targetE1EEEvT1_.private_seg_size, 0
	.set _ZN7rocprim17ROCPRIM_400000_NS6detail17trampoline_kernelINS0_14default_configENS1_25partition_config_selectorILNS1_17partition_subalgoE8EjNS0_10empty_typeEbEEZZNS1_14partition_implILS5_8ELb0ES3_jN6thrust23THRUST_200600_302600_NS6detail15normal_iteratorINSA_10device_ptrIjEEEEPS6_PKS6_NS0_5tupleIJNSA_16discard_iteratorINSA_11use_defaultEEES6_EEENSJ_IJSG_SG_EEENS0_18inequality_wrapperINSA_8equal_toIjEEEEPmJS6_EEE10hipError_tPvRmT3_T4_T5_T6_T7_T9_mT8_P12ihipStream_tbDpT10_ENKUlT_T0_E_clISt17integral_constantIbLb0EES1D_EEDaS18_S19_EUlS18_E_NS1_11comp_targetILNS1_3genE5ELNS1_11target_archE942ELNS1_3gpuE9ELNS1_3repE0EEENS1_30default_config_static_selectorELNS0_4arch9wavefront6targetE1EEEvT1_.uses_vcc, 0
	.set _ZN7rocprim17ROCPRIM_400000_NS6detail17trampoline_kernelINS0_14default_configENS1_25partition_config_selectorILNS1_17partition_subalgoE8EjNS0_10empty_typeEbEEZZNS1_14partition_implILS5_8ELb0ES3_jN6thrust23THRUST_200600_302600_NS6detail15normal_iteratorINSA_10device_ptrIjEEEEPS6_PKS6_NS0_5tupleIJNSA_16discard_iteratorINSA_11use_defaultEEES6_EEENSJ_IJSG_SG_EEENS0_18inequality_wrapperINSA_8equal_toIjEEEEPmJS6_EEE10hipError_tPvRmT3_T4_T5_T6_T7_T9_mT8_P12ihipStream_tbDpT10_ENKUlT_T0_E_clISt17integral_constantIbLb0EES1D_EEDaS18_S19_EUlS18_E_NS1_11comp_targetILNS1_3genE5ELNS1_11target_archE942ELNS1_3gpuE9ELNS1_3repE0EEENS1_30default_config_static_selectorELNS0_4arch9wavefront6targetE1EEEvT1_.uses_flat_scratch, 0
	.set _ZN7rocprim17ROCPRIM_400000_NS6detail17trampoline_kernelINS0_14default_configENS1_25partition_config_selectorILNS1_17partition_subalgoE8EjNS0_10empty_typeEbEEZZNS1_14partition_implILS5_8ELb0ES3_jN6thrust23THRUST_200600_302600_NS6detail15normal_iteratorINSA_10device_ptrIjEEEEPS6_PKS6_NS0_5tupleIJNSA_16discard_iteratorINSA_11use_defaultEEES6_EEENSJ_IJSG_SG_EEENS0_18inequality_wrapperINSA_8equal_toIjEEEEPmJS6_EEE10hipError_tPvRmT3_T4_T5_T6_T7_T9_mT8_P12ihipStream_tbDpT10_ENKUlT_T0_E_clISt17integral_constantIbLb0EES1D_EEDaS18_S19_EUlS18_E_NS1_11comp_targetILNS1_3genE5ELNS1_11target_archE942ELNS1_3gpuE9ELNS1_3repE0EEENS1_30default_config_static_selectorELNS0_4arch9wavefront6targetE1EEEvT1_.has_dyn_sized_stack, 0
	.set _ZN7rocprim17ROCPRIM_400000_NS6detail17trampoline_kernelINS0_14default_configENS1_25partition_config_selectorILNS1_17partition_subalgoE8EjNS0_10empty_typeEbEEZZNS1_14partition_implILS5_8ELb0ES3_jN6thrust23THRUST_200600_302600_NS6detail15normal_iteratorINSA_10device_ptrIjEEEEPS6_PKS6_NS0_5tupleIJNSA_16discard_iteratorINSA_11use_defaultEEES6_EEENSJ_IJSG_SG_EEENS0_18inequality_wrapperINSA_8equal_toIjEEEEPmJS6_EEE10hipError_tPvRmT3_T4_T5_T6_T7_T9_mT8_P12ihipStream_tbDpT10_ENKUlT_T0_E_clISt17integral_constantIbLb0EES1D_EEDaS18_S19_EUlS18_E_NS1_11comp_targetILNS1_3genE5ELNS1_11target_archE942ELNS1_3gpuE9ELNS1_3repE0EEENS1_30default_config_static_selectorELNS0_4arch9wavefront6targetE1EEEvT1_.has_recursion, 0
	.set _ZN7rocprim17ROCPRIM_400000_NS6detail17trampoline_kernelINS0_14default_configENS1_25partition_config_selectorILNS1_17partition_subalgoE8EjNS0_10empty_typeEbEEZZNS1_14partition_implILS5_8ELb0ES3_jN6thrust23THRUST_200600_302600_NS6detail15normal_iteratorINSA_10device_ptrIjEEEEPS6_PKS6_NS0_5tupleIJNSA_16discard_iteratorINSA_11use_defaultEEES6_EEENSJ_IJSG_SG_EEENS0_18inequality_wrapperINSA_8equal_toIjEEEEPmJS6_EEE10hipError_tPvRmT3_T4_T5_T6_T7_T9_mT8_P12ihipStream_tbDpT10_ENKUlT_T0_E_clISt17integral_constantIbLb0EES1D_EEDaS18_S19_EUlS18_E_NS1_11comp_targetILNS1_3genE5ELNS1_11target_archE942ELNS1_3gpuE9ELNS1_3repE0EEENS1_30default_config_static_selectorELNS0_4arch9wavefront6targetE1EEEvT1_.has_indirect_call, 0
	.section	.AMDGPU.csdata,"",@progbits
; Kernel info:
; codeLenInByte = 0
; TotalNumSgprs: 4
; NumVgprs: 0
; ScratchSize: 0
; MemoryBound: 0
; FloatMode: 240
; IeeeMode: 1
; LDSByteSize: 0 bytes/workgroup (compile time only)
; SGPRBlocks: 0
; VGPRBlocks: 0
; NumSGPRsForWavesPerEU: 4
; NumVGPRsForWavesPerEU: 1
; Occupancy: 10
; WaveLimiterHint : 0
; COMPUTE_PGM_RSRC2:SCRATCH_EN: 0
; COMPUTE_PGM_RSRC2:USER_SGPR: 6
; COMPUTE_PGM_RSRC2:TRAP_HANDLER: 0
; COMPUTE_PGM_RSRC2:TGID_X_EN: 1
; COMPUTE_PGM_RSRC2:TGID_Y_EN: 0
; COMPUTE_PGM_RSRC2:TGID_Z_EN: 0
; COMPUTE_PGM_RSRC2:TIDIG_COMP_CNT: 0
	.section	.text._ZN7rocprim17ROCPRIM_400000_NS6detail17trampoline_kernelINS0_14default_configENS1_25partition_config_selectorILNS1_17partition_subalgoE8EjNS0_10empty_typeEbEEZZNS1_14partition_implILS5_8ELb0ES3_jN6thrust23THRUST_200600_302600_NS6detail15normal_iteratorINSA_10device_ptrIjEEEEPS6_PKS6_NS0_5tupleIJNSA_16discard_iteratorINSA_11use_defaultEEES6_EEENSJ_IJSG_SG_EEENS0_18inequality_wrapperINSA_8equal_toIjEEEEPmJS6_EEE10hipError_tPvRmT3_T4_T5_T6_T7_T9_mT8_P12ihipStream_tbDpT10_ENKUlT_T0_E_clISt17integral_constantIbLb0EES1D_EEDaS18_S19_EUlS18_E_NS1_11comp_targetILNS1_3genE4ELNS1_11target_archE910ELNS1_3gpuE8ELNS1_3repE0EEENS1_30default_config_static_selectorELNS0_4arch9wavefront6targetE1EEEvT1_,"axG",@progbits,_ZN7rocprim17ROCPRIM_400000_NS6detail17trampoline_kernelINS0_14default_configENS1_25partition_config_selectorILNS1_17partition_subalgoE8EjNS0_10empty_typeEbEEZZNS1_14partition_implILS5_8ELb0ES3_jN6thrust23THRUST_200600_302600_NS6detail15normal_iteratorINSA_10device_ptrIjEEEEPS6_PKS6_NS0_5tupleIJNSA_16discard_iteratorINSA_11use_defaultEEES6_EEENSJ_IJSG_SG_EEENS0_18inequality_wrapperINSA_8equal_toIjEEEEPmJS6_EEE10hipError_tPvRmT3_T4_T5_T6_T7_T9_mT8_P12ihipStream_tbDpT10_ENKUlT_T0_E_clISt17integral_constantIbLb0EES1D_EEDaS18_S19_EUlS18_E_NS1_11comp_targetILNS1_3genE4ELNS1_11target_archE910ELNS1_3gpuE8ELNS1_3repE0EEENS1_30default_config_static_selectorELNS0_4arch9wavefront6targetE1EEEvT1_,comdat
	.protected	_ZN7rocprim17ROCPRIM_400000_NS6detail17trampoline_kernelINS0_14default_configENS1_25partition_config_selectorILNS1_17partition_subalgoE8EjNS0_10empty_typeEbEEZZNS1_14partition_implILS5_8ELb0ES3_jN6thrust23THRUST_200600_302600_NS6detail15normal_iteratorINSA_10device_ptrIjEEEEPS6_PKS6_NS0_5tupleIJNSA_16discard_iteratorINSA_11use_defaultEEES6_EEENSJ_IJSG_SG_EEENS0_18inequality_wrapperINSA_8equal_toIjEEEEPmJS6_EEE10hipError_tPvRmT3_T4_T5_T6_T7_T9_mT8_P12ihipStream_tbDpT10_ENKUlT_T0_E_clISt17integral_constantIbLb0EES1D_EEDaS18_S19_EUlS18_E_NS1_11comp_targetILNS1_3genE4ELNS1_11target_archE910ELNS1_3gpuE8ELNS1_3repE0EEENS1_30default_config_static_selectorELNS0_4arch9wavefront6targetE1EEEvT1_ ; -- Begin function _ZN7rocprim17ROCPRIM_400000_NS6detail17trampoline_kernelINS0_14default_configENS1_25partition_config_selectorILNS1_17partition_subalgoE8EjNS0_10empty_typeEbEEZZNS1_14partition_implILS5_8ELb0ES3_jN6thrust23THRUST_200600_302600_NS6detail15normal_iteratorINSA_10device_ptrIjEEEEPS6_PKS6_NS0_5tupleIJNSA_16discard_iteratorINSA_11use_defaultEEES6_EEENSJ_IJSG_SG_EEENS0_18inequality_wrapperINSA_8equal_toIjEEEEPmJS6_EEE10hipError_tPvRmT3_T4_T5_T6_T7_T9_mT8_P12ihipStream_tbDpT10_ENKUlT_T0_E_clISt17integral_constantIbLb0EES1D_EEDaS18_S19_EUlS18_E_NS1_11comp_targetILNS1_3genE4ELNS1_11target_archE910ELNS1_3gpuE8ELNS1_3repE0EEENS1_30default_config_static_selectorELNS0_4arch9wavefront6targetE1EEEvT1_
	.globl	_ZN7rocprim17ROCPRIM_400000_NS6detail17trampoline_kernelINS0_14default_configENS1_25partition_config_selectorILNS1_17partition_subalgoE8EjNS0_10empty_typeEbEEZZNS1_14partition_implILS5_8ELb0ES3_jN6thrust23THRUST_200600_302600_NS6detail15normal_iteratorINSA_10device_ptrIjEEEEPS6_PKS6_NS0_5tupleIJNSA_16discard_iteratorINSA_11use_defaultEEES6_EEENSJ_IJSG_SG_EEENS0_18inequality_wrapperINSA_8equal_toIjEEEEPmJS6_EEE10hipError_tPvRmT3_T4_T5_T6_T7_T9_mT8_P12ihipStream_tbDpT10_ENKUlT_T0_E_clISt17integral_constantIbLb0EES1D_EEDaS18_S19_EUlS18_E_NS1_11comp_targetILNS1_3genE4ELNS1_11target_archE910ELNS1_3gpuE8ELNS1_3repE0EEENS1_30default_config_static_selectorELNS0_4arch9wavefront6targetE1EEEvT1_
	.p2align	8
	.type	_ZN7rocprim17ROCPRIM_400000_NS6detail17trampoline_kernelINS0_14default_configENS1_25partition_config_selectorILNS1_17partition_subalgoE8EjNS0_10empty_typeEbEEZZNS1_14partition_implILS5_8ELb0ES3_jN6thrust23THRUST_200600_302600_NS6detail15normal_iteratorINSA_10device_ptrIjEEEEPS6_PKS6_NS0_5tupleIJNSA_16discard_iteratorINSA_11use_defaultEEES6_EEENSJ_IJSG_SG_EEENS0_18inequality_wrapperINSA_8equal_toIjEEEEPmJS6_EEE10hipError_tPvRmT3_T4_T5_T6_T7_T9_mT8_P12ihipStream_tbDpT10_ENKUlT_T0_E_clISt17integral_constantIbLb0EES1D_EEDaS18_S19_EUlS18_E_NS1_11comp_targetILNS1_3genE4ELNS1_11target_archE910ELNS1_3gpuE8ELNS1_3repE0EEENS1_30default_config_static_selectorELNS0_4arch9wavefront6targetE1EEEvT1_,@function
_ZN7rocprim17ROCPRIM_400000_NS6detail17trampoline_kernelINS0_14default_configENS1_25partition_config_selectorILNS1_17partition_subalgoE8EjNS0_10empty_typeEbEEZZNS1_14partition_implILS5_8ELb0ES3_jN6thrust23THRUST_200600_302600_NS6detail15normal_iteratorINSA_10device_ptrIjEEEEPS6_PKS6_NS0_5tupleIJNSA_16discard_iteratorINSA_11use_defaultEEES6_EEENSJ_IJSG_SG_EEENS0_18inequality_wrapperINSA_8equal_toIjEEEEPmJS6_EEE10hipError_tPvRmT3_T4_T5_T6_T7_T9_mT8_P12ihipStream_tbDpT10_ENKUlT_T0_E_clISt17integral_constantIbLb0EES1D_EEDaS18_S19_EUlS18_E_NS1_11comp_targetILNS1_3genE4ELNS1_11target_archE910ELNS1_3gpuE8ELNS1_3repE0EEENS1_30default_config_static_selectorELNS0_4arch9wavefront6targetE1EEEvT1_: ; @_ZN7rocprim17ROCPRIM_400000_NS6detail17trampoline_kernelINS0_14default_configENS1_25partition_config_selectorILNS1_17partition_subalgoE8EjNS0_10empty_typeEbEEZZNS1_14partition_implILS5_8ELb0ES3_jN6thrust23THRUST_200600_302600_NS6detail15normal_iteratorINSA_10device_ptrIjEEEEPS6_PKS6_NS0_5tupleIJNSA_16discard_iteratorINSA_11use_defaultEEES6_EEENSJ_IJSG_SG_EEENS0_18inequality_wrapperINSA_8equal_toIjEEEEPmJS6_EEE10hipError_tPvRmT3_T4_T5_T6_T7_T9_mT8_P12ihipStream_tbDpT10_ENKUlT_T0_E_clISt17integral_constantIbLb0EES1D_EEDaS18_S19_EUlS18_E_NS1_11comp_targetILNS1_3genE4ELNS1_11target_archE910ELNS1_3gpuE8ELNS1_3repE0EEENS1_30default_config_static_selectorELNS0_4arch9wavefront6targetE1EEEvT1_
; %bb.0:
	.section	.rodata,"a",@progbits
	.p2align	6, 0x0
	.amdhsa_kernel _ZN7rocprim17ROCPRIM_400000_NS6detail17trampoline_kernelINS0_14default_configENS1_25partition_config_selectorILNS1_17partition_subalgoE8EjNS0_10empty_typeEbEEZZNS1_14partition_implILS5_8ELb0ES3_jN6thrust23THRUST_200600_302600_NS6detail15normal_iteratorINSA_10device_ptrIjEEEEPS6_PKS6_NS0_5tupleIJNSA_16discard_iteratorINSA_11use_defaultEEES6_EEENSJ_IJSG_SG_EEENS0_18inequality_wrapperINSA_8equal_toIjEEEEPmJS6_EEE10hipError_tPvRmT3_T4_T5_T6_T7_T9_mT8_P12ihipStream_tbDpT10_ENKUlT_T0_E_clISt17integral_constantIbLb0EES1D_EEDaS18_S19_EUlS18_E_NS1_11comp_targetILNS1_3genE4ELNS1_11target_archE910ELNS1_3gpuE8ELNS1_3repE0EEENS1_30default_config_static_selectorELNS0_4arch9wavefront6targetE1EEEvT1_
		.amdhsa_group_segment_fixed_size 0
		.amdhsa_private_segment_fixed_size 0
		.amdhsa_kernarg_size 120
		.amdhsa_user_sgpr_count 6
		.amdhsa_user_sgpr_private_segment_buffer 1
		.amdhsa_user_sgpr_dispatch_ptr 0
		.amdhsa_user_sgpr_queue_ptr 0
		.amdhsa_user_sgpr_kernarg_segment_ptr 1
		.amdhsa_user_sgpr_dispatch_id 0
		.amdhsa_user_sgpr_flat_scratch_init 0
		.amdhsa_user_sgpr_private_segment_size 0
		.amdhsa_uses_dynamic_stack 0
		.amdhsa_system_sgpr_private_segment_wavefront_offset 0
		.amdhsa_system_sgpr_workgroup_id_x 1
		.amdhsa_system_sgpr_workgroup_id_y 0
		.amdhsa_system_sgpr_workgroup_id_z 0
		.amdhsa_system_sgpr_workgroup_info 0
		.amdhsa_system_vgpr_workitem_id 0
		.amdhsa_next_free_vgpr 1
		.amdhsa_next_free_sgpr 0
		.amdhsa_reserve_vcc 0
		.amdhsa_reserve_flat_scratch 0
		.amdhsa_float_round_mode_32 0
		.amdhsa_float_round_mode_16_64 0
		.amdhsa_float_denorm_mode_32 3
		.amdhsa_float_denorm_mode_16_64 3
		.amdhsa_dx10_clamp 1
		.amdhsa_ieee_mode 1
		.amdhsa_fp16_overflow 0
		.amdhsa_exception_fp_ieee_invalid_op 0
		.amdhsa_exception_fp_denorm_src 0
		.amdhsa_exception_fp_ieee_div_zero 0
		.amdhsa_exception_fp_ieee_overflow 0
		.amdhsa_exception_fp_ieee_underflow 0
		.amdhsa_exception_fp_ieee_inexact 0
		.amdhsa_exception_int_div_zero 0
	.end_amdhsa_kernel
	.section	.text._ZN7rocprim17ROCPRIM_400000_NS6detail17trampoline_kernelINS0_14default_configENS1_25partition_config_selectorILNS1_17partition_subalgoE8EjNS0_10empty_typeEbEEZZNS1_14partition_implILS5_8ELb0ES3_jN6thrust23THRUST_200600_302600_NS6detail15normal_iteratorINSA_10device_ptrIjEEEEPS6_PKS6_NS0_5tupleIJNSA_16discard_iteratorINSA_11use_defaultEEES6_EEENSJ_IJSG_SG_EEENS0_18inequality_wrapperINSA_8equal_toIjEEEEPmJS6_EEE10hipError_tPvRmT3_T4_T5_T6_T7_T9_mT8_P12ihipStream_tbDpT10_ENKUlT_T0_E_clISt17integral_constantIbLb0EES1D_EEDaS18_S19_EUlS18_E_NS1_11comp_targetILNS1_3genE4ELNS1_11target_archE910ELNS1_3gpuE8ELNS1_3repE0EEENS1_30default_config_static_selectorELNS0_4arch9wavefront6targetE1EEEvT1_,"axG",@progbits,_ZN7rocprim17ROCPRIM_400000_NS6detail17trampoline_kernelINS0_14default_configENS1_25partition_config_selectorILNS1_17partition_subalgoE8EjNS0_10empty_typeEbEEZZNS1_14partition_implILS5_8ELb0ES3_jN6thrust23THRUST_200600_302600_NS6detail15normal_iteratorINSA_10device_ptrIjEEEEPS6_PKS6_NS0_5tupleIJNSA_16discard_iteratorINSA_11use_defaultEEES6_EEENSJ_IJSG_SG_EEENS0_18inequality_wrapperINSA_8equal_toIjEEEEPmJS6_EEE10hipError_tPvRmT3_T4_T5_T6_T7_T9_mT8_P12ihipStream_tbDpT10_ENKUlT_T0_E_clISt17integral_constantIbLb0EES1D_EEDaS18_S19_EUlS18_E_NS1_11comp_targetILNS1_3genE4ELNS1_11target_archE910ELNS1_3gpuE8ELNS1_3repE0EEENS1_30default_config_static_selectorELNS0_4arch9wavefront6targetE1EEEvT1_,comdat
.Lfunc_end567:
	.size	_ZN7rocprim17ROCPRIM_400000_NS6detail17trampoline_kernelINS0_14default_configENS1_25partition_config_selectorILNS1_17partition_subalgoE8EjNS0_10empty_typeEbEEZZNS1_14partition_implILS5_8ELb0ES3_jN6thrust23THRUST_200600_302600_NS6detail15normal_iteratorINSA_10device_ptrIjEEEEPS6_PKS6_NS0_5tupleIJNSA_16discard_iteratorINSA_11use_defaultEEES6_EEENSJ_IJSG_SG_EEENS0_18inequality_wrapperINSA_8equal_toIjEEEEPmJS6_EEE10hipError_tPvRmT3_T4_T5_T6_T7_T9_mT8_P12ihipStream_tbDpT10_ENKUlT_T0_E_clISt17integral_constantIbLb0EES1D_EEDaS18_S19_EUlS18_E_NS1_11comp_targetILNS1_3genE4ELNS1_11target_archE910ELNS1_3gpuE8ELNS1_3repE0EEENS1_30default_config_static_selectorELNS0_4arch9wavefront6targetE1EEEvT1_, .Lfunc_end567-_ZN7rocprim17ROCPRIM_400000_NS6detail17trampoline_kernelINS0_14default_configENS1_25partition_config_selectorILNS1_17partition_subalgoE8EjNS0_10empty_typeEbEEZZNS1_14partition_implILS5_8ELb0ES3_jN6thrust23THRUST_200600_302600_NS6detail15normal_iteratorINSA_10device_ptrIjEEEEPS6_PKS6_NS0_5tupleIJNSA_16discard_iteratorINSA_11use_defaultEEES6_EEENSJ_IJSG_SG_EEENS0_18inequality_wrapperINSA_8equal_toIjEEEEPmJS6_EEE10hipError_tPvRmT3_T4_T5_T6_T7_T9_mT8_P12ihipStream_tbDpT10_ENKUlT_T0_E_clISt17integral_constantIbLb0EES1D_EEDaS18_S19_EUlS18_E_NS1_11comp_targetILNS1_3genE4ELNS1_11target_archE910ELNS1_3gpuE8ELNS1_3repE0EEENS1_30default_config_static_selectorELNS0_4arch9wavefront6targetE1EEEvT1_
                                        ; -- End function
	.set _ZN7rocprim17ROCPRIM_400000_NS6detail17trampoline_kernelINS0_14default_configENS1_25partition_config_selectorILNS1_17partition_subalgoE8EjNS0_10empty_typeEbEEZZNS1_14partition_implILS5_8ELb0ES3_jN6thrust23THRUST_200600_302600_NS6detail15normal_iteratorINSA_10device_ptrIjEEEEPS6_PKS6_NS0_5tupleIJNSA_16discard_iteratorINSA_11use_defaultEEES6_EEENSJ_IJSG_SG_EEENS0_18inequality_wrapperINSA_8equal_toIjEEEEPmJS6_EEE10hipError_tPvRmT3_T4_T5_T6_T7_T9_mT8_P12ihipStream_tbDpT10_ENKUlT_T0_E_clISt17integral_constantIbLb0EES1D_EEDaS18_S19_EUlS18_E_NS1_11comp_targetILNS1_3genE4ELNS1_11target_archE910ELNS1_3gpuE8ELNS1_3repE0EEENS1_30default_config_static_selectorELNS0_4arch9wavefront6targetE1EEEvT1_.num_vgpr, 0
	.set _ZN7rocprim17ROCPRIM_400000_NS6detail17trampoline_kernelINS0_14default_configENS1_25partition_config_selectorILNS1_17partition_subalgoE8EjNS0_10empty_typeEbEEZZNS1_14partition_implILS5_8ELb0ES3_jN6thrust23THRUST_200600_302600_NS6detail15normal_iteratorINSA_10device_ptrIjEEEEPS6_PKS6_NS0_5tupleIJNSA_16discard_iteratorINSA_11use_defaultEEES6_EEENSJ_IJSG_SG_EEENS0_18inequality_wrapperINSA_8equal_toIjEEEEPmJS6_EEE10hipError_tPvRmT3_T4_T5_T6_T7_T9_mT8_P12ihipStream_tbDpT10_ENKUlT_T0_E_clISt17integral_constantIbLb0EES1D_EEDaS18_S19_EUlS18_E_NS1_11comp_targetILNS1_3genE4ELNS1_11target_archE910ELNS1_3gpuE8ELNS1_3repE0EEENS1_30default_config_static_selectorELNS0_4arch9wavefront6targetE1EEEvT1_.num_agpr, 0
	.set _ZN7rocprim17ROCPRIM_400000_NS6detail17trampoline_kernelINS0_14default_configENS1_25partition_config_selectorILNS1_17partition_subalgoE8EjNS0_10empty_typeEbEEZZNS1_14partition_implILS5_8ELb0ES3_jN6thrust23THRUST_200600_302600_NS6detail15normal_iteratorINSA_10device_ptrIjEEEEPS6_PKS6_NS0_5tupleIJNSA_16discard_iteratorINSA_11use_defaultEEES6_EEENSJ_IJSG_SG_EEENS0_18inequality_wrapperINSA_8equal_toIjEEEEPmJS6_EEE10hipError_tPvRmT3_T4_T5_T6_T7_T9_mT8_P12ihipStream_tbDpT10_ENKUlT_T0_E_clISt17integral_constantIbLb0EES1D_EEDaS18_S19_EUlS18_E_NS1_11comp_targetILNS1_3genE4ELNS1_11target_archE910ELNS1_3gpuE8ELNS1_3repE0EEENS1_30default_config_static_selectorELNS0_4arch9wavefront6targetE1EEEvT1_.numbered_sgpr, 0
	.set _ZN7rocprim17ROCPRIM_400000_NS6detail17trampoline_kernelINS0_14default_configENS1_25partition_config_selectorILNS1_17partition_subalgoE8EjNS0_10empty_typeEbEEZZNS1_14partition_implILS5_8ELb0ES3_jN6thrust23THRUST_200600_302600_NS6detail15normal_iteratorINSA_10device_ptrIjEEEEPS6_PKS6_NS0_5tupleIJNSA_16discard_iteratorINSA_11use_defaultEEES6_EEENSJ_IJSG_SG_EEENS0_18inequality_wrapperINSA_8equal_toIjEEEEPmJS6_EEE10hipError_tPvRmT3_T4_T5_T6_T7_T9_mT8_P12ihipStream_tbDpT10_ENKUlT_T0_E_clISt17integral_constantIbLb0EES1D_EEDaS18_S19_EUlS18_E_NS1_11comp_targetILNS1_3genE4ELNS1_11target_archE910ELNS1_3gpuE8ELNS1_3repE0EEENS1_30default_config_static_selectorELNS0_4arch9wavefront6targetE1EEEvT1_.num_named_barrier, 0
	.set _ZN7rocprim17ROCPRIM_400000_NS6detail17trampoline_kernelINS0_14default_configENS1_25partition_config_selectorILNS1_17partition_subalgoE8EjNS0_10empty_typeEbEEZZNS1_14partition_implILS5_8ELb0ES3_jN6thrust23THRUST_200600_302600_NS6detail15normal_iteratorINSA_10device_ptrIjEEEEPS6_PKS6_NS0_5tupleIJNSA_16discard_iteratorINSA_11use_defaultEEES6_EEENSJ_IJSG_SG_EEENS0_18inequality_wrapperINSA_8equal_toIjEEEEPmJS6_EEE10hipError_tPvRmT3_T4_T5_T6_T7_T9_mT8_P12ihipStream_tbDpT10_ENKUlT_T0_E_clISt17integral_constantIbLb0EES1D_EEDaS18_S19_EUlS18_E_NS1_11comp_targetILNS1_3genE4ELNS1_11target_archE910ELNS1_3gpuE8ELNS1_3repE0EEENS1_30default_config_static_selectorELNS0_4arch9wavefront6targetE1EEEvT1_.private_seg_size, 0
	.set _ZN7rocprim17ROCPRIM_400000_NS6detail17trampoline_kernelINS0_14default_configENS1_25partition_config_selectorILNS1_17partition_subalgoE8EjNS0_10empty_typeEbEEZZNS1_14partition_implILS5_8ELb0ES3_jN6thrust23THRUST_200600_302600_NS6detail15normal_iteratorINSA_10device_ptrIjEEEEPS6_PKS6_NS0_5tupleIJNSA_16discard_iteratorINSA_11use_defaultEEES6_EEENSJ_IJSG_SG_EEENS0_18inequality_wrapperINSA_8equal_toIjEEEEPmJS6_EEE10hipError_tPvRmT3_T4_T5_T6_T7_T9_mT8_P12ihipStream_tbDpT10_ENKUlT_T0_E_clISt17integral_constantIbLb0EES1D_EEDaS18_S19_EUlS18_E_NS1_11comp_targetILNS1_3genE4ELNS1_11target_archE910ELNS1_3gpuE8ELNS1_3repE0EEENS1_30default_config_static_selectorELNS0_4arch9wavefront6targetE1EEEvT1_.uses_vcc, 0
	.set _ZN7rocprim17ROCPRIM_400000_NS6detail17trampoline_kernelINS0_14default_configENS1_25partition_config_selectorILNS1_17partition_subalgoE8EjNS0_10empty_typeEbEEZZNS1_14partition_implILS5_8ELb0ES3_jN6thrust23THRUST_200600_302600_NS6detail15normal_iteratorINSA_10device_ptrIjEEEEPS6_PKS6_NS0_5tupleIJNSA_16discard_iteratorINSA_11use_defaultEEES6_EEENSJ_IJSG_SG_EEENS0_18inequality_wrapperINSA_8equal_toIjEEEEPmJS6_EEE10hipError_tPvRmT3_T4_T5_T6_T7_T9_mT8_P12ihipStream_tbDpT10_ENKUlT_T0_E_clISt17integral_constantIbLb0EES1D_EEDaS18_S19_EUlS18_E_NS1_11comp_targetILNS1_3genE4ELNS1_11target_archE910ELNS1_3gpuE8ELNS1_3repE0EEENS1_30default_config_static_selectorELNS0_4arch9wavefront6targetE1EEEvT1_.uses_flat_scratch, 0
	.set _ZN7rocprim17ROCPRIM_400000_NS6detail17trampoline_kernelINS0_14default_configENS1_25partition_config_selectorILNS1_17partition_subalgoE8EjNS0_10empty_typeEbEEZZNS1_14partition_implILS5_8ELb0ES3_jN6thrust23THRUST_200600_302600_NS6detail15normal_iteratorINSA_10device_ptrIjEEEEPS6_PKS6_NS0_5tupleIJNSA_16discard_iteratorINSA_11use_defaultEEES6_EEENSJ_IJSG_SG_EEENS0_18inequality_wrapperINSA_8equal_toIjEEEEPmJS6_EEE10hipError_tPvRmT3_T4_T5_T6_T7_T9_mT8_P12ihipStream_tbDpT10_ENKUlT_T0_E_clISt17integral_constantIbLb0EES1D_EEDaS18_S19_EUlS18_E_NS1_11comp_targetILNS1_3genE4ELNS1_11target_archE910ELNS1_3gpuE8ELNS1_3repE0EEENS1_30default_config_static_selectorELNS0_4arch9wavefront6targetE1EEEvT1_.has_dyn_sized_stack, 0
	.set _ZN7rocprim17ROCPRIM_400000_NS6detail17trampoline_kernelINS0_14default_configENS1_25partition_config_selectorILNS1_17partition_subalgoE8EjNS0_10empty_typeEbEEZZNS1_14partition_implILS5_8ELb0ES3_jN6thrust23THRUST_200600_302600_NS6detail15normal_iteratorINSA_10device_ptrIjEEEEPS6_PKS6_NS0_5tupleIJNSA_16discard_iteratorINSA_11use_defaultEEES6_EEENSJ_IJSG_SG_EEENS0_18inequality_wrapperINSA_8equal_toIjEEEEPmJS6_EEE10hipError_tPvRmT3_T4_T5_T6_T7_T9_mT8_P12ihipStream_tbDpT10_ENKUlT_T0_E_clISt17integral_constantIbLb0EES1D_EEDaS18_S19_EUlS18_E_NS1_11comp_targetILNS1_3genE4ELNS1_11target_archE910ELNS1_3gpuE8ELNS1_3repE0EEENS1_30default_config_static_selectorELNS0_4arch9wavefront6targetE1EEEvT1_.has_recursion, 0
	.set _ZN7rocprim17ROCPRIM_400000_NS6detail17trampoline_kernelINS0_14default_configENS1_25partition_config_selectorILNS1_17partition_subalgoE8EjNS0_10empty_typeEbEEZZNS1_14partition_implILS5_8ELb0ES3_jN6thrust23THRUST_200600_302600_NS6detail15normal_iteratorINSA_10device_ptrIjEEEEPS6_PKS6_NS0_5tupleIJNSA_16discard_iteratorINSA_11use_defaultEEES6_EEENSJ_IJSG_SG_EEENS0_18inequality_wrapperINSA_8equal_toIjEEEEPmJS6_EEE10hipError_tPvRmT3_T4_T5_T6_T7_T9_mT8_P12ihipStream_tbDpT10_ENKUlT_T0_E_clISt17integral_constantIbLb0EES1D_EEDaS18_S19_EUlS18_E_NS1_11comp_targetILNS1_3genE4ELNS1_11target_archE910ELNS1_3gpuE8ELNS1_3repE0EEENS1_30default_config_static_selectorELNS0_4arch9wavefront6targetE1EEEvT1_.has_indirect_call, 0
	.section	.AMDGPU.csdata,"",@progbits
; Kernel info:
; codeLenInByte = 0
; TotalNumSgprs: 4
; NumVgprs: 0
; ScratchSize: 0
; MemoryBound: 0
; FloatMode: 240
; IeeeMode: 1
; LDSByteSize: 0 bytes/workgroup (compile time only)
; SGPRBlocks: 0
; VGPRBlocks: 0
; NumSGPRsForWavesPerEU: 4
; NumVGPRsForWavesPerEU: 1
; Occupancy: 10
; WaveLimiterHint : 0
; COMPUTE_PGM_RSRC2:SCRATCH_EN: 0
; COMPUTE_PGM_RSRC2:USER_SGPR: 6
; COMPUTE_PGM_RSRC2:TRAP_HANDLER: 0
; COMPUTE_PGM_RSRC2:TGID_X_EN: 1
; COMPUTE_PGM_RSRC2:TGID_Y_EN: 0
; COMPUTE_PGM_RSRC2:TGID_Z_EN: 0
; COMPUTE_PGM_RSRC2:TIDIG_COMP_CNT: 0
	.section	.text._ZN7rocprim17ROCPRIM_400000_NS6detail17trampoline_kernelINS0_14default_configENS1_25partition_config_selectorILNS1_17partition_subalgoE8EjNS0_10empty_typeEbEEZZNS1_14partition_implILS5_8ELb0ES3_jN6thrust23THRUST_200600_302600_NS6detail15normal_iteratorINSA_10device_ptrIjEEEEPS6_PKS6_NS0_5tupleIJNSA_16discard_iteratorINSA_11use_defaultEEES6_EEENSJ_IJSG_SG_EEENS0_18inequality_wrapperINSA_8equal_toIjEEEEPmJS6_EEE10hipError_tPvRmT3_T4_T5_T6_T7_T9_mT8_P12ihipStream_tbDpT10_ENKUlT_T0_E_clISt17integral_constantIbLb0EES1D_EEDaS18_S19_EUlS18_E_NS1_11comp_targetILNS1_3genE3ELNS1_11target_archE908ELNS1_3gpuE7ELNS1_3repE0EEENS1_30default_config_static_selectorELNS0_4arch9wavefront6targetE1EEEvT1_,"axG",@progbits,_ZN7rocprim17ROCPRIM_400000_NS6detail17trampoline_kernelINS0_14default_configENS1_25partition_config_selectorILNS1_17partition_subalgoE8EjNS0_10empty_typeEbEEZZNS1_14partition_implILS5_8ELb0ES3_jN6thrust23THRUST_200600_302600_NS6detail15normal_iteratorINSA_10device_ptrIjEEEEPS6_PKS6_NS0_5tupleIJNSA_16discard_iteratorINSA_11use_defaultEEES6_EEENSJ_IJSG_SG_EEENS0_18inequality_wrapperINSA_8equal_toIjEEEEPmJS6_EEE10hipError_tPvRmT3_T4_T5_T6_T7_T9_mT8_P12ihipStream_tbDpT10_ENKUlT_T0_E_clISt17integral_constantIbLb0EES1D_EEDaS18_S19_EUlS18_E_NS1_11comp_targetILNS1_3genE3ELNS1_11target_archE908ELNS1_3gpuE7ELNS1_3repE0EEENS1_30default_config_static_selectorELNS0_4arch9wavefront6targetE1EEEvT1_,comdat
	.protected	_ZN7rocprim17ROCPRIM_400000_NS6detail17trampoline_kernelINS0_14default_configENS1_25partition_config_selectorILNS1_17partition_subalgoE8EjNS0_10empty_typeEbEEZZNS1_14partition_implILS5_8ELb0ES3_jN6thrust23THRUST_200600_302600_NS6detail15normal_iteratorINSA_10device_ptrIjEEEEPS6_PKS6_NS0_5tupleIJNSA_16discard_iteratorINSA_11use_defaultEEES6_EEENSJ_IJSG_SG_EEENS0_18inequality_wrapperINSA_8equal_toIjEEEEPmJS6_EEE10hipError_tPvRmT3_T4_T5_T6_T7_T9_mT8_P12ihipStream_tbDpT10_ENKUlT_T0_E_clISt17integral_constantIbLb0EES1D_EEDaS18_S19_EUlS18_E_NS1_11comp_targetILNS1_3genE3ELNS1_11target_archE908ELNS1_3gpuE7ELNS1_3repE0EEENS1_30default_config_static_selectorELNS0_4arch9wavefront6targetE1EEEvT1_ ; -- Begin function _ZN7rocprim17ROCPRIM_400000_NS6detail17trampoline_kernelINS0_14default_configENS1_25partition_config_selectorILNS1_17partition_subalgoE8EjNS0_10empty_typeEbEEZZNS1_14partition_implILS5_8ELb0ES3_jN6thrust23THRUST_200600_302600_NS6detail15normal_iteratorINSA_10device_ptrIjEEEEPS6_PKS6_NS0_5tupleIJNSA_16discard_iteratorINSA_11use_defaultEEES6_EEENSJ_IJSG_SG_EEENS0_18inequality_wrapperINSA_8equal_toIjEEEEPmJS6_EEE10hipError_tPvRmT3_T4_T5_T6_T7_T9_mT8_P12ihipStream_tbDpT10_ENKUlT_T0_E_clISt17integral_constantIbLb0EES1D_EEDaS18_S19_EUlS18_E_NS1_11comp_targetILNS1_3genE3ELNS1_11target_archE908ELNS1_3gpuE7ELNS1_3repE0EEENS1_30default_config_static_selectorELNS0_4arch9wavefront6targetE1EEEvT1_
	.globl	_ZN7rocprim17ROCPRIM_400000_NS6detail17trampoline_kernelINS0_14default_configENS1_25partition_config_selectorILNS1_17partition_subalgoE8EjNS0_10empty_typeEbEEZZNS1_14partition_implILS5_8ELb0ES3_jN6thrust23THRUST_200600_302600_NS6detail15normal_iteratorINSA_10device_ptrIjEEEEPS6_PKS6_NS0_5tupleIJNSA_16discard_iteratorINSA_11use_defaultEEES6_EEENSJ_IJSG_SG_EEENS0_18inequality_wrapperINSA_8equal_toIjEEEEPmJS6_EEE10hipError_tPvRmT3_T4_T5_T6_T7_T9_mT8_P12ihipStream_tbDpT10_ENKUlT_T0_E_clISt17integral_constantIbLb0EES1D_EEDaS18_S19_EUlS18_E_NS1_11comp_targetILNS1_3genE3ELNS1_11target_archE908ELNS1_3gpuE7ELNS1_3repE0EEENS1_30default_config_static_selectorELNS0_4arch9wavefront6targetE1EEEvT1_
	.p2align	8
	.type	_ZN7rocprim17ROCPRIM_400000_NS6detail17trampoline_kernelINS0_14default_configENS1_25partition_config_selectorILNS1_17partition_subalgoE8EjNS0_10empty_typeEbEEZZNS1_14partition_implILS5_8ELb0ES3_jN6thrust23THRUST_200600_302600_NS6detail15normal_iteratorINSA_10device_ptrIjEEEEPS6_PKS6_NS0_5tupleIJNSA_16discard_iteratorINSA_11use_defaultEEES6_EEENSJ_IJSG_SG_EEENS0_18inequality_wrapperINSA_8equal_toIjEEEEPmJS6_EEE10hipError_tPvRmT3_T4_T5_T6_T7_T9_mT8_P12ihipStream_tbDpT10_ENKUlT_T0_E_clISt17integral_constantIbLb0EES1D_EEDaS18_S19_EUlS18_E_NS1_11comp_targetILNS1_3genE3ELNS1_11target_archE908ELNS1_3gpuE7ELNS1_3repE0EEENS1_30default_config_static_selectorELNS0_4arch9wavefront6targetE1EEEvT1_,@function
_ZN7rocprim17ROCPRIM_400000_NS6detail17trampoline_kernelINS0_14default_configENS1_25partition_config_selectorILNS1_17partition_subalgoE8EjNS0_10empty_typeEbEEZZNS1_14partition_implILS5_8ELb0ES3_jN6thrust23THRUST_200600_302600_NS6detail15normal_iteratorINSA_10device_ptrIjEEEEPS6_PKS6_NS0_5tupleIJNSA_16discard_iteratorINSA_11use_defaultEEES6_EEENSJ_IJSG_SG_EEENS0_18inequality_wrapperINSA_8equal_toIjEEEEPmJS6_EEE10hipError_tPvRmT3_T4_T5_T6_T7_T9_mT8_P12ihipStream_tbDpT10_ENKUlT_T0_E_clISt17integral_constantIbLb0EES1D_EEDaS18_S19_EUlS18_E_NS1_11comp_targetILNS1_3genE3ELNS1_11target_archE908ELNS1_3gpuE7ELNS1_3repE0EEENS1_30default_config_static_selectorELNS0_4arch9wavefront6targetE1EEEvT1_: ; @_ZN7rocprim17ROCPRIM_400000_NS6detail17trampoline_kernelINS0_14default_configENS1_25partition_config_selectorILNS1_17partition_subalgoE8EjNS0_10empty_typeEbEEZZNS1_14partition_implILS5_8ELb0ES3_jN6thrust23THRUST_200600_302600_NS6detail15normal_iteratorINSA_10device_ptrIjEEEEPS6_PKS6_NS0_5tupleIJNSA_16discard_iteratorINSA_11use_defaultEEES6_EEENSJ_IJSG_SG_EEENS0_18inequality_wrapperINSA_8equal_toIjEEEEPmJS6_EEE10hipError_tPvRmT3_T4_T5_T6_T7_T9_mT8_P12ihipStream_tbDpT10_ENKUlT_T0_E_clISt17integral_constantIbLb0EES1D_EEDaS18_S19_EUlS18_E_NS1_11comp_targetILNS1_3genE3ELNS1_11target_archE908ELNS1_3gpuE7ELNS1_3repE0EEENS1_30default_config_static_selectorELNS0_4arch9wavefront6targetE1EEEvT1_
; %bb.0:
	.section	.rodata,"a",@progbits
	.p2align	6, 0x0
	.amdhsa_kernel _ZN7rocprim17ROCPRIM_400000_NS6detail17trampoline_kernelINS0_14default_configENS1_25partition_config_selectorILNS1_17partition_subalgoE8EjNS0_10empty_typeEbEEZZNS1_14partition_implILS5_8ELb0ES3_jN6thrust23THRUST_200600_302600_NS6detail15normal_iteratorINSA_10device_ptrIjEEEEPS6_PKS6_NS0_5tupleIJNSA_16discard_iteratorINSA_11use_defaultEEES6_EEENSJ_IJSG_SG_EEENS0_18inequality_wrapperINSA_8equal_toIjEEEEPmJS6_EEE10hipError_tPvRmT3_T4_T5_T6_T7_T9_mT8_P12ihipStream_tbDpT10_ENKUlT_T0_E_clISt17integral_constantIbLb0EES1D_EEDaS18_S19_EUlS18_E_NS1_11comp_targetILNS1_3genE3ELNS1_11target_archE908ELNS1_3gpuE7ELNS1_3repE0EEENS1_30default_config_static_selectorELNS0_4arch9wavefront6targetE1EEEvT1_
		.amdhsa_group_segment_fixed_size 0
		.amdhsa_private_segment_fixed_size 0
		.amdhsa_kernarg_size 120
		.amdhsa_user_sgpr_count 6
		.amdhsa_user_sgpr_private_segment_buffer 1
		.amdhsa_user_sgpr_dispatch_ptr 0
		.amdhsa_user_sgpr_queue_ptr 0
		.amdhsa_user_sgpr_kernarg_segment_ptr 1
		.amdhsa_user_sgpr_dispatch_id 0
		.amdhsa_user_sgpr_flat_scratch_init 0
		.amdhsa_user_sgpr_private_segment_size 0
		.amdhsa_uses_dynamic_stack 0
		.amdhsa_system_sgpr_private_segment_wavefront_offset 0
		.amdhsa_system_sgpr_workgroup_id_x 1
		.amdhsa_system_sgpr_workgroup_id_y 0
		.amdhsa_system_sgpr_workgroup_id_z 0
		.amdhsa_system_sgpr_workgroup_info 0
		.amdhsa_system_vgpr_workitem_id 0
		.amdhsa_next_free_vgpr 1
		.amdhsa_next_free_sgpr 0
		.amdhsa_reserve_vcc 0
		.amdhsa_reserve_flat_scratch 0
		.amdhsa_float_round_mode_32 0
		.amdhsa_float_round_mode_16_64 0
		.amdhsa_float_denorm_mode_32 3
		.amdhsa_float_denorm_mode_16_64 3
		.amdhsa_dx10_clamp 1
		.amdhsa_ieee_mode 1
		.amdhsa_fp16_overflow 0
		.amdhsa_exception_fp_ieee_invalid_op 0
		.amdhsa_exception_fp_denorm_src 0
		.amdhsa_exception_fp_ieee_div_zero 0
		.amdhsa_exception_fp_ieee_overflow 0
		.amdhsa_exception_fp_ieee_underflow 0
		.amdhsa_exception_fp_ieee_inexact 0
		.amdhsa_exception_int_div_zero 0
	.end_amdhsa_kernel
	.section	.text._ZN7rocprim17ROCPRIM_400000_NS6detail17trampoline_kernelINS0_14default_configENS1_25partition_config_selectorILNS1_17partition_subalgoE8EjNS0_10empty_typeEbEEZZNS1_14partition_implILS5_8ELb0ES3_jN6thrust23THRUST_200600_302600_NS6detail15normal_iteratorINSA_10device_ptrIjEEEEPS6_PKS6_NS0_5tupleIJNSA_16discard_iteratorINSA_11use_defaultEEES6_EEENSJ_IJSG_SG_EEENS0_18inequality_wrapperINSA_8equal_toIjEEEEPmJS6_EEE10hipError_tPvRmT3_T4_T5_T6_T7_T9_mT8_P12ihipStream_tbDpT10_ENKUlT_T0_E_clISt17integral_constantIbLb0EES1D_EEDaS18_S19_EUlS18_E_NS1_11comp_targetILNS1_3genE3ELNS1_11target_archE908ELNS1_3gpuE7ELNS1_3repE0EEENS1_30default_config_static_selectorELNS0_4arch9wavefront6targetE1EEEvT1_,"axG",@progbits,_ZN7rocprim17ROCPRIM_400000_NS6detail17trampoline_kernelINS0_14default_configENS1_25partition_config_selectorILNS1_17partition_subalgoE8EjNS0_10empty_typeEbEEZZNS1_14partition_implILS5_8ELb0ES3_jN6thrust23THRUST_200600_302600_NS6detail15normal_iteratorINSA_10device_ptrIjEEEEPS6_PKS6_NS0_5tupleIJNSA_16discard_iteratorINSA_11use_defaultEEES6_EEENSJ_IJSG_SG_EEENS0_18inequality_wrapperINSA_8equal_toIjEEEEPmJS6_EEE10hipError_tPvRmT3_T4_T5_T6_T7_T9_mT8_P12ihipStream_tbDpT10_ENKUlT_T0_E_clISt17integral_constantIbLb0EES1D_EEDaS18_S19_EUlS18_E_NS1_11comp_targetILNS1_3genE3ELNS1_11target_archE908ELNS1_3gpuE7ELNS1_3repE0EEENS1_30default_config_static_selectorELNS0_4arch9wavefront6targetE1EEEvT1_,comdat
.Lfunc_end568:
	.size	_ZN7rocprim17ROCPRIM_400000_NS6detail17trampoline_kernelINS0_14default_configENS1_25partition_config_selectorILNS1_17partition_subalgoE8EjNS0_10empty_typeEbEEZZNS1_14partition_implILS5_8ELb0ES3_jN6thrust23THRUST_200600_302600_NS6detail15normal_iteratorINSA_10device_ptrIjEEEEPS6_PKS6_NS0_5tupleIJNSA_16discard_iteratorINSA_11use_defaultEEES6_EEENSJ_IJSG_SG_EEENS0_18inequality_wrapperINSA_8equal_toIjEEEEPmJS6_EEE10hipError_tPvRmT3_T4_T5_T6_T7_T9_mT8_P12ihipStream_tbDpT10_ENKUlT_T0_E_clISt17integral_constantIbLb0EES1D_EEDaS18_S19_EUlS18_E_NS1_11comp_targetILNS1_3genE3ELNS1_11target_archE908ELNS1_3gpuE7ELNS1_3repE0EEENS1_30default_config_static_selectorELNS0_4arch9wavefront6targetE1EEEvT1_, .Lfunc_end568-_ZN7rocprim17ROCPRIM_400000_NS6detail17trampoline_kernelINS0_14default_configENS1_25partition_config_selectorILNS1_17partition_subalgoE8EjNS0_10empty_typeEbEEZZNS1_14partition_implILS5_8ELb0ES3_jN6thrust23THRUST_200600_302600_NS6detail15normal_iteratorINSA_10device_ptrIjEEEEPS6_PKS6_NS0_5tupleIJNSA_16discard_iteratorINSA_11use_defaultEEES6_EEENSJ_IJSG_SG_EEENS0_18inequality_wrapperINSA_8equal_toIjEEEEPmJS6_EEE10hipError_tPvRmT3_T4_T5_T6_T7_T9_mT8_P12ihipStream_tbDpT10_ENKUlT_T0_E_clISt17integral_constantIbLb0EES1D_EEDaS18_S19_EUlS18_E_NS1_11comp_targetILNS1_3genE3ELNS1_11target_archE908ELNS1_3gpuE7ELNS1_3repE0EEENS1_30default_config_static_selectorELNS0_4arch9wavefront6targetE1EEEvT1_
                                        ; -- End function
	.set _ZN7rocprim17ROCPRIM_400000_NS6detail17trampoline_kernelINS0_14default_configENS1_25partition_config_selectorILNS1_17partition_subalgoE8EjNS0_10empty_typeEbEEZZNS1_14partition_implILS5_8ELb0ES3_jN6thrust23THRUST_200600_302600_NS6detail15normal_iteratorINSA_10device_ptrIjEEEEPS6_PKS6_NS0_5tupleIJNSA_16discard_iteratorINSA_11use_defaultEEES6_EEENSJ_IJSG_SG_EEENS0_18inequality_wrapperINSA_8equal_toIjEEEEPmJS6_EEE10hipError_tPvRmT3_T4_T5_T6_T7_T9_mT8_P12ihipStream_tbDpT10_ENKUlT_T0_E_clISt17integral_constantIbLb0EES1D_EEDaS18_S19_EUlS18_E_NS1_11comp_targetILNS1_3genE3ELNS1_11target_archE908ELNS1_3gpuE7ELNS1_3repE0EEENS1_30default_config_static_selectorELNS0_4arch9wavefront6targetE1EEEvT1_.num_vgpr, 0
	.set _ZN7rocprim17ROCPRIM_400000_NS6detail17trampoline_kernelINS0_14default_configENS1_25partition_config_selectorILNS1_17partition_subalgoE8EjNS0_10empty_typeEbEEZZNS1_14partition_implILS5_8ELb0ES3_jN6thrust23THRUST_200600_302600_NS6detail15normal_iteratorINSA_10device_ptrIjEEEEPS6_PKS6_NS0_5tupleIJNSA_16discard_iteratorINSA_11use_defaultEEES6_EEENSJ_IJSG_SG_EEENS0_18inequality_wrapperINSA_8equal_toIjEEEEPmJS6_EEE10hipError_tPvRmT3_T4_T5_T6_T7_T9_mT8_P12ihipStream_tbDpT10_ENKUlT_T0_E_clISt17integral_constantIbLb0EES1D_EEDaS18_S19_EUlS18_E_NS1_11comp_targetILNS1_3genE3ELNS1_11target_archE908ELNS1_3gpuE7ELNS1_3repE0EEENS1_30default_config_static_selectorELNS0_4arch9wavefront6targetE1EEEvT1_.num_agpr, 0
	.set _ZN7rocprim17ROCPRIM_400000_NS6detail17trampoline_kernelINS0_14default_configENS1_25partition_config_selectorILNS1_17partition_subalgoE8EjNS0_10empty_typeEbEEZZNS1_14partition_implILS5_8ELb0ES3_jN6thrust23THRUST_200600_302600_NS6detail15normal_iteratorINSA_10device_ptrIjEEEEPS6_PKS6_NS0_5tupleIJNSA_16discard_iteratorINSA_11use_defaultEEES6_EEENSJ_IJSG_SG_EEENS0_18inequality_wrapperINSA_8equal_toIjEEEEPmJS6_EEE10hipError_tPvRmT3_T4_T5_T6_T7_T9_mT8_P12ihipStream_tbDpT10_ENKUlT_T0_E_clISt17integral_constantIbLb0EES1D_EEDaS18_S19_EUlS18_E_NS1_11comp_targetILNS1_3genE3ELNS1_11target_archE908ELNS1_3gpuE7ELNS1_3repE0EEENS1_30default_config_static_selectorELNS0_4arch9wavefront6targetE1EEEvT1_.numbered_sgpr, 0
	.set _ZN7rocprim17ROCPRIM_400000_NS6detail17trampoline_kernelINS0_14default_configENS1_25partition_config_selectorILNS1_17partition_subalgoE8EjNS0_10empty_typeEbEEZZNS1_14partition_implILS5_8ELb0ES3_jN6thrust23THRUST_200600_302600_NS6detail15normal_iteratorINSA_10device_ptrIjEEEEPS6_PKS6_NS0_5tupleIJNSA_16discard_iteratorINSA_11use_defaultEEES6_EEENSJ_IJSG_SG_EEENS0_18inequality_wrapperINSA_8equal_toIjEEEEPmJS6_EEE10hipError_tPvRmT3_T4_T5_T6_T7_T9_mT8_P12ihipStream_tbDpT10_ENKUlT_T0_E_clISt17integral_constantIbLb0EES1D_EEDaS18_S19_EUlS18_E_NS1_11comp_targetILNS1_3genE3ELNS1_11target_archE908ELNS1_3gpuE7ELNS1_3repE0EEENS1_30default_config_static_selectorELNS0_4arch9wavefront6targetE1EEEvT1_.num_named_barrier, 0
	.set _ZN7rocprim17ROCPRIM_400000_NS6detail17trampoline_kernelINS0_14default_configENS1_25partition_config_selectorILNS1_17partition_subalgoE8EjNS0_10empty_typeEbEEZZNS1_14partition_implILS5_8ELb0ES3_jN6thrust23THRUST_200600_302600_NS6detail15normal_iteratorINSA_10device_ptrIjEEEEPS6_PKS6_NS0_5tupleIJNSA_16discard_iteratorINSA_11use_defaultEEES6_EEENSJ_IJSG_SG_EEENS0_18inequality_wrapperINSA_8equal_toIjEEEEPmJS6_EEE10hipError_tPvRmT3_T4_T5_T6_T7_T9_mT8_P12ihipStream_tbDpT10_ENKUlT_T0_E_clISt17integral_constantIbLb0EES1D_EEDaS18_S19_EUlS18_E_NS1_11comp_targetILNS1_3genE3ELNS1_11target_archE908ELNS1_3gpuE7ELNS1_3repE0EEENS1_30default_config_static_selectorELNS0_4arch9wavefront6targetE1EEEvT1_.private_seg_size, 0
	.set _ZN7rocprim17ROCPRIM_400000_NS6detail17trampoline_kernelINS0_14default_configENS1_25partition_config_selectorILNS1_17partition_subalgoE8EjNS0_10empty_typeEbEEZZNS1_14partition_implILS5_8ELb0ES3_jN6thrust23THRUST_200600_302600_NS6detail15normal_iteratorINSA_10device_ptrIjEEEEPS6_PKS6_NS0_5tupleIJNSA_16discard_iteratorINSA_11use_defaultEEES6_EEENSJ_IJSG_SG_EEENS0_18inequality_wrapperINSA_8equal_toIjEEEEPmJS6_EEE10hipError_tPvRmT3_T4_T5_T6_T7_T9_mT8_P12ihipStream_tbDpT10_ENKUlT_T0_E_clISt17integral_constantIbLb0EES1D_EEDaS18_S19_EUlS18_E_NS1_11comp_targetILNS1_3genE3ELNS1_11target_archE908ELNS1_3gpuE7ELNS1_3repE0EEENS1_30default_config_static_selectorELNS0_4arch9wavefront6targetE1EEEvT1_.uses_vcc, 0
	.set _ZN7rocprim17ROCPRIM_400000_NS6detail17trampoline_kernelINS0_14default_configENS1_25partition_config_selectorILNS1_17partition_subalgoE8EjNS0_10empty_typeEbEEZZNS1_14partition_implILS5_8ELb0ES3_jN6thrust23THRUST_200600_302600_NS6detail15normal_iteratorINSA_10device_ptrIjEEEEPS6_PKS6_NS0_5tupleIJNSA_16discard_iteratorINSA_11use_defaultEEES6_EEENSJ_IJSG_SG_EEENS0_18inequality_wrapperINSA_8equal_toIjEEEEPmJS6_EEE10hipError_tPvRmT3_T4_T5_T6_T7_T9_mT8_P12ihipStream_tbDpT10_ENKUlT_T0_E_clISt17integral_constantIbLb0EES1D_EEDaS18_S19_EUlS18_E_NS1_11comp_targetILNS1_3genE3ELNS1_11target_archE908ELNS1_3gpuE7ELNS1_3repE0EEENS1_30default_config_static_selectorELNS0_4arch9wavefront6targetE1EEEvT1_.uses_flat_scratch, 0
	.set _ZN7rocprim17ROCPRIM_400000_NS6detail17trampoline_kernelINS0_14default_configENS1_25partition_config_selectorILNS1_17partition_subalgoE8EjNS0_10empty_typeEbEEZZNS1_14partition_implILS5_8ELb0ES3_jN6thrust23THRUST_200600_302600_NS6detail15normal_iteratorINSA_10device_ptrIjEEEEPS6_PKS6_NS0_5tupleIJNSA_16discard_iteratorINSA_11use_defaultEEES6_EEENSJ_IJSG_SG_EEENS0_18inequality_wrapperINSA_8equal_toIjEEEEPmJS6_EEE10hipError_tPvRmT3_T4_T5_T6_T7_T9_mT8_P12ihipStream_tbDpT10_ENKUlT_T0_E_clISt17integral_constantIbLb0EES1D_EEDaS18_S19_EUlS18_E_NS1_11comp_targetILNS1_3genE3ELNS1_11target_archE908ELNS1_3gpuE7ELNS1_3repE0EEENS1_30default_config_static_selectorELNS0_4arch9wavefront6targetE1EEEvT1_.has_dyn_sized_stack, 0
	.set _ZN7rocprim17ROCPRIM_400000_NS6detail17trampoline_kernelINS0_14default_configENS1_25partition_config_selectorILNS1_17partition_subalgoE8EjNS0_10empty_typeEbEEZZNS1_14partition_implILS5_8ELb0ES3_jN6thrust23THRUST_200600_302600_NS6detail15normal_iteratorINSA_10device_ptrIjEEEEPS6_PKS6_NS0_5tupleIJNSA_16discard_iteratorINSA_11use_defaultEEES6_EEENSJ_IJSG_SG_EEENS0_18inequality_wrapperINSA_8equal_toIjEEEEPmJS6_EEE10hipError_tPvRmT3_T4_T5_T6_T7_T9_mT8_P12ihipStream_tbDpT10_ENKUlT_T0_E_clISt17integral_constantIbLb0EES1D_EEDaS18_S19_EUlS18_E_NS1_11comp_targetILNS1_3genE3ELNS1_11target_archE908ELNS1_3gpuE7ELNS1_3repE0EEENS1_30default_config_static_selectorELNS0_4arch9wavefront6targetE1EEEvT1_.has_recursion, 0
	.set _ZN7rocprim17ROCPRIM_400000_NS6detail17trampoline_kernelINS0_14default_configENS1_25partition_config_selectorILNS1_17partition_subalgoE8EjNS0_10empty_typeEbEEZZNS1_14partition_implILS5_8ELb0ES3_jN6thrust23THRUST_200600_302600_NS6detail15normal_iteratorINSA_10device_ptrIjEEEEPS6_PKS6_NS0_5tupleIJNSA_16discard_iteratorINSA_11use_defaultEEES6_EEENSJ_IJSG_SG_EEENS0_18inequality_wrapperINSA_8equal_toIjEEEEPmJS6_EEE10hipError_tPvRmT3_T4_T5_T6_T7_T9_mT8_P12ihipStream_tbDpT10_ENKUlT_T0_E_clISt17integral_constantIbLb0EES1D_EEDaS18_S19_EUlS18_E_NS1_11comp_targetILNS1_3genE3ELNS1_11target_archE908ELNS1_3gpuE7ELNS1_3repE0EEENS1_30default_config_static_selectorELNS0_4arch9wavefront6targetE1EEEvT1_.has_indirect_call, 0
	.section	.AMDGPU.csdata,"",@progbits
; Kernel info:
; codeLenInByte = 0
; TotalNumSgprs: 4
; NumVgprs: 0
; ScratchSize: 0
; MemoryBound: 0
; FloatMode: 240
; IeeeMode: 1
; LDSByteSize: 0 bytes/workgroup (compile time only)
; SGPRBlocks: 0
; VGPRBlocks: 0
; NumSGPRsForWavesPerEU: 4
; NumVGPRsForWavesPerEU: 1
; Occupancy: 10
; WaveLimiterHint : 0
; COMPUTE_PGM_RSRC2:SCRATCH_EN: 0
; COMPUTE_PGM_RSRC2:USER_SGPR: 6
; COMPUTE_PGM_RSRC2:TRAP_HANDLER: 0
; COMPUTE_PGM_RSRC2:TGID_X_EN: 1
; COMPUTE_PGM_RSRC2:TGID_Y_EN: 0
; COMPUTE_PGM_RSRC2:TGID_Z_EN: 0
; COMPUTE_PGM_RSRC2:TIDIG_COMP_CNT: 0
	.section	.text._ZN7rocprim17ROCPRIM_400000_NS6detail17trampoline_kernelINS0_14default_configENS1_25partition_config_selectorILNS1_17partition_subalgoE8EjNS0_10empty_typeEbEEZZNS1_14partition_implILS5_8ELb0ES3_jN6thrust23THRUST_200600_302600_NS6detail15normal_iteratorINSA_10device_ptrIjEEEEPS6_PKS6_NS0_5tupleIJNSA_16discard_iteratorINSA_11use_defaultEEES6_EEENSJ_IJSG_SG_EEENS0_18inequality_wrapperINSA_8equal_toIjEEEEPmJS6_EEE10hipError_tPvRmT3_T4_T5_T6_T7_T9_mT8_P12ihipStream_tbDpT10_ENKUlT_T0_E_clISt17integral_constantIbLb0EES1D_EEDaS18_S19_EUlS18_E_NS1_11comp_targetILNS1_3genE2ELNS1_11target_archE906ELNS1_3gpuE6ELNS1_3repE0EEENS1_30default_config_static_selectorELNS0_4arch9wavefront6targetE1EEEvT1_,"axG",@progbits,_ZN7rocprim17ROCPRIM_400000_NS6detail17trampoline_kernelINS0_14default_configENS1_25partition_config_selectorILNS1_17partition_subalgoE8EjNS0_10empty_typeEbEEZZNS1_14partition_implILS5_8ELb0ES3_jN6thrust23THRUST_200600_302600_NS6detail15normal_iteratorINSA_10device_ptrIjEEEEPS6_PKS6_NS0_5tupleIJNSA_16discard_iteratorINSA_11use_defaultEEES6_EEENSJ_IJSG_SG_EEENS0_18inequality_wrapperINSA_8equal_toIjEEEEPmJS6_EEE10hipError_tPvRmT3_T4_T5_T6_T7_T9_mT8_P12ihipStream_tbDpT10_ENKUlT_T0_E_clISt17integral_constantIbLb0EES1D_EEDaS18_S19_EUlS18_E_NS1_11comp_targetILNS1_3genE2ELNS1_11target_archE906ELNS1_3gpuE6ELNS1_3repE0EEENS1_30default_config_static_selectorELNS0_4arch9wavefront6targetE1EEEvT1_,comdat
	.protected	_ZN7rocprim17ROCPRIM_400000_NS6detail17trampoline_kernelINS0_14default_configENS1_25partition_config_selectorILNS1_17partition_subalgoE8EjNS0_10empty_typeEbEEZZNS1_14partition_implILS5_8ELb0ES3_jN6thrust23THRUST_200600_302600_NS6detail15normal_iteratorINSA_10device_ptrIjEEEEPS6_PKS6_NS0_5tupleIJNSA_16discard_iteratorINSA_11use_defaultEEES6_EEENSJ_IJSG_SG_EEENS0_18inequality_wrapperINSA_8equal_toIjEEEEPmJS6_EEE10hipError_tPvRmT3_T4_T5_T6_T7_T9_mT8_P12ihipStream_tbDpT10_ENKUlT_T0_E_clISt17integral_constantIbLb0EES1D_EEDaS18_S19_EUlS18_E_NS1_11comp_targetILNS1_3genE2ELNS1_11target_archE906ELNS1_3gpuE6ELNS1_3repE0EEENS1_30default_config_static_selectorELNS0_4arch9wavefront6targetE1EEEvT1_ ; -- Begin function _ZN7rocprim17ROCPRIM_400000_NS6detail17trampoline_kernelINS0_14default_configENS1_25partition_config_selectorILNS1_17partition_subalgoE8EjNS0_10empty_typeEbEEZZNS1_14partition_implILS5_8ELb0ES3_jN6thrust23THRUST_200600_302600_NS6detail15normal_iteratorINSA_10device_ptrIjEEEEPS6_PKS6_NS0_5tupleIJNSA_16discard_iteratorINSA_11use_defaultEEES6_EEENSJ_IJSG_SG_EEENS0_18inequality_wrapperINSA_8equal_toIjEEEEPmJS6_EEE10hipError_tPvRmT3_T4_T5_T6_T7_T9_mT8_P12ihipStream_tbDpT10_ENKUlT_T0_E_clISt17integral_constantIbLb0EES1D_EEDaS18_S19_EUlS18_E_NS1_11comp_targetILNS1_3genE2ELNS1_11target_archE906ELNS1_3gpuE6ELNS1_3repE0EEENS1_30default_config_static_selectorELNS0_4arch9wavefront6targetE1EEEvT1_
	.globl	_ZN7rocprim17ROCPRIM_400000_NS6detail17trampoline_kernelINS0_14default_configENS1_25partition_config_selectorILNS1_17partition_subalgoE8EjNS0_10empty_typeEbEEZZNS1_14partition_implILS5_8ELb0ES3_jN6thrust23THRUST_200600_302600_NS6detail15normal_iteratorINSA_10device_ptrIjEEEEPS6_PKS6_NS0_5tupleIJNSA_16discard_iteratorINSA_11use_defaultEEES6_EEENSJ_IJSG_SG_EEENS0_18inequality_wrapperINSA_8equal_toIjEEEEPmJS6_EEE10hipError_tPvRmT3_T4_T5_T6_T7_T9_mT8_P12ihipStream_tbDpT10_ENKUlT_T0_E_clISt17integral_constantIbLb0EES1D_EEDaS18_S19_EUlS18_E_NS1_11comp_targetILNS1_3genE2ELNS1_11target_archE906ELNS1_3gpuE6ELNS1_3repE0EEENS1_30default_config_static_selectorELNS0_4arch9wavefront6targetE1EEEvT1_
	.p2align	8
	.type	_ZN7rocprim17ROCPRIM_400000_NS6detail17trampoline_kernelINS0_14default_configENS1_25partition_config_selectorILNS1_17partition_subalgoE8EjNS0_10empty_typeEbEEZZNS1_14partition_implILS5_8ELb0ES3_jN6thrust23THRUST_200600_302600_NS6detail15normal_iteratorINSA_10device_ptrIjEEEEPS6_PKS6_NS0_5tupleIJNSA_16discard_iteratorINSA_11use_defaultEEES6_EEENSJ_IJSG_SG_EEENS0_18inequality_wrapperINSA_8equal_toIjEEEEPmJS6_EEE10hipError_tPvRmT3_T4_T5_T6_T7_T9_mT8_P12ihipStream_tbDpT10_ENKUlT_T0_E_clISt17integral_constantIbLb0EES1D_EEDaS18_S19_EUlS18_E_NS1_11comp_targetILNS1_3genE2ELNS1_11target_archE906ELNS1_3gpuE6ELNS1_3repE0EEENS1_30default_config_static_selectorELNS0_4arch9wavefront6targetE1EEEvT1_,@function
_ZN7rocprim17ROCPRIM_400000_NS6detail17trampoline_kernelINS0_14default_configENS1_25partition_config_selectorILNS1_17partition_subalgoE8EjNS0_10empty_typeEbEEZZNS1_14partition_implILS5_8ELb0ES3_jN6thrust23THRUST_200600_302600_NS6detail15normal_iteratorINSA_10device_ptrIjEEEEPS6_PKS6_NS0_5tupleIJNSA_16discard_iteratorINSA_11use_defaultEEES6_EEENSJ_IJSG_SG_EEENS0_18inequality_wrapperINSA_8equal_toIjEEEEPmJS6_EEE10hipError_tPvRmT3_T4_T5_T6_T7_T9_mT8_P12ihipStream_tbDpT10_ENKUlT_T0_E_clISt17integral_constantIbLb0EES1D_EEDaS18_S19_EUlS18_E_NS1_11comp_targetILNS1_3genE2ELNS1_11target_archE906ELNS1_3gpuE6ELNS1_3repE0EEENS1_30default_config_static_selectorELNS0_4arch9wavefront6targetE1EEEvT1_: ; @_ZN7rocprim17ROCPRIM_400000_NS6detail17trampoline_kernelINS0_14default_configENS1_25partition_config_selectorILNS1_17partition_subalgoE8EjNS0_10empty_typeEbEEZZNS1_14partition_implILS5_8ELb0ES3_jN6thrust23THRUST_200600_302600_NS6detail15normal_iteratorINSA_10device_ptrIjEEEEPS6_PKS6_NS0_5tupleIJNSA_16discard_iteratorINSA_11use_defaultEEES6_EEENSJ_IJSG_SG_EEENS0_18inequality_wrapperINSA_8equal_toIjEEEEPmJS6_EEE10hipError_tPvRmT3_T4_T5_T6_T7_T9_mT8_P12ihipStream_tbDpT10_ENKUlT_T0_E_clISt17integral_constantIbLb0EES1D_EEDaS18_S19_EUlS18_E_NS1_11comp_targetILNS1_3genE2ELNS1_11target_archE906ELNS1_3gpuE6ELNS1_3repE0EEENS1_30default_config_static_selectorELNS0_4arch9wavefront6targetE1EEEvT1_
; %bb.0:
	s_load_dwordx4 s[0:3], s[4:5], 0x8
	s_load_dwordx4 s[36:39], s[4:5], 0x48
	s_load_dwordx2 s[10:11], s[4:5], 0x58
	s_load_dword s13, s[4:5], 0x70
	v_lshrrev_b32_e32 v18, 3, v0
	s_waitcnt lgkmcnt(0)
	s_lshl_b64 s[8:9], s[2:3], 2
	s_add_u32 s14, s0, s8
	s_addc_u32 s15, s1, s9
	s_add_i32 s8, s13, -1
	s_lshl_b32 s0, s8, 12
	s_lshl_b32 s12, s6, 12
	s_add_i32 s7, s2, s0
	s_lshl_b32 s0, s13, 12
	s_add_u32 s0, s2, s0
	s_addc_u32 s1, s3, 0
	v_mov_b32_e32 v2, s1
	v_mov_b32_e32 v1, s0
	v_cmp_le_u64_e32 vcc, s[10:11], v[1:2]
	s_cmp_eq_u32 s6, s8
	s_load_dwordx2 s[38:39], s[38:39], 0x0
	s_cselect_b64 s[40:41], -1, 0
	s_mov_b32 s13, 0
	s_and_b64 s[42:43], s[40:41], vcc
	s_xor_b64 s[8:9], s[42:43], -1
	s_lshl_b64 s[12:13], s[12:13], 2
	s_add_u32 s11, s14, s12
	s_mov_b64 s[0:1], -1
	s_addc_u32 s12, s15, s13
	s_and_b64 vcc, exec, s[8:9]
	s_cbranch_vccz .LBB569_2
; %bb.1:
	v_lshlrev_b32_e32 v5, 2, v0
	v_mov_b32_e32 v2, s12
	v_add_co_u32_e32 v1, vcc, s11, v5
	v_addc_co_u32_e32 v2, vcc, 0, v2, vcc
	v_add_co_u32_e32 v3, vcc, 0x1000, v1
	v_addc_co_u32_e32 v4, vcc, 0, v2, vcc
	flat_load_dword v6, v[1:2]
	flat_load_dword v7, v[1:2] offset:1024
	flat_load_dword v8, v[1:2] offset:2048
	;; [unrolled: 1-line block ×3, first 2 shown]
	flat_load_dword v10, v[3:4]
	flat_load_dword v11, v[3:4] offset:1024
	flat_load_dword v12, v[3:4] offset:2048
	flat_load_dword v13, v[3:4] offset:3072
	v_add_co_u32_e32 v3, vcc, 0x2000, v1
	v_addc_co_u32_e32 v4, vcc, 0, v2, vcc
	flat_load_dword v14, v[3:4]
	flat_load_dword v15, v[3:4] offset:1024
	flat_load_dword v16, v[3:4] offset:2048
	;; [unrolled: 1-line block ×3, first 2 shown]
	v_add_co_u32_e32 v1, vcc, 0x3000, v1
	v_addc_co_u32_e32 v2, vcc, 0, v2, vcc
	flat_load_dword v3, v[1:2]
	flat_load_dword v4, v[1:2] offset:1024
	flat_load_dword v19, v[1:2] offset:2048
	;; [unrolled: 1-line block ×3, first 2 shown]
	v_or_b32_e32 v2, 0x100, v0
	v_or_b32_e32 v21, 0x200, v0
	;; [unrolled: 1-line block ×9, first 2 shown]
	v_and_b32_e32 v1, 28, v18
	v_lshrrev_b32_e32 v2, 3, v2
	v_lshrrev_b32_e32 v21, 3, v21
	;; [unrolled: 1-line block ×9, first 2 shown]
	v_or_b32_e32 v29, 0xa00, v0
	v_add_u32_e32 v1, v1, v5
	v_and_b32_e32 v2, 60, v2
	v_and_b32_e32 v21, 0x5c, v21
	;; [unrolled: 1-line block ×9, first 2 shown]
	v_add_u32_e32 v2, v2, v5
	v_add_u32_e32 v21, v21, v5
	;; [unrolled: 1-line block ×9, first 2 shown]
	s_mov_b64 s[0:1], 0
	s_waitcnt vmcnt(0) lgkmcnt(0)
	ds_write_b32 v1, v6
	ds_write_b32 v2, v7 offset:1024
	ds_write_b32 v21, v8 offset:2048
	;; [unrolled: 1-line block ×9, first 2 shown]
	v_lshrrev_b32_e32 v1, 3, v29
	v_and_b32_e32 v1, 0x15c, v1
	v_add_u32_e32 v1, v1, v5
	ds_write_b32 v1, v16 offset:10240
	v_or_b32_e32 v1, 0xb00, v0
	v_lshrrev_b32_e32 v1, 3, v1
	v_and_b32_e32 v1, 0x17c, v1
	v_add_u32_e32 v1, v1, v5
	ds_write_b32 v1, v17 offset:11264
	v_or_b32_e32 v1, 0xc00, v0
	;; [unrolled: 5-line block ×5, first 2 shown]
	v_lshrrev_b32_e32 v1, 3, v1
	v_and_b32_e32 v1, 0x1fc, v1
	v_add_u32_e32 v1, v1, v5
	ds_write_b32 v1, v20 offset:15360
	s_waitcnt lgkmcnt(0)
	s_barrier
.LBB569_2:
	s_andn2_b64 vcc, exec, s[0:1]
	s_sub_i32 s7, s10, s7
	s_cbranch_vccnz .LBB569_36
; %bb.3:
	v_mov_b32_e32 v1, 0
	v_cmp_gt_u32_e32 vcc, s7, v0
	v_mov_b32_e32 v2, v1
	v_mov_b32_e32 v3, v1
	;; [unrolled: 1-line block ×15, first 2 shown]
	s_and_saveexec_b64 s[0:1], vcc
	s_cbranch_execz .LBB569_5
; %bb.4:
	v_lshlrev_b32_e32 v2, 2, v0
	v_mov_b32_e32 v3, s12
	v_add_co_u32_e32 v2, vcc, s11, v2
	v_addc_co_u32_e32 v3, vcc, 0, v3, vcc
	flat_load_dword v2, v[2:3]
	v_mov_b32_e32 v3, v1
	v_mov_b32_e32 v4, v1
	;; [unrolled: 1-line block ×15, first 2 shown]
	s_waitcnt vmcnt(0) lgkmcnt(0)
	v_mov_b32_e32 v1, v2
	v_mov_b32_e32 v2, v3
	;; [unrolled: 1-line block ×16, first 2 shown]
.LBB569_5:
	s_or_b64 exec, exec, s[0:1]
	v_or_b32_e32 v17, 0x100, v0
	v_cmp_gt_u32_e32 vcc, s7, v17
	s_and_saveexec_b64 s[0:1], vcc
	s_cbranch_execz .LBB569_7
; %bb.6:
	v_lshlrev_b32_e32 v2, 2, v0
	v_mov_b32_e32 v20, s12
	v_add_co_u32_e32 v19, vcc, s11, v2
	v_addc_co_u32_e32 v20, vcc, 0, v20, vcc
	flat_load_dword v2, v[19:20] offset:1024
.LBB569_7:
	s_or_b64 exec, exec, s[0:1]
	v_or_b32_e32 v19, 0x200, v0
	v_cmp_gt_u32_e32 vcc, s7, v19
	s_and_saveexec_b64 s[0:1], vcc
	s_cbranch_execz .LBB569_9
; %bb.8:
	v_lshlrev_b32_e32 v3, 2, v0
	v_mov_b32_e32 v21, s12
	v_add_co_u32_e32 v20, vcc, s11, v3
	v_addc_co_u32_e32 v21, vcc, 0, v21, vcc
	flat_load_dword v3, v[20:21] offset:2048
.LBB569_9:
	;; [unrolled: 12-line block ×3, first 2 shown]
	s_or_b64 exec, exec, s[0:1]
	v_or_b32_e32 v21, 0x400, v0
	v_cmp_gt_u32_e32 vcc, s7, v21
	s_and_saveexec_b64 s[0:1], vcc
	s_cbranch_execz .LBB569_13
; %bb.12:
	v_lshlrev_b32_e32 v5, 2, v21
	v_mov_b32_e32 v23, s12
	v_add_co_u32_e32 v22, vcc, s11, v5
	v_addc_co_u32_e32 v23, vcc, 0, v23, vcc
	flat_load_dword v5, v[22:23]
.LBB569_13:
	s_or_b64 exec, exec, s[0:1]
	v_or_b32_e32 v22, 0x500, v0
	v_cmp_gt_u32_e32 vcc, s7, v22
	s_and_saveexec_b64 s[0:1], vcc
	s_cbranch_execz .LBB569_15
; %bb.14:
	v_lshlrev_b32_e32 v6, 2, v22
	v_mov_b32_e32 v24, s12
	v_add_co_u32_e32 v23, vcc, s11, v6
	v_addc_co_u32_e32 v24, vcc, 0, v24, vcc
	flat_load_dword v6, v[23:24]
.LBB569_15:
	;; [unrolled: 12-line block ×12, first 2 shown]
	s_or_b64 exec, exec, s[0:1]
	v_and_b32_e32 v18, 28, v18
	v_lshlrev_b32_e32 v33, 2, v0
	v_add_u32_e32 v18, v18, v33
	ds_write_b32 v18, v1
	v_lshrrev_b32_e32 v1, 3, v17
	v_and_b32_e32 v1, 60, v1
	v_add_u32_e32 v1, v1, v33
	s_waitcnt vmcnt(0) lgkmcnt(0)
	ds_write_b32 v1, v2 offset:1024
	v_lshrrev_b32_e32 v1, 3, v19
	v_and_b32_e32 v1, 0x7c, v1
	v_add_u32_e32 v1, v1, v33
	ds_write_b32 v1, v3 offset:2048
	v_lshrrev_b32_e32 v1, 3, v20
	v_and_b32_e32 v1, 0x7c, v1
	v_add_u32_e32 v1, v1, v33
	;; [unrolled: 4-line block ×14, first 2 shown]
	ds_write_b32 v1, v16 offset:15360
	s_waitcnt lgkmcnt(0)
	s_barrier
.LBB569_36:
	v_lshlrev_b32_e32 v1, 1, v0
	v_and_b32_e32 v1, 0x1fc, v1
	v_lshl_add_u32 v1, v0, 6, v1
	s_waitcnt lgkmcnt(0)
	ds_read2_b32 v[15:16], v1 offset1:1
	ds_read2_b32 v[13:14], v1 offset0:2 offset1:3
	ds_read2_b32 v[11:12], v1 offset0:4 offset1:5
	;; [unrolled: 1-line block ×7, first 2 shown]
	s_cmp_lg_u32 s6, 0
	s_cselect_b64 s[44:45], -1, 0
	s_cmp_lg_u64 s[2:3], 0
	s_cselect_b64 s[0:1], -1, 0
	s_or_b64 s[0:1], s[44:45], s[0:1]
	v_lshlrev_b32_e32 v17, 4, v0
	s_mov_b64 s[48:49], 0
	s_and_b64 vcc, exec, s[0:1]
	s_waitcnt lgkmcnt(0)
	s_barrier
	s_cbranch_vccz .LBB569_41
; %bb.37:
	v_mov_b32_e32 v19, s12
	v_add_co_u32_e64 v18, vcc, -4, s11
	v_addc_co_u32_e32 v19, vcc, -1, v19, vcc
	flat_load_dword v18, v[18:19]
	v_lshlrev_b32_e32 v19, 2, v0
	s_and_b64 vcc, exec, s[8:9]
	ds_write_b32 v19, v2
	s_cbranch_vccz .LBB569_42
; %bb.38:
	v_cmp_ne_u32_e32 vcc, 0, v0
	s_waitcnt vmcnt(0) lgkmcnt(0)
	v_mov_b32_e32 v20, v18
	s_barrier
	s_and_saveexec_b64 s[0:1], vcc
; %bb.39:
	v_add_u32_e32 v20, -4, v19
	ds_read_b32 v20, v20
; %bb.40:
	s_or_b64 exec, exec, s[0:1]
	v_cmp_ne_u32_e32 vcc, v1, v2
	v_cndmask_b32_e64 v27, 0, 1, vcc
	v_cmp_ne_u32_e32 vcc, v4, v1
	v_cndmask_b32_e64 v28, 0, 1, vcc
	;; [unrolled: 2-line block ×15, first 2 shown]
	s_waitcnt lgkmcnt(0)
	v_cmp_ne_u32_e64 s[46:47], v20, v15
	s_branch .LBB569_46
.LBB569_41:
                                        ; implicit-def: $sgpr46_sgpr47
                                        ; implicit-def: $vgpr27
                                        ; implicit-def: $vgpr28
                                        ; implicit-def: $vgpr29
                                        ; implicit-def: $vgpr30
                                        ; implicit-def: $vgpr31
                                        ; implicit-def: $vgpr32
                                        ; implicit-def: $vgpr33
                                        ; implicit-def: $vgpr34
                                        ; implicit-def: $vgpr35
                                        ; implicit-def: $vgpr41
                                        ; implicit-def: $vgpr40
                                        ; implicit-def: $vgpr39
                                        ; implicit-def: $vgpr38
                                        ; implicit-def: $vgpr37
                                        ; implicit-def: $vgpr36
	s_branch .LBB569_47
.LBB569_42:
                                        ; implicit-def: $sgpr46_sgpr47
                                        ; implicit-def: $vgpr27
                                        ; implicit-def: $vgpr28
                                        ; implicit-def: $vgpr29
                                        ; implicit-def: $vgpr30
                                        ; implicit-def: $vgpr31
                                        ; implicit-def: $vgpr32
                                        ; implicit-def: $vgpr33
                                        ; implicit-def: $vgpr34
                                        ; implicit-def: $vgpr35
                                        ; implicit-def: $vgpr41
                                        ; implicit-def: $vgpr40
                                        ; implicit-def: $vgpr39
                                        ; implicit-def: $vgpr38
                                        ; implicit-def: $vgpr37
                                        ; implicit-def: $vgpr36
	s_cbranch_execz .LBB569_46
; %bb.43:
	v_cmp_ne_u32_e32 vcc, 0, v0
	s_waitcnt vmcnt(0) lgkmcnt(0)
	s_barrier
	s_and_saveexec_b64 s[0:1], vcc
; %bb.44:
	v_add_u32_e32 v18, -4, v19
	ds_read_b32 v18, v18
; %bb.45:
	s_or_b64 exec, exec, s[0:1]
	v_or_b32_e32 v19, 15, v17
	v_cmp_gt_u32_e32 vcc, s7, v19
	v_cmp_ne_u32_e64 s[0:1], v1, v2
	s_and_b64 s[0:1], vcc, s[0:1]
	v_or_b32_e32 v19, 14, v17
	v_cndmask_b32_e64 v27, 0, 1, s[0:1]
	v_cmp_gt_u32_e32 vcc, s7, v19
	v_cmp_ne_u32_e64 s[0:1], v4, v1
	s_and_b64 s[0:1], vcc, s[0:1]
	v_or_b32_e32 v19, 13, v17
	v_cndmask_b32_e64 v28, 0, 1, s[0:1]
	;; [unrolled: 5-line block ×14, first 2 shown]
	v_cmp_gt_u32_e32 vcc, s7, v19
	v_cmp_ne_u32_e64 s[0:1], v15, v16
	s_and_b64 s[0:1], vcc, s[0:1]
	v_cndmask_b32_e64 v41, 0, 1, s[0:1]
	v_cmp_gt_u32_e32 vcc, s7, v17
	s_waitcnt lgkmcnt(0)
	v_cmp_ne_u32_e64 s[0:1], v18, v15
	s_and_b64 s[46:47], vcc, s[0:1]
.LBB569_46:
	s_mov_b64 s[48:49], -1
	s_cbranch_execnz .LBB569_55
.LBB569_47:
	s_waitcnt vmcnt(0) lgkmcnt(0)
	v_lshlrev_b32_e32 v18, 2, v0
	s_and_b64 vcc, exec, s[8:9]
	v_cmp_ne_u32_e64 s[0:1], v1, v2
	v_cmp_ne_u32_e64 s[2:3], v4, v1
	;; [unrolled: 1-line block ×15, first 2 shown]
	ds_write_b32 v18, v2
	s_cbranch_vccz .LBB569_51
; %bb.48:
	v_cmp_ne_u32_e32 vcc, 0, v0
	s_waitcnt lgkmcnt(0)
	s_barrier
                                        ; implicit-def: $sgpr46_sgpr47
	s_and_saveexec_b64 s[50:51], vcc
	s_xor_b64 s[50:51], exec, s[50:51]
	s_cbranch_execz .LBB569_50
; %bb.49:
	v_add_u32_e32 v19, -4, v18
	ds_read_b32 v19, v19
	s_or_b64 s[48:49], s[48:49], exec
	s_waitcnt lgkmcnt(0)
	v_cmp_ne_u32_e64 s[46:47], v19, v15
.LBB569_50:
	s_or_b64 exec, exec, s[50:51]
	v_cndmask_b32_e64 v27, 0, 1, s[0:1]
	v_cndmask_b32_e64 v28, 0, 1, s[2:3]
	;; [unrolled: 1-line block ×15, first 2 shown]
	s_branch .LBB569_55
.LBB569_51:
                                        ; implicit-def: $sgpr46_sgpr47
                                        ; implicit-def: $vgpr27
                                        ; implicit-def: $vgpr28
                                        ; implicit-def: $vgpr29
                                        ; implicit-def: $vgpr30
                                        ; implicit-def: $vgpr31
                                        ; implicit-def: $vgpr32
                                        ; implicit-def: $vgpr33
                                        ; implicit-def: $vgpr34
                                        ; implicit-def: $vgpr35
                                        ; implicit-def: $vgpr41
                                        ; implicit-def: $vgpr40
                                        ; implicit-def: $vgpr39
                                        ; implicit-def: $vgpr38
                                        ; implicit-def: $vgpr37
                                        ; implicit-def: $vgpr36
	s_cbranch_execz .LBB569_55
; %bb.52:
	v_or_b32_e32 v19, 15, v17
	v_cmp_gt_u32_e32 vcc, s7, v19
	v_cmp_ne_u32_e64 s[0:1], v1, v2
	v_or_b32_e32 v19, 14, v17
	s_and_b64 s[2:3], vcc, s[0:1]
	v_cmp_gt_u32_e32 vcc, s7, v19
	v_cmp_ne_u32_e64 s[0:1], v4, v1
	v_or_b32_e32 v19, 13, v17
	s_and_b64 s[8:9], vcc, s[0:1]
	;; [unrolled: 4-line block ×14, first 2 shown]
	v_cmp_gt_u32_e32 vcc, s7, v19
	v_cmp_ne_u32_e64 s[0:1], v15, v16
	s_and_b64 s[50:51], vcc, s[0:1]
	v_cmp_ne_u32_e32 vcc, 0, v0
	s_waitcnt lgkmcnt(0)
	s_barrier
                                        ; implicit-def: $sgpr46_sgpr47
	s_and_saveexec_b64 s[52:53], vcc
	s_cbranch_execz .LBB569_54
; %bb.53:
	v_add_u32_e32 v18, -4, v18
	ds_read_b32 v18, v18
	v_cmp_gt_u32_e32 vcc, s7, v17
	s_or_b64 s[48:49], s[48:49], exec
	s_waitcnt lgkmcnt(0)
	v_cmp_ne_u32_e64 s[0:1], v18, v15
	s_and_b64 s[46:47], vcc, s[0:1]
.LBB569_54:
	s_or_b64 exec, exec, s[52:53]
	v_cndmask_b32_e64 v27, 0, 1, s[2:3]
	v_cndmask_b32_e64 v28, 0, 1, s[8:9]
	;; [unrolled: 1-line block ×15, first 2 shown]
.LBB569_55:
	v_mov_b32_e32 v45, 1
	s_and_saveexec_b64 s[0:1], s[48:49]
; %bb.56:
	v_cndmask_b32_e64 v45, 0, 1, s[46:47]
; %bb.57:
	s_or_b64 exec, exec, s[0:1]
	s_load_dwordx2 s[20:21], s[4:5], 0x68
	s_andn2_b64 vcc, exec, s[42:43]
	s_cbranch_vccnz .LBB569_59
; %bb.58:
	v_cmp_gt_u32_e32 vcc, s7, v17
	s_waitcnt vmcnt(0) lgkmcnt(0)
	v_or_b32_e32 v18, 1, v17
	v_cndmask_b32_e32 v45, 0, v45, vcc
	v_cmp_gt_u32_e32 vcc, s7, v18
	v_or_b32_e32 v18, 2, v17
	v_cndmask_b32_e32 v41, 0, v41, vcc
	v_cmp_gt_u32_e32 vcc, s7, v18
	;; [unrolled: 3-line block ×15, first 2 shown]
	v_cndmask_b32_e32 v27, 0, v27, vcc
.LBB569_59:
	v_and_b32_e32 v52, 0xff, v39
	v_and_b32_e32 v51, 0xff, v38
	s_waitcnt vmcnt(0) lgkmcnt(0)
	v_add_u32_sdwa v18, v37, v36 dst_sel:DWORD dst_unused:UNUSED_PAD src0_sel:BYTE_0 src1_sel:BYTE_0
	v_and_b32_e32 v54, 0xff, v41
	v_and_b32_e32 v53, 0xff, v40
	v_add3_u32 v18, v18, v51, v52
	v_and_b32_e32 v55, 0xffff, v45
	v_and_b32_e32 v50, 0xff, v35
	v_add3_u32 v18, v18, v53, v54
	;; [unrolled: 3-line block ×6, first 2 shown]
	v_add3_u32 v58, v18, v42, v17
	v_mbcnt_lo_u32_b32 v17, -1, 0
	v_mbcnt_hi_u32_b32 v56, -1, v17
	v_and_b32_e32 v17, 15, v56
	v_cmp_eq_u32_e64 s[12:13], 0, v17
	v_cmp_lt_u32_e64 s[10:11], 1, v17
	v_cmp_lt_u32_e64 s[8:9], 3, v17
	;; [unrolled: 1-line block ×3, first 2 shown]
	v_and_b32_e32 v17, 16, v56
	v_cmp_eq_u32_e64 s[4:5], 0, v17
	v_or_b32_e32 v17, 63, v0
	v_cmp_lt_u32_e64 s[0:1], 31, v56
	v_lshrrev_b32_e32 v57, 6, v0
	v_cmp_eq_u32_e64 s[2:3], v0, v17
	s_and_b64 vcc, exec, s[44:45]
	s_barrier
	s_cbranch_vccz .LBB569_81
; %bb.60:
	v_mov_b32_dpp v17, v58 row_shr:1 row_mask:0xf bank_mask:0xf
	v_cndmask_b32_e64 v17, v17, 0, s[12:13]
	v_add_u32_e32 v17, v17, v58
	s_nop 1
	v_mov_b32_dpp v18, v17 row_shr:2 row_mask:0xf bank_mask:0xf
	v_cndmask_b32_e64 v18, 0, v18, s[10:11]
	v_add_u32_e32 v17, v17, v18
	s_nop 1
	;; [unrolled: 4-line block ×4, first 2 shown]
	v_mov_b32_dpp v18, v17 row_bcast:15 row_mask:0xf bank_mask:0xf
	v_cndmask_b32_e64 v18, v18, 0, s[4:5]
	v_add_u32_e32 v17, v17, v18
	s_nop 1
	v_mov_b32_dpp v18, v17 row_bcast:31 row_mask:0xf bank_mask:0xf
	v_cndmask_b32_e64 v18, 0, v18, s[0:1]
	v_add_u32_e32 v17, v17, v18
	s_and_saveexec_b64 s[14:15], s[2:3]
; %bb.61:
	v_lshlrev_b32_e32 v18, 2, v57
	ds_write_b32 v18, v17
; %bb.62:
	s_or_b64 exec, exec, s[14:15]
	v_cmp_gt_u32_e32 vcc, 4, v0
	s_waitcnt lgkmcnt(0)
	s_barrier
	s_and_saveexec_b64 s[14:15], vcc
	s_cbranch_execz .LBB569_64
; %bb.63:
	v_lshlrev_b32_e32 v18, 2, v0
	ds_read_b32 v19, v18
	v_and_b32_e32 v20, 3, v56
	v_cmp_ne_u32_e32 vcc, 0, v20
	s_waitcnt lgkmcnt(0)
	v_mov_b32_dpp v21, v19 row_shr:1 row_mask:0xf bank_mask:0xf
	v_cndmask_b32_e32 v21, 0, v21, vcc
	v_add_u32_e32 v19, v21, v19
	v_cmp_lt_u32_e32 vcc, 1, v20
	s_nop 0
	v_mov_b32_dpp v21, v19 row_shr:2 row_mask:0xf bank_mask:0xf
	v_cndmask_b32_e32 v20, 0, v21, vcc
	v_add_u32_e32 v19, v19, v20
	ds_write_b32 v18, v19
.LBB569_64:
	s_or_b64 exec, exec, s[14:15]
	v_cmp_gt_u32_e32 vcc, 64, v0
	v_cmp_lt_u32_e64 s[14:15], 63, v0
	s_waitcnt lgkmcnt(0)
	s_barrier
                                        ; implicit-def: $vgpr59
	s_and_saveexec_b64 s[18:19], s[14:15]
	s_cbranch_execz .LBB569_66
; %bb.65:
	v_lshl_add_u32 v18, v57, 2, -4
	ds_read_b32 v59, v18
	s_waitcnt lgkmcnt(0)
	v_add_u32_e32 v17, v59, v17
.LBB569_66:
	s_or_b64 exec, exec, s[18:19]
	v_subrev_co_u32_e64 v18, s[14:15], 1, v56
	v_and_b32_e32 v19, 64, v56
	v_cmp_lt_i32_e64 s[18:19], v18, v19
	v_cndmask_b32_e64 v18, v18, v56, s[18:19]
	v_lshlrev_b32_e32 v18, 2, v18
	ds_bpermute_b32 v60, v18, v17
	s_and_saveexec_b64 s[18:19], vcc
	s_cbranch_execz .LBB569_86
; %bb.67:
	v_mov_b32_e32 v23, 0
	ds_read_b32 v17, v23 offset:12
	s_and_saveexec_b64 s[22:23], s[14:15]
	s_cbranch_execz .LBB569_69
; %bb.68:
	s_add_i32 s24, s6, 64
	s_mov_b32 s25, 0
	s_lshl_b64 s[24:25], s[24:25], 3
	s_add_u32 s24, s20, s24
	v_mov_b32_e32 v18, 1
	s_addc_u32 s25, s21, s25
	s_waitcnt lgkmcnt(0)
	global_store_dwordx2 v23, v[17:18], s[24:25]
.LBB569_69:
	s_or_b64 exec, exec, s[22:23]
	v_xad_u32 v19, v56, -1, s6
	v_add_u32_e32 v22, 64, v19
	v_lshlrev_b64 v[20:21], 3, v[22:23]
	v_mov_b32_e32 v18, s21
	v_add_co_u32_e32 v24, vcc, s20, v20
	v_addc_co_u32_e32 v25, vcc, v18, v21, vcc
	global_load_dwordx2 v[21:22], v[24:25], off glc
	s_waitcnt vmcnt(0)
	v_cmp_eq_u16_sdwa s[24:25], v22, v23 src0_sel:BYTE_0 src1_sel:DWORD
	s_and_saveexec_b64 s[22:23], s[24:25]
	s_cbranch_execz .LBB569_73
; %bb.70:
	s_mov_b64 s[24:25], 0
	v_mov_b32_e32 v18, 0
.LBB569_71:                             ; =>This Inner Loop Header: Depth=1
	global_load_dwordx2 v[21:22], v[24:25], off glc
	s_waitcnt vmcnt(0)
	v_cmp_ne_u16_sdwa s[26:27], v22, v18 src0_sel:BYTE_0 src1_sel:DWORD
	s_or_b64 s[24:25], s[26:27], s[24:25]
	s_andn2_b64 exec, exec, s[24:25]
	s_cbranch_execnz .LBB569_71
; %bb.72:
	s_or_b64 exec, exec, s[24:25]
.LBB569_73:
	s_or_b64 exec, exec, s[22:23]
	v_and_b32_e32 v62, 63, v56
	v_mov_b32_e32 v61, 2
	v_lshlrev_b64 v[23:24], v56, -1
	v_cmp_ne_u32_e32 vcc, 63, v62
	v_cmp_eq_u16_sdwa s[22:23], v22, v61 src0_sel:BYTE_0 src1_sel:DWORD
	v_addc_co_u32_e32 v25, vcc, 0, v56, vcc
	v_and_b32_e32 v18, s23, v24
	v_lshlrev_b32_e32 v63, 2, v25
	v_or_b32_e32 v18, 0x80000000, v18
	ds_bpermute_b32 v25, v63, v21
	v_and_b32_e32 v20, s22, v23
	v_ffbl_b32_e32 v18, v18
	v_add_u32_e32 v18, 32, v18
	v_ffbl_b32_e32 v20, v20
	v_min_u32_e32 v18, v20, v18
	v_cmp_lt_u32_e32 vcc, v62, v18
	s_waitcnt lgkmcnt(0)
	v_cndmask_b32_e32 v20, 0, v25, vcc
	v_cmp_gt_u32_e32 vcc, 62, v62
	v_add_u32_e32 v20, v20, v21
	v_cndmask_b32_e64 v21, 0, 2, vcc
	v_add_lshl_u32 v64, v21, v56, 2
	ds_bpermute_b32 v21, v64, v20
	v_add_u32_e32 v65, 2, v62
	v_cmp_le_u32_e32 vcc, v65, v18
	v_add_u32_e32 v67, 4, v62
	v_add_u32_e32 v69, 8, v62
	s_waitcnt lgkmcnt(0)
	v_cndmask_b32_e32 v21, 0, v21, vcc
	v_cmp_gt_u32_e32 vcc, 60, v62
	v_add_u32_e32 v20, v20, v21
	v_cndmask_b32_e64 v21, 0, 4, vcc
	v_add_lshl_u32 v66, v21, v56, 2
	ds_bpermute_b32 v21, v66, v20
	v_cmp_le_u32_e32 vcc, v67, v18
	v_add_u32_e32 v71, 16, v62
	v_add_u32_e32 v73, 32, v62
	s_waitcnt lgkmcnt(0)
	v_cndmask_b32_e32 v21, 0, v21, vcc
	v_cmp_gt_u32_e32 vcc, 56, v62
	v_add_u32_e32 v20, v20, v21
	v_cndmask_b32_e64 v21, 0, 8, vcc
	v_add_lshl_u32 v68, v21, v56, 2
	ds_bpermute_b32 v21, v68, v20
	v_cmp_le_u32_e32 vcc, v69, v18
	s_waitcnt lgkmcnt(0)
	v_cndmask_b32_e32 v21, 0, v21, vcc
	v_cmp_gt_u32_e32 vcc, 48, v62
	v_add_u32_e32 v20, v20, v21
	v_cndmask_b32_e64 v21, 0, 16, vcc
	v_add_lshl_u32 v70, v21, v56, 2
	ds_bpermute_b32 v21, v70, v20
	v_cmp_le_u32_e32 vcc, v71, v18
	s_waitcnt lgkmcnt(0)
	v_cndmask_b32_e32 v21, 0, v21, vcc
	v_add_u32_e32 v20, v20, v21
	v_mov_b32_e32 v21, 0x80
	v_lshl_or_b32 v72, v56, 2, v21
	ds_bpermute_b32 v21, v72, v20
	v_cmp_le_u32_e32 vcc, v73, v18
	s_waitcnt lgkmcnt(0)
	v_cndmask_b32_e32 v18, 0, v21, vcc
	v_add_u32_e32 v21, v20, v18
	v_mov_b32_e32 v20, 0
	s_branch .LBB569_76
.LBB569_74:                             ;   in Loop: Header=BB569_76 Depth=1
	s_or_b64 exec, exec, s[22:23]
	v_cmp_eq_u16_sdwa s[22:23], v22, v61 src0_sel:BYTE_0 src1_sel:DWORD
	v_and_b32_e32 v25, s23, v24
	v_or_b32_e32 v25, 0x80000000, v25
	ds_bpermute_b32 v74, v63, v21
	v_and_b32_e32 v26, s22, v23
	v_ffbl_b32_e32 v25, v25
	v_add_u32_e32 v25, 32, v25
	v_ffbl_b32_e32 v26, v26
	v_min_u32_e32 v25, v26, v25
	v_cmp_lt_u32_e32 vcc, v62, v25
	s_waitcnt lgkmcnt(0)
	v_cndmask_b32_e32 v26, 0, v74, vcc
	v_add_u32_e32 v21, v26, v21
	ds_bpermute_b32 v26, v64, v21
	v_cmp_le_u32_e32 vcc, v65, v25
	v_subrev_u32_e32 v19, 64, v19
	s_mov_b64 s[22:23], 0
	s_waitcnt lgkmcnt(0)
	v_cndmask_b32_e32 v26, 0, v26, vcc
	v_add_u32_e32 v21, v21, v26
	ds_bpermute_b32 v26, v66, v21
	v_cmp_le_u32_e32 vcc, v67, v25
	s_waitcnt lgkmcnt(0)
	v_cndmask_b32_e32 v26, 0, v26, vcc
	v_add_u32_e32 v21, v21, v26
	ds_bpermute_b32 v26, v68, v21
	v_cmp_le_u32_e32 vcc, v69, v25
	;; [unrolled: 5-line block ×4, first 2 shown]
	s_waitcnt lgkmcnt(0)
	v_cndmask_b32_e32 v25, 0, v26, vcc
	v_add3_u32 v21, v25, v18, v21
.LBB569_75:                             ;   in Loop: Header=BB569_76 Depth=1
	s_and_b64 vcc, exec, s[22:23]
	s_cbranch_vccnz .LBB569_82
.LBB569_76:                             ; =>This Loop Header: Depth=1
                                        ;     Child Loop BB569_79 Depth 2
	v_cmp_ne_u16_sdwa s[22:23], v22, v61 src0_sel:BYTE_0 src1_sel:DWORD
	v_mov_b32_e32 v18, v21
	s_cmp_lg_u64 s[22:23], exec
	s_mov_b64 s[22:23], -1
                                        ; implicit-def: $vgpr21
                                        ; implicit-def: $vgpr22
	s_cbranch_scc1 .LBB569_75
; %bb.77:                               ;   in Loop: Header=BB569_76 Depth=1
	v_lshlrev_b64 v[21:22], 3, v[19:20]
	v_mov_b32_e32 v26, s21
	v_add_co_u32_e32 v25, vcc, s20, v21
	v_addc_co_u32_e32 v26, vcc, v26, v22, vcc
	global_load_dwordx2 v[21:22], v[25:26], off glc
	s_waitcnt vmcnt(0)
	v_cmp_eq_u16_sdwa s[24:25], v22, v20 src0_sel:BYTE_0 src1_sel:DWORD
	s_and_saveexec_b64 s[22:23], s[24:25]
	s_cbranch_execz .LBB569_74
; %bb.78:                               ;   in Loop: Header=BB569_76 Depth=1
	s_mov_b64 s[24:25], 0
.LBB569_79:                             ;   Parent Loop BB569_76 Depth=1
                                        ; =>  This Inner Loop Header: Depth=2
	global_load_dwordx2 v[21:22], v[25:26], off glc
	s_waitcnt vmcnt(0)
	v_cmp_ne_u16_sdwa s[26:27], v22, v20 src0_sel:BYTE_0 src1_sel:DWORD
	s_or_b64 s[24:25], s[26:27], s[24:25]
	s_andn2_b64 exec, exec, s[24:25]
	s_cbranch_execnz .LBB569_79
; %bb.80:                               ;   in Loop: Header=BB569_76 Depth=1
	s_or_b64 exec, exec, s[24:25]
	s_branch .LBB569_74
.LBB569_81:
                                        ; implicit-def: $vgpr18
                                        ; implicit-def: $vgpr19
	s_cbranch_execnz .LBB569_87
	s_branch .LBB569_96
.LBB569_82:
	s_and_saveexec_b64 s[22:23], s[14:15]
	s_cbranch_execz .LBB569_84
; %bb.83:
	s_add_i32 s6, s6, 64
	s_mov_b32 s7, 0
	s_lshl_b64 s[6:7], s[6:7], 3
	s_add_u32 s6, s20, s6
	v_add_u32_e32 v19, v18, v17
	v_mov_b32_e32 v20, 2
	s_addc_u32 s7, s21, s7
	v_mov_b32_e32 v21, 0
	global_store_dwordx2 v21, v[19:20], s[6:7]
	ds_write_b64 v21, v[17:18] offset:16896
.LBB569_84:
	s_or_b64 exec, exec, s[22:23]
	v_cmp_eq_u32_e32 vcc, 0, v0
	s_and_b64 exec, exec, vcc
; %bb.85:
	v_mov_b32_e32 v17, 0
	ds_write_b32 v17, v18 offset:12
.LBB569_86:
	s_or_b64 exec, exec, s[18:19]
	v_mov_b32_e32 v17, 0
	s_waitcnt vmcnt(0) lgkmcnt(0)
	s_barrier
	ds_read_b32 v20, v17 offset:12
	s_waitcnt lgkmcnt(0)
	s_barrier
	ds_read_b64 v[17:18], v17 offset:16896
	v_cndmask_b32_e64 v19, v60, v59, s[14:15]
	v_cmp_ne_u32_e32 vcc, 0, v0
	v_cndmask_b32_e32 v19, 0, v19, vcc
	v_add_u32_e32 v19, v20, v19
	s_branch .LBB569_96
.LBB569_87:
	s_waitcnt lgkmcnt(0)
	v_mov_b32_dpp v17, v58 row_shr:1 row_mask:0xf bank_mask:0xf
	v_cndmask_b32_e64 v17, v17, 0, s[12:13]
	v_add_u32_e32 v17, v17, v58
	s_nop 1
	v_mov_b32_dpp v18, v17 row_shr:2 row_mask:0xf bank_mask:0xf
	v_cndmask_b32_e64 v18, 0, v18, s[10:11]
	v_add_u32_e32 v17, v17, v18
	s_nop 1
	v_mov_b32_dpp v18, v17 row_shr:4 row_mask:0xf bank_mask:0xf
	v_cndmask_b32_e64 v18, 0, v18, s[8:9]
	v_add_u32_e32 v17, v17, v18
	s_nop 1
	v_mov_b32_dpp v18, v17 row_shr:8 row_mask:0xf bank_mask:0xf
	v_cndmask_b32_e64 v18, 0, v18, s[16:17]
	v_add_u32_e32 v17, v17, v18
	s_nop 1
	v_mov_b32_dpp v18, v17 row_bcast:15 row_mask:0xf bank_mask:0xf
	v_cndmask_b32_e64 v18, v18, 0, s[4:5]
	v_add_u32_e32 v17, v17, v18
	s_nop 1
	v_mov_b32_dpp v18, v17 row_bcast:31 row_mask:0xf bank_mask:0xf
	v_cndmask_b32_e64 v18, 0, v18, s[0:1]
	v_add_u32_e32 v17, v17, v18
	s_and_saveexec_b64 s[0:1], s[2:3]
; %bb.88:
	v_lshlrev_b32_e32 v18, 2, v57
	ds_write_b32 v18, v17
; %bb.89:
	s_or_b64 exec, exec, s[0:1]
	v_cmp_gt_u32_e32 vcc, 4, v0
	s_waitcnt lgkmcnt(0)
	s_barrier
	s_and_saveexec_b64 s[0:1], vcc
	s_cbranch_execz .LBB569_91
; %bb.90:
	v_lshlrev_b32_e32 v18, 2, v0
	ds_read_b32 v19, v18
	v_and_b32_e32 v20, 3, v56
	v_cmp_ne_u32_e32 vcc, 0, v20
	s_waitcnt lgkmcnt(0)
	v_mov_b32_dpp v21, v19 row_shr:1 row_mask:0xf bank_mask:0xf
	v_cndmask_b32_e32 v21, 0, v21, vcc
	v_add_u32_e32 v19, v21, v19
	v_cmp_lt_u32_e32 vcc, 1, v20
	s_nop 0
	v_mov_b32_dpp v21, v19 row_shr:2 row_mask:0xf bank_mask:0xf
	v_cndmask_b32_e32 v20, 0, v21, vcc
	v_add_u32_e32 v19, v19, v20
	ds_write_b32 v18, v19
.LBB569_91:
	s_or_b64 exec, exec, s[0:1]
	v_cmp_lt_u32_e32 vcc, 63, v0
	v_mov_b32_e32 v18, 0
	v_mov_b32_e32 v19, 0
	s_waitcnt lgkmcnt(0)
	s_barrier
	s_and_saveexec_b64 s[0:1], vcc
; %bb.92:
	v_lshl_add_u32 v19, v57, 2, -4
	ds_read_b32 v19, v19
; %bb.93:
	s_or_b64 exec, exec, s[0:1]
	v_subrev_co_u32_e32 v20, vcc, 1, v56
	v_and_b32_e32 v21, 64, v56
	v_cmp_lt_i32_e64 s[0:1], v20, v21
	v_cndmask_b32_e64 v20, v20, v56, s[0:1]
	s_waitcnt lgkmcnt(0)
	v_add_u32_e32 v17, v19, v17
	v_lshlrev_b32_e32 v20, 2, v20
	ds_bpermute_b32 v20, v20, v17
	ds_read_b32 v17, v18 offset:12
	v_cmp_eq_u32_e64 s[0:1], 0, v0
	s_and_saveexec_b64 s[2:3], s[0:1]
	s_cbranch_execz .LBB569_95
; %bb.94:
	v_mov_b32_e32 v21, 0
	v_mov_b32_e32 v18, 2
	s_waitcnt lgkmcnt(0)
	global_store_dwordx2 v21, v[17:18], s[20:21] offset:512
.LBB569_95:
	s_or_b64 exec, exec, s[2:3]
	s_waitcnt lgkmcnt(1)
	v_cndmask_b32_e32 v18, v20, v19, vcc
	v_cndmask_b32_e64 v19, v18, 0, s[0:1]
	s_waitcnt vmcnt(0) lgkmcnt(0)
	s_barrier
	v_mov_b32_e32 v18, 0
.LBB569_96:
	s_movk_i32 s0, 0x101
	s_waitcnt lgkmcnt(0)
	v_cmp_gt_u32_e32 vcc, s0, v17
	s_cbranch_vccz .LBB569_99
; %bb.97:
	v_cmp_eq_u32_e32 vcc, 0, v0
	s_and_b64 s[0:1], vcc, s[40:41]
	s_and_saveexec_b64 s[2:3], s[0:1]
	s_cbranch_execnz .LBB569_132
.LBB569_98:
	s_endpgm
.LBB569_99:
	v_and_b32_e32 v20, 1, v45
	v_cmp_eq_u32_e32 vcc, 1, v20
	s_and_saveexec_b64 s[0:1], vcc
; %bb.100:
	v_sub_u32_e32 v20, v19, v18
	v_lshlrev_b32_e32 v20, 2, v20
	ds_write_b32 v20, v15
; %bb.101:
	s_or_b64 exec, exec, s[0:1]
	v_add_u32_e32 v15, v19, v55
	v_and_b32_e32 v19, 1, v41
	v_cmp_eq_u32_e32 vcc, 1, v19
	s_and_saveexec_b64 s[0:1], vcc
; %bb.102:
	v_sub_u32_e32 v19, v15, v18
	v_lshlrev_b32_e32 v19, 2, v19
	ds_write_b32 v19, v16
; %bb.103:
	s_or_b64 exec, exec, s[0:1]
	v_and_b32_e32 v16, 1, v40
	v_add_u32_e32 v15, v15, v54
	v_cmp_eq_u32_e32 vcc, 1, v16
	s_and_saveexec_b64 s[0:1], vcc
; %bb.104:
	v_sub_u32_e32 v16, v15, v18
	v_lshlrev_b32_e32 v16, 2, v16
	ds_write_b32 v16, v13
; %bb.105:
	s_or_b64 exec, exec, s[0:1]
	v_add_u32_e32 v13, v15, v53
	v_and_b32_e32 v15, 1, v39
	v_cmp_eq_u32_e32 vcc, 1, v15
	s_and_saveexec_b64 s[0:1], vcc
; %bb.106:
	v_sub_u32_e32 v15, v13, v18
	v_lshlrev_b32_e32 v15, 2, v15
	ds_write_b32 v15, v14
; %bb.107:
	s_or_b64 exec, exec, s[0:1]
	v_and_b32_e32 v14, 1, v38
	v_add_u32_e32 v13, v13, v52
	v_cmp_eq_u32_e32 vcc, 1, v14
	s_and_saveexec_b64 s[0:1], vcc
; %bb.108:
	v_sub_u32_e32 v14, v13, v18
	v_lshlrev_b32_e32 v14, 2, v14
	ds_write_b32 v14, v11
; %bb.109:
	s_or_b64 exec, exec, s[0:1]
	v_add_u32_e32 v11, v13, v51
	v_and_b32_e32 v13, 1, v37
	v_cmp_eq_u32_e32 vcc, 1, v13
	s_and_saveexec_b64 s[0:1], vcc
; %bb.110:
	v_sub_u32_e32 v13, v11, v18
	v_lshlrev_b32_e32 v13, 2, v13
	ds_write_b32 v13, v12
; %bb.111:
	s_or_b64 exec, exec, s[0:1]
	v_and_b32_e32 v12, 1, v36
	v_add_u32_sdwa v11, v11, v37 dst_sel:DWORD dst_unused:UNUSED_PAD src0_sel:DWORD src1_sel:BYTE_0
	v_cmp_eq_u32_e32 vcc, 1, v12
	s_and_saveexec_b64 s[0:1], vcc
; %bb.112:
	v_sub_u32_e32 v12, v11, v18
	v_lshlrev_b32_e32 v12, 2, v12
	ds_write_b32 v12, v9
; %bb.113:
	s_or_b64 exec, exec, s[0:1]
	v_add_u32_sdwa v9, v11, v36 dst_sel:DWORD dst_unused:UNUSED_PAD src0_sel:DWORD src1_sel:BYTE_0
	v_and_b32_e32 v11, 1, v35
	v_cmp_eq_u32_e32 vcc, 1, v11
	s_and_saveexec_b64 s[0:1], vcc
; %bb.114:
	v_sub_u32_e32 v11, v9, v18
	v_lshlrev_b32_e32 v11, 2, v11
	ds_write_b32 v11, v10
; %bb.115:
	s_or_b64 exec, exec, s[0:1]
	v_and_b32_e32 v10, 1, v34
	v_add_u32_e32 v9, v9, v50
	v_cmp_eq_u32_e32 vcc, 1, v10
	s_and_saveexec_b64 s[0:1], vcc
; %bb.116:
	v_sub_u32_e32 v10, v9, v18
	v_lshlrev_b32_e32 v10, 2, v10
	ds_write_b32 v10, v7
; %bb.117:
	s_or_b64 exec, exec, s[0:1]
	v_add_u32_e32 v7, v9, v49
	v_and_b32_e32 v9, 1, v33
	v_cmp_eq_u32_e32 vcc, 1, v9
	s_and_saveexec_b64 s[0:1], vcc
; %bb.118:
	v_sub_u32_e32 v9, v7, v18
	v_lshlrev_b32_e32 v9, 2, v9
	ds_write_b32 v9, v8
; %bb.119:
	s_or_b64 exec, exec, s[0:1]
	v_and_b32_e32 v8, 1, v32
	v_add_u32_e32 v7, v7, v48
	v_cmp_eq_u32_e32 vcc, 1, v8
	s_and_saveexec_b64 s[0:1], vcc
; %bb.120:
	v_sub_u32_e32 v8, v7, v18
	v_lshlrev_b32_e32 v8, 2, v8
	ds_write_b32 v8, v5
; %bb.121:
	s_or_b64 exec, exec, s[0:1]
	v_add_u32_e32 v5, v7, v47
	;; [unrolled: 20-line block ×3, first 2 shown]
	v_and_b32_e32 v5, 1, v29
	v_cmp_eq_u32_e32 vcc, 1, v5
	s_and_saveexec_b64 s[0:1], vcc
; %bb.126:
	v_sub_u32_e32 v5, v3, v18
	v_lshlrev_b32_e32 v5, 2, v5
	ds_write_b32 v5, v4
; %bb.127:
	s_or_b64 exec, exec, s[0:1]
	v_and_b32_e32 v4, 1, v28
	v_add_u32_e32 v3, v3, v43
	v_cmp_eq_u32_e32 vcc, 1, v4
	s_and_saveexec_b64 s[0:1], vcc
; %bb.128:
	v_sub_u32_e32 v4, v3, v18
	v_lshlrev_b32_e32 v4, 2, v4
	ds_write_b32 v4, v1
; %bb.129:
	s_or_b64 exec, exec, s[0:1]
	v_and_b32_e32 v1, 1, v27
	v_cmp_eq_u32_e32 vcc, 1, v1
	s_and_saveexec_b64 s[0:1], vcc
; %bb.130:
	v_sub_u32_e32 v1, v42, v18
	v_lshlrev_b32_e32 v3, 2, v3
	v_lshl_add_u32 v1, v1, 2, v3
	ds_write_b32 v1, v2
; %bb.131:
	s_or_b64 exec, exec, s[0:1]
	s_waitcnt lgkmcnt(0)
	s_barrier
	v_cmp_eq_u32_e32 vcc, 0, v0
	s_and_b64 s[0:1], vcc, s[40:41]
	s_and_saveexec_b64 s[2:3], s[0:1]
	s_cbranch_execz .LBB569_98
.LBB569_132:
	v_mov_b32_e32 v0, s39
	v_add_co_u32_e32 v1, vcc, s38, v17
	v_addc_co_u32_e32 v3, vcc, 0, v0, vcc
	v_add_co_u32_e32 v0, vcc, v1, v18
	v_mov_b32_e32 v2, 0
	v_addc_co_u32_e32 v1, vcc, 0, v3, vcc
	global_store_dwordx2 v2, v[0:1], s[36:37]
	s_endpgm
	.section	.rodata,"a",@progbits
	.p2align	6, 0x0
	.amdhsa_kernel _ZN7rocprim17ROCPRIM_400000_NS6detail17trampoline_kernelINS0_14default_configENS1_25partition_config_selectorILNS1_17partition_subalgoE8EjNS0_10empty_typeEbEEZZNS1_14partition_implILS5_8ELb0ES3_jN6thrust23THRUST_200600_302600_NS6detail15normal_iteratorINSA_10device_ptrIjEEEEPS6_PKS6_NS0_5tupleIJNSA_16discard_iteratorINSA_11use_defaultEEES6_EEENSJ_IJSG_SG_EEENS0_18inequality_wrapperINSA_8equal_toIjEEEEPmJS6_EEE10hipError_tPvRmT3_T4_T5_T6_T7_T9_mT8_P12ihipStream_tbDpT10_ENKUlT_T0_E_clISt17integral_constantIbLb0EES1D_EEDaS18_S19_EUlS18_E_NS1_11comp_targetILNS1_3genE2ELNS1_11target_archE906ELNS1_3gpuE6ELNS1_3repE0EEENS1_30default_config_static_selectorELNS0_4arch9wavefront6targetE1EEEvT1_
		.amdhsa_group_segment_fixed_size 16904
		.amdhsa_private_segment_fixed_size 0
		.amdhsa_kernarg_size 120
		.amdhsa_user_sgpr_count 6
		.amdhsa_user_sgpr_private_segment_buffer 1
		.amdhsa_user_sgpr_dispatch_ptr 0
		.amdhsa_user_sgpr_queue_ptr 0
		.amdhsa_user_sgpr_kernarg_segment_ptr 1
		.amdhsa_user_sgpr_dispatch_id 0
		.amdhsa_user_sgpr_flat_scratch_init 0
		.amdhsa_user_sgpr_private_segment_size 0
		.amdhsa_uses_dynamic_stack 0
		.amdhsa_system_sgpr_private_segment_wavefront_offset 0
		.amdhsa_system_sgpr_workgroup_id_x 1
		.amdhsa_system_sgpr_workgroup_id_y 0
		.amdhsa_system_sgpr_workgroup_id_z 0
		.amdhsa_system_sgpr_workgroup_info 0
		.amdhsa_system_vgpr_workitem_id 0
		.amdhsa_next_free_vgpr 75
		.amdhsa_next_free_sgpr 98
		.amdhsa_reserve_vcc 1
		.amdhsa_reserve_flat_scratch 0
		.amdhsa_float_round_mode_32 0
		.amdhsa_float_round_mode_16_64 0
		.amdhsa_float_denorm_mode_32 3
		.amdhsa_float_denorm_mode_16_64 3
		.amdhsa_dx10_clamp 1
		.amdhsa_ieee_mode 1
		.amdhsa_fp16_overflow 0
		.amdhsa_exception_fp_ieee_invalid_op 0
		.amdhsa_exception_fp_denorm_src 0
		.amdhsa_exception_fp_ieee_div_zero 0
		.amdhsa_exception_fp_ieee_overflow 0
		.amdhsa_exception_fp_ieee_underflow 0
		.amdhsa_exception_fp_ieee_inexact 0
		.amdhsa_exception_int_div_zero 0
	.end_amdhsa_kernel
	.section	.text._ZN7rocprim17ROCPRIM_400000_NS6detail17trampoline_kernelINS0_14default_configENS1_25partition_config_selectorILNS1_17partition_subalgoE8EjNS0_10empty_typeEbEEZZNS1_14partition_implILS5_8ELb0ES3_jN6thrust23THRUST_200600_302600_NS6detail15normal_iteratorINSA_10device_ptrIjEEEEPS6_PKS6_NS0_5tupleIJNSA_16discard_iteratorINSA_11use_defaultEEES6_EEENSJ_IJSG_SG_EEENS0_18inequality_wrapperINSA_8equal_toIjEEEEPmJS6_EEE10hipError_tPvRmT3_T4_T5_T6_T7_T9_mT8_P12ihipStream_tbDpT10_ENKUlT_T0_E_clISt17integral_constantIbLb0EES1D_EEDaS18_S19_EUlS18_E_NS1_11comp_targetILNS1_3genE2ELNS1_11target_archE906ELNS1_3gpuE6ELNS1_3repE0EEENS1_30default_config_static_selectorELNS0_4arch9wavefront6targetE1EEEvT1_,"axG",@progbits,_ZN7rocprim17ROCPRIM_400000_NS6detail17trampoline_kernelINS0_14default_configENS1_25partition_config_selectorILNS1_17partition_subalgoE8EjNS0_10empty_typeEbEEZZNS1_14partition_implILS5_8ELb0ES3_jN6thrust23THRUST_200600_302600_NS6detail15normal_iteratorINSA_10device_ptrIjEEEEPS6_PKS6_NS0_5tupleIJNSA_16discard_iteratorINSA_11use_defaultEEES6_EEENSJ_IJSG_SG_EEENS0_18inequality_wrapperINSA_8equal_toIjEEEEPmJS6_EEE10hipError_tPvRmT3_T4_T5_T6_T7_T9_mT8_P12ihipStream_tbDpT10_ENKUlT_T0_E_clISt17integral_constantIbLb0EES1D_EEDaS18_S19_EUlS18_E_NS1_11comp_targetILNS1_3genE2ELNS1_11target_archE906ELNS1_3gpuE6ELNS1_3repE0EEENS1_30default_config_static_selectorELNS0_4arch9wavefront6targetE1EEEvT1_,comdat
.Lfunc_end569:
	.size	_ZN7rocprim17ROCPRIM_400000_NS6detail17trampoline_kernelINS0_14default_configENS1_25partition_config_selectorILNS1_17partition_subalgoE8EjNS0_10empty_typeEbEEZZNS1_14partition_implILS5_8ELb0ES3_jN6thrust23THRUST_200600_302600_NS6detail15normal_iteratorINSA_10device_ptrIjEEEEPS6_PKS6_NS0_5tupleIJNSA_16discard_iteratorINSA_11use_defaultEEES6_EEENSJ_IJSG_SG_EEENS0_18inequality_wrapperINSA_8equal_toIjEEEEPmJS6_EEE10hipError_tPvRmT3_T4_T5_T6_T7_T9_mT8_P12ihipStream_tbDpT10_ENKUlT_T0_E_clISt17integral_constantIbLb0EES1D_EEDaS18_S19_EUlS18_E_NS1_11comp_targetILNS1_3genE2ELNS1_11target_archE906ELNS1_3gpuE6ELNS1_3repE0EEENS1_30default_config_static_selectorELNS0_4arch9wavefront6targetE1EEEvT1_, .Lfunc_end569-_ZN7rocprim17ROCPRIM_400000_NS6detail17trampoline_kernelINS0_14default_configENS1_25partition_config_selectorILNS1_17partition_subalgoE8EjNS0_10empty_typeEbEEZZNS1_14partition_implILS5_8ELb0ES3_jN6thrust23THRUST_200600_302600_NS6detail15normal_iteratorINSA_10device_ptrIjEEEEPS6_PKS6_NS0_5tupleIJNSA_16discard_iteratorINSA_11use_defaultEEES6_EEENSJ_IJSG_SG_EEENS0_18inequality_wrapperINSA_8equal_toIjEEEEPmJS6_EEE10hipError_tPvRmT3_T4_T5_T6_T7_T9_mT8_P12ihipStream_tbDpT10_ENKUlT_T0_E_clISt17integral_constantIbLb0EES1D_EEDaS18_S19_EUlS18_E_NS1_11comp_targetILNS1_3genE2ELNS1_11target_archE906ELNS1_3gpuE6ELNS1_3repE0EEENS1_30default_config_static_selectorELNS0_4arch9wavefront6targetE1EEEvT1_
                                        ; -- End function
	.set _ZN7rocprim17ROCPRIM_400000_NS6detail17trampoline_kernelINS0_14default_configENS1_25partition_config_selectorILNS1_17partition_subalgoE8EjNS0_10empty_typeEbEEZZNS1_14partition_implILS5_8ELb0ES3_jN6thrust23THRUST_200600_302600_NS6detail15normal_iteratorINSA_10device_ptrIjEEEEPS6_PKS6_NS0_5tupleIJNSA_16discard_iteratorINSA_11use_defaultEEES6_EEENSJ_IJSG_SG_EEENS0_18inequality_wrapperINSA_8equal_toIjEEEEPmJS6_EEE10hipError_tPvRmT3_T4_T5_T6_T7_T9_mT8_P12ihipStream_tbDpT10_ENKUlT_T0_E_clISt17integral_constantIbLb0EES1D_EEDaS18_S19_EUlS18_E_NS1_11comp_targetILNS1_3genE2ELNS1_11target_archE906ELNS1_3gpuE6ELNS1_3repE0EEENS1_30default_config_static_selectorELNS0_4arch9wavefront6targetE1EEEvT1_.num_vgpr, 75
	.set _ZN7rocprim17ROCPRIM_400000_NS6detail17trampoline_kernelINS0_14default_configENS1_25partition_config_selectorILNS1_17partition_subalgoE8EjNS0_10empty_typeEbEEZZNS1_14partition_implILS5_8ELb0ES3_jN6thrust23THRUST_200600_302600_NS6detail15normal_iteratorINSA_10device_ptrIjEEEEPS6_PKS6_NS0_5tupleIJNSA_16discard_iteratorINSA_11use_defaultEEES6_EEENSJ_IJSG_SG_EEENS0_18inequality_wrapperINSA_8equal_toIjEEEEPmJS6_EEE10hipError_tPvRmT3_T4_T5_T6_T7_T9_mT8_P12ihipStream_tbDpT10_ENKUlT_T0_E_clISt17integral_constantIbLb0EES1D_EEDaS18_S19_EUlS18_E_NS1_11comp_targetILNS1_3genE2ELNS1_11target_archE906ELNS1_3gpuE6ELNS1_3repE0EEENS1_30default_config_static_selectorELNS0_4arch9wavefront6targetE1EEEvT1_.num_agpr, 0
	.set _ZN7rocprim17ROCPRIM_400000_NS6detail17trampoline_kernelINS0_14default_configENS1_25partition_config_selectorILNS1_17partition_subalgoE8EjNS0_10empty_typeEbEEZZNS1_14partition_implILS5_8ELb0ES3_jN6thrust23THRUST_200600_302600_NS6detail15normal_iteratorINSA_10device_ptrIjEEEEPS6_PKS6_NS0_5tupleIJNSA_16discard_iteratorINSA_11use_defaultEEES6_EEENSJ_IJSG_SG_EEENS0_18inequality_wrapperINSA_8equal_toIjEEEEPmJS6_EEE10hipError_tPvRmT3_T4_T5_T6_T7_T9_mT8_P12ihipStream_tbDpT10_ENKUlT_T0_E_clISt17integral_constantIbLb0EES1D_EEDaS18_S19_EUlS18_E_NS1_11comp_targetILNS1_3genE2ELNS1_11target_archE906ELNS1_3gpuE6ELNS1_3repE0EEENS1_30default_config_static_selectorELNS0_4arch9wavefront6targetE1EEEvT1_.numbered_sgpr, 54
	.set _ZN7rocprim17ROCPRIM_400000_NS6detail17trampoline_kernelINS0_14default_configENS1_25partition_config_selectorILNS1_17partition_subalgoE8EjNS0_10empty_typeEbEEZZNS1_14partition_implILS5_8ELb0ES3_jN6thrust23THRUST_200600_302600_NS6detail15normal_iteratorINSA_10device_ptrIjEEEEPS6_PKS6_NS0_5tupleIJNSA_16discard_iteratorINSA_11use_defaultEEES6_EEENSJ_IJSG_SG_EEENS0_18inequality_wrapperINSA_8equal_toIjEEEEPmJS6_EEE10hipError_tPvRmT3_T4_T5_T6_T7_T9_mT8_P12ihipStream_tbDpT10_ENKUlT_T0_E_clISt17integral_constantIbLb0EES1D_EEDaS18_S19_EUlS18_E_NS1_11comp_targetILNS1_3genE2ELNS1_11target_archE906ELNS1_3gpuE6ELNS1_3repE0EEENS1_30default_config_static_selectorELNS0_4arch9wavefront6targetE1EEEvT1_.num_named_barrier, 0
	.set _ZN7rocprim17ROCPRIM_400000_NS6detail17trampoline_kernelINS0_14default_configENS1_25partition_config_selectorILNS1_17partition_subalgoE8EjNS0_10empty_typeEbEEZZNS1_14partition_implILS5_8ELb0ES3_jN6thrust23THRUST_200600_302600_NS6detail15normal_iteratorINSA_10device_ptrIjEEEEPS6_PKS6_NS0_5tupleIJNSA_16discard_iteratorINSA_11use_defaultEEES6_EEENSJ_IJSG_SG_EEENS0_18inequality_wrapperINSA_8equal_toIjEEEEPmJS6_EEE10hipError_tPvRmT3_T4_T5_T6_T7_T9_mT8_P12ihipStream_tbDpT10_ENKUlT_T0_E_clISt17integral_constantIbLb0EES1D_EEDaS18_S19_EUlS18_E_NS1_11comp_targetILNS1_3genE2ELNS1_11target_archE906ELNS1_3gpuE6ELNS1_3repE0EEENS1_30default_config_static_selectorELNS0_4arch9wavefront6targetE1EEEvT1_.private_seg_size, 0
	.set _ZN7rocprim17ROCPRIM_400000_NS6detail17trampoline_kernelINS0_14default_configENS1_25partition_config_selectorILNS1_17partition_subalgoE8EjNS0_10empty_typeEbEEZZNS1_14partition_implILS5_8ELb0ES3_jN6thrust23THRUST_200600_302600_NS6detail15normal_iteratorINSA_10device_ptrIjEEEEPS6_PKS6_NS0_5tupleIJNSA_16discard_iteratorINSA_11use_defaultEEES6_EEENSJ_IJSG_SG_EEENS0_18inequality_wrapperINSA_8equal_toIjEEEEPmJS6_EEE10hipError_tPvRmT3_T4_T5_T6_T7_T9_mT8_P12ihipStream_tbDpT10_ENKUlT_T0_E_clISt17integral_constantIbLb0EES1D_EEDaS18_S19_EUlS18_E_NS1_11comp_targetILNS1_3genE2ELNS1_11target_archE906ELNS1_3gpuE6ELNS1_3repE0EEENS1_30default_config_static_selectorELNS0_4arch9wavefront6targetE1EEEvT1_.uses_vcc, 1
	.set _ZN7rocprim17ROCPRIM_400000_NS6detail17trampoline_kernelINS0_14default_configENS1_25partition_config_selectorILNS1_17partition_subalgoE8EjNS0_10empty_typeEbEEZZNS1_14partition_implILS5_8ELb0ES3_jN6thrust23THRUST_200600_302600_NS6detail15normal_iteratorINSA_10device_ptrIjEEEEPS6_PKS6_NS0_5tupleIJNSA_16discard_iteratorINSA_11use_defaultEEES6_EEENSJ_IJSG_SG_EEENS0_18inequality_wrapperINSA_8equal_toIjEEEEPmJS6_EEE10hipError_tPvRmT3_T4_T5_T6_T7_T9_mT8_P12ihipStream_tbDpT10_ENKUlT_T0_E_clISt17integral_constantIbLb0EES1D_EEDaS18_S19_EUlS18_E_NS1_11comp_targetILNS1_3genE2ELNS1_11target_archE906ELNS1_3gpuE6ELNS1_3repE0EEENS1_30default_config_static_selectorELNS0_4arch9wavefront6targetE1EEEvT1_.uses_flat_scratch, 0
	.set _ZN7rocprim17ROCPRIM_400000_NS6detail17trampoline_kernelINS0_14default_configENS1_25partition_config_selectorILNS1_17partition_subalgoE8EjNS0_10empty_typeEbEEZZNS1_14partition_implILS5_8ELb0ES3_jN6thrust23THRUST_200600_302600_NS6detail15normal_iteratorINSA_10device_ptrIjEEEEPS6_PKS6_NS0_5tupleIJNSA_16discard_iteratorINSA_11use_defaultEEES6_EEENSJ_IJSG_SG_EEENS0_18inequality_wrapperINSA_8equal_toIjEEEEPmJS6_EEE10hipError_tPvRmT3_T4_T5_T6_T7_T9_mT8_P12ihipStream_tbDpT10_ENKUlT_T0_E_clISt17integral_constantIbLb0EES1D_EEDaS18_S19_EUlS18_E_NS1_11comp_targetILNS1_3genE2ELNS1_11target_archE906ELNS1_3gpuE6ELNS1_3repE0EEENS1_30default_config_static_selectorELNS0_4arch9wavefront6targetE1EEEvT1_.has_dyn_sized_stack, 0
	.set _ZN7rocprim17ROCPRIM_400000_NS6detail17trampoline_kernelINS0_14default_configENS1_25partition_config_selectorILNS1_17partition_subalgoE8EjNS0_10empty_typeEbEEZZNS1_14partition_implILS5_8ELb0ES3_jN6thrust23THRUST_200600_302600_NS6detail15normal_iteratorINSA_10device_ptrIjEEEEPS6_PKS6_NS0_5tupleIJNSA_16discard_iteratorINSA_11use_defaultEEES6_EEENSJ_IJSG_SG_EEENS0_18inequality_wrapperINSA_8equal_toIjEEEEPmJS6_EEE10hipError_tPvRmT3_T4_T5_T6_T7_T9_mT8_P12ihipStream_tbDpT10_ENKUlT_T0_E_clISt17integral_constantIbLb0EES1D_EEDaS18_S19_EUlS18_E_NS1_11comp_targetILNS1_3genE2ELNS1_11target_archE906ELNS1_3gpuE6ELNS1_3repE0EEENS1_30default_config_static_selectorELNS0_4arch9wavefront6targetE1EEEvT1_.has_recursion, 0
	.set _ZN7rocprim17ROCPRIM_400000_NS6detail17trampoline_kernelINS0_14default_configENS1_25partition_config_selectorILNS1_17partition_subalgoE8EjNS0_10empty_typeEbEEZZNS1_14partition_implILS5_8ELb0ES3_jN6thrust23THRUST_200600_302600_NS6detail15normal_iteratorINSA_10device_ptrIjEEEEPS6_PKS6_NS0_5tupleIJNSA_16discard_iteratorINSA_11use_defaultEEES6_EEENSJ_IJSG_SG_EEENS0_18inequality_wrapperINSA_8equal_toIjEEEEPmJS6_EEE10hipError_tPvRmT3_T4_T5_T6_T7_T9_mT8_P12ihipStream_tbDpT10_ENKUlT_T0_E_clISt17integral_constantIbLb0EES1D_EEDaS18_S19_EUlS18_E_NS1_11comp_targetILNS1_3genE2ELNS1_11target_archE906ELNS1_3gpuE6ELNS1_3repE0EEENS1_30default_config_static_selectorELNS0_4arch9wavefront6targetE1EEEvT1_.has_indirect_call, 0
	.section	.AMDGPU.csdata,"",@progbits
; Kernel info:
; codeLenInByte = 6840
; TotalNumSgprs: 58
; NumVgprs: 75
; ScratchSize: 0
; MemoryBound: 0
; FloatMode: 240
; IeeeMode: 1
; LDSByteSize: 16904 bytes/workgroup (compile time only)
; SGPRBlocks: 12
; VGPRBlocks: 18
; NumSGPRsForWavesPerEU: 102
; NumVGPRsForWavesPerEU: 75
; Occupancy: 3
; WaveLimiterHint : 1
; COMPUTE_PGM_RSRC2:SCRATCH_EN: 0
; COMPUTE_PGM_RSRC2:USER_SGPR: 6
; COMPUTE_PGM_RSRC2:TRAP_HANDLER: 0
; COMPUTE_PGM_RSRC2:TGID_X_EN: 1
; COMPUTE_PGM_RSRC2:TGID_Y_EN: 0
; COMPUTE_PGM_RSRC2:TGID_Z_EN: 0
; COMPUTE_PGM_RSRC2:TIDIG_COMP_CNT: 0
	.section	.text._ZN7rocprim17ROCPRIM_400000_NS6detail17trampoline_kernelINS0_14default_configENS1_25partition_config_selectorILNS1_17partition_subalgoE8EjNS0_10empty_typeEbEEZZNS1_14partition_implILS5_8ELb0ES3_jN6thrust23THRUST_200600_302600_NS6detail15normal_iteratorINSA_10device_ptrIjEEEEPS6_PKS6_NS0_5tupleIJNSA_16discard_iteratorINSA_11use_defaultEEES6_EEENSJ_IJSG_SG_EEENS0_18inequality_wrapperINSA_8equal_toIjEEEEPmJS6_EEE10hipError_tPvRmT3_T4_T5_T6_T7_T9_mT8_P12ihipStream_tbDpT10_ENKUlT_T0_E_clISt17integral_constantIbLb0EES1D_EEDaS18_S19_EUlS18_E_NS1_11comp_targetILNS1_3genE10ELNS1_11target_archE1200ELNS1_3gpuE4ELNS1_3repE0EEENS1_30default_config_static_selectorELNS0_4arch9wavefront6targetE1EEEvT1_,"axG",@progbits,_ZN7rocprim17ROCPRIM_400000_NS6detail17trampoline_kernelINS0_14default_configENS1_25partition_config_selectorILNS1_17partition_subalgoE8EjNS0_10empty_typeEbEEZZNS1_14partition_implILS5_8ELb0ES3_jN6thrust23THRUST_200600_302600_NS6detail15normal_iteratorINSA_10device_ptrIjEEEEPS6_PKS6_NS0_5tupleIJNSA_16discard_iteratorINSA_11use_defaultEEES6_EEENSJ_IJSG_SG_EEENS0_18inequality_wrapperINSA_8equal_toIjEEEEPmJS6_EEE10hipError_tPvRmT3_T4_T5_T6_T7_T9_mT8_P12ihipStream_tbDpT10_ENKUlT_T0_E_clISt17integral_constantIbLb0EES1D_EEDaS18_S19_EUlS18_E_NS1_11comp_targetILNS1_3genE10ELNS1_11target_archE1200ELNS1_3gpuE4ELNS1_3repE0EEENS1_30default_config_static_selectorELNS0_4arch9wavefront6targetE1EEEvT1_,comdat
	.protected	_ZN7rocprim17ROCPRIM_400000_NS6detail17trampoline_kernelINS0_14default_configENS1_25partition_config_selectorILNS1_17partition_subalgoE8EjNS0_10empty_typeEbEEZZNS1_14partition_implILS5_8ELb0ES3_jN6thrust23THRUST_200600_302600_NS6detail15normal_iteratorINSA_10device_ptrIjEEEEPS6_PKS6_NS0_5tupleIJNSA_16discard_iteratorINSA_11use_defaultEEES6_EEENSJ_IJSG_SG_EEENS0_18inequality_wrapperINSA_8equal_toIjEEEEPmJS6_EEE10hipError_tPvRmT3_T4_T5_T6_T7_T9_mT8_P12ihipStream_tbDpT10_ENKUlT_T0_E_clISt17integral_constantIbLb0EES1D_EEDaS18_S19_EUlS18_E_NS1_11comp_targetILNS1_3genE10ELNS1_11target_archE1200ELNS1_3gpuE4ELNS1_3repE0EEENS1_30default_config_static_selectorELNS0_4arch9wavefront6targetE1EEEvT1_ ; -- Begin function _ZN7rocprim17ROCPRIM_400000_NS6detail17trampoline_kernelINS0_14default_configENS1_25partition_config_selectorILNS1_17partition_subalgoE8EjNS0_10empty_typeEbEEZZNS1_14partition_implILS5_8ELb0ES3_jN6thrust23THRUST_200600_302600_NS6detail15normal_iteratorINSA_10device_ptrIjEEEEPS6_PKS6_NS0_5tupleIJNSA_16discard_iteratorINSA_11use_defaultEEES6_EEENSJ_IJSG_SG_EEENS0_18inequality_wrapperINSA_8equal_toIjEEEEPmJS6_EEE10hipError_tPvRmT3_T4_T5_T6_T7_T9_mT8_P12ihipStream_tbDpT10_ENKUlT_T0_E_clISt17integral_constantIbLb0EES1D_EEDaS18_S19_EUlS18_E_NS1_11comp_targetILNS1_3genE10ELNS1_11target_archE1200ELNS1_3gpuE4ELNS1_3repE0EEENS1_30default_config_static_selectorELNS0_4arch9wavefront6targetE1EEEvT1_
	.globl	_ZN7rocprim17ROCPRIM_400000_NS6detail17trampoline_kernelINS0_14default_configENS1_25partition_config_selectorILNS1_17partition_subalgoE8EjNS0_10empty_typeEbEEZZNS1_14partition_implILS5_8ELb0ES3_jN6thrust23THRUST_200600_302600_NS6detail15normal_iteratorINSA_10device_ptrIjEEEEPS6_PKS6_NS0_5tupleIJNSA_16discard_iteratorINSA_11use_defaultEEES6_EEENSJ_IJSG_SG_EEENS0_18inequality_wrapperINSA_8equal_toIjEEEEPmJS6_EEE10hipError_tPvRmT3_T4_T5_T6_T7_T9_mT8_P12ihipStream_tbDpT10_ENKUlT_T0_E_clISt17integral_constantIbLb0EES1D_EEDaS18_S19_EUlS18_E_NS1_11comp_targetILNS1_3genE10ELNS1_11target_archE1200ELNS1_3gpuE4ELNS1_3repE0EEENS1_30default_config_static_selectorELNS0_4arch9wavefront6targetE1EEEvT1_
	.p2align	8
	.type	_ZN7rocprim17ROCPRIM_400000_NS6detail17trampoline_kernelINS0_14default_configENS1_25partition_config_selectorILNS1_17partition_subalgoE8EjNS0_10empty_typeEbEEZZNS1_14partition_implILS5_8ELb0ES3_jN6thrust23THRUST_200600_302600_NS6detail15normal_iteratorINSA_10device_ptrIjEEEEPS6_PKS6_NS0_5tupleIJNSA_16discard_iteratorINSA_11use_defaultEEES6_EEENSJ_IJSG_SG_EEENS0_18inequality_wrapperINSA_8equal_toIjEEEEPmJS6_EEE10hipError_tPvRmT3_T4_T5_T6_T7_T9_mT8_P12ihipStream_tbDpT10_ENKUlT_T0_E_clISt17integral_constantIbLb0EES1D_EEDaS18_S19_EUlS18_E_NS1_11comp_targetILNS1_3genE10ELNS1_11target_archE1200ELNS1_3gpuE4ELNS1_3repE0EEENS1_30default_config_static_selectorELNS0_4arch9wavefront6targetE1EEEvT1_,@function
_ZN7rocprim17ROCPRIM_400000_NS6detail17trampoline_kernelINS0_14default_configENS1_25partition_config_selectorILNS1_17partition_subalgoE8EjNS0_10empty_typeEbEEZZNS1_14partition_implILS5_8ELb0ES3_jN6thrust23THRUST_200600_302600_NS6detail15normal_iteratorINSA_10device_ptrIjEEEEPS6_PKS6_NS0_5tupleIJNSA_16discard_iteratorINSA_11use_defaultEEES6_EEENSJ_IJSG_SG_EEENS0_18inequality_wrapperINSA_8equal_toIjEEEEPmJS6_EEE10hipError_tPvRmT3_T4_T5_T6_T7_T9_mT8_P12ihipStream_tbDpT10_ENKUlT_T0_E_clISt17integral_constantIbLb0EES1D_EEDaS18_S19_EUlS18_E_NS1_11comp_targetILNS1_3genE10ELNS1_11target_archE1200ELNS1_3gpuE4ELNS1_3repE0EEENS1_30default_config_static_selectorELNS0_4arch9wavefront6targetE1EEEvT1_: ; @_ZN7rocprim17ROCPRIM_400000_NS6detail17trampoline_kernelINS0_14default_configENS1_25partition_config_selectorILNS1_17partition_subalgoE8EjNS0_10empty_typeEbEEZZNS1_14partition_implILS5_8ELb0ES3_jN6thrust23THRUST_200600_302600_NS6detail15normal_iteratorINSA_10device_ptrIjEEEEPS6_PKS6_NS0_5tupleIJNSA_16discard_iteratorINSA_11use_defaultEEES6_EEENSJ_IJSG_SG_EEENS0_18inequality_wrapperINSA_8equal_toIjEEEEPmJS6_EEE10hipError_tPvRmT3_T4_T5_T6_T7_T9_mT8_P12ihipStream_tbDpT10_ENKUlT_T0_E_clISt17integral_constantIbLb0EES1D_EEDaS18_S19_EUlS18_E_NS1_11comp_targetILNS1_3genE10ELNS1_11target_archE1200ELNS1_3gpuE4ELNS1_3repE0EEENS1_30default_config_static_selectorELNS0_4arch9wavefront6targetE1EEEvT1_
; %bb.0:
	.section	.rodata,"a",@progbits
	.p2align	6, 0x0
	.amdhsa_kernel _ZN7rocprim17ROCPRIM_400000_NS6detail17trampoline_kernelINS0_14default_configENS1_25partition_config_selectorILNS1_17partition_subalgoE8EjNS0_10empty_typeEbEEZZNS1_14partition_implILS5_8ELb0ES3_jN6thrust23THRUST_200600_302600_NS6detail15normal_iteratorINSA_10device_ptrIjEEEEPS6_PKS6_NS0_5tupleIJNSA_16discard_iteratorINSA_11use_defaultEEES6_EEENSJ_IJSG_SG_EEENS0_18inequality_wrapperINSA_8equal_toIjEEEEPmJS6_EEE10hipError_tPvRmT3_T4_T5_T6_T7_T9_mT8_P12ihipStream_tbDpT10_ENKUlT_T0_E_clISt17integral_constantIbLb0EES1D_EEDaS18_S19_EUlS18_E_NS1_11comp_targetILNS1_3genE10ELNS1_11target_archE1200ELNS1_3gpuE4ELNS1_3repE0EEENS1_30default_config_static_selectorELNS0_4arch9wavefront6targetE1EEEvT1_
		.amdhsa_group_segment_fixed_size 0
		.amdhsa_private_segment_fixed_size 0
		.amdhsa_kernarg_size 120
		.amdhsa_user_sgpr_count 6
		.amdhsa_user_sgpr_private_segment_buffer 1
		.amdhsa_user_sgpr_dispatch_ptr 0
		.amdhsa_user_sgpr_queue_ptr 0
		.amdhsa_user_sgpr_kernarg_segment_ptr 1
		.amdhsa_user_sgpr_dispatch_id 0
		.amdhsa_user_sgpr_flat_scratch_init 0
		.amdhsa_user_sgpr_private_segment_size 0
		.amdhsa_uses_dynamic_stack 0
		.amdhsa_system_sgpr_private_segment_wavefront_offset 0
		.amdhsa_system_sgpr_workgroup_id_x 1
		.amdhsa_system_sgpr_workgroup_id_y 0
		.amdhsa_system_sgpr_workgroup_id_z 0
		.amdhsa_system_sgpr_workgroup_info 0
		.amdhsa_system_vgpr_workitem_id 0
		.amdhsa_next_free_vgpr 1
		.amdhsa_next_free_sgpr 0
		.amdhsa_reserve_vcc 0
		.amdhsa_reserve_flat_scratch 0
		.amdhsa_float_round_mode_32 0
		.amdhsa_float_round_mode_16_64 0
		.amdhsa_float_denorm_mode_32 3
		.amdhsa_float_denorm_mode_16_64 3
		.amdhsa_dx10_clamp 1
		.amdhsa_ieee_mode 1
		.amdhsa_fp16_overflow 0
		.amdhsa_exception_fp_ieee_invalid_op 0
		.amdhsa_exception_fp_denorm_src 0
		.amdhsa_exception_fp_ieee_div_zero 0
		.amdhsa_exception_fp_ieee_overflow 0
		.amdhsa_exception_fp_ieee_underflow 0
		.amdhsa_exception_fp_ieee_inexact 0
		.amdhsa_exception_int_div_zero 0
	.end_amdhsa_kernel
	.section	.text._ZN7rocprim17ROCPRIM_400000_NS6detail17trampoline_kernelINS0_14default_configENS1_25partition_config_selectorILNS1_17partition_subalgoE8EjNS0_10empty_typeEbEEZZNS1_14partition_implILS5_8ELb0ES3_jN6thrust23THRUST_200600_302600_NS6detail15normal_iteratorINSA_10device_ptrIjEEEEPS6_PKS6_NS0_5tupleIJNSA_16discard_iteratorINSA_11use_defaultEEES6_EEENSJ_IJSG_SG_EEENS0_18inequality_wrapperINSA_8equal_toIjEEEEPmJS6_EEE10hipError_tPvRmT3_T4_T5_T6_T7_T9_mT8_P12ihipStream_tbDpT10_ENKUlT_T0_E_clISt17integral_constantIbLb0EES1D_EEDaS18_S19_EUlS18_E_NS1_11comp_targetILNS1_3genE10ELNS1_11target_archE1200ELNS1_3gpuE4ELNS1_3repE0EEENS1_30default_config_static_selectorELNS0_4arch9wavefront6targetE1EEEvT1_,"axG",@progbits,_ZN7rocprim17ROCPRIM_400000_NS6detail17trampoline_kernelINS0_14default_configENS1_25partition_config_selectorILNS1_17partition_subalgoE8EjNS0_10empty_typeEbEEZZNS1_14partition_implILS5_8ELb0ES3_jN6thrust23THRUST_200600_302600_NS6detail15normal_iteratorINSA_10device_ptrIjEEEEPS6_PKS6_NS0_5tupleIJNSA_16discard_iteratorINSA_11use_defaultEEES6_EEENSJ_IJSG_SG_EEENS0_18inequality_wrapperINSA_8equal_toIjEEEEPmJS6_EEE10hipError_tPvRmT3_T4_T5_T6_T7_T9_mT8_P12ihipStream_tbDpT10_ENKUlT_T0_E_clISt17integral_constantIbLb0EES1D_EEDaS18_S19_EUlS18_E_NS1_11comp_targetILNS1_3genE10ELNS1_11target_archE1200ELNS1_3gpuE4ELNS1_3repE0EEENS1_30default_config_static_selectorELNS0_4arch9wavefront6targetE1EEEvT1_,comdat
.Lfunc_end570:
	.size	_ZN7rocprim17ROCPRIM_400000_NS6detail17trampoline_kernelINS0_14default_configENS1_25partition_config_selectorILNS1_17partition_subalgoE8EjNS0_10empty_typeEbEEZZNS1_14partition_implILS5_8ELb0ES3_jN6thrust23THRUST_200600_302600_NS6detail15normal_iteratorINSA_10device_ptrIjEEEEPS6_PKS6_NS0_5tupleIJNSA_16discard_iteratorINSA_11use_defaultEEES6_EEENSJ_IJSG_SG_EEENS0_18inequality_wrapperINSA_8equal_toIjEEEEPmJS6_EEE10hipError_tPvRmT3_T4_T5_T6_T7_T9_mT8_P12ihipStream_tbDpT10_ENKUlT_T0_E_clISt17integral_constantIbLb0EES1D_EEDaS18_S19_EUlS18_E_NS1_11comp_targetILNS1_3genE10ELNS1_11target_archE1200ELNS1_3gpuE4ELNS1_3repE0EEENS1_30default_config_static_selectorELNS0_4arch9wavefront6targetE1EEEvT1_, .Lfunc_end570-_ZN7rocprim17ROCPRIM_400000_NS6detail17trampoline_kernelINS0_14default_configENS1_25partition_config_selectorILNS1_17partition_subalgoE8EjNS0_10empty_typeEbEEZZNS1_14partition_implILS5_8ELb0ES3_jN6thrust23THRUST_200600_302600_NS6detail15normal_iteratorINSA_10device_ptrIjEEEEPS6_PKS6_NS0_5tupleIJNSA_16discard_iteratorINSA_11use_defaultEEES6_EEENSJ_IJSG_SG_EEENS0_18inequality_wrapperINSA_8equal_toIjEEEEPmJS6_EEE10hipError_tPvRmT3_T4_T5_T6_T7_T9_mT8_P12ihipStream_tbDpT10_ENKUlT_T0_E_clISt17integral_constantIbLb0EES1D_EEDaS18_S19_EUlS18_E_NS1_11comp_targetILNS1_3genE10ELNS1_11target_archE1200ELNS1_3gpuE4ELNS1_3repE0EEENS1_30default_config_static_selectorELNS0_4arch9wavefront6targetE1EEEvT1_
                                        ; -- End function
	.set _ZN7rocprim17ROCPRIM_400000_NS6detail17trampoline_kernelINS0_14default_configENS1_25partition_config_selectorILNS1_17partition_subalgoE8EjNS0_10empty_typeEbEEZZNS1_14partition_implILS5_8ELb0ES3_jN6thrust23THRUST_200600_302600_NS6detail15normal_iteratorINSA_10device_ptrIjEEEEPS6_PKS6_NS0_5tupleIJNSA_16discard_iteratorINSA_11use_defaultEEES6_EEENSJ_IJSG_SG_EEENS0_18inequality_wrapperINSA_8equal_toIjEEEEPmJS6_EEE10hipError_tPvRmT3_T4_T5_T6_T7_T9_mT8_P12ihipStream_tbDpT10_ENKUlT_T0_E_clISt17integral_constantIbLb0EES1D_EEDaS18_S19_EUlS18_E_NS1_11comp_targetILNS1_3genE10ELNS1_11target_archE1200ELNS1_3gpuE4ELNS1_3repE0EEENS1_30default_config_static_selectorELNS0_4arch9wavefront6targetE1EEEvT1_.num_vgpr, 0
	.set _ZN7rocprim17ROCPRIM_400000_NS6detail17trampoline_kernelINS0_14default_configENS1_25partition_config_selectorILNS1_17partition_subalgoE8EjNS0_10empty_typeEbEEZZNS1_14partition_implILS5_8ELb0ES3_jN6thrust23THRUST_200600_302600_NS6detail15normal_iteratorINSA_10device_ptrIjEEEEPS6_PKS6_NS0_5tupleIJNSA_16discard_iteratorINSA_11use_defaultEEES6_EEENSJ_IJSG_SG_EEENS0_18inequality_wrapperINSA_8equal_toIjEEEEPmJS6_EEE10hipError_tPvRmT3_T4_T5_T6_T7_T9_mT8_P12ihipStream_tbDpT10_ENKUlT_T0_E_clISt17integral_constantIbLb0EES1D_EEDaS18_S19_EUlS18_E_NS1_11comp_targetILNS1_3genE10ELNS1_11target_archE1200ELNS1_3gpuE4ELNS1_3repE0EEENS1_30default_config_static_selectorELNS0_4arch9wavefront6targetE1EEEvT1_.num_agpr, 0
	.set _ZN7rocprim17ROCPRIM_400000_NS6detail17trampoline_kernelINS0_14default_configENS1_25partition_config_selectorILNS1_17partition_subalgoE8EjNS0_10empty_typeEbEEZZNS1_14partition_implILS5_8ELb0ES3_jN6thrust23THRUST_200600_302600_NS6detail15normal_iteratorINSA_10device_ptrIjEEEEPS6_PKS6_NS0_5tupleIJNSA_16discard_iteratorINSA_11use_defaultEEES6_EEENSJ_IJSG_SG_EEENS0_18inequality_wrapperINSA_8equal_toIjEEEEPmJS6_EEE10hipError_tPvRmT3_T4_T5_T6_T7_T9_mT8_P12ihipStream_tbDpT10_ENKUlT_T0_E_clISt17integral_constantIbLb0EES1D_EEDaS18_S19_EUlS18_E_NS1_11comp_targetILNS1_3genE10ELNS1_11target_archE1200ELNS1_3gpuE4ELNS1_3repE0EEENS1_30default_config_static_selectorELNS0_4arch9wavefront6targetE1EEEvT1_.numbered_sgpr, 0
	.set _ZN7rocprim17ROCPRIM_400000_NS6detail17trampoline_kernelINS0_14default_configENS1_25partition_config_selectorILNS1_17partition_subalgoE8EjNS0_10empty_typeEbEEZZNS1_14partition_implILS5_8ELb0ES3_jN6thrust23THRUST_200600_302600_NS6detail15normal_iteratorINSA_10device_ptrIjEEEEPS6_PKS6_NS0_5tupleIJNSA_16discard_iteratorINSA_11use_defaultEEES6_EEENSJ_IJSG_SG_EEENS0_18inequality_wrapperINSA_8equal_toIjEEEEPmJS6_EEE10hipError_tPvRmT3_T4_T5_T6_T7_T9_mT8_P12ihipStream_tbDpT10_ENKUlT_T0_E_clISt17integral_constantIbLb0EES1D_EEDaS18_S19_EUlS18_E_NS1_11comp_targetILNS1_3genE10ELNS1_11target_archE1200ELNS1_3gpuE4ELNS1_3repE0EEENS1_30default_config_static_selectorELNS0_4arch9wavefront6targetE1EEEvT1_.num_named_barrier, 0
	.set _ZN7rocprim17ROCPRIM_400000_NS6detail17trampoline_kernelINS0_14default_configENS1_25partition_config_selectorILNS1_17partition_subalgoE8EjNS0_10empty_typeEbEEZZNS1_14partition_implILS5_8ELb0ES3_jN6thrust23THRUST_200600_302600_NS6detail15normal_iteratorINSA_10device_ptrIjEEEEPS6_PKS6_NS0_5tupleIJNSA_16discard_iteratorINSA_11use_defaultEEES6_EEENSJ_IJSG_SG_EEENS0_18inequality_wrapperINSA_8equal_toIjEEEEPmJS6_EEE10hipError_tPvRmT3_T4_T5_T6_T7_T9_mT8_P12ihipStream_tbDpT10_ENKUlT_T0_E_clISt17integral_constantIbLb0EES1D_EEDaS18_S19_EUlS18_E_NS1_11comp_targetILNS1_3genE10ELNS1_11target_archE1200ELNS1_3gpuE4ELNS1_3repE0EEENS1_30default_config_static_selectorELNS0_4arch9wavefront6targetE1EEEvT1_.private_seg_size, 0
	.set _ZN7rocprim17ROCPRIM_400000_NS6detail17trampoline_kernelINS0_14default_configENS1_25partition_config_selectorILNS1_17partition_subalgoE8EjNS0_10empty_typeEbEEZZNS1_14partition_implILS5_8ELb0ES3_jN6thrust23THRUST_200600_302600_NS6detail15normal_iteratorINSA_10device_ptrIjEEEEPS6_PKS6_NS0_5tupleIJNSA_16discard_iteratorINSA_11use_defaultEEES6_EEENSJ_IJSG_SG_EEENS0_18inequality_wrapperINSA_8equal_toIjEEEEPmJS6_EEE10hipError_tPvRmT3_T4_T5_T6_T7_T9_mT8_P12ihipStream_tbDpT10_ENKUlT_T0_E_clISt17integral_constantIbLb0EES1D_EEDaS18_S19_EUlS18_E_NS1_11comp_targetILNS1_3genE10ELNS1_11target_archE1200ELNS1_3gpuE4ELNS1_3repE0EEENS1_30default_config_static_selectorELNS0_4arch9wavefront6targetE1EEEvT1_.uses_vcc, 0
	.set _ZN7rocprim17ROCPRIM_400000_NS6detail17trampoline_kernelINS0_14default_configENS1_25partition_config_selectorILNS1_17partition_subalgoE8EjNS0_10empty_typeEbEEZZNS1_14partition_implILS5_8ELb0ES3_jN6thrust23THRUST_200600_302600_NS6detail15normal_iteratorINSA_10device_ptrIjEEEEPS6_PKS6_NS0_5tupleIJNSA_16discard_iteratorINSA_11use_defaultEEES6_EEENSJ_IJSG_SG_EEENS0_18inequality_wrapperINSA_8equal_toIjEEEEPmJS6_EEE10hipError_tPvRmT3_T4_T5_T6_T7_T9_mT8_P12ihipStream_tbDpT10_ENKUlT_T0_E_clISt17integral_constantIbLb0EES1D_EEDaS18_S19_EUlS18_E_NS1_11comp_targetILNS1_3genE10ELNS1_11target_archE1200ELNS1_3gpuE4ELNS1_3repE0EEENS1_30default_config_static_selectorELNS0_4arch9wavefront6targetE1EEEvT1_.uses_flat_scratch, 0
	.set _ZN7rocprim17ROCPRIM_400000_NS6detail17trampoline_kernelINS0_14default_configENS1_25partition_config_selectorILNS1_17partition_subalgoE8EjNS0_10empty_typeEbEEZZNS1_14partition_implILS5_8ELb0ES3_jN6thrust23THRUST_200600_302600_NS6detail15normal_iteratorINSA_10device_ptrIjEEEEPS6_PKS6_NS0_5tupleIJNSA_16discard_iteratorINSA_11use_defaultEEES6_EEENSJ_IJSG_SG_EEENS0_18inequality_wrapperINSA_8equal_toIjEEEEPmJS6_EEE10hipError_tPvRmT3_T4_T5_T6_T7_T9_mT8_P12ihipStream_tbDpT10_ENKUlT_T0_E_clISt17integral_constantIbLb0EES1D_EEDaS18_S19_EUlS18_E_NS1_11comp_targetILNS1_3genE10ELNS1_11target_archE1200ELNS1_3gpuE4ELNS1_3repE0EEENS1_30default_config_static_selectorELNS0_4arch9wavefront6targetE1EEEvT1_.has_dyn_sized_stack, 0
	.set _ZN7rocprim17ROCPRIM_400000_NS6detail17trampoline_kernelINS0_14default_configENS1_25partition_config_selectorILNS1_17partition_subalgoE8EjNS0_10empty_typeEbEEZZNS1_14partition_implILS5_8ELb0ES3_jN6thrust23THRUST_200600_302600_NS6detail15normal_iteratorINSA_10device_ptrIjEEEEPS6_PKS6_NS0_5tupleIJNSA_16discard_iteratorINSA_11use_defaultEEES6_EEENSJ_IJSG_SG_EEENS0_18inequality_wrapperINSA_8equal_toIjEEEEPmJS6_EEE10hipError_tPvRmT3_T4_T5_T6_T7_T9_mT8_P12ihipStream_tbDpT10_ENKUlT_T0_E_clISt17integral_constantIbLb0EES1D_EEDaS18_S19_EUlS18_E_NS1_11comp_targetILNS1_3genE10ELNS1_11target_archE1200ELNS1_3gpuE4ELNS1_3repE0EEENS1_30default_config_static_selectorELNS0_4arch9wavefront6targetE1EEEvT1_.has_recursion, 0
	.set _ZN7rocprim17ROCPRIM_400000_NS6detail17trampoline_kernelINS0_14default_configENS1_25partition_config_selectorILNS1_17partition_subalgoE8EjNS0_10empty_typeEbEEZZNS1_14partition_implILS5_8ELb0ES3_jN6thrust23THRUST_200600_302600_NS6detail15normal_iteratorINSA_10device_ptrIjEEEEPS6_PKS6_NS0_5tupleIJNSA_16discard_iteratorINSA_11use_defaultEEES6_EEENSJ_IJSG_SG_EEENS0_18inequality_wrapperINSA_8equal_toIjEEEEPmJS6_EEE10hipError_tPvRmT3_T4_T5_T6_T7_T9_mT8_P12ihipStream_tbDpT10_ENKUlT_T0_E_clISt17integral_constantIbLb0EES1D_EEDaS18_S19_EUlS18_E_NS1_11comp_targetILNS1_3genE10ELNS1_11target_archE1200ELNS1_3gpuE4ELNS1_3repE0EEENS1_30default_config_static_selectorELNS0_4arch9wavefront6targetE1EEEvT1_.has_indirect_call, 0
	.section	.AMDGPU.csdata,"",@progbits
; Kernel info:
; codeLenInByte = 0
; TotalNumSgprs: 4
; NumVgprs: 0
; ScratchSize: 0
; MemoryBound: 0
; FloatMode: 240
; IeeeMode: 1
; LDSByteSize: 0 bytes/workgroup (compile time only)
; SGPRBlocks: 0
; VGPRBlocks: 0
; NumSGPRsForWavesPerEU: 4
; NumVGPRsForWavesPerEU: 1
; Occupancy: 10
; WaveLimiterHint : 0
; COMPUTE_PGM_RSRC2:SCRATCH_EN: 0
; COMPUTE_PGM_RSRC2:USER_SGPR: 6
; COMPUTE_PGM_RSRC2:TRAP_HANDLER: 0
; COMPUTE_PGM_RSRC2:TGID_X_EN: 1
; COMPUTE_PGM_RSRC2:TGID_Y_EN: 0
; COMPUTE_PGM_RSRC2:TGID_Z_EN: 0
; COMPUTE_PGM_RSRC2:TIDIG_COMP_CNT: 0
	.section	.text._ZN7rocprim17ROCPRIM_400000_NS6detail17trampoline_kernelINS0_14default_configENS1_25partition_config_selectorILNS1_17partition_subalgoE8EjNS0_10empty_typeEbEEZZNS1_14partition_implILS5_8ELb0ES3_jN6thrust23THRUST_200600_302600_NS6detail15normal_iteratorINSA_10device_ptrIjEEEEPS6_PKS6_NS0_5tupleIJNSA_16discard_iteratorINSA_11use_defaultEEES6_EEENSJ_IJSG_SG_EEENS0_18inequality_wrapperINSA_8equal_toIjEEEEPmJS6_EEE10hipError_tPvRmT3_T4_T5_T6_T7_T9_mT8_P12ihipStream_tbDpT10_ENKUlT_T0_E_clISt17integral_constantIbLb0EES1D_EEDaS18_S19_EUlS18_E_NS1_11comp_targetILNS1_3genE9ELNS1_11target_archE1100ELNS1_3gpuE3ELNS1_3repE0EEENS1_30default_config_static_selectorELNS0_4arch9wavefront6targetE1EEEvT1_,"axG",@progbits,_ZN7rocprim17ROCPRIM_400000_NS6detail17trampoline_kernelINS0_14default_configENS1_25partition_config_selectorILNS1_17partition_subalgoE8EjNS0_10empty_typeEbEEZZNS1_14partition_implILS5_8ELb0ES3_jN6thrust23THRUST_200600_302600_NS6detail15normal_iteratorINSA_10device_ptrIjEEEEPS6_PKS6_NS0_5tupleIJNSA_16discard_iteratorINSA_11use_defaultEEES6_EEENSJ_IJSG_SG_EEENS0_18inequality_wrapperINSA_8equal_toIjEEEEPmJS6_EEE10hipError_tPvRmT3_T4_T5_T6_T7_T9_mT8_P12ihipStream_tbDpT10_ENKUlT_T0_E_clISt17integral_constantIbLb0EES1D_EEDaS18_S19_EUlS18_E_NS1_11comp_targetILNS1_3genE9ELNS1_11target_archE1100ELNS1_3gpuE3ELNS1_3repE0EEENS1_30default_config_static_selectorELNS0_4arch9wavefront6targetE1EEEvT1_,comdat
	.protected	_ZN7rocprim17ROCPRIM_400000_NS6detail17trampoline_kernelINS0_14default_configENS1_25partition_config_selectorILNS1_17partition_subalgoE8EjNS0_10empty_typeEbEEZZNS1_14partition_implILS5_8ELb0ES3_jN6thrust23THRUST_200600_302600_NS6detail15normal_iteratorINSA_10device_ptrIjEEEEPS6_PKS6_NS0_5tupleIJNSA_16discard_iteratorINSA_11use_defaultEEES6_EEENSJ_IJSG_SG_EEENS0_18inequality_wrapperINSA_8equal_toIjEEEEPmJS6_EEE10hipError_tPvRmT3_T4_T5_T6_T7_T9_mT8_P12ihipStream_tbDpT10_ENKUlT_T0_E_clISt17integral_constantIbLb0EES1D_EEDaS18_S19_EUlS18_E_NS1_11comp_targetILNS1_3genE9ELNS1_11target_archE1100ELNS1_3gpuE3ELNS1_3repE0EEENS1_30default_config_static_selectorELNS0_4arch9wavefront6targetE1EEEvT1_ ; -- Begin function _ZN7rocprim17ROCPRIM_400000_NS6detail17trampoline_kernelINS0_14default_configENS1_25partition_config_selectorILNS1_17partition_subalgoE8EjNS0_10empty_typeEbEEZZNS1_14partition_implILS5_8ELb0ES3_jN6thrust23THRUST_200600_302600_NS6detail15normal_iteratorINSA_10device_ptrIjEEEEPS6_PKS6_NS0_5tupleIJNSA_16discard_iteratorINSA_11use_defaultEEES6_EEENSJ_IJSG_SG_EEENS0_18inequality_wrapperINSA_8equal_toIjEEEEPmJS6_EEE10hipError_tPvRmT3_T4_T5_T6_T7_T9_mT8_P12ihipStream_tbDpT10_ENKUlT_T0_E_clISt17integral_constantIbLb0EES1D_EEDaS18_S19_EUlS18_E_NS1_11comp_targetILNS1_3genE9ELNS1_11target_archE1100ELNS1_3gpuE3ELNS1_3repE0EEENS1_30default_config_static_selectorELNS0_4arch9wavefront6targetE1EEEvT1_
	.globl	_ZN7rocprim17ROCPRIM_400000_NS6detail17trampoline_kernelINS0_14default_configENS1_25partition_config_selectorILNS1_17partition_subalgoE8EjNS0_10empty_typeEbEEZZNS1_14partition_implILS5_8ELb0ES3_jN6thrust23THRUST_200600_302600_NS6detail15normal_iteratorINSA_10device_ptrIjEEEEPS6_PKS6_NS0_5tupleIJNSA_16discard_iteratorINSA_11use_defaultEEES6_EEENSJ_IJSG_SG_EEENS0_18inequality_wrapperINSA_8equal_toIjEEEEPmJS6_EEE10hipError_tPvRmT3_T4_T5_T6_T7_T9_mT8_P12ihipStream_tbDpT10_ENKUlT_T0_E_clISt17integral_constantIbLb0EES1D_EEDaS18_S19_EUlS18_E_NS1_11comp_targetILNS1_3genE9ELNS1_11target_archE1100ELNS1_3gpuE3ELNS1_3repE0EEENS1_30default_config_static_selectorELNS0_4arch9wavefront6targetE1EEEvT1_
	.p2align	8
	.type	_ZN7rocprim17ROCPRIM_400000_NS6detail17trampoline_kernelINS0_14default_configENS1_25partition_config_selectorILNS1_17partition_subalgoE8EjNS0_10empty_typeEbEEZZNS1_14partition_implILS5_8ELb0ES3_jN6thrust23THRUST_200600_302600_NS6detail15normal_iteratorINSA_10device_ptrIjEEEEPS6_PKS6_NS0_5tupleIJNSA_16discard_iteratorINSA_11use_defaultEEES6_EEENSJ_IJSG_SG_EEENS0_18inequality_wrapperINSA_8equal_toIjEEEEPmJS6_EEE10hipError_tPvRmT3_T4_T5_T6_T7_T9_mT8_P12ihipStream_tbDpT10_ENKUlT_T0_E_clISt17integral_constantIbLb0EES1D_EEDaS18_S19_EUlS18_E_NS1_11comp_targetILNS1_3genE9ELNS1_11target_archE1100ELNS1_3gpuE3ELNS1_3repE0EEENS1_30default_config_static_selectorELNS0_4arch9wavefront6targetE1EEEvT1_,@function
_ZN7rocprim17ROCPRIM_400000_NS6detail17trampoline_kernelINS0_14default_configENS1_25partition_config_selectorILNS1_17partition_subalgoE8EjNS0_10empty_typeEbEEZZNS1_14partition_implILS5_8ELb0ES3_jN6thrust23THRUST_200600_302600_NS6detail15normal_iteratorINSA_10device_ptrIjEEEEPS6_PKS6_NS0_5tupleIJNSA_16discard_iteratorINSA_11use_defaultEEES6_EEENSJ_IJSG_SG_EEENS0_18inequality_wrapperINSA_8equal_toIjEEEEPmJS6_EEE10hipError_tPvRmT3_T4_T5_T6_T7_T9_mT8_P12ihipStream_tbDpT10_ENKUlT_T0_E_clISt17integral_constantIbLb0EES1D_EEDaS18_S19_EUlS18_E_NS1_11comp_targetILNS1_3genE9ELNS1_11target_archE1100ELNS1_3gpuE3ELNS1_3repE0EEENS1_30default_config_static_selectorELNS0_4arch9wavefront6targetE1EEEvT1_: ; @_ZN7rocprim17ROCPRIM_400000_NS6detail17trampoline_kernelINS0_14default_configENS1_25partition_config_selectorILNS1_17partition_subalgoE8EjNS0_10empty_typeEbEEZZNS1_14partition_implILS5_8ELb0ES3_jN6thrust23THRUST_200600_302600_NS6detail15normal_iteratorINSA_10device_ptrIjEEEEPS6_PKS6_NS0_5tupleIJNSA_16discard_iteratorINSA_11use_defaultEEES6_EEENSJ_IJSG_SG_EEENS0_18inequality_wrapperINSA_8equal_toIjEEEEPmJS6_EEE10hipError_tPvRmT3_T4_T5_T6_T7_T9_mT8_P12ihipStream_tbDpT10_ENKUlT_T0_E_clISt17integral_constantIbLb0EES1D_EEDaS18_S19_EUlS18_E_NS1_11comp_targetILNS1_3genE9ELNS1_11target_archE1100ELNS1_3gpuE3ELNS1_3repE0EEENS1_30default_config_static_selectorELNS0_4arch9wavefront6targetE1EEEvT1_
; %bb.0:
	.section	.rodata,"a",@progbits
	.p2align	6, 0x0
	.amdhsa_kernel _ZN7rocprim17ROCPRIM_400000_NS6detail17trampoline_kernelINS0_14default_configENS1_25partition_config_selectorILNS1_17partition_subalgoE8EjNS0_10empty_typeEbEEZZNS1_14partition_implILS5_8ELb0ES3_jN6thrust23THRUST_200600_302600_NS6detail15normal_iteratorINSA_10device_ptrIjEEEEPS6_PKS6_NS0_5tupleIJNSA_16discard_iteratorINSA_11use_defaultEEES6_EEENSJ_IJSG_SG_EEENS0_18inequality_wrapperINSA_8equal_toIjEEEEPmJS6_EEE10hipError_tPvRmT3_T4_T5_T6_T7_T9_mT8_P12ihipStream_tbDpT10_ENKUlT_T0_E_clISt17integral_constantIbLb0EES1D_EEDaS18_S19_EUlS18_E_NS1_11comp_targetILNS1_3genE9ELNS1_11target_archE1100ELNS1_3gpuE3ELNS1_3repE0EEENS1_30default_config_static_selectorELNS0_4arch9wavefront6targetE1EEEvT1_
		.amdhsa_group_segment_fixed_size 0
		.amdhsa_private_segment_fixed_size 0
		.amdhsa_kernarg_size 120
		.amdhsa_user_sgpr_count 6
		.amdhsa_user_sgpr_private_segment_buffer 1
		.amdhsa_user_sgpr_dispatch_ptr 0
		.amdhsa_user_sgpr_queue_ptr 0
		.amdhsa_user_sgpr_kernarg_segment_ptr 1
		.amdhsa_user_sgpr_dispatch_id 0
		.amdhsa_user_sgpr_flat_scratch_init 0
		.amdhsa_user_sgpr_private_segment_size 0
		.amdhsa_uses_dynamic_stack 0
		.amdhsa_system_sgpr_private_segment_wavefront_offset 0
		.amdhsa_system_sgpr_workgroup_id_x 1
		.amdhsa_system_sgpr_workgroup_id_y 0
		.amdhsa_system_sgpr_workgroup_id_z 0
		.amdhsa_system_sgpr_workgroup_info 0
		.amdhsa_system_vgpr_workitem_id 0
		.amdhsa_next_free_vgpr 1
		.amdhsa_next_free_sgpr 0
		.amdhsa_reserve_vcc 0
		.amdhsa_reserve_flat_scratch 0
		.amdhsa_float_round_mode_32 0
		.amdhsa_float_round_mode_16_64 0
		.amdhsa_float_denorm_mode_32 3
		.amdhsa_float_denorm_mode_16_64 3
		.amdhsa_dx10_clamp 1
		.amdhsa_ieee_mode 1
		.amdhsa_fp16_overflow 0
		.amdhsa_exception_fp_ieee_invalid_op 0
		.amdhsa_exception_fp_denorm_src 0
		.amdhsa_exception_fp_ieee_div_zero 0
		.amdhsa_exception_fp_ieee_overflow 0
		.amdhsa_exception_fp_ieee_underflow 0
		.amdhsa_exception_fp_ieee_inexact 0
		.amdhsa_exception_int_div_zero 0
	.end_amdhsa_kernel
	.section	.text._ZN7rocprim17ROCPRIM_400000_NS6detail17trampoline_kernelINS0_14default_configENS1_25partition_config_selectorILNS1_17partition_subalgoE8EjNS0_10empty_typeEbEEZZNS1_14partition_implILS5_8ELb0ES3_jN6thrust23THRUST_200600_302600_NS6detail15normal_iteratorINSA_10device_ptrIjEEEEPS6_PKS6_NS0_5tupleIJNSA_16discard_iteratorINSA_11use_defaultEEES6_EEENSJ_IJSG_SG_EEENS0_18inequality_wrapperINSA_8equal_toIjEEEEPmJS6_EEE10hipError_tPvRmT3_T4_T5_T6_T7_T9_mT8_P12ihipStream_tbDpT10_ENKUlT_T0_E_clISt17integral_constantIbLb0EES1D_EEDaS18_S19_EUlS18_E_NS1_11comp_targetILNS1_3genE9ELNS1_11target_archE1100ELNS1_3gpuE3ELNS1_3repE0EEENS1_30default_config_static_selectorELNS0_4arch9wavefront6targetE1EEEvT1_,"axG",@progbits,_ZN7rocprim17ROCPRIM_400000_NS6detail17trampoline_kernelINS0_14default_configENS1_25partition_config_selectorILNS1_17partition_subalgoE8EjNS0_10empty_typeEbEEZZNS1_14partition_implILS5_8ELb0ES3_jN6thrust23THRUST_200600_302600_NS6detail15normal_iteratorINSA_10device_ptrIjEEEEPS6_PKS6_NS0_5tupleIJNSA_16discard_iteratorINSA_11use_defaultEEES6_EEENSJ_IJSG_SG_EEENS0_18inequality_wrapperINSA_8equal_toIjEEEEPmJS6_EEE10hipError_tPvRmT3_T4_T5_T6_T7_T9_mT8_P12ihipStream_tbDpT10_ENKUlT_T0_E_clISt17integral_constantIbLb0EES1D_EEDaS18_S19_EUlS18_E_NS1_11comp_targetILNS1_3genE9ELNS1_11target_archE1100ELNS1_3gpuE3ELNS1_3repE0EEENS1_30default_config_static_selectorELNS0_4arch9wavefront6targetE1EEEvT1_,comdat
.Lfunc_end571:
	.size	_ZN7rocprim17ROCPRIM_400000_NS6detail17trampoline_kernelINS0_14default_configENS1_25partition_config_selectorILNS1_17partition_subalgoE8EjNS0_10empty_typeEbEEZZNS1_14partition_implILS5_8ELb0ES3_jN6thrust23THRUST_200600_302600_NS6detail15normal_iteratorINSA_10device_ptrIjEEEEPS6_PKS6_NS0_5tupleIJNSA_16discard_iteratorINSA_11use_defaultEEES6_EEENSJ_IJSG_SG_EEENS0_18inequality_wrapperINSA_8equal_toIjEEEEPmJS6_EEE10hipError_tPvRmT3_T4_T5_T6_T7_T9_mT8_P12ihipStream_tbDpT10_ENKUlT_T0_E_clISt17integral_constantIbLb0EES1D_EEDaS18_S19_EUlS18_E_NS1_11comp_targetILNS1_3genE9ELNS1_11target_archE1100ELNS1_3gpuE3ELNS1_3repE0EEENS1_30default_config_static_selectorELNS0_4arch9wavefront6targetE1EEEvT1_, .Lfunc_end571-_ZN7rocprim17ROCPRIM_400000_NS6detail17trampoline_kernelINS0_14default_configENS1_25partition_config_selectorILNS1_17partition_subalgoE8EjNS0_10empty_typeEbEEZZNS1_14partition_implILS5_8ELb0ES3_jN6thrust23THRUST_200600_302600_NS6detail15normal_iteratorINSA_10device_ptrIjEEEEPS6_PKS6_NS0_5tupleIJNSA_16discard_iteratorINSA_11use_defaultEEES6_EEENSJ_IJSG_SG_EEENS0_18inequality_wrapperINSA_8equal_toIjEEEEPmJS6_EEE10hipError_tPvRmT3_T4_T5_T6_T7_T9_mT8_P12ihipStream_tbDpT10_ENKUlT_T0_E_clISt17integral_constantIbLb0EES1D_EEDaS18_S19_EUlS18_E_NS1_11comp_targetILNS1_3genE9ELNS1_11target_archE1100ELNS1_3gpuE3ELNS1_3repE0EEENS1_30default_config_static_selectorELNS0_4arch9wavefront6targetE1EEEvT1_
                                        ; -- End function
	.set _ZN7rocprim17ROCPRIM_400000_NS6detail17trampoline_kernelINS0_14default_configENS1_25partition_config_selectorILNS1_17partition_subalgoE8EjNS0_10empty_typeEbEEZZNS1_14partition_implILS5_8ELb0ES3_jN6thrust23THRUST_200600_302600_NS6detail15normal_iteratorINSA_10device_ptrIjEEEEPS6_PKS6_NS0_5tupleIJNSA_16discard_iteratorINSA_11use_defaultEEES6_EEENSJ_IJSG_SG_EEENS0_18inequality_wrapperINSA_8equal_toIjEEEEPmJS6_EEE10hipError_tPvRmT3_T4_T5_T6_T7_T9_mT8_P12ihipStream_tbDpT10_ENKUlT_T0_E_clISt17integral_constantIbLb0EES1D_EEDaS18_S19_EUlS18_E_NS1_11comp_targetILNS1_3genE9ELNS1_11target_archE1100ELNS1_3gpuE3ELNS1_3repE0EEENS1_30default_config_static_selectorELNS0_4arch9wavefront6targetE1EEEvT1_.num_vgpr, 0
	.set _ZN7rocprim17ROCPRIM_400000_NS6detail17trampoline_kernelINS0_14default_configENS1_25partition_config_selectorILNS1_17partition_subalgoE8EjNS0_10empty_typeEbEEZZNS1_14partition_implILS5_8ELb0ES3_jN6thrust23THRUST_200600_302600_NS6detail15normal_iteratorINSA_10device_ptrIjEEEEPS6_PKS6_NS0_5tupleIJNSA_16discard_iteratorINSA_11use_defaultEEES6_EEENSJ_IJSG_SG_EEENS0_18inequality_wrapperINSA_8equal_toIjEEEEPmJS6_EEE10hipError_tPvRmT3_T4_T5_T6_T7_T9_mT8_P12ihipStream_tbDpT10_ENKUlT_T0_E_clISt17integral_constantIbLb0EES1D_EEDaS18_S19_EUlS18_E_NS1_11comp_targetILNS1_3genE9ELNS1_11target_archE1100ELNS1_3gpuE3ELNS1_3repE0EEENS1_30default_config_static_selectorELNS0_4arch9wavefront6targetE1EEEvT1_.num_agpr, 0
	.set _ZN7rocprim17ROCPRIM_400000_NS6detail17trampoline_kernelINS0_14default_configENS1_25partition_config_selectorILNS1_17partition_subalgoE8EjNS0_10empty_typeEbEEZZNS1_14partition_implILS5_8ELb0ES3_jN6thrust23THRUST_200600_302600_NS6detail15normal_iteratorINSA_10device_ptrIjEEEEPS6_PKS6_NS0_5tupleIJNSA_16discard_iteratorINSA_11use_defaultEEES6_EEENSJ_IJSG_SG_EEENS0_18inequality_wrapperINSA_8equal_toIjEEEEPmJS6_EEE10hipError_tPvRmT3_T4_T5_T6_T7_T9_mT8_P12ihipStream_tbDpT10_ENKUlT_T0_E_clISt17integral_constantIbLb0EES1D_EEDaS18_S19_EUlS18_E_NS1_11comp_targetILNS1_3genE9ELNS1_11target_archE1100ELNS1_3gpuE3ELNS1_3repE0EEENS1_30default_config_static_selectorELNS0_4arch9wavefront6targetE1EEEvT1_.numbered_sgpr, 0
	.set _ZN7rocprim17ROCPRIM_400000_NS6detail17trampoline_kernelINS0_14default_configENS1_25partition_config_selectorILNS1_17partition_subalgoE8EjNS0_10empty_typeEbEEZZNS1_14partition_implILS5_8ELb0ES3_jN6thrust23THRUST_200600_302600_NS6detail15normal_iteratorINSA_10device_ptrIjEEEEPS6_PKS6_NS0_5tupleIJNSA_16discard_iteratorINSA_11use_defaultEEES6_EEENSJ_IJSG_SG_EEENS0_18inequality_wrapperINSA_8equal_toIjEEEEPmJS6_EEE10hipError_tPvRmT3_T4_T5_T6_T7_T9_mT8_P12ihipStream_tbDpT10_ENKUlT_T0_E_clISt17integral_constantIbLb0EES1D_EEDaS18_S19_EUlS18_E_NS1_11comp_targetILNS1_3genE9ELNS1_11target_archE1100ELNS1_3gpuE3ELNS1_3repE0EEENS1_30default_config_static_selectorELNS0_4arch9wavefront6targetE1EEEvT1_.num_named_barrier, 0
	.set _ZN7rocprim17ROCPRIM_400000_NS6detail17trampoline_kernelINS0_14default_configENS1_25partition_config_selectorILNS1_17partition_subalgoE8EjNS0_10empty_typeEbEEZZNS1_14partition_implILS5_8ELb0ES3_jN6thrust23THRUST_200600_302600_NS6detail15normal_iteratorINSA_10device_ptrIjEEEEPS6_PKS6_NS0_5tupleIJNSA_16discard_iteratorINSA_11use_defaultEEES6_EEENSJ_IJSG_SG_EEENS0_18inequality_wrapperINSA_8equal_toIjEEEEPmJS6_EEE10hipError_tPvRmT3_T4_T5_T6_T7_T9_mT8_P12ihipStream_tbDpT10_ENKUlT_T0_E_clISt17integral_constantIbLb0EES1D_EEDaS18_S19_EUlS18_E_NS1_11comp_targetILNS1_3genE9ELNS1_11target_archE1100ELNS1_3gpuE3ELNS1_3repE0EEENS1_30default_config_static_selectorELNS0_4arch9wavefront6targetE1EEEvT1_.private_seg_size, 0
	.set _ZN7rocprim17ROCPRIM_400000_NS6detail17trampoline_kernelINS0_14default_configENS1_25partition_config_selectorILNS1_17partition_subalgoE8EjNS0_10empty_typeEbEEZZNS1_14partition_implILS5_8ELb0ES3_jN6thrust23THRUST_200600_302600_NS6detail15normal_iteratorINSA_10device_ptrIjEEEEPS6_PKS6_NS0_5tupleIJNSA_16discard_iteratorINSA_11use_defaultEEES6_EEENSJ_IJSG_SG_EEENS0_18inequality_wrapperINSA_8equal_toIjEEEEPmJS6_EEE10hipError_tPvRmT3_T4_T5_T6_T7_T9_mT8_P12ihipStream_tbDpT10_ENKUlT_T0_E_clISt17integral_constantIbLb0EES1D_EEDaS18_S19_EUlS18_E_NS1_11comp_targetILNS1_3genE9ELNS1_11target_archE1100ELNS1_3gpuE3ELNS1_3repE0EEENS1_30default_config_static_selectorELNS0_4arch9wavefront6targetE1EEEvT1_.uses_vcc, 0
	.set _ZN7rocprim17ROCPRIM_400000_NS6detail17trampoline_kernelINS0_14default_configENS1_25partition_config_selectorILNS1_17partition_subalgoE8EjNS0_10empty_typeEbEEZZNS1_14partition_implILS5_8ELb0ES3_jN6thrust23THRUST_200600_302600_NS6detail15normal_iteratorINSA_10device_ptrIjEEEEPS6_PKS6_NS0_5tupleIJNSA_16discard_iteratorINSA_11use_defaultEEES6_EEENSJ_IJSG_SG_EEENS0_18inequality_wrapperINSA_8equal_toIjEEEEPmJS6_EEE10hipError_tPvRmT3_T4_T5_T6_T7_T9_mT8_P12ihipStream_tbDpT10_ENKUlT_T0_E_clISt17integral_constantIbLb0EES1D_EEDaS18_S19_EUlS18_E_NS1_11comp_targetILNS1_3genE9ELNS1_11target_archE1100ELNS1_3gpuE3ELNS1_3repE0EEENS1_30default_config_static_selectorELNS0_4arch9wavefront6targetE1EEEvT1_.uses_flat_scratch, 0
	.set _ZN7rocprim17ROCPRIM_400000_NS6detail17trampoline_kernelINS0_14default_configENS1_25partition_config_selectorILNS1_17partition_subalgoE8EjNS0_10empty_typeEbEEZZNS1_14partition_implILS5_8ELb0ES3_jN6thrust23THRUST_200600_302600_NS6detail15normal_iteratorINSA_10device_ptrIjEEEEPS6_PKS6_NS0_5tupleIJNSA_16discard_iteratorINSA_11use_defaultEEES6_EEENSJ_IJSG_SG_EEENS0_18inequality_wrapperINSA_8equal_toIjEEEEPmJS6_EEE10hipError_tPvRmT3_T4_T5_T6_T7_T9_mT8_P12ihipStream_tbDpT10_ENKUlT_T0_E_clISt17integral_constantIbLb0EES1D_EEDaS18_S19_EUlS18_E_NS1_11comp_targetILNS1_3genE9ELNS1_11target_archE1100ELNS1_3gpuE3ELNS1_3repE0EEENS1_30default_config_static_selectorELNS0_4arch9wavefront6targetE1EEEvT1_.has_dyn_sized_stack, 0
	.set _ZN7rocprim17ROCPRIM_400000_NS6detail17trampoline_kernelINS0_14default_configENS1_25partition_config_selectorILNS1_17partition_subalgoE8EjNS0_10empty_typeEbEEZZNS1_14partition_implILS5_8ELb0ES3_jN6thrust23THRUST_200600_302600_NS6detail15normal_iteratorINSA_10device_ptrIjEEEEPS6_PKS6_NS0_5tupleIJNSA_16discard_iteratorINSA_11use_defaultEEES6_EEENSJ_IJSG_SG_EEENS0_18inequality_wrapperINSA_8equal_toIjEEEEPmJS6_EEE10hipError_tPvRmT3_T4_T5_T6_T7_T9_mT8_P12ihipStream_tbDpT10_ENKUlT_T0_E_clISt17integral_constantIbLb0EES1D_EEDaS18_S19_EUlS18_E_NS1_11comp_targetILNS1_3genE9ELNS1_11target_archE1100ELNS1_3gpuE3ELNS1_3repE0EEENS1_30default_config_static_selectorELNS0_4arch9wavefront6targetE1EEEvT1_.has_recursion, 0
	.set _ZN7rocprim17ROCPRIM_400000_NS6detail17trampoline_kernelINS0_14default_configENS1_25partition_config_selectorILNS1_17partition_subalgoE8EjNS0_10empty_typeEbEEZZNS1_14partition_implILS5_8ELb0ES3_jN6thrust23THRUST_200600_302600_NS6detail15normal_iteratorINSA_10device_ptrIjEEEEPS6_PKS6_NS0_5tupleIJNSA_16discard_iteratorINSA_11use_defaultEEES6_EEENSJ_IJSG_SG_EEENS0_18inequality_wrapperINSA_8equal_toIjEEEEPmJS6_EEE10hipError_tPvRmT3_T4_T5_T6_T7_T9_mT8_P12ihipStream_tbDpT10_ENKUlT_T0_E_clISt17integral_constantIbLb0EES1D_EEDaS18_S19_EUlS18_E_NS1_11comp_targetILNS1_3genE9ELNS1_11target_archE1100ELNS1_3gpuE3ELNS1_3repE0EEENS1_30default_config_static_selectorELNS0_4arch9wavefront6targetE1EEEvT1_.has_indirect_call, 0
	.section	.AMDGPU.csdata,"",@progbits
; Kernel info:
; codeLenInByte = 0
; TotalNumSgprs: 4
; NumVgprs: 0
; ScratchSize: 0
; MemoryBound: 0
; FloatMode: 240
; IeeeMode: 1
; LDSByteSize: 0 bytes/workgroup (compile time only)
; SGPRBlocks: 0
; VGPRBlocks: 0
; NumSGPRsForWavesPerEU: 4
; NumVGPRsForWavesPerEU: 1
; Occupancy: 10
; WaveLimiterHint : 0
; COMPUTE_PGM_RSRC2:SCRATCH_EN: 0
; COMPUTE_PGM_RSRC2:USER_SGPR: 6
; COMPUTE_PGM_RSRC2:TRAP_HANDLER: 0
; COMPUTE_PGM_RSRC2:TGID_X_EN: 1
; COMPUTE_PGM_RSRC2:TGID_Y_EN: 0
; COMPUTE_PGM_RSRC2:TGID_Z_EN: 0
; COMPUTE_PGM_RSRC2:TIDIG_COMP_CNT: 0
	.section	.text._ZN7rocprim17ROCPRIM_400000_NS6detail17trampoline_kernelINS0_14default_configENS1_25partition_config_selectorILNS1_17partition_subalgoE8EjNS0_10empty_typeEbEEZZNS1_14partition_implILS5_8ELb0ES3_jN6thrust23THRUST_200600_302600_NS6detail15normal_iteratorINSA_10device_ptrIjEEEEPS6_PKS6_NS0_5tupleIJNSA_16discard_iteratorINSA_11use_defaultEEES6_EEENSJ_IJSG_SG_EEENS0_18inequality_wrapperINSA_8equal_toIjEEEEPmJS6_EEE10hipError_tPvRmT3_T4_T5_T6_T7_T9_mT8_P12ihipStream_tbDpT10_ENKUlT_T0_E_clISt17integral_constantIbLb0EES1D_EEDaS18_S19_EUlS18_E_NS1_11comp_targetILNS1_3genE8ELNS1_11target_archE1030ELNS1_3gpuE2ELNS1_3repE0EEENS1_30default_config_static_selectorELNS0_4arch9wavefront6targetE1EEEvT1_,"axG",@progbits,_ZN7rocprim17ROCPRIM_400000_NS6detail17trampoline_kernelINS0_14default_configENS1_25partition_config_selectorILNS1_17partition_subalgoE8EjNS0_10empty_typeEbEEZZNS1_14partition_implILS5_8ELb0ES3_jN6thrust23THRUST_200600_302600_NS6detail15normal_iteratorINSA_10device_ptrIjEEEEPS6_PKS6_NS0_5tupleIJNSA_16discard_iteratorINSA_11use_defaultEEES6_EEENSJ_IJSG_SG_EEENS0_18inequality_wrapperINSA_8equal_toIjEEEEPmJS6_EEE10hipError_tPvRmT3_T4_T5_T6_T7_T9_mT8_P12ihipStream_tbDpT10_ENKUlT_T0_E_clISt17integral_constantIbLb0EES1D_EEDaS18_S19_EUlS18_E_NS1_11comp_targetILNS1_3genE8ELNS1_11target_archE1030ELNS1_3gpuE2ELNS1_3repE0EEENS1_30default_config_static_selectorELNS0_4arch9wavefront6targetE1EEEvT1_,comdat
	.protected	_ZN7rocprim17ROCPRIM_400000_NS6detail17trampoline_kernelINS0_14default_configENS1_25partition_config_selectorILNS1_17partition_subalgoE8EjNS0_10empty_typeEbEEZZNS1_14partition_implILS5_8ELb0ES3_jN6thrust23THRUST_200600_302600_NS6detail15normal_iteratorINSA_10device_ptrIjEEEEPS6_PKS6_NS0_5tupleIJNSA_16discard_iteratorINSA_11use_defaultEEES6_EEENSJ_IJSG_SG_EEENS0_18inequality_wrapperINSA_8equal_toIjEEEEPmJS6_EEE10hipError_tPvRmT3_T4_T5_T6_T7_T9_mT8_P12ihipStream_tbDpT10_ENKUlT_T0_E_clISt17integral_constantIbLb0EES1D_EEDaS18_S19_EUlS18_E_NS1_11comp_targetILNS1_3genE8ELNS1_11target_archE1030ELNS1_3gpuE2ELNS1_3repE0EEENS1_30default_config_static_selectorELNS0_4arch9wavefront6targetE1EEEvT1_ ; -- Begin function _ZN7rocprim17ROCPRIM_400000_NS6detail17trampoline_kernelINS0_14default_configENS1_25partition_config_selectorILNS1_17partition_subalgoE8EjNS0_10empty_typeEbEEZZNS1_14partition_implILS5_8ELb0ES3_jN6thrust23THRUST_200600_302600_NS6detail15normal_iteratorINSA_10device_ptrIjEEEEPS6_PKS6_NS0_5tupleIJNSA_16discard_iteratorINSA_11use_defaultEEES6_EEENSJ_IJSG_SG_EEENS0_18inequality_wrapperINSA_8equal_toIjEEEEPmJS6_EEE10hipError_tPvRmT3_T4_T5_T6_T7_T9_mT8_P12ihipStream_tbDpT10_ENKUlT_T0_E_clISt17integral_constantIbLb0EES1D_EEDaS18_S19_EUlS18_E_NS1_11comp_targetILNS1_3genE8ELNS1_11target_archE1030ELNS1_3gpuE2ELNS1_3repE0EEENS1_30default_config_static_selectorELNS0_4arch9wavefront6targetE1EEEvT1_
	.globl	_ZN7rocprim17ROCPRIM_400000_NS6detail17trampoline_kernelINS0_14default_configENS1_25partition_config_selectorILNS1_17partition_subalgoE8EjNS0_10empty_typeEbEEZZNS1_14partition_implILS5_8ELb0ES3_jN6thrust23THRUST_200600_302600_NS6detail15normal_iteratorINSA_10device_ptrIjEEEEPS6_PKS6_NS0_5tupleIJNSA_16discard_iteratorINSA_11use_defaultEEES6_EEENSJ_IJSG_SG_EEENS0_18inequality_wrapperINSA_8equal_toIjEEEEPmJS6_EEE10hipError_tPvRmT3_T4_T5_T6_T7_T9_mT8_P12ihipStream_tbDpT10_ENKUlT_T0_E_clISt17integral_constantIbLb0EES1D_EEDaS18_S19_EUlS18_E_NS1_11comp_targetILNS1_3genE8ELNS1_11target_archE1030ELNS1_3gpuE2ELNS1_3repE0EEENS1_30default_config_static_selectorELNS0_4arch9wavefront6targetE1EEEvT1_
	.p2align	8
	.type	_ZN7rocprim17ROCPRIM_400000_NS6detail17trampoline_kernelINS0_14default_configENS1_25partition_config_selectorILNS1_17partition_subalgoE8EjNS0_10empty_typeEbEEZZNS1_14partition_implILS5_8ELb0ES3_jN6thrust23THRUST_200600_302600_NS6detail15normal_iteratorINSA_10device_ptrIjEEEEPS6_PKS6_NS0_5tupleIJNSA_16discard_iteratorINSA_11use_defaultEEES6_EEENSJ_IJSG_SG_EEENS0_18inequality_wrapperINSA_8equal_toIjEEEEPmJS6_EEE10hipError_tPvRmT3_T4_T5_T6_T7_T9_mT8_P12ihipStream_tbDpT10_ENKUlT_T0_E_clISt17integral_constantIbLb0EES1D_EEDaS18_S19_EUlS18_E_NS1_11comp_targetILNS1_3genE8ELNS1_11target_archE1030ELNS1_3gpuE2ELNS1_3repE0EEENS1_30default_config_static_selectorELNS0_4arch9wavefront6targetE1EEEvT1_,@function
_ZN7rocprim17ROCPRIM_400000_NS6detail17trampoline_kernelINS0_14default_configENS1_25partition_config_selectorILNS1_17partition_subalgoE8EjNS0_10empty_typeEbEEZZNS1_14partition_implILS5_8ELb0ES3_jN6thrust23THRUST_200600_302600_NS6detail15normal_iteratorINSA_10device_ptrIjEEEEPS6_PKS6_NS0_5tupleIJNSA_16discard_iteratorINSA_11use_defaultEEES6_EEENSJ_IJSG_SG_EEENS0_18inequality_wrapperINSA_8equal_toIjEEEEPmJS6_EEE10hipError_tPvRmT3_T4_T5_T6_T7_T9_mT8_P12ihipStream_tbDpT10_ENKUlT_T0_E_clISt17integral_constantIbLb0EES1D_EEDaS18_S19_EUlS18_E_NS1_11comp_targetILNS1_3genE8ELNS1_11target_archE1030ELNS1_3gpuE2ELNS1_3repE0EEENS1_30default_config_static_selectorELNS0_4arch9wavefront6targetE1EEEvT1_: ; @_ZN7rocprim17ROCPRIM_400000_NS6detail17trampoline_kernelINS0_14default_configENS1_25partition_config_selectorILNS1_17partition_subalgoE8EjNS0_10empty_typeEbEEZZNS1_14partition_implILS5_8ELb0ES3_jN6thrust23THRUST_200600_302600_NS6detail15normal_iteratorINSA_10device_ptrIjEEEEPS6_PKS6_NS0_5tupleIJNSA_16discard_iteratorINSA_11use_defaultEEES6_EEENSJ_IJSG_SG_EEENS0_18inequality_wrapperINSA_8equal_toIjEEEEPmJS6_EEE10hipError_tPvRmT3_T4_T5_T6_T7_T9_mT8_P12ihipStream_tbDpT10_ENKUlT_T0_E_clISt17integral_constantIbLb0EES1D_EEDaS18_S19_EUlS18_E_NS1_11comp_targetILNS1_3genE8ELNS1_11target_archE1030ELNS1_3gpuE2ELNS1_3repE0EEENS1_30default_config_static_selectorELNS0_4arch9wavefront6targetE1EEEvT1_
; %bb.0:
	.section	.rodata,"a",@progbits
	.p2align	6, 0x0
	.amdhsa_kernel _ZN7rocprim17ROCPRIM_400000_NS6detail17trampoline_kernelINS0_14default_configENS1_25partition_config_selectorILNS1_17partition_subalgoE8EjNS0_10empty_typeEbEEZZNS1_14partition_implILS5_8ELb0ES3_jN6thrust23THRUST_200600_302600_NS6detail15normal_iteratorINSA_10device_ptrIjEEEEPS6_PKS6_NS0_5tupleIJNSA_16discard_iteratorINSA_11use_defaultEEES6_EEENSJ_IJSG_SG_EEENS0_18inequality_wrapperINSA_8equal_toIjEEEEPmJS6_EEE10hipError_tPvRmT3_T4_T5_T6_T7_T9_mT8_P12ihipStream_tbDpT10_ENKUlT_T0_E_clISt17integral_constantIbLb0EES1D_EEDaS18_S19_EUlS18_E_NS1_11comp_targetILNS1_3genE8ELNS1_11target_archE1030ELNS1_3gpuE2ELNS1_3repE0EEENS1_30default_config_static_selectorELNS0_4arch9wavefront6targetE1EEEvT1_
		.amdhsa_group_segment_fixed_size 0
		.amdhsa_private_segment_fixed_size 0
		.amdhsa_kernarg_size 120
		.amdhsa_user_sgpr_count 6
		.amdhsa_user_sgpr_private_segment_buffer 1
		.amdhsa_user_sgpr_dispatch_ptr 0
		.amdhsa_user_sgpr_queue_ptr 0
		.amdhsa_user_sgpr_kernarg_segment_ptr 1
		.amdhsa_user_sgpr_dispatch_id 0
		.amdhsa_user_sgpr_flat_scratch_init 0
		.amdhsa_user_sgpr_private_segment_size 0
		.amdhsa_uses_dynamic_stack 0
		.amdhsa_system_sgpr_private_segment_wavefront_offset 0
		.amdhsa_system_sgpr_workgroup_id_x 1
		.amdhsa_system_sgpr_workgroup_id_y 0
		.amdhsa_system_sgpr_workgroup_id_z 0
		.amdhsa_system_sgpr_workgroup_info 0
		.amdhsa_system_vgpr_workitem_id 0
		.amdhsa_next_free_vgpr 1
		.amdhsa_next_free_sgpr 0
		.amdhsa_reserve_vcc 0
		.amdhsa_reserve_flat_scratch 0
		.amdhsa_float_round_mode_32 0
		.amdhsa_float_round_mode_16_64 0
		.amdhsa_float_denorm_mode_32 3
		.amdhsa_float_denorm_mode_16_64 3
		.amdhsa_dx10_clamp 1
		.amdhsa_ieee_mode 1
		.amdhsa_fp16_overflow 0
		.amdhsa_exception_fp_ieee_invalid_op 0
		.amdhsa_exception_fp_denorm_src 0
		.amdhsa_exception_fp_ieee_div_zero 0
		.amdhsa_exception_fp_ieee_overflow 0
		.amdhsa_exception_fp_ieee_underflow 0
		.amdhsa_exception_fp_ieee_inexact 0
		.amdhsa_exception_int_div_zero 0
	.end_amdhsa_kernel
	.section	.text._ZN7rocprim17ROCPRIM_400000_NS6detail17trampoline_kernelINS0_14default_configENS1_25partition_config_selectorILNS1_17partition_subalgoE8EjNS0_10empty_typeEbEEZZNS1_14partition_implILS5_8ELb0ES3_jN6thrust23THRUST_200600_302600_NS6detail15normal_iteratorINSA_10device_ptrIjEEEEPS6_PKS6_NS0_5tupleIJNSA_16discard_iteratorINSA_11use_defaultEEES6_EEENSJ_IJSG_SG_EEENS0_18inequality_wrapperINSA_8equal_toIjEEEEPmJS6_EEE10hipError_tPvRmT3_T4_T5_T6_T7_T9_mT8_P12ihipStream_tbDpT10_ENKUlT_T0_E_clISt17integral_constantIbLb0EES1D_EEDaS18_S19_EUlS18_E_NS1_11comp_targetILNS1_3genE8ELNS1_11target_archE1030ELNS1_3gpuE2ELNS1_3repE0EEENS1_30default_config_static_selectorELNS0_4arch9wavefront6targetE1EEEvT1_,"axG",@progbits,_ZN7rocprim17ROCPRIM_400000_NS6detail17trampoline_kernelINS0_14default_configENS1_25partition_config_selectorILNS1_17partition_subalgoE8EjNS0_10empty_typeEbEEZZNS1_14partition_implILS5_8ELb0ES3_jN6thrust23THRUST_200600_302600_NS6detail15normal_iteratorINSA_10device_ptrIjEEEEPS6_PKS6_NS0_5tupleIJNSA_16discard_iteratorINSA_11use_defaultEEES6_EEENSJ_IJSG_SG_EEENS0_18inequality_wrapperINSA_8equal_toIjEEEEPmJS6_EEE10hipError_tPvRmT3_T4_T5_T6_T7_T9_mT8_P12ihipStream_tbDpT10_ENKUlT_T0_E_clISt17integral_constantIbLb0EES1D_EEDaS18_S19_EUlS18_E_NS1_11comp_targetILNS1_3genE8ELNS1_11target_archE1030ELNS1_3gpuE2ELNS1_3repE0EEENS1_30default_config_static_selectorELNS0_4arch9wavefront6targetE1EEEvT1_,comdat
.Lfunc_end572:
	.size	_ZN7rocprim17ROCPRIM_400000_NS6detail17trampoline_kernelINS0_14default_configENS1_25partition_config_selectorILNS1_17partition_subalgoE8EjNS0_10empty_typeEbEEZZNS1_14partition_implILS5_8ELb0ES3_jN6thrust23THRUST_200600_302600_NS6detail15normal_iteratorINSA_10device_ptrIjEEEEPS6_PKS6_NS0_5tupleIJNSA_16discard_iteratorINSA_11use_defaultEEES6_EEENSJ_IJSG_SG_EEENS0_18inequality_wrapperINSA_8equal_toIjEEEEPmJS6_EEE10hipError_tPvRmT3_T4_T5_T6_T7_T9_mT8_P12ihipStream_tbDpT10_ENKUlT_T0_E_clISt17integral_constantIbLb0EES1D_EEDaS18_S19_EUlS18_E_NS1_11comp_targetILNS1_3genE8ELNS1_11target_archE1030ELNS1_3gpuE2ELNS1_3repE0EEENS1_30default_config_static_selectorELNS0_4arch9wavefront6targetE1EEEvT1_, .Lfunc_end572-_ZN7rocprim17ROCPRIM_400000_NS6detail17trampoline_kernelINS0_14default_configENS1_25partition_config_selectorILNS1_17partition_subalgoE8EjNS0_10empty_typeEbEEZZNS1_14partition_implILS5_8ELb0ES3_jN6thrust23THRUST_200600_302600_NS6detail15normal_iteratorINSA_10device_ptrIjEEEEPS6_PKS6_NS0_5tupleIJNSA_16discard_iteratorINSA_11use_defaultEEES6_EEENSJ_IJSG_SG_EEENS0_18inequality_wrapperINSA_8equal_toIjEEEEPmJS6_EEE10hipError_tPvRmT3_T4_T5_T6_T7_T9_mT8_P12ihipStream_tbDpT10_ENKUlT_T0_E_clISt17integral_constantIbLb0EES1D_EEDaS18_S19_EUlS18_E_NS1_11comp_targetILNS1_3genE8ELNS1_11target_archE1030ELNS1_3gpuE2ELNS1_3repE0EEENS1_30default_config_static_selectorELNS0_4arch9wavefront6targetE1EEEvT1_
                                        ; -- End function
	.set _ZN7rocprim17ROCPRIM_400000_NS6detail17trampoline_kernelINS0_14default_configENS1_25partition_config_selectorILNS1_17partition_subalgoE8EjNS0_10empty_typeEbEEZZNS1_14partition_implILS5_8ELb0ES3_jN6thrust23THRUST_200600_302600_NS6detail15normal_iteratorINSA_10device_ptrIjEEEEPS6_PKS6_NS0_5tupleIJNSA_16discard_iteratorINSA_11use_defaultEEES6_EEENSJ_IJSG_SG_EEENS0_18inequality_wrapperINSA_8equal_toIjEEEEPmJS6_EEE10hipError_tPvRmT3_T4_T5_T6_T7_T9_mT8_P12ihipStream_tbDpT10_ENKUlT_T0_E_clISt17integral_constantIbLb0EES1D_EEDaS18_S19_EUlS18_E_NS1_11comp_targetILNS1_3genE8ELNS1_11target_archE1030ELNS1_3gpuE2ELNS1_3repE0EEENS1_30default_config_static_selectorELNS0_4arch9wavefront6targetE1EEEvT1_.num_vgpr, 0
	.set _ZN7rocprim17ROCPRIM_400000_NS6detail17trampoline_kernelINS0_14default_configENS1_25partition_config_selectorILNS1_17partition_subalgoE8EjNS0_10empty_typeEbEEZZNS1_14partition_implILS5_8ELb0ES3_jN6thrust23THRUST_200600_302600_NS6detail15normal_iteratorINSA_10device_ptrIjEEEEPS6_PKS6_NS0_5tupleIJNSA_16discard_iteratorINSA_11use_defaultEEES6_EEENSJ_IJSG_SG_EEENS0_18inequality_wrapperINSA_8equal_toIjEEEEPmJS6_EEE10hipError_tPvRmT3_T4_T5_T6_T7_T9_mT8_P12ihipStream_tbDpT10_ENKUlT_T0_E_clISt17integral_constantIbLb0EES1D_EEDaS18_S19_EUlS18_E_NS1_11comp_targetILNS1_3genE8ELNS1_11target_archE1030ELNS1_3gpuE2ELNS1_3repE0EEENS1_30default_config_static_selectorELNS0_4arch9wavefront6targetE1EEEvT1_.num_agpr, 0
	.set _ZN7rocprim17ROCPRIM_400000_NS6detail17trampoline_kernelINS0_14default_configENS1_25partition_config_selectorILNS1_17partition_subalgoE8EjNS0_10empty_typeEbEEZZNS1_14partition_implILS5_8ELb0ES3_jN6thrust23THRUST_200600_302600_NS6detail15normal_iteratorINSA_10device_ptrIjEEEEPS6_PKS6_NS0_5tupleIJNSA_16discard_iteratorINSA_11use_defaultEEES6_EEENSJ_IJSG_SG_EEENS0_18inequality_wrapperINSA_8equal_toIjEEEEPmJS6_EEE10hipError_tPvRmT3_T4_T5_T6_T7_T9_mT8_P12ihipStream_tbDpT10_ENKUlT_T0_E_clISt17integral_constantIbLb0EES1D_EEDaS18_S19_EUlS18_E_NS1_11comp_targetILNS1_3genE8ELNS1_11target_archE1030ELNS1_3gpuE2ELNS1_3repE0EEENS1_30default_config_static_selectorELNS0_4arch9wavefront6targetE1EEEvT1_.numbered_sgpr, 0
	.set _ZN7rocprim17ROCPRIM_400000_NS6detail17trampoline_kernelINS0_14default_configENS1_25partition_config_selectorILNS1_17partition_subalgoE8EjNS0_10empty_typeEbEEZZNS1_14partition_implILS5_8ELb0ES3_jN6thrust23THRUST_200600_302600_NS6detail15normal_iteratorINSA_10device_ptrIjEEEEPS6_PKS6_NS0_5tupleIJNSA_16discard_iteratorINSA_11use_defaultEEES6_EEENSJ_IJSG_SG_EEENS0_18inequality_wrapperINSA_8equal_toIjEEEEPmJS6_EEE10hipError_tPvRmT3_T4_T5_T6_T7_T9_mT8_P12ihipStream_tbDpT10_ENKUlT_T0_E_clISt17integral_constantIbLb0EES1D_EEDaS18_S19_EUlS18_E_NS1_11comp_targetILNS1_3genE8ELNS1_11target_archE1030ELNS1_3gpuE2ELNS1_3repE0EEENS1_30default_config_static_selectorELNS0_4arch9wavefront6targetE1EEEvT1_.num_named_barrier, 0
	.set _ZN7rocprim17ROCPRIM_400000_NS6detail17trampoline_kernelINS0_14default_configENS1_25partition_config_selectorILNS1_17partition_subalgoE8EjNS0_10empty_typeEbEEZZNS1_14partition_implILS5_8ELb0ES3_jN6thrust23THRUST_200600_302600_NS6detail15normal_iteratorINSA_10device_ptrIjEEEEPS6_PKS6_NS0_5tupleIJNSA_16discard_iteratorINSA_11use_defaultEEES6_EEENSJ_IJSG_SG_EEENS0_18inequality_wrapperINSA_8equal_toIjEEEEPmJS6_EEE10hipError_tPvRmT3_T4_T5_T6_T7_T9_mT8_P12ihipStream_tbDpT10_ENKUlT_T0_E_clISt17integral_constantIbLb0EES1D_EEDaS18_S19_EUlS18_E_NS1_11comp_targetILNS1_3genE8ELNS1_11target_archE1030ELNS1_3gpuE2ELNS1_3repE0EEENS1_30default_config_static_selectorELNS0_4arch9wavefront6targetE1EEEvT1_.private_seg_size, 0
	.set _ZN7rocprim17ROCPRIM_400000_NS6detail17trampoline_kernelINS0_14default_configENS1_25partition_config_selectorILNS1_17partition_subalgoE8EjNS0_10empty_typeEbEEZZNS1_14partition_implILS5_8ELb0ES3_jN6thrust23THRUST_200600_302600_NS6detail15normal_iteratorINSA_10device_ptrIjEEEEPS6_PKS6_NS0_5tupleIJNSA_16discard_iteratorINSA_11use_defaultEEES6_EEENSJ_IJSG_SG_EEENS0_18inequality_wrapperINSA_8equal_toIjEEEEPmJS6_EEE10hipError_tPvRmT3_T4_T5_T6_T7_T9_mT8_P12ihipStream_tbDpT10_ENKUlT_T0_E_clISt17integral_constantIbLb0EES1D_EEDaS18_S19_EUlS18_E_NS1_11comp_targetILNS1_3genE8ELNS1_11target_archE1030ELNS1_3gpuE2ELNS1_3repE0EEENS1_30default_config_static_selectorELNS0_4arch9wavefront6targetE1EEEvT1_.uses_vcc, 0
	.set _ZN7rocprim17ROCPRIM_400000_NS6detail17trampoline_kernelINS0_14default_configENS1_25partition_config_selectorILNS1_17partition_subalgoE8EjNS0_10empty_typeEbEEZZNS1_14partition_implILS5_8ELb0ES3_jN6thrust23THRUST_200600_302600_NS6detail15normal_iteratorINSA_10device_ptrIjEEEEPS6_PKS6_NS0_5tupleIJNSA_16discard_iteratorINSA_11use_defaultEEES6_EEENSJ_IJSG_SG_EEENS0_18inequality_wrapperINSA_8equal_toIjEEEEPmJS6_EEE10hipError_tPvRmT3_T4_T5_T6_T7_T9_mT8_P12ihipStream_tbDpT10_ENKUlT_T0_E_clISt17integral_constantIbLb0EES1D_EEDaS18_S19_EUlS18_E_NS1_11comp_targetILNS1_3genE8ELNS1_11target_archE1030ELNS1_3gpuE2ELNS1_3repE0EEENS1_30default_config_static_selectorELNS0_4arch9wavefront6targetE1EEEvT1_.uses_flat_scratch, 0
	.set _ZN7rocprim17ROCPRIM_400000_NS6detail17trampoline_kernelINS0_14default_configENS1_25partition_config_selectorILNS1_17partition_subalgoE8EjNS0_10empty_typeEbEEZZNS1_14partition_implILS5_8ELb0ES3_jN6thrust23THRUST_200600_302600_NS6detail15normal_iteratorINSA_10device_ptrIjEEEEPS6_PKS6_NS0_5tupleIJNSA_16discard_iteratorINSA_11use_defaultEEES6_EEENSJ_IJSG_SG_EEENS0_18inequality_wrapperINSA_8equal_toIjEEEEPmJS6_EEE10hipError_tPvRmT3_T4_T5_T6_T7_T9_mT8_P12ihipStream_tbDpT10_ENKUlT_T0_E_clISt17integral_constantIbLb0EES1D_EEDaS18_S19_EUlS18_E_NS1_11comp_targetILNS1_3genE8ELNS1_11target_archE1030ELNS1_3gpuE2ELNS1_3repE0EEENS1_30default_config_static_selectorELNS0_4arch9wavefront6targetE1EEEvT1_.has_dyn_sized_stack, 0
	.set _ZN7rocprim17ROCPRIM_400000_NS6detail17trampoline_kernelINS0_14default_configENS1_25partition_config_selectorILNS1_17partition_subalgoE8EjNS0_10empty_typeEbEEZZNS1_14partition_implILS5_8ELb0ES3_jN6thrust23THRUST_200600_302600_NS6detail15normal_iteratorINSA_10device_ptrIjEEEEPS6_PKS6_NS0_5tupleIJNSA_16discard_iteratorINSA_11use_defaultEEES6_EEENSJ_IJSG_SG_EEENS0_18inequality_wrapperINSA_8equal_toIjEEEEPmJS6_EEE10hipError_tPvRmT3_T4_T5_T6_T7_T9_mT8_P12ihipStream_tbDpT10_ENKUlT_T0_E_clISt17integral_constantIbLb0EES1D_EEDaS18_S19_EUlS18_E_NS1_11comp_targetILNS1_3genE8ELNS1_11target_archE1030ELNS1_3gpuE2ELNS1_3repE0EEENS1_30default_config_static_selectorELNS0_4arch9wavefront6targetE1EEEvT1_.has_recursion, 0
	.set _ZN7rocprim17ROCPRIM_400000_NS6detail17trampoline_kernelINS0_14default_configENS1_25partition_config_selectorILNS1_17partition_subalgoE8EjNS0_10empty_typeEbEEZZNS1_14partition_implILS5_8ELb0ES3_jN6thrust23THRUST_200600_302600_NS6detail15normal_iteratorINSA_10device_ptrIjEEEEPS6_PKS6_NS0_5tupleIJNSA_16discard_iteratorINSA_11use_defaultEEES6_EEENSJ_IJSG_SG_EEENS0_18inequality_wrapperINSA_8equal_toIjEEEEPmJS6_EEE10hipError_tPvRmT3_T4_T5_T6_T7_T9_mT8_P12ihipStream_tbDpT10_ENKUlT_T0_E_clISt17integral_constantIbLb0EES1D_EEDaS18_S19_EUlS18_E_NS1_11comp_targetILNS1_3genE8ELNS1_11target_archE1030ELNS1_3gpuE2ELNS1_3repE0EEENS1_30default_config_static_selectorELNS0_4arch9wavefront6targetE1EEEvT1_.has_indirect_call, 0
	.section	.AMDGPU.csdata,"",@progbits
; Kernel info:
; codeLenInByte = 0
; TotalNumSgprs: 4
; NumVgprs: 0
; ScratchSize: 0
; MemoryBound: 0
; FloatMode: 240
; IeeeMode: 1
; LDSByteSize: 0 bytes/workgroup (compile time only)
; SGPRBlocks: 0
; VGPRBlocks: 0
; NumSGPRsForWavesPerEU: 4
; NumVGPRsForWavesPerEU: 1
; Occupancy: 10
; WaveLimiterHint : 0
; COMPUTE_PGM_RSRC2:SCRATCH_EN: 0
; COMPUTE_PGM_RSRC2:USER_SGPR: 6
; COMPUTE_PGM_RSRC2:TRAP_HANDLER: 0
; COMPUTE_PGM_RSRC2:TGID_X_EN: 1
; COMPUTE_PGM_RSRC2:TGID_Y_EN: 0
; COMPUTE_PGM_RSRC2:TGID_Z_EN: 0
; COMPUTE_PGM_RSRC2:TIDIG_COMP_CNT: 0
	.section	.text._ZN7rocprim17ROCPRIM_400000_NS6detail17trampoline_kernelINS0_14default_configENS1_25partition_config_selectorILNS1_17partition_subalgoE8EjNS0_10empty_typeEbEEZZNS1_14partition_implILS5_8ELb0ES3_jN6thrust23THRUST_200600_302600_NS6detail15normal_iteratorINSA_10device_ptrIjEEEEPS6_PKS6_NS0_5tupleIJNSA_16discard_iteratorINSA_11use_defaultEEES6_EEENSJ_IJSG_SG_EEENS0_18inequality_wrapperINSA_8equal_toIjEEEEPmJS6_EEE10hipError_tPvRmT3_T4_T5_T6_T7_T9_mT8_P12ihipStream_tbDpT10_ENKUlT_T0_E_clISt17integral_constantIbLb1EES1D_EEDaS18_S19_EUlS18_E_NS1_11comp_targetILNS1_3genE0ELNS1_11target_archE4294967295ELNS1_3gpuE0ELNS1_3repE0EEENS1_30default_config_static_selectorELNS0_4arch9wavefront6targetE1EEEvT1_,"axG",@progbits,_ZN7rocprim17ROCPRIM_400000_NS6detail17trampoline_kernelINS0_14default_configENS1_25partition_config_selectorILNS1_17partition_subalgoE8EjNS0_10empty_typeEbEEZZNS1_14partition_implILS5_8ELb0ES3_jN6thrust23THRUST_200600_302600_NS6detail15normal_iteratorINSA_10device_ptrIjEEEEPS6_PKS6_NS0_5tupleIJNSA_16discard_iteratorINSA_11use_defaultEEES6_EEENSJ_IJSG_SG_EEENS0_18inequality_wrapperINSA_8equal_toIjEEEEPmJS6_EEE10hipError_tPvRmT3_T4_T5_T6_T7_T9_mT8_P12ihipStream_tbDpT10_ENKUlT_T0_E_clISt17integral_constantIbLb1EES1D_EEDaS18_S19_EUlS18_E_NS1_11comp_targetILNS1_3genE0ELNS1_11target_archE4294967295ELNS1_3gpuE0ELNS1_3repE0EEENS1_30default_config_static_selectorELNS0_4arch9wavefront6targetE1EEEvT1_,comdat
	.protected	_ZN7rocprim17ROCPRIM_400000_NS6detail17trampoline_kernelINS0_14default_configENS1_25partition_config_selectorILNS1_17partition_subalgoE8EjNS0_10empty_typeEbEEZZNS1_14partition_implILS5_8ELb0ES3_jN6thrust23THRUST_200600_302600_NS6detail15normal_iteratorINSA_10device_ptrIjEEEEPS6_PKS6_NS0_5tupleIJNSA_16discard_iteratorINSA_11use_defaultEEES6_EEENSJ_IJSG_SG_EEENS0_18inequality_wrapperINSA_8equal_toIjEEEEPmJS6_EEE10hipError_tPvRmT3_T4_T5_T6_T7_T9_mT8_P12ihipStream_tbDpT10_ENKUlT_T0_E_clISt17integral_constantIbLb1EES1D_EEDaS18_S19_EUlS18_E_NS1_11comp_targetILNS1_3genE0ELNS1_11target_archE4294967295ELNS1_3gpuE0ELNS1_3repE0EEENS1_30default_config_static_selectorELNS0_4arch9wavefront6targetE1EEEvT1_ ; -- Begin function _ZN7rocprim17ROCPRIM_400000_NS6detail17trampoline_kernelINS0_14default_configENS1_25partition_config_selectorILNS1_17partition_subalgoE8EjNS0_10empty_typeEbEEZZNS1_14partition_implILS5_8ELb0ES3_jN6thrust23THRUST_200600_302600_NS6detail15normal_iteratorINSA_10device_ptrIjEEEEPS6_PKS6_NS0_5tupleIJNSA_16discard_iteratorINSA_11use_defaultEEES6_EEENSJ_IJSG_SG_EEENS0_18inequality_wrapperINSA_8equal_toIjEEEEPmJS6_EEE10hipError_tPvRmT3_T4_T5_T6_T7_T9_mT8_P12ihipStream_tbDpT10_ENKUlT_T0_E_clISt17integral_constantIbLb1EES1D_EEDaS18_S19_EUlS18_E_NS1_11comp_targetILNS1_3genE0ELNS1_11target_archE4294967295ELNS1_3gpuE0ELNS1_3repE0EEENS1_30default_config_static_selectorELNS0_4arch9wavefront6targetE1EEEvT1_
	.globl	_ZN7rocprim17ROCPRIM_400000_NS6detail17trampoline_kernelINS0_14default_configENS1_25partition_config_selectorILNS1_17partition_subalgoE8EjNS0_10empty_typeEbEEZZNS1_14partition_implILS5_8ELb0ES3_jN6thrust23THRUST_200600_302600_NS6detail15normal_iteratorINSA_10device_ptrIjEEEEPS6_PKS6_NS0_5tupleIJNSA_16discard_iteratorINSA_11use_defaultEEES6_EEENSJ_IJSG_SG_EEENS0_18inequality_wrapperINSA_8equal_toIjEEEEPmJS6_EEE10hipError_tPvRmT3_T4_T5_T6_T7_T9_mT8_P12ihipStream_tbDpT10_ENKUlT_T0_E_clISt17integral_constantIbLb1EES1D_EEDaS18_S19_EUlS18_E_NS1_11comp_targetILNS1_3genE0ELNS1_11target_archE4294967295ELNS1_3gpuE0ELNS1_3repE0EEENS1_30default_config_static_selectorELNS0_4arch9wavefront6targetE1EEEvT1_
	.p2align	8
	.type	_ZN7rocprim17ROCPRIM_400000_NS6detail17trampoline_kernelINS0_14default_configENS1_25partition_config_selectorILNS1_17partition_subalgoE8EjNS0_10empty_typeEbEEZZNS1_14partition_implILS5_8ELb0ES3_jN6thrust23THRUST_200600_302600_NS6detail15normal_iteratorINSA_10device_ptrIjEEEEPS6_PKS6_NS0_5tupleIJNSA_16discard_iteratorINSA_11use_defaultEEES6_EEENSJ_IJSG_SG_EEENS0_18inequality_wrapperINSA_8equal_toIjEEEEPmJS6_EEE10hipError_tPvRmT3_T4_T5_T6_T7_T9_mT8_P12ihipStream_tbDpT10_ENKUlT_T0_E_clISt17integral_constantIbLb1EES1D_EEDaS18_S19_EUlS18_E_NS1_11comp_targetILNS1_3genE0ELNS1_11target_archE4294967295ELNS1_3gpuE0ELNS1_3repE0EEENS1_30default_config_static_selectorELNS0_4arch9wavefront6targetE1EEEvT1_,@function
_ZN7rocprim17ROCPRIM_400000_NS6detail17trampoline_kernelINS0_14default_configENS1_25partition_config_selectorILNS1_17partition_subalgoE8EjNS0_10empty_typeEbEEZZNS1_14partition_implILS5_8ELb0ES3_jN6thrust23THRUST_200600_302600_NS6detail15normal_iteratorINSA_10device_ptrIjEEEEPS6_PKS6_NS0_5tupleIJNSA_16discard_iteratorINSA_11use_defaultEEES6_EEENSJ_IJSG_SG_EEENS0_18inequality_wrapperINSA_8equal_toIjEEEEPmJS6_EEE10hipError_tPvRmT3_T4_T5_T6_T7_T9_mT8_P12ihipStream_tbDpT10_ENKUlT_T0_E_clISt17integral_constantIbLb1EES1D_EEDaS18_S19_EUlS18_E_NS1_11comp_targetILNS1_3genE0ELNS1_11target_archE4294967295ELNS1_3gpuE0ELNS1_3repE0EEENS1_30default_config_static_selectorELNS0_4arch9wavefront6targetE1EEEvT1_: ; @_ZN7rocprim17ROCPRIM_400000_NS6detail17trampoline_kernelINS0_14default_configENS1_25partition_config_selectorILNS1_17partition_subalgoE8EjNS0_10empty_typeEbEEZZNS1_14partition_implILS5_8ELb0ES3_jN6thrust23THRUST_200600_302600_NS6detail15normal_iteratorINSA_10device_ptrIjEEEEPS6_PKS6_NS0_5tupleIJNSA_16discard_iteratorINSA_11use_defaultEEES6_EEENSJ_IJSG_SG_EEENS0_18inequality_wrapperINSA_8equal_toIjEEEEPmJS6_EEE10hipError_tPvRmT3_T4_T5_T6_T7_T9_mT8_P12ihipStream_tbDpT10_ENKUlT_T0_E_clISt17integral_constantIbLb1EES1D_EEDaS18_S19_EUlS18_E_NS1_11comp_targetILNS1_3genE0ELNS1_11target_archE4294967295ELNS1_3gpuE0ELNS1_3repE0EEENS1_30default_config_static_selectorELNS0_4arch9wavefront6targetE1EEEvT1_
; %bb.0:
	.section	.rodata,"a",@progbits
	.p2align	6, 0x0
	.amdhsa_kernel _ZN7rocprim17ROCPRIM_400000_NS6detail17trampoline_kernelINS0_14default_configENS1_25partition_config_selectorILNS1_17partition_subalgoE8EjNS0_10empty_typeEbEEZZNS1_14partition_implILS5_8ELb0ES3_jN6thrust23THRUST_200600_302600_NS6detail15normal_iteratorINSA_10device_ptrIjEEEEPS6_PKS6_NS0_5tupleIJNSA_16discard_iteratorINSA_11use_defaultEEES6_EEENSJ_IJSG_SG_EEENS0_18inequality_wrapperINSA_8equal_toIjEEEEPmJS6_EEE10hipError_tPvRmT3_T4_T5_T6_T7_T9_mT8_P12ihipStream_tbDpT10_ENKUlT_T0_E_clISt17integral_constantIbLb1EES1D_EEDaS18_S19_EUlS18_E_NS1_11comp_targetILNS1_3genE0ELNS1_11target_archE4294967295ELNS1_3gpuE0ELNS1_3repE0EEENS1_30default_config_static_selectorELNS0_4arch9wavefront6targetE1EEEvT1_
		.amdhsa_group_segment_fixed_size 0
		.amdhsa_private_segment_fixed_size 0
		.amdhsa_kernarg_size 136
		.amdhsa_user_sgpr_count 6
		.amdhsa_user_sgpr_private_segment_buffer 1
		.amdhsa_user_sgpr_dispatch_ptr 0
		.amdhsa_user_sgpr_queue_ptr 0
		.amdhsa_user_sgpr_kernarg_segment_ptr 1
		.amdhsa_user_sgpr_dispatch_id 0
		.amdhsa_user_sgpr_flat_scratch_init 0
		.amdhsa_user_sgpr_private_segment_size 0
		.amdhsa_uses_dynamic_stack 0
		.amdhsa_system_sgpr_private_segment_wavefront_offset 0
		.amdhsa_system_sgpr_workgroup_id_x 1
		.amdhsa_system_sgpr_workgroup_id_y 0
		.amdhsa_system_sgpr_workgroup_id_z 0
		.amdhsa_system_sgpr_workgroup_info 0
		.amdhsa_system_vgpr_workitem_id 0
		.amdhsa_next_free_vgpr 1
		.amdhsa_next_free_sgpr 0
		.amdhsa_reserve_vcc 0
		.amdhsa_reserve_flat_scratch 0
		.amdhsa_float_round_mode_32 0
		.amdhsa_float_round_mode_16_64 0
		.amdhsa_float_denorm_mode_32 3
		.amdhsa_float_denorm_mode_16_64 3
		.amdhsa_dx10_clamp 1
		.amdhsa_ieee_mode 1
		.amdhsa_fp16_overflow 0
		.amdhsa_exception_fp_ieee_invalid_op 0
		.amdhsa_exception_fp_denorm_src 0
		.amdhsa_exception_fp_ieee_div_zero 0
		.amdhsa_exception_fp_ieee_overflow 0
		.amdhsa_exception_fp_ieee_underflow 0
		.amdhsa_exception_fp_ieee_inexact 0
		.amdhsa_exception_int_div_zero 0
	.end_amdhsa_kernel
	.section	.text._ZN7rocprim17ROCPRIM_400000_NS6detail17trampoline_kernelINS0_14default_configENS1_25partition_config_selectorILNS1_17partition_subalgoE8EjNS0_10empty_typeEbEEZZNS1_14partition_implILS5_8ELb0ES3_jN6thrust23THRUST_200600_302600_NS6detail15normal_iteratorINSA_10device_ptrIjEEEEPS6_PKS6_NS0_5tupleIJNSA_16discard_iteratorINSA_11use_defaultEEES6_EEENSJ_IJSG_SG_EEENS0_18inequality_wrapperINSA_8equal_toIjEEEEPmJS6_EEE10hipError_tPvRmT3_T4_T5_T6_T7_T9_mT8_P12ihipStream_tbDpT10_ENKUlT_T0_E_clISt17integral_constantIbLb1EES1D_EEDaS18_S19_EUlS18_E_NS1_11comp_targetILNS1_3genE0ELNS1_11target_archE4294967295ELNS1_3gpuE0ELNS1_3repE0EEENS1_30default_config_static_selectorELNS0_4arch9wavefront6targetE1EEEvT1_,"axG",@progbits,_ZN7rocprim17ROCPRIM_400000_NS6detail17trampoline_kernelINS0_14default_configENS1_25partition_config_selectorILNS1_17partition_subalgoE8EjNS0_10empty_typeEbEEZZNS1_14partition_implILS5_8ELb0ES3_jN6thrust23THRUST_200600_302600_NS6detail15normal_iteratorINSA_10device_ptrIjEEEEPS6_PKS6_NS0_5tupleIJNSA_16discard_iteratorINSA_11use_defaultEEES6_EEENSJ_IJSG_SG_EEENS0_18inequality_wrapperINSA_8equal_toIjEEEEPmJS6_EEE10hipError_tPvRmT3_T4_T5_T6_T7_T9_mT8_P12ihipStream_tbDpT10_ENKUlT_T0_E_clISt17integral_constantIbLb1EES1D_EEDaS18_S19_EUlS18_E_NS1_11comp_targetILNS1_3genE0ELNS1_11target_archE4294967295ELNS1_3gpuE0ELNS1_3repE0EEENS1_30default_config_static_selectorELNS0_4arch9wavefront6targetE1EEEvT1_,comdat
.Lfunc_end573:
	.size	_ZN7rocprim17ROCPRIM_400000_NS6detail17trampoline_kernelINS0_14default_configENS1_25partition_config_selectorILNS1_17partition_subalgoE8EjNS0_10empty_typeEbEEZZNS1_14partition_implILS5_8ELb0ES3_jN6thrust23THRUST_200600_302600_NS6detail15normal_iteratorINSA_10device_ptrIjEEEEPS6_PKS6_NS0_5tupleIJNSA_16discard_iteratorINSA_11use_defaultEEES6_EEENSJ_IJSG_SG_EEENS0_18inequality_wrapperINSA_8equal_toIjEEEEPmJS6_EEE10hipError_tPvRmT3_T4_T5_T6_T7_T9_mT8_P12ihipStream_tbDpT10_ENKUlT_T0_E_clISt17integral_constantIbLb1EES1D_EEDaS18_S19_EUlS18_E_NS1_11comp_targetILNS1_3genE0ELNS1_11target_archE4294967295ELNS1_3gpuE0ELNS1_3repE0EEENS1_30default_config_static_selectorELNS0_4arch9wavefront6targetE1EEEvT1_, .Lfunc_end573-_ZN7rocprim17ROCPRIM_400000_NS6detail17trampoline_kernelINS0_14default_configENS1_25partition_config_selectorILNS1_17partition_subalgoE8EjNS0_10empty_typeEbEEZZNS1_14partition_implILS5_8ELb0ES3_jN6thrust23THRUST_200600_302600_NS6detail15normal_iteratorINSA_10device_ptrIjEEEEPS6_PKS6_NS0_5tupleIJNSA_16discard_iteratorINSA_11use_defaultEEES6_EEENSJ_IJSG_SG_EEENS0_18inequality_wrapperINSA_8equal_toIjEEEEPmJS6_EEE10hipError_tPvRmT3_T4_T5_T6_T7_T9_mT8_P12ihipStream_tbDpT10_ENKUlT_T0_E_clISt17integral_constantIbLb1EES1D_EEDaS18_S19_EUlS18_E_NS1_11comp_targetILNS1_3genE0ELNS1_11target_archE4294967295ELNS1_3gpuE0ELNS1_3repE0EEENS1_30default_config_static_selectorELNS0_4arch9wavefront6targetE1EEEvT1_
                                        ; -- End function
	.set _ZN7rocprim17ROCPRIM_400000_NS6detail17trampoline_kernelINS0_14default_configENS1_25partition_config_selectorILNS1_17partition_subalgoE8EjNS0_10empty_typeEbEEZZNS1_14partition_implILS5_8ELb0ES3_jN6thrust23THRUST_200600_302600_NS6detail15normal_iteratorINSA_10device_ptrIjEEEEPS6_PKS6_NS0_5tupleIJNSA_16discard_iteratorINSA_11use_defaultEEES6_EEENSJ_IJSG_SG_EEENS0_18inequality_wrapperINSA_8equal_toIjEEEEPmJS6_EEE10hipError_tPvRmT3_T4_T5_T6_T7_T9_mT8_P12ihipStream_tbDpT10_ENKUlT_T0_E_clISt17integral_constantIbLb1EES1D_EEDaS18_S19_EUlS18_E_NS1_11comp_targetILNS1_3genE0ELNS1_11target_archE4294967295ELNS1_3gpuE0ELNS1_3repE0EEENS1_30default_config_static_selectorELNS0_4arch9wavefront6targetE1EEEvT1_.num_vgpr, 0
	.set _ZN7rocprim17ROCPRIM_400000_NS6detail17trampoline_kernelINS0_14default_configENS1_25partition_config_selectorILNS1_17partition_subalgoE8EjNS0_10empty_typeEbEEZZNS1_14partition_implILS5_8ELb0ES3_jN6thrust23THRUST_200600_302600_NS6detail15normal_iteratorINSA_10device_ptrIjEEEEPS6_PKS6_NS0_5tupleIJNSA_16discard_iteratorINSA_11use_defaultEEES6_EEENSJ_IJSG_SG_EEENS0_18inequality_wrapperINSA_8equal_toIjEEEEPmJS6_EEE10hipError_tPvRmT3_T4_T5_T6_T7_T9_mT8_P12ihipStream_tbDpT10_ENKUlT_T0_E_clISt17integral_constantIbLb1EES1D_EEDaS18_S19_EUlS18_E_NS1_11comp_targetILNS1_3genE0ELNS1_11target_archE4294967295ELNS1_3gpuE0ELNS1_3repE0EEENS1_30default_config_static_selectorELNS0_4arch9wavefront6targetE1EEEvT1_.num_agpr, 0
	.set _ZN7rocprim17ROCPRIM_400000_NS6detail17trampoline_kernelINS0_14default_configENS1_25partition_config_selectorILNS1_17partition_subalgoE8EjNS0_10empty_typeEbEEZZNS1_14partition_implILS5_8ELb0ES3_jN6thrust23THRUST_200600_302600_NS6detail15normal_iteratorINSA_10device_ptrIjEEEEPS6_PKS6_NS0_5tupleIJNSA_16discard_iteratorINSA_11use_defaultEEES6_EEENSJ_IJSG_SG_EEENS0_18inequality_wrapperINSA_8equal_toIjEEEEPmJS6_EEE10hipError_tPvRmT3_T4_T5_T6_T7_T9_mT8_P12ihipStream_tbDpT10_ENKUlT_T0_E_clISt17integral_constantIbLb1EES1D_EEDaS18_S19_EUlS18_E_NS1_11comp_targetILNS1_3genE0ELNS1_11target_archE4294967295ELNS1_3gpuE0ELNS1_3repE0EEENS1_30default_config_static_selectorELNS0_4arch9wavefront6targetE1EEEvT1_.numbered_sgpr, 0
	.set _ZN7rocprim17ROCPRIM_400000_NS6detail17trampoline_kernelINS0_14default_configENS1_25partition_config_selectorILNS1_17partition_subalgoE8EjNS0_10empty_typeEbEEZZNS1_14partition_implILS5_8ELb0ES3_jN6thrust23THRUST_200600_302600_NS6detail15normal_iteratorINSA_10device_ptrIjEEEEPS6_PKS6_NS0_5tupleIJNSA_16discard_iteratorINSA_11use_defaultEEES6_EEENSJ_IJSG_SG_EEENS0_18inequality_wrapperINSA_8equal_toIjEEEEPmJS6_EEE10hipError_tPvRmT3_T4_T5_T6_T7_T9_mT8_P12ihipStream_tbDpT10_ENKUlT_T0_E_clISt17integral_constantIbLb1EES1D_EEDaS18_S19_EUlS18_E_NS1_11comp_targetILNS1_3genE0ELNS1_11target_archE4294967295ELNS1_3gpuE0ELNS1_3repE0EEENS1_30default_config_static_selectorELNS0_4arch9wavefront6targetE1EEEvT1_.num_named_barrier, 0
	.set _ZN7rocprim17ROCPRIM_400000_NS6detail17trampoline_kernelINS0_14default_configENS1_25partition_config_selectorILNS1_17partition_subalgoE8EjNS0_10empty_typeEbEEZZNS1_14partition_implILS5_8ELb0ES3_jN6thrust23THRUST_200600_302600_NS6detail15normal_iteratorINSA_10device_ptrIjEEEEPS6_PKS6_NS0_5tupleIJNSA_16discard_iteratorINSA_11use_defaultEEES6_EEENSJ_IJSG_SG_EEENS0_18inequality_wrapperINSA_8equal_toIjEEEEPmJS6_EEE10hipError_tPvRmT3_T4_T5_T6_T7_T9_mT8_P12ihipStream_tbDpT10_ENKUlT_T0_E_clISt17integral_constantIbLb1EES1D_EEDaS18_S19_EUlS18_E_NS1_11comp_targetILNS1_3genE0ELNS1_11target_archE4294967295ELNS1_3gpuE0ELNS1_3repE0EEENS1_30default_config_static_selectorELNS0_4arch9wavefront6targetE1EEEvT1_.private_seg_size, 0
	.set _ZN7rocprim17ROCPRIM_400000_NS6detail17trampoline_kernelINS0_14default_configENS1_25partition_config_selectorILNS1_17partition_subalgoE8EjNS0_10empty_typeEbEEZZNS1_14partition_implILS5_8ELb0ES3_jN6thrust23THRUST_200600_302600_NS6detail15normal_iteratorINSA_10device_ptrIjEEEEPS6_PKS6_NS0_5tupleIJNSA_16discard_iteratorINSA_11use_defaultEEES6_EEENSJ_IJSG_SG_EEENS0_18inequality_wrapperINSA_8equal_toIjEEEEPmJS6_EEE10hipError_tPvRmT3_T4_T5_T6_T7_T9_mT8_P12ihipStream_tbDpT10_ENKUlT_T0_E_clISt17integral_constantIbLb1EES1D_EEDaS18_S19_EUlS18_E_NS1_11comp_targetILNS1_3genE0ELNS1_11target_archE4294967295ELNS1_3gpuE0ELNS1_3repE0EEENS1_30default_config_static_selectorELNS0_4arch9wavefront6targetE1EEEvT1_.uses_vcc, 0
	.set _ZN7rocprim17ROCPRIM_400000_NS6detail17trampoline_kernelINS0_14default_configENS1_25partition_config_selectorILNS1_17partition_subalgoE8EjNS0_10empty_typeEbEEZZNS1_14partition_implILS5_8ELb0ES3_jN6thrust23THRUST_200600_302600_NS6detail15normal_iteratorINSA_10device_ptrIjEEEEPS6_PKS6_NS0_5tupleIJNSA_16discard_iteratorINSA_11use_defaultEEES6_EEENSJ_IJSG_SG_EEENS0_18inequality_wrapperINSA_8equal_toIjEEEEPmJS6_EEE10hipError_tPvRmT3_T4_T5_T6_T7_T9_mT8_P12ihipStream_tbDpT10_ENKUlT_T0_E_clISt17integral_constantIbLb1EES1D_EEDaS18_S19_EUlS18_E_NS1_11comp_targetILNS1_3genE0ELNS1_11target_archE4294967295ELNS1_3gpuE0ELNS1_3repE0EEENS1_30default_config_static_selectorELNS0_4arch9wavefront6targetE1EEEvT1_.uses_flat_scratch, 0
	.set _ZN7rocprim17ROCPRIM_400000_NS6detail17trampoline_kernelINS0_14default_configENS1_25partition_config_selectorILNS1_17partition_subalgoE8EjNS0_10empty_typeEbEEZZNS1_14partition_implILS5_8ELb0ES3_jN6thrust23THRUST_200600_302600_NS6detail15normal_iteratorINSA_10device_ptrIjEEEEPS6_PKS6_NS0_5tupleIJNSA_16discard_iteratorINSA_11use_defaultEEES6_EEENSJ_IJSG_SG_EEENS0_18inequality_wrapperINSA_8equal_toIjEEEEPmJS6_EEE10hipError_tPvRmT3_T4_T5_T6_T7_T9_mT8_P12ihipStream_tbDpT10_ENKUlT_T0_E_clISt17integral_constantIbLb1EES1D_EEDaS18_S19_EUlS18_E_NS1_11comp_targetILNS1_3genE0ELNS1_11target_archE4294967295ELNS1_3gpuE0ELNS1_3repE0EEENS1_30default_config_static_selectorELNS0_4arch9wavefront6targetE1EEEvT1_.has_dyn_sized_stack, 0
	.set _ZN7rocprim17ROCPRIM_400000_NS6detail17trampoline_kernelINS0_14default_configENS1_25partition_config_selectorILNS1_17partition_subalgoE8EjNS0_10empty_typeEbEEZZNS1_14partition_implILS5_8ELb0ES3_jN6thrust23THRUST_200600_302600_NS6detail15normal_iteratorINSA_10device_ptrIjEEEEPS6_PKS6_NS0_5tupleIJNSA_16discard_iteratorINSA_11use_defaultEEES6_EEENSJ_IJSG_SG_EEENS0_18inequality_wrapperINSA_8equal_toIjEEEEPmJS6_EEE10hipError_tPvRmT3_T4_T5_T6_T7_T9_mT8_P12ihipStream_tbDpT10_ENKUlT_T0_E_clISt17integral_constantIbLb1EES1D_EEDaS18_S19_EUlS18_E_NS1_11comp_targetILNS1_3genE0ELNS1_11target_archE4294967295ELNS1_3gpuE0ELNS1_3repE0EEENS1_30default_config_static_selectorELNS0_4arch9wavefront6targetE1EEEvT1_.has_recursion, 0
	.set _ZN7rocprim17ROCPRIM_400000_NS6detail17trampoline_kernelINS0_14default_configENS1_25partition_config_selectorILNS1_17partition_subalgoE8EjNS0_10empty_typeEbEEZZNS1_14partition_implILS5_8ELb0ES3_jN6thrust23THRUST_200600_302600_NS6detail15normal_iteratorINSA_10device_ptrIjEEEEPS6_PKS6_NS0_5tupleIJNSA_16discard_iteratorINSA_11use_defaultEEES6_EEENSJ_IJSG_SG_EEENS0_18inequality_wrapperINSA_8equal_toIjEEEEPmJS6_EEE10hipError_tPvRmT3_T4_T5_T6_T7_T9_mT8_P12ihipStream_tbDpT10_ENKUlT_T0_E_clISt17integral_constantIbLb1EES1D_EEDaS18_S19_EUlS18_E_NS1_11comp_targetILNS1_3genE0ELNS1_11target_archE4294967295ELNS1_3gpuE0ELNS1_3repE0EEENS1_30default_config_static_selectorELNS0_4arch9wavefront6targetE1EEEvT1_.has_indirect_call, 0
	.section	.AMDGPU.csdata,"",@progbits
; Kernel info:
; codeLenInByte = 0
; TotalNumSgprs: 4
; NumVgprs: 0
; ScratchSize: 0
; MemoryBound: 0
; FloatMode: 240
; IeeeMode: 1
; LDSByteSize: 0 bytes/workgroup (compile time only)
; SGPRBlocks: 0
; VGPRBlocks: 0
; NumSGPRsForWavesPerEU: 4
; NumVGPRsForWavesPerEU: 1
; Occupancy: 10
; WaveLimiterHint : 0
; COMPUTE_PGM_RSRC2:SCRATCH_EN: 0
; COMPUTE_PGM_RSRC2:USER_SGPR: 6
; COMPUTE_PGM_RSRC2:TRAP_HANDLER: 0
; COMPUTE_PGM_RSRC2:TGID_X_EN: 1
; COMPUTE_PGM_RSRC2:TGID_Y_EN: 0
; COMPUTE_PGM_RSRC2:TGID_Z_EN: 0
; COMPUTE_PGM_RSRC2:TIDIG_COMP_CNT: 0
	.section	.text._ZN7rocprim17ROCPRIM_400000_NS6detail17trampoline_kernelINS0_14default_configENS1_25partition_config_selectorILNS1_17partition_subalgoE8EjNS0_10empty_typeEbEEZZNS1_14partition_implILS5_8ELb0ES3_jN6thrust23THRUST_200600_302600_NS6detail15normal_iteratorINSA_10device_ptrIjEEEEPS6_PKS6_NS0_5tupleIJNSA_16discard_iteratorINSA_11use_defaultEEES6_EEENSJ_IJSG_SG_EEENS0_18inequality_wrapperINSA_8equal_toIjEEEEPmJS6_EEE10hipError_tPvRmT3_T4_T5_T6_T7_T9_mT8_P12ihipStream_tbDpT10_ENKUlT_T0_E_clISt17integral_constantIbLb1EES1D_EEDaS18_S19_EUlS18_E_NS1_11comp_targetILNS1_3genE5ELNS1_11target_archE942ELNS1_3gpuE9ELNS1_3repE0EEENS1_30default_config_static_selectorELNS0_4arch9wavefront6targetE1EEEvT1_,"axG",@progbits,_ZN7rocprim17ROCPRIM_400000_NS6detail17trampoline_kernelINS0_14default_configENS1_25partition_config_selectorILNS1_17partition_subalgoE8EjNS0_10empty_typeEbEEZZNS1_14partition_implILS5_8ELb0ES3_jN6thrust23THRUST_200600_302600_NS6detail15normal_iteratorINSA_10device_ptrIjEEEEPS6_PKS6_NS0_5tupleIJNSA_16discard_iteratorINSA_11use_defaultEEES6_EEENSJ_IJSG_SG_EEENS0_18inequality_wrapperINSA_8equal_toIjEEEEPmJS6_EEE10hipError_tPvRmT3_T4_T5_T6_T7_T9_mT8_P12ihipStream_tbDpT10_ENKUlT_T0_E_clISt17integral_constantIbLb1EES1D_EEDaS18_S19_EUlS18_E_NS1_11comp_targetILNS1_3genE5ELNS1_11target_archE942ELNS1_3gpuE9ELNS1_3repE0EEENS1_30default_config_static_selectorELNS0_4arch9wavefront6targetE1EEEvT1_,comdat
	.protected	_ZN7rocprim17ROCPRIM_400000_NS6detail17trampoline_kernelINS0_14default_configENS1_25partition_config_selectorILNS1_17partition_subalgoE8EjNS0_10empty_typeEbEEZZNS1_14partition_implILS5_8ELb0ES3_jN6thrust23THRUST_200600_302600_NS6detail15normal_iteratorINSA_10device_ptrIjEEEEPS6_PKS6_NS0_5tupleIJNSA_16discard_iteratorINSA_11use_defaultEEES6_EEENSJ_IJSG_SG_EEENS0_18inequality_wrapperINSA_8equal_toIjEEEEPmJS6_EEE10hipError_tPvRmT3_T4_T5_T6_T7_T9_mT8_P12ihipStream_tbDpT10_ENKUlT_T0_E_clISt17integral_constantIbLb1EES1D_EEDaS18_S19_EUlS18_E_NS1_11comp_targetILNS1_3genE5ELNS1_11target_archE942ELNS1_3gpuE9ELNS1_3repE0EEENS1_30default_config_static_selectorELNS0_4arch9wavefront6targetE1EEEvT1_ ; -- Begin function _ZN7rocprim17ROCPRIM_400000_NS6detail17trampoline_kernelINS0_14default_configENS1_25partition_config_selectorILNS1_17partition_subalgoE8EjNS0_10empty_typeEbEEZZNS1_14partition_implILS5_8ELb0ES3_jN6thrust23THRUST_200600_302600_NS6detail15normal_iteratorINSA_10device_ptrIjEEEEPS6_PKS6_NS0_5tupleIJNSA_16discard_iteratorINSA_11use_defaultEEES6_EEENSJ_IJSG_SG_EEENS0_18inequality_wrapperINSA_8equal_toIjEEEEPmJS6_EEE10hipError_tPvRmT3_T4_T5_T6_T7_T9_mT8_P12ihipStream_tbDpT10_ENKUlT_T0_E_clISt17integral_constantIbLb1EES1D_EEDaS18_S19_EUlS18_E_NS1_11comp_targetILNS1_3genE5ELNS1_11target_archE942ELNS1_3gpuE9ELNS1_3repE0EEENS1_30default_config_static_selectorELNS0_4arch9wavefront6targetE1EEEvT1_
	.globl	_ZN7rocprim17ROCPRIM_400000_NS6detail17trampoline_kernelINS0_14default_configENS1_25partition_config_selectorILNS1_17partition_subalgoE8EjNS0_10empty_typeEbEEZZNS1_14partition_implILS5_8ELb0ES3_jN6thrust23THRUST_200600_302600_NS6detail15normal_iteratorINSA_10device_ptrIjEEEEPS6_PKS6_NS0_5tupleIJNSA_16discard_iteratorINSA_11use_defaultEEES6_EEENSJ_IJSG_SG_EEENS0_18inequality_wrapperINSA_8equal_toIjEEEEPmJS6_EEE10hipError_tPvRmT3_T4_T5_T6_T7_T9_mT8_P12ihipStream_tbDpT10_ENKUlT_T0_E_clISt17integral_constantIbLb1EES1D_EEDaS18_S19_EUlS18_E_NS1_11comp_targetILNS1_3genE5ELNS1_11target_archE942ELNS1_3gpuE9ELNS1_3repE0EEENS1_30default_config_static_selectorELNS0_4arch9wavefront6targetE1EEEvT1_
	.p2align	8
	.type	_ZN7rocprim17ROCPRIM_400000_NS6detail17trampoline_kernelINS0_14default_configENS1_25partition_config_selectorILNS1_17partition_subalgoE8EjNS0_10empty_typeEbEEZZNS1_14partition_implILS5_8ELb0ES3_jN6thrust23THRUST_200600_302600_NS6detail15normal_iteratorINSA_10device_ptrIjEEEEPS6_PKS6_NS0_5tupleIJNSA_16discard_iteratorINSA_11use_defaultEEES6_EEENSJ_IJSG_SG_EEENS0_18inequality_wrapperINSA_8equal_toIjEEEEPmJS6_EEE10hipError_tPvRmT3_T4_T5_T6_T7_T9_mT8_P12ihipStream_tbDpT10_ENKUlT_T0_E_clISt17integral_constantIbLb1EES1D_EEDaS18_S19_EUlS18_E_NS1_11comp_targetILNS1_3genE5ELNS1_11target_archE942ELNS1_3gpuE9ELNS1_3repE0EEENS1_30default_config_static_selectorELNS0_4arch9wavefront6targetE1EEEvT1_,@function
_ZN7rocprim17ROCPRIM_400000_NS6detail17trampoline_kernelINS0_14default_configENS1_25partition_config_selectorILNS1_17partition_subalgoE8EjNS0_10empty_typeEbEEZZNS1_14partition_implILS5_8ELb0ES3_jN6thrust23THRUST_200600_302600_NS6detail15normal_iteratorINSA_10device_ptrIjEEEEPS6_PKS6_NS0_5tupleIJNSA_16discard_iteratorINSA_11use_defaultEEES6_EEENSJ_IJSG_SG_EEENS0_18inequality_wrapperINSA_8equal_toIjEEEEPmJS6_EEE10hipError_tPvRmT3_T4_T5_T6_T7_T9_mT8_P12ihipStream_tbDpT10_ENKUlT_T0_E_clISt17integral_constantIbLb1EES1D_EEDaS18_S19_EUlS18_E_NS1_11comp_targetILNS1_3genE5ELNS1_11target_archE942ELNS1_3gpuE9ELNS1_3repE0EEENS1_30default_config_static_selectorELNS0_4arch9wavefront6targetE1EEEvT1_: ; @_ZN7rocprim17ROCPRIM_400000_NS6detail17trampoline_kernelINS0_14default_configENS1_25partition_config_selectorILNS1_17partition_subalgoE8EjNS0_10empty_typeEbEEZZNS1_14partition_implILS5_8ELb0ES3_jN6thrust23THRUST_200600_302600_NS6detail15normal_iteratorINSA_10device_ptrIjEEEEPS6_PKS6_NS0_5tupleIJNSA_16discard_iteratorINSA_11use_defaultEEES6_EEENSJ_IJSG_SG_EEENS0_18inequality_wrapperINSA_8equal_toIjEEEEPmJS6_EEE10hipError_tPvRmT3_T4_T5_T6_T7_T9_mT8_P12ihipStream_tbDpT10_ENKUlT_T0_E_clISt17integral_constantIbLb1EES1D_EEDaS18_S19_EUlS18_E_NS1_11comp_targetILNS1_3genE5ELNS1_11target_archE942ELNS1_3gpuE9ELNS1_3repE0EEENS1_30default_config_static_selectorELNS0_4arch9wavefront6targetE1EEEvT1_
; %bb.0:
	.section	.rodata,"a",@progbits
	.p2align	6, 0x0
	.amdhsa_kernel _ZN7rocprim17ROCPRIM_400000_NS6detail17trampoline_kernelINS0_14default_configENS1_25partition_config_selectorILNS1_17partition_subalgoE8EjNS0_10empty_typeEbEEZZNS1_14partition_implILS5_8ELb0ES3_jN6thrust23THRUST_200600_302600_NS6detail15normal_iteratorINSA_10device_ptrIjEEEEPS6_PKS6_NS0_5tupleIJNSA_16discard_iteratorINSA_11use_defaultEEES6_EEENSJ_IJSG_SG_EEENS0_18inequality_wrapperINSA_8equal_toIjEEEEPmJS6_EEE10hipError_tPvRmT3_T4_T5_T6_T7_T9_mT8_P12ihipStream_tbDpT10_ENKUlT_T0_E_clISt17integral_constantIbLb1EES1D_EEDaS18_S19_EUlS18_E_NS1_11comp_targetILNS1_3genE5ELNS1_11target_archE942ELNS1_3gpuE9ELNS1_3repE0EEENS1_30default_config_static_selectorELNS0_4arch9wavefront6targetE1EEEvT1_
		.amdhsa_group_segment_fixed_size 0
		.amdhsa_private_segment_fixed_size 0
		.amdhsa_kernarg_size 136
		.amdhsa_user_sgpr_count 6
		.amdhsa_user_sgpr_private_segment_buffer 1
		.amdhsa_user_sgpr_dispatch_ptr 0
		.amdhsa_user_sgpr_queue_ptr 0
		.amdhsa_user_sgpr_kernarg_segment_ptr 1
		.amdhsa_user_sgpr_dispatch_id 0
		.amdhsa_user_sgpr_flat_scratch_init 0
		.amdhsa_user_sgpr_private_segment_size 0
		.amdhsa_uses_dynamic_stack 0
		.amdhsa_system_sgpr_private_segment_wavefront_offset 0
		.amdhsa_system_sgpr_workgroup_id_x 1
		.amdhsa_system_sgpr_workgroup_id_y 0
		.amdhsa_system_sgpr_workgroup_id_z 0
		.amdhsa_system_sgpr_workgroup_info 0
		.amdhsa_system_vgpr_workitem_id 0
		.amdhsa_next_free_vgpr 1
		.amdhsa_next_free_sgpr 0
		.amdhsa_reserve_vcc 0
		.amdhsa_reserve_flat_scratch 0
		.amdhsa_float_round_mode_32 0
		.amdhsa_float_round_mode_16_64 0
		.amdhsa_float_denorm_mode_32 3
		.amdhsa_float_denorm_mode_16_64 3
		.amdhsa_dx10_clamp 1
		.amdhsa_ieee_mode 1
		.amdhsa_fp16_overflow 0
		.amdhsa_exception_fp_ieee_invalid_op 0
		.amdhsa_exception_fp_denorm_src 0
		.amdhsa_exception_fp_ieee_div_zero 0
		.amdhsa_exception_fp_ieee_overflow 0
		.amdhsa_exception_fp_ieee_underflow 0
		.amdhsa_exception_fp_ieee_inexact 0
		.amdhsa_exception_int_div_zero 0
	.end_amdhsa_kernel
	.section	.text._ZN7rocprim17ROCPRIM_400000_NS6detail17trampoline_kernelINS0_14default_configENS1_25partition_config_selectorILNS1_17partition_subalgoE8EjNS0_10empty_typeEbEEZZNS1_14partition_implILS5_8ELb0ES3_jN6thrust23THRUST_200600_302600_NS6detail15normal_iteratorINSA_10device_ptrIjEEEEPS6_PKS6_NS0_5tupleIJNSA_16discard_iteratorINSA_11use_defaultEEES6_EEENSJ_IJSG_SG_EEENS0_18inequality_wrapperINSA_8equal_toIjEEEEPmJS6_EEE10hipError_tPvRmT3_T4_T5_T6_T7_T9_mT8_P12ihipStream_tbDpT10_ENKUlT_T0_E_clISt17integral_constantIbLb1EES1D_EEDaS18_S19_EUlS18_E_NS1_11comp_targetILNS1_3genE5ELNS1_11target_archE942ELNS1_3gpuE9ELNS1_3repE0EEENS1_30default_config_static_selectorELNS0_4arch9wavefront6targetE1EEEvT1_,"axG",@progbits,_ZN7rocprim17ROCPRIM_400000_NS6detail17trampoline_kernelINS0_14default_configENS1_25partition_config_selectorILNS1_17partition_subalgoE8EjNS0_10empty_typeEbEEZZNS1_14partition_implILS5_8ELb0ES3_jN6thrust23THRUST_200600_302600_NS6detail15normal_iteratorINSA_10device_ptrIjEEEEPS6_PKS6_NS0_5tupleIJNSA_16discard_iteratorINSA_11use_defaultEEES6_EEENSJ_IJSG_SG_EEENS0_18inequality_wrapperINSA_8equal_toIjEEEEPmJS6_EEE10hipError_tPvRmT3_T4_T5_T6_T7_T9_mT8_P12ihipStream_tbDpT10_ENKUlT_T0_E_clISt17integral_constantIbLb1EES1D_EEDaS18_S19_EUlS18_E_NS1_11comp_targetILNS1_3genE5ELNS1_11target_archE942ELNS1_3gpuE9ELNS1_3repE0EEENS1_30default_config_static_selectorELNS0_4arch9wavefront6targetE1EEEvT1_,comdat
.Lfunc_end574:
	.size	_ZN7rocprim17ROCPRIM_400000_NS6detail17trampoline_kernelINS0_14default_configENS1_25partition_config_selectorILNS1_17partition_subalgoE8EjNS0_10empty_typeEbEEZZNS1_14partition_implILS5_8ELb0ES3_jN6thrust23THRUST_200600_302600_NS6detail15normal_iteratorINSA_10device_ptrIjEEEEPS6_PKS6_NS0_5tupleIJNSA_16discard_iteratorINSA_11use_defaultEEES6_EEENSJ_IJSG_SG_EEENS0_18inequality_wrapperINSA_8equal_toIjEEEEPmJS6_EEE10hipError_tPvRmT3_T4_T5_T6_T7_T9_mT8_P12ihipStream_tbDpT10_ENKUlT_T0_E_clISt17integral_constantIbLb1EES1D_EEDaS18_S19_EUlS18_E_NS1_11comp_targetILNS1_3genE5ELNS1_11target_archE942ELNS1_3gpuE9ELNS1_3repE0EEENS1_30default_config_static_selectorELNS0_4arch9wavefront6targetE1EEEvT1_, .Lfunc_end574-_ZN7rocprim17ROCPRIM_400000_NS6detail17trampoline_kernelINS0_14default_configENS1_25partition_config_selectorILNS1_17partition_subalgoE8EjNS0_10empty_typeEbEEZZNS1_14partition_implILS5_8ELb0ES3_jN6thrust23THRUST_200600_302600_NS6detail15normal_iteratorINSA_10device_ptrIjEEEEPS6_PKS6_NS0_5tupleIJNSA_16discard_iteratorINSA_11use_defaultEEES6_EEENSJ_IJSG_SG_EEENS0_18inequality_wrapperINSA_8equal_toIjEEEEPmJS6_EEE10hipError_tPvRmT3_T4_T5_T6_T7_T9_mT8_P12ihipStream_tbDpT10_ENKUlT_T0_E_clISt17integral_constantIbLb1EES1D_EEDaS18_S19_EUlS18_E_NS1_11comp_targetILNS1_3genE5ELNS1_11target_archE942ELNS1_3gpuE9ELNS1_3repE0EEENS1_30default_config_static_selectorELNS0_4arch9wavefront6targetE1EEEvT1_
                                        ; -- End function
	.set _ZN7rocprim17ROCPRIM_400000_NS6detail17trampoline_kernelINS0_14default_configENS1_25partition_config_selectorILNS1_17partition_subalgoE8EjNS0_10empty_typeEbEEZZNS1_14partition_implILS5_8ELb0ES3_jN6thrust23THRUST_200600_302600_NS6detail15normal_iteratorINSA_10device_ptrIjEEEEPS6_PKS6_NS0_5tupleIJNSA_16discard_iteratorINSA_11use_defaultEEES6_EEENSJ_IJSG_SG_EEENS0_18inequality_wrapperINSA_8equal_toIjEEEEPmJS6_EEE10hipError_tPvRmT3_T4_T5_T6_T7_T9_mT8_P12ihipStream_tbDpT10_ENKUlT_T0_E_clISt17integral_constantIbLb1EES1D_EEDaS18_S19_EUlS18_E_NS1_11comp_targetILNS1_3genE5ELNS1_11target_archE942ELNS1_3gpuE9ELNS1_3repE0EEENS1_30default_config_static_selectorELNS0_4arch9wavefront6targetE1EEEvT1_.num_vgpr, 0
	.set _ZN7rocprim17ROCPRIM_400000_NS6detail17trampoline_kernelINS0_14default_configENS1_25partition_config_selectorILNS1_17partition_subalgoE8EjNS0_10empty_typeEbEEZZNS1_14partition_implILS5_8ELb0ES3_jN6thrust23THRUST_200600_302600_NS6detail15normal_iteratorINSA_10device_ptrIjEEEEPS6_PKS6_NS0_5tupleIJNSA_16discard_iteratorINSA_11use_defaultEEES6_EEENSJ_IJSG_SG_EEENS0_18inequality_wrapperINSA_8equal_toIjEEEEPmJS6_EEE10hipError_tPvRmT3_T4_T5_T6_T7_T9_mT8_P12ihipStream_tbDpT10_ENKUlT_T0_E_clISt17integral_constantIbLb1EES1D_EEDaS18_S19_EUlS18_E_NS1_11comp_targetILNS1_3genE5ELNS1_11target_archE942ELNS1_3gpuE9ELNS1_3repE0EEENS1_30default_config_static_selectorELNS0_4arch9wavefront6targetE1EEEvT1_.num_agpr, 0
	.set _ZN7rocprim17ROCPRIM_400000_NS6detail17trampoline_kernelINS0_14default_configENS1_25partition_config_selectorILNS1_17partition_subalgoE8EjNS0_10empty_typeEbEEZZNS1_14partition_implILS5_8ELb0ES3_jN6thrust23THRUST_200600_302600_NS6detail15normal_iteratorINSA_10device_ptrIjEEEEPS6_PKS6_NS0_5tupleIJNSA_16discard_iteratorINSA_11use_defaultEEES6_EEENSJ_IJSG_SG_EEENS0_18inequality_wrapperINSA_8equal_toIjEEEEPmJS6_EEE10hipError_tPvRmT3_T4_T5_T6_T7_T9_mT8_P12ihipStream_tbDpT10_ENKUlT_T0_E_clISt17integral_constantIbLb1EES1D_EEDaS18_S19_EUlS18_E_NS1_11comp_targetILNS1_3genE5ELNS1_11target_archE942ELNS1_3gpuE9ELNS1_3repE0EEENS1_30default_config_static_selectorELNS0_4arch9wavefront6targetE1EEEvT1_.numbered_sgpr, 0
	.set _ZN7rocprim17ROCPRIM_400000_NS6detail17trampoline_kernelINS0_14default_configENS1_25partition_config_selectorILNS1_17partition_subalgoE8EjNS0_10empty_typeEbEEZZNS1_14partition_implILS5_8ELb0ES3_jN6thrust23THRUST_200600_302600_NS6detail15normal_iteratorINSA_10device_ptrIjEEEEPS6_PKS6_NS0_5tupleIJNSA_16discard_iteratorINSA_11use_defaultEEES6_EEENSJ_IJSG_SG_EEENS0_18inequality_wrapperINSA_8equal_toIjEEEEPmJS6_EEE10hipError_tPvRmT3_T4_T5_T6_T7_T9_mT8_P12ihipStream_tbDpT10_ENKUlT_T0_E_clISt17integral_constantIbLb1EES1D_EEDaS18_S19_EUlS18_E_NS1_11comp_targetILNS1_3genE5ELNS1_11target_archE942ELNS1_3gpuE9ELNS1_3repE0EEENS1_30default_config_static_selectorELNS0_4arch9wavefront6targetE1EEEvT1_.num_named_barrier, 0
	.set _ZN7rocprim17ROCPRIM_400000_NS6detail17trampoline_kernelINS0_14default_configENS1_25partition_config_selectorILNS1_17partition_subalgoE8EjNS0_10empty_typeEbEEZZNS1_14partition_implILS5_8ELb0ES3_jN6thrust23THRUST_200600_302600_NS6detail15normal_iteratorINSA_10device_ptrIjEEEEPS6_PKS6_NS0_5tupleIJNSA_16discard_iteratorINSA_11use_defaultEEES6_EEENSJ_IJSG_SG_EEENS0_18inequality_wrapperINSA_8equal_toIjEEEEPmJS6_EEE10hipError_tPvRmT3_T4_T5_T6_T7_T9_mT8_P12ihipStream_tbDpT10_ENKUlT_T0_E_clISt17integral_constantIbLb1EES1D_EEDaS18_S19_EUlS18_E_NS1_11comp_targetILNS1_3genE5ELNS1_11target_archE942ELNS1_3gpuE9ELNS1_3repE0EEENS1_30default_config_static_selectorELNS0_4arch9wavefront6targetE1EEEvT1_.private_seg_size, 0
	.set _ZN7rocprim17ROCPRIM_400000_NS6detail17trampoline_kernelINS0_14default_configENS1_25partition_config_selectorILNS1_17partition_subalgoE8EjNS0_10empty_typeEbEEZZNS1_14partition_implILS5_8ELb0ES3_jN6thrust23THRUST_200600_302600_NS6detail15normal_iteratorINSA_10device_ptrIjEEEEPS6_PKS6_NS0_5tupleIJNSA_16discard_iteratorINSA_11use_defaultEEES6_EEENSJ_IJSG_SG_EEENS0_18inequality_wrapperINSA_8equal_toIjEEEEPmJS6_EEE10hipError_tPvRmT3_T4_T5_T6_T7_T9_mT8_P12ihipStream_tbDpT10_ENKUlT_T0_E_clISt17integral_constantIbLb1EES1D_EEDaS18_S19_EUlS18_E_NS1_11comp_targetILNS1_3genE5ELNS1_11target_archE942ELNS1_3gpuE9ELNS1_3repE0EEENS1_30default_config_static_selectorELNS0_4arch9wavefront6targetE1EEEvT1_.uses_vcc, 0
	.set _ZN7rocprim17ROCPRIM_400000_NS6detail17trampoline_kernelINS0_14default_configENS1_25partition_config_selectorILNS1_17partition_subalgoE8EjNS0_10empty_typeEbEEZZNS1_14partition_implILS5_8ELb0ES3_jN6thrust23THRUST_200600_302600_NS6detail15normal_iteratorINSA_10device_ptrIjEEEEPS6_PKS6_NS0_5tupleIJNSA_16discard_iteratorINSA_11use_defaultEEES6_EEENSJ_IJSG_SG_EEENS0_18inequality_wrapperINSA_8equal_toIjEEEEPmJS6_EEE10hipError_tPvRmT3_T4_T5_T6_T7_T9_mT8_P12ihipStream_tbDpT10_ENKUlT_T0_E_clISt17integral_constantIbLb1EES1D_EEDaS18_S19_EUlS18_E_NS1_11comp_targetILNS1_3genE5ELNS1_11target_archE942ELNS1_3gpuE9ELNS1_3repE0EEENS1_30default_config_static_selectorELNS0_4arch9wavefront6targetE1EEEvT1_.uses_flat_scratch, 0
	.set _ZN7rocprim17ROCPRIM_400000_NS6detail17trampoline_kernelINS0_14default_configENS1_25partition_config_selectorILNS1_17partition_subalgoE8EjNS0_10empty_typeEbEEZZNS1_14partition_implILS5_8ELb0ES3_jN6thrust23THRUST_200600_302600_NS6detail15normal_iteratorINSA_10device_ptrIjEEEEPS6_PKS6_NS0_5tupleIJNSA_16discard_iteratorINSA_11use_defaultEEES6_EEENSJ_IJSG_SG_EEENS0_18inequality_wrapperINSA_8equal_toIjEEEEPmJS6_EEE10hipError_tPvRmT3_T4_T5_T6_T7_T9_mT8_P12ihipStream_tbDpT10_ENKUlT_T0_E_clISt17integral_constantIbLb1EES1D_EEDaS18_S19_EUlS18_E_NS1_11comp_targetILNS1_3genE5ELNS1_11target_archE942ELNS1_3gpuE9ELNS1_3repE0EEENS1_30default_config_static_selectorELNS0_4arch9wavefront6targetE1EEEvT1_.has_dyn_sized_stack, 0
	.set _ZN7rocprim17ROCPRIM_400000_NS6detail17trampoline_kernelINS0_14default_configENS1_25partition_config_selectorILNS1_17partition_subalgoE8EjNS0_10empty_typeEbEEZZNS1_14partition_implILS5_8ELb0ES3_jN6thrust23THRUST_200600_302600_NS6detail15normal_iteratorINSA_10device_ptrIjEEEEPS6_PKS6_NS0_5tupleIJNSA_16discard_iteratorINSA_11use_defaultEEES6_EEENSJ_IJSG_SG_EEENS0_18inequality_wrapperINSA_8equal_toIjEEEEPmJS6_EEE10hipError_tPvRmT3_T4_T5_T6_T7_T9_mT8_P12ihipStream_tbDpT10_ENKUlT_T0_E_clISt17integral_constantIbLb1EES1D_EEDaS18_S19_EUlS18_E_NS1_11comp_targetILNS1_3genE5ELNS1_11target_archE942ELNS1_3gpuE9ELNS1_3repE0EEENS1_30default_config_static_selectorELNS0_4arch9wavefront6targetE1EEEvT1_.has_recursion, 0
	.set _ZN7rocprim17ROCPRIM_400000_NS6detail17trampoline_kernelINS0_14default_configENS1_25partition_config_selectorILNS1_17partition_subalgoE8EjNS0_10empty_typeEbEEZZNS1_14partition_implILS5_8ELb0ES3_jN6thrust23THRUST_200600_302600_NS6detail15normal_iteratorINSA_10device_ptrIjEEEEPS6_PKS6_NS0_5tupleIJNSA_16discard_iteratorINSA_11use_defaultEEES6_EEENSJ_IJSG_SG_EEENS0_18inequality_wrapperINSA_8equal_toIjEEEEPmJS6_EEE10hipError_tPvRmT3_T4_T5_T6_T7_T9_mT8_P12ihipStream_tbDpT10_ENKUlT_T0_E_clISt17integral_constantIbLb1EES1D_EEDaS18_S19_EUlS18_E_NS1_11comp_targetILNS1_3genE5ELNS1_11target_archE942ELNS1_3gpuE9ELNS1_3repE0EEENS1_30default_config_static_selectorELNS0_4arch9wavefront6targetE1EEEvT1_.has_indirect_call, 0
	.section	.AMDGPU.csdata,"",@progbits
; Kernel info:
; codeLenInByte = 0
; TotalNumSgprs: 4
; NumVgprs: 0
; ScratchSize: 0
; MemoryBound: 0
; FloatMode: 240
; IeeeMode: 1
; LDSByteSize: 0 bytes/workgroup (compile time only)
; SGPRBlocks: 0
; VGPRBlocks: 0
; NumSGPRsForWavesPerEU: 4
; NumVGPRsForWavesPerEU: 1
; Occupancy: 10
; WaveLimiterHint : 0
; COMPUTE_PGM_RSRC2:SCRATCH_EN: 0
; COMPUTE_PGM_RSRC2:USER_SGPR: 6
; COMPUTE_PGM_RSRC2:TRAP_HANDLER: 0
; COMPUTE_PGM_RSRC2:TGID_X_EN: 1
; COMPUTE_PGM_RSRC2:TGID_Y_EN: 0
; COMPUTE_PGM_RSRC2:TGID_Z_EN: 0
; COMPUTE_PGM_RSRC2:TIDIG_COMP_CNT: 0
	.section	.text._ZN7rocprim17ROCPRIM_400000_NS6detail17trampoline_kernelINS0_14default_configENS1_25partition_config_selectorILNS1_17partition_subalgoE8EjNS0_10empty_typeEbEEZZNS1_14partition_implILS5_8ELb0ES3_jN6thrust23THRUST_200600_302600_NS6detail15normal_iteratorINSA_10device_ptrIjEEEEPS6_PKS6_NS0_5tupleIJNSA_16discard_iteratorINSA_11use_defaultEEES6_EEENSJ_IJSG_SG_EEENS0_18inequality_wrapperINSA_8equal_toIjEEEEPmJS6_EEE10hipError_tPvRmT3_T4_T5_T6_T7_T9_mT8_P12ihipStream_tbDpT10_ENKUlT_T0_E_clISt17integral_constantIbLb1EES1D_EEDaS18_S19_EUlS18_E_NS1_11comp_targetILNS1_3genE4ELNS1_11target_archE910ELNS1_3gpuE8ELNS1_3repE0EEENS1_30default_config_static_selectorELNS0_4arch9wavefront6targetE1EEEvT1_,"axG",@progbits,_ZN7rocprim17ROCPRIM_400000_NS6detail17trampoline_kernelINS0_14default_configENS1_25partition_config_selectorILNS1_17partition_subalgoE8EjNS0_10empty_typeEbEEZZNS1_14partition_implILS5_8ELb0ES3_jN6thrust23THRUST_200600_302600_NS6detail15normal_iteratorINSA_10device_ptrIjEEEEPS6_PKS6_NS0_5tupleIJNSA_16discard_iteratorINSA_11use_defaultEEES6_EEENSJ_IJSG_SG_EEENS0_18inequality_wrapperINSA_8equal_toIjEEEEPmJS6_EEE10hipError_tPvRmT3_T4_T5_T6_T7_T9_mT8_P12ihipStream_tbDpT10_ENKUlT_T0_E_clISt17integral_constantIbLb1EES1D_EEDaS18_S19_EUlS18_E_NS1_11comp_targetILNS1_3genE4ELNS1_11target_archE910ELNS1_3gpuE8ELNS1_3repE0EEENS1_30default_config_static_selectorELNS0_4arch9wavefront6targetE1EEEvT1_,comdat
	.protected	_ZN7rocprim17ROCPRIM_400000_NS6detail17trampoline_kernelINS0_14default_configENS1_25partition_config_selectorILNS1_17partition_subalgoE8EjNS0_10empty_typeEbEEZZNS1_14partition_implILS5_8ELb0ES3_jN6thrust23THRUST_200600_302600_NS6detail15normal_iteratorINSA_10device_ptrIjEEEEPS6_PKS6_NS0_5tupleIJNSA_16discard_iteratorINSA_11use_defaultEEES6_EEENSJ_IJSG_SG_EEENS0_18inequality_wrapperINSA_8equal_toIjEEEEPmJS6_EEE10hipError_tPvRmT3_T4_T5_T6_T7_T9_mT8_P12ihipStream_tbDpT10_ENKUlT_T0_E_clISt17integral_constantIbLb1EES1D_EEDaS18_S19_EUlS18_E_NS1_11comp_targetILNS1_3genE4ELNS1_11target_archE910ELNS1_3gpuE8ELNS1_3repE0EEENS1_30default_config_static_selectorELNS0_4arch9wavefront6targetE1EEEvT1_ ; -- Begin function _ZN7rocprim17ROCPRIM_400000_NS6detail17trampoline_kernelINS0_14default_configENS1_25partition_config_selectorILNS1_17partition_subalgoE8EjNS0_10empty_typeEbEEZZNS1_14partition_implILS5_8ELb0ES3_jN6thrust23THRUST_200600_302600_NS6detail15normal_iteratorINSA_10device_ptrIjEEEEPS6_PKS6_NS0_5tupleIJNSA_16discard_iteratorINSA_11use_defaultEEES6_EEENSJ_IJSG_SG_EEENS0_18inequality_wrapperINSA_8equal_toIjEEEEPmJS6_EEE10hipError_tPvRmT3_T4_T5_T6_T7_T9_mT8_P12ihipStream_tbDpT10_ENKUlT_T0_E_clISt17integral_constantIbLb1EES1D_EEDaS18_S19_EUlS18_E_NS1_11comp_targetILNS1_3genE4ELNS1_11target_archE910ELNS1_3gpuE8ELNS1_3repE0EEENS1_30default_config_static_selectorELNS0_4arch9wavefront6targetE1EEEvT1_
	.globl	_ZN7rocprim17ROCPRIM_400000_NS6detail17trampoline_kernelINS0_14default_configENS1_25partition_config_selectorILNS1_17partition_subalgoE8EjNS0_10empty_typeEbEEZZNS1_14partition_implILS5_8ELb0ES3_jN6thrust23THRUST_200600_302600_NS6detail15normal_iteratorINSA_10device_ptrIjEEEEPS6_PKS6_NS0_5tupleIJNSA_16discard_iteratorINSA_11use_defaultEEES6_EEENSJ_IJSG_SG_EEENS0_18inequality_wrapperINSA_8equal_toIjEEEEPmJS6_EEE10hipError_tPvRmT3_T4_T5_T6_T7_T9_mT8_P12ihipStream_tbDpT10_ENKUlT_T0_E_clISt17integral_constantIbLb1EES1D_EEDaS18_S19_EUlS18_E_NS1_11comp_targetILNS1_3genE4ELNS1_11target_archE910ELNS1_3gpuE8ELNS1_3repE0EEENS1_30default_config_static_selectorELNS0_4arch9wavefront6targetE1EEEvT1_
	.p2align	8
	.type	_ZN7rocprim17ROCPRIM_400000_NS6detail17trampoline_kernelINS0_14default_configENS1_25partition_config_selectorILNS1_17partition_subalgoE8EjNS0_10empty_typeEbEEZZNS1_14partition_implILS5_8ELb0ES3_jN6thrust23THRUST_200600_302600_NS6detail15normal_iteratorINSA_10device_ptrIjEEEEPS6_PKS6_NS0_5tupleIJNSA_16discard_iteratorINSA_11use_defaultEEES6_EEENSJ_IJSG_SG_EEENS0_18inequality_wrapperINSA_8equal_toIjEEEEPmJS6_EEE10hipError_tPvRmT3_T4_T5_T6_T7_T9_mT8_P12ihipStream_tbDpT10_ENKUlT_T0_E_clISt17integral_constantIbLb1EES1D_EEDaS18_S19_EUlS18_E_NS1_11comp_targetILNS1_3genE4ELNS1_11target_archE910ELNS1_3gpuE8ELNS1_3repE0EEENS1_30default_config_static_selectorELNS0_4arch9wavefront6targetE1EEEvT1_,@function
_ZN7rocprim17ROCPRIM_400000_NS6detail17trampoline_kernelINS0_14default_configENS1_25partition_config_selectorILNS1_17partition_subalgoE8EjNS0_10empty_typeEbEEZZNS1_14partition_implILS5_8ELb0ES3_jN6thrust23THRUST_200600_302600_NS6detail15normal_iteratorINSA_10device_ptrIjEEEEPS6_PKS6_NS0_5tupleIJNSA_16discard_iteratorINSA_11use_defaultEEES6_EEENSJ_IJSG_SG_EEENS0_18inequality_wrapperINSA_8equal_toIjEEEEPmJS6_EEE10hipError_tPvRmT3_T4_T5_T6_T7_T9_mT8_P12ihipStream_tbDpT10_ENKUlT_T0_E_clISt17integral_constantIbLb1EES1D_EEDaS18_S19_EUlS18_E_NS1_11comp_targetILNS1_3genE4ELNS1_11target_archE910ELNS1_3gpuE8ELNS1_3repE0EEENS1_30default_config_static_selectorELNS0_4arch9wavefront6targetE1EEEvT1_: ; @_ZN7rocprim17ROCPRIM_400000_NS6detail17trampoline_kernelINS0_14default_configENS1_25partition_config_selectorILNS1_17partition_subalgoE8EjNS0_10empty_typeEbEEZZNS1_14partition_implILS5_8ELb0ES3_jN6thrust23THRUST_200600_302600_NS6detail15normal_iteratorINSA_10device_ptrIjEEEEPS6_PKS6_NS0_5tupleIJNSA_16discard_iteratorINSA_11use_defaultEEES6_EEENSJ_IJSG_SG_EEENS0_18inequality_wrapperINSA_8equal_toIjEEEEPmJS6_EEE10hipError_tPvRmT3_T4_T5_T6_T7_T9_mT8_P12ihipStream_tbDpT10_ENKUlT_T0_E_clISt17integral_constantIbLb1EES1D_EEDaS18_S19_EUlS18_E_NS1_11comp_targetILNS1_3genE4ELNS1_11target_archE910ELNS1_3gpuE8ELNS1_3repE0EEENS1_30default_config_static_selectorELNS0_4arch9wavefront6targetE1EEEvT1_
; %bb.0:
	.section	.rodata,"a",@progbits
	.p2align	6, 0x0
	.amdhsa_kernel _ZN7rocprim17ROCPRIM_400000_NS6detail17trampoline_kernelINS0_14default_configENS1_25partition_config_selectorILNS1_17partition_subalgoE8EjNS0_10empty_typeEbEEZZNS1_14partition_implILS5_8ELb0ES3_jN6thrust23THRUST_200600_302600_NS6detail15normal_iteratorINSA_10device_ptrIjEEEEPS6_PKS6_NS0_5tupleIJNSA_16discard_iteratorINSA_11use_defaultEEES6_EEENSJ_IJSG_SG_EEENS0_18inequality_wrapperINSA_8equal_toIjEEEEPmJS6_EEE10hipError_tPvRmT3_T4_T5_T6_T7_T9_mT8_P12ihipStream_tbDpT10_ENKUlT_T0_E_clISt17integral_constantIbLb1EES1D_EEDaS18_S19_EUlS18_E_NS1_11comp_targetILNS1_3genE4ELNS1_11target_archE910ELNS1_3gpuE8ELNS1_3repE0EEENS1_30default_config_static_selectorELNS0_4arch9wavefront6targetE1EEEvT1_
		.amdhsa_group_segment_fixed_size 0
		.amdhsa_private_segment_fixed_size 0
		.amdhsa_kernarg_size 136
		.amdhsa_user_sgpr_count 6
		.amdhsa_user_sgpr_private_segment_buffer 1
		.amdhsa_user_sgpr_dispatch_ptr 0
		.amdhsa_user_sgpr_queue_ptr 0
		.amdhsa_user_sgpr_kernarg_segment_ptr 1
		.amdhsa_user_sgpr_dispatch_id 0
		.amdhsa_user_sgpr_flat_scratch_init 0
		.amdhsa_user_sgpr_private_segment_size 0
		.amdhsa_uses_dynamic_stack 0
		.amdhsa_system_sgpr_private_segment_wavefront_offset 0
		.amdhsa_system_sgpr_workgroup_id_x 1
		.amdhsa_system_sgpr_workgroup_id_y 0
		.amdhsa_system_sgpr_workgroup_id_z 0
		.amdhsa_system_sgpr_workgroup_info 0
		.amdhsa_system_vgpr_workitem_id 0
		.amdhsa_next_free_vgpr 1
		.amdhsa_next_free_sgpr 0
		.amdhsa_reserve_vcc 0
		.amdhsa_reserve_flat_scratch 0
		.amdhsa_float_round_mode_32 0
		.amdhsa_float_round_mode_16_64 0
		.amdhsa_float_denorm_mode_32 3
		.amdhsa_float_denorm_mode_16_64 3
		.amdhsa_dx10_clamp 1
		.amdhsa_ieee_mode 1
		.amdhsa_fp16_overflow 0
		.amdhsa_exception_fp_ieee_invalid_op 0
		.amdhsa_exception_fp_denorm_src 0
		.amdhsa_exception_fp_ieee_div_zero 0
		.amdhsa_exception_fp_ieee_overflow 0
		.amdhsa_exception_fp_ieee_underflow 0
		.amdhsa_exception_fp_ieee_inexact 0
		.amdhsa_exception_int_div_zero 0
	.end_amdhsa_kernel
	.section	.text._ZN7rocprim17ROCPRIM_400000_NS6detail17trampoline_kernelINS0_14default_configENS1_25partition_config_selectorILNS1_17partition_subalgoE8EjNS0_10empty_typeEbEEZZNS1_14partition_implILS5_8ELb0ES3_jN6thrust23THRUST_200600_302600_NS6detail15normal_iteratorINSA_10device_ptrIjEEEEPS6_PKS6_NS0_5tupleIJNSA_16discard_iteratorINSA_11use_defaultEEES6_EEENSJ_IJSG_SG_EEENS0_18inequality_wrapperINSA_8equal_toIjEEEEPmJS6_EEE10hipError_tPvRmT3_T4_T5_T6_T7_T9_mT8_P12ihipStream_tbDpT10_ENKUlT_T0_E_clISt17integral_constantIbLb1EES1D_EEDaS18_S19_EUlS18_E_NS1_11comp_targetILNS1_3genE4ELNS1_11target_archE910ELNS1_3gpuE8ELNS1_3repE0EEENS1_30default_config_static_selectorELNS0_4arch9wavefront6targetE1EEEvT1_,"axG",@progbits,_ZN7rocprim17ROCPRIM_400000_NS6detail17trampoline_kernelINS0_14default_configENS1_25partition_config_selectorILNS1_17partition_subalgoE8EjNS0_10empty_typeEbEEZZNS1_14partition_implILS5_8ELb0ES3_jN6thrust23THRUST_200600_302600_NS6detail15normal_iteratorINSA_10device_ptrIjEEEEPS6_PKS6_NS0_5tupleIJNSA_16discard_iteratorINSA_11use_defaultEEES6_EEENSJ_IJSG_SG_EEENS0_18inequality_wrapperINSA_8equal_toIjEEEEPmJS6_EEE10hipError_tPvRmT3_T4_T5_T6_T7_T9_mT8_P12ihipStream_tbDpT10_ENKUlT_T0_E_clISt17integral_constantIbLb1EES1D_EEDaS18_S19_EUlS18_E_NS1_11comp_targetILNS1_3genE4ELNS1_11target_archE910ELNS1_3gpuE8ELNS1_3repE0EEENS1_30default_config_static_selectorELNS0_4arch9wavefront6targetE1EEEvT1_,comdat
.Lfunc_end575:
	.size	_ZN7rocprim17ROCPRIM_400000_NS6detail17trampoline_kernelINS0_14default_configENS1_25partition_config_selectorILNS1_17partition_subalgoE8EjNS0_10empty_typeEbEEZZNS1_14partition_implILS5_8ELb0ES3_jN6thrust23THRUST_200600_302600_NS6detail15normal_iteratorINSA_10device_ptrIjEEEEPS6_PKS6_NS0_5tupleIJNSA_16discard_iteratorINSA_11use_defaultEEES6_EEENSJ_IJSG_SG_EEENS0_18inequality_wrapperINSA_8equal_toIjEEEEPmJS6_EEE10hipError_tPvRmT3_T4_T5_T6_T7_T9_mT8_P12ihipStream_tbDpT10_ENKUlT_T0_E_clISt17integral_constantIbLb1EES1D_EEDaS18_S19_EUlS18_E_NS1_11comp_targetILNS1_3genE4ELNS1_11target_archE910ELNS1_3gpuE8ELNS1_3repE0EEENS1_30default_config_static_selectorELNS0_4arch9wavefront6targetE1EEEvT1_, .Lfunc_end575-_ZN7rocprim17ROCPRIM_400000_NS6detail17trampoline_kernelINS0_14default_configENS1_25partition_config_selectorILNS1_17partition_subalgoE8EjNS0_10empty_typeEbEEZZNS1_14partition_implILS5_8ELb0ES3_jN6thrust23THRUST_200600_302600_NS6detail15normal_iteratorINSA_10device_ptrIjEEEEPS6_PKS6_NS0_5tupleIJNSA_16discard_iteratorINSA_11use_defaultEEES6_EEENSJ_IJSG_SG_EEENS0_18inequality_wrapperINSA_8equal_toIjEEEEPmJS6_EEE10hipError_tPvRmT3_T4_T5_T6_T7_T9_mT8_P12ihipStream_tbDpT10_ENKUlT_T0_E_clISt17integral_constantIbLb1EES1D_EEDaS18_S19_EUlS18_E_NS1_11comp_targetILNS1_3genE4ELNS1_11target_archE910ELNS1_3gpuE8ELNS1_3repE0EEENS1_30default_config_static_selectorELNS0_4arch9wavefront6targetE1EEEvT1_
                                        ; -- End function
	.set _ZN7rocprim17ROCPRIM_400000_NS6detail17trampoline_kernelINS0_14default_configENS1_25partition_config_selectorILNS1_17partition_subalgoE8EjNS0_10empty_typeEbEEZZNS1_14partition_implILS5_8ELb0ES3_jN6thrust23THRUST_200600_302600_NS6detail15normal_iteratorINSA_10device_ptrIjEEEEPS6_PKS6_NS0_5tupleIJNSA_16discard_iteratorINSA_11use_defaultEEES6_EEENSJ_IJSG_SG_EEENS0_18inequality_wrapperINSA_8equal_toIjEEEEPmJS6_EEE10hipError_tPvRmT3_T4_T5_T6_T7_T9_mT8_P12ihipStream_tbDpT10_ENKUlT_T0_E_clISt17integral_constantIbLb1EES1D_EEDaS18_S19_EUlS18_E_NS1_11comp_targetILNS1_3genE4ELNS1_11target_archE910ELNS1_3gpuE8ELNS1_3repE0EEENS1_30default_config_static_selectorELNS0_4arch9wavefront6targetE1EEEvT1_.num_vgpr, 0
	.set _ZN7rocprim17ROCPRIM_400000_NS6detail17trampoline_kernelINS0_14default_configENS1_25partition_config_selectorILNS1_17partition_subalgoE8EjNS0_10empty_typeEbEEZZNS1_14partition_implILS5_8ELb0ES3_jN6thrust23THRUST_200600_302600_NS6detail15normal_iteratorINSA_10device_ptrIjEEEEPS6_PKS6_NS0_5tupleIJNSA_16discard_iteratorINSA_11use_defaultEEES6_EEENSJ_IJSG_SG_EEENS0_18inequality_wrapperINSA_8equal_toIjEEEEPmJS6_EEE10hipError_tPvRmT3_T4_T5_T6_T7_T9_mT8_P12ihipStream_tbDpT10_ENKUlT_T0_E_clISt17integral_constantIbLb1EES1D_EEDaS18_S19_EUlS18_E_NS1_11comp_targetILNS1_3genE4ELNS1_11target_archE910ELNS1_3gpuE8ELNS1_3repE0EEENS1_30default_config_static_selectorELNS0_4arch9wavefront6targetE1EEEvT1_.num_agpr, 0
	.set _ZN7rocprim17ROCPRIM_400000_NS6detail17trampoline_kernelINS0_14default_configENS1_25partition_config_selectorILNS1_17partition_subalgoE8EjNS0_10empty_typeEbEEZZNS1_14partition_implILS5_8ELb0ES3_jN6thrust23THRUST_200600_302600_NS6detail15normal_iteratorINSA_10device_ptrIjEEEEPS6_PKS6_NS0_5tupleIJNSA_16discard_iteratorINSA_11use_defaultEEES6_EEENSJ_IJSG_SG_EEENS0_18inequality_wrapperINSA_8equal_toIjEEEEPmJS6_EEE10hipError_tPvRmT3_T4_T5_T6_T7_T9_mT8_P12ihipStream_tbDpT10_ENKUlT_T0_E_clISt17integral_constantIbLb1EES1D_EEDaS18_S19_EUlS18_E_NS1_11comp_targetILNS1_3genE4ELNS1_11target_archE910ELNS1_3gpuE8ELNS1_3repE0EEENS1_30default_config_static_selectorELNS0_4arch9wavefront6targetE1EEEvT1_.numbered_sgpr, 0
	.set _ZN7rocprim17ROCPRIM_400000_NS6detail17trampoline_kernelINS0_14default_configENS1_25partition_config_selectorILNS1_17partition_subalgoE8EjNS0_10empty_typeEbEEZZNS1_14partition_implILS5_8ELb0ES3_jN6thrust23THRUST_200600_302600_NS6detail15normal_iteratorINSA_10device_ptrIjEEEEPS6_PKS6_NS0_5tupleIJNSA_16discard_iteratorINSA_11use_defaultEEES6_EEENSJ_IJSG_SG_EEENS0_18inequality_wrapperINSA_8equal_toIjEEEEPmJS6_EEE10hipError_tPvRmT3_T4_T5_T6_T7_T9_mT8_P12ihipStream_tbDpT10_ENKUlT_T0_E_clISt17integral_constantIbLb1EES1D_EEDaS18_S19_EUlS18_E_NS1_11comp_targetILNS1_3genE4ELNS1_11target_archE910ELNS1_3gpuE8ELNS1_3repE0EEENS1_30default_config_static_selectorELNS0_4arch9wavefront6targetE1EEEvT1_.num_named_barrier, 0
	.set _ZN7rocprim17ROCPRIM_400000_NS6detail17trampoline_kernelINS0_14default_configENS1_25partition_config_selectorILNS1_17partition_subalgoE8EjNS0_10empty_typeEbEEZZNS1_14partition_implILS5_8ELb0ES3_jN6thrust23THRUST_200600_302600_NS6detail15normal_iteratorINSA_10device_ptrIjEEEEPS6_PKS6_NS0_5tupleIJNSA_16discard_iteratorINSA_11use_defaultEEES6_EEENSJ_IJSG_SG_EEENS0_18inequality_wrapperINSA_8equal_toIjEEEEPmJS6_EEE10hipError_tPvRmT3_T4_T5_T6_T7_T9_mT8_P12ihipStream_tbDpT10_ENKUlT_T0_E_clISt17integral_constantIbLb1EES1D_EEDaS18_S19_EUlS18_E_NS1_11comp_targetILNS1_3genE4ELNS1_11target_archE910ELNS1_3gpuE8ELNS1_3repE0EEENS1_30default_config_static_selectorELNS0_4arch9wavefront6targetE1EEEvT1_.private_seg_size, 0
	.set _ZN7rocprim17ROCPRIM_400000_NS6detail17trampoline_kernelINS0_14default_configENS1_25partition_config_selectorILNS1_17partition_subalgoE8EjNS0_10empty_typeEbEEZZNS1_14partition_implILS5_8ELb0ES3_jN6thrust23THRUST_200600_302600_NS6detail15normal_iteratorINSA_10device_ptrIjEEEEPS6_PKS6_NS0_5tupleIJNSA_16discard_iteratorINSA_11use_defaultEEES6_EEENSJ_IJSG_SG_EEENS0_18inequality_wrapperINSA_8equal_toIjEEEEPmJS6_EEE10hipError_tPvRmT3_T4_T5_T6_T7_T9_mT8_P12ihipStream_tbDpT10_ENKUlT_T0_E_clISt17integral_constantIbLb1EES1D_EEDaS18_S19_EUlS18_E_NS1_11comp_targetILNS1_3genE4ELNS1_11target_archE910ELNS1_3gpuE8ELNS1_3repE0EEENS1_30default_config_static_selectorELNS0_4arch9wavefront6targetE1EEEvT1_.uses_vcc, 0
	.set _ZN7rocprim17ROCPRIM_400000_NS6detail17trampoline_kernelINS0_14default_configENS1_25partition_config_selectorILNS1_17partition_subalgoE8EjNS0_10empty_typeEbEEZZNS1_14partition_implILS5_8ELb0ES3_jN6thrust23THRUST_200600_302600_NS6detail15normal_iteratorINSA_10device_ptrIjEEEEPS6_PKS6_NS0_5tupleIJNSA_16discard_iteratorINSA_11use_defaultEEES6_EEENSJ_IJSG_SG_EEENS0_18inequality_wrapperINSA_8equal_toIjEEEEPmJS6_EEE10hipError_tPvRmT3_T4_T5_T6_T7_T9_mT8_P12ihipStream_tbDpT10_ENKUlT_T0_E_clISt17integral_constantIbLb1EES1D_EEDaS18_S19_EUlS18_E_NS1_11comp_targetILNS1_3genE4ELNS1_11target_archE910ELNS1_3gpuE8ELNS1_3repE0EEENS1_30default_config_static_selectorELNS0_4arch9wavefront6targetE1EEEvT1_.uses_flat_scratch, 0
	.set _ZN7rocprim17ROCPRIM_400000_NS6detail17trampoline_kernelINS0_14default_configENS1_25partition_config_selectorILNS1_17partition_subalgoE8EjNS0_10empty_typeEbEEZZNS1_14partition_implILS5_8ELb0ES3_jN6thrust23THRUST_200600_302600_NS6detail15normal_iteratorINSA_10device_ptrIjEEEEPS6_PKS6_NS0_5tupleIJNSA_16discard_iteratorINSA_11use_defaultEEES6_EEENSJ_IJSG_SG_EEENS0_18inequality_wrapperINSA_8equal_toIjEEEEPmJS6_EEE10hipError_tPvRmT3_T4_T5_T6_T7_T9_mT8_P12ihipStream_tbDpT10_ENKUlT_T0_E_clISt17integral_constantIbLb1EES1D_EEDaS18_S19_EUlS18_E_NS1_11comp_targetILNS1_3genE4ELNS1_11target_archE910ELNS1_3gpuE8ELNS1_3repE0EEENS1_30default_config_static_selectorELNS0_4arch9wavefront6targetE1EEEvT1_.has_dyn_sized_stack, 0
	.set _ZN7rocprim17ROCPRIM_400000_NS6detail17trampoline_kernelINS0_14default_configENS1_25partition_config_selectorILNS1_17partition_subalgoE8EjNS0_10empty_typeEbEEZZNS1_14partition_implILS5_8ELb0ES3_jN6thrust23THRUST_200600_302600_NS6detail15normal_iteratorINSA_10device_ptrIjEEEEPS6_PKS6_NS0_5tupleIJNSA_16discard_iteratorINSA_11use_defaultEEES6_EEENSJ_IJSG_SG_EEENS0_18inequality_wrapperINSA_8equal_toIjEEEEPmJS6_EEE10hipError_tPvRmT3_T4_T5_T6_T7_T9_mT8_P12ihipStream_tbDpT10_ENKUlT_T0_E_clISt17integral_constantIbLb1EES1D_EEDaS18_S19_EUlS18_E_NS1_11comp_targetILNS1_3genE4ELNS1_11target_archE910ELNS1_3gpuE8ELNS1_3repE0EEENS1_30default_config_static_selectorELNS0_4arch9wavefront6targetE1EEEvT1_.has_recursion, 0
	.set _ZN7rocprim17ROCPRIM_400000_NS6detail17trampoline_kernelINS0_14default_configENS1_25partition_config_selectorILNS1_17partition_subalgoE8EjNS0_10empty_typeEbEEZZNS1_14partition_implILS5_8ELb0ES3_jN6thrust23THRUST_200600_302600_NS6detail15normal_iteratorINSA_10device_ptrIjEEEEPS6_PKS6_NS0_5tupleIJNSA_16discard_iteratorINSA_11use_defaultEEES6_EEENSJ_IJSG_SG_EEENS0_18inequality_wrapperINSA_8equal_toIjEEEEPmJS6_EEE10hipError_tPvRmT3_T4_T5_T6_T7_T9_mT8_P12ihipStream_tbDpT10_ENKUlT_T0_E_clISt17integral_constantIbLb1EES1D_EEDaS18_S19_EUlS18_E_NS1_11comp_targetILNS1_3genE4ELNS1_11target_archE910ELNS1_3gpuE8ELNS1_3repE0EEENS1_30default_config_static_selectorELNS0_4arch9wavefront6targetE1EEEvT1_.has_indirect_call, 0
	.section	.AMDGPU.csdata,"",@progbits
; Kernel info:
; codeLenInByte = 0
; TotalNumSgprs: 4
; NumVgprs: 0
; ScratchSize: 0
; MemoryBound: 0
; FloatMode: 240
; IeeeMode: 1
; LDSByteSize: 0 bytes/workgroup (compile time only)
; SGPRBlocks: 0
; VGPRBlocks: 0
; NumSGPRsForWavesPerEU: 4
; NumVGPRsForWavesPerEU: 1
; Occupancy: 10
; WaveLimiterHint : 0
; COMPUTE_PGM_RSRC2:SCRATCH_EN: 0
; COMPUTE_PGM_RSRC2:USER_SGPR: 6
; COMPUTE_PGM_RSRC2:TRAP_HANDLER: 0
; COMPUTE_PGM_RSRC2:TGID_X_EN: 1
; COMPUTE_PGM_RSRC2:TGID_Y_EN: 0
; COMPUTE_PGM_RSRC2:TGID_Z_EN: 0
; COMPUTE_PGM_RSRC2:TIDIG_COMP_CNT: 0
	.section	.text._ZN7rocprim17ROCPRIM_400000_NS6detail17trampoline_kernelINS0_14default_configENS1_25partition_config_selectorILNS1_17partition_subalgoE8EjNS0_10empty_typeEbEEZZNS1_14partition_implILS5_8ELb0ES3_jN6thrust23THRUST_200600_302600_NS6detail15normal_iteratorINSA_10device_ptrIjEEEEPS6_PKS6_NS0_5tupleIJNSA_16discard_iteratorINSA_11use_defaultEEES6_EEENSJ_IJSG_SG_EEENS0_18inequality_wrapperINSA_8equal_toIjEEEEPmJS6_EEE10hipError_tPvRmT3_T4_T5_T6_T7_T9_mT8_P12ihipStream_tbDpT10_ENKUlT_T0_E_clISt17integral_constantIbLb1EES1D_EEDaS18_S19_EUlS18_E_NS1_11comp_targetILNS1_3genE3ELNS1_11target_archE908ELNS1_3gpuE7ELNS1_3repE0EEENS1_30default_config_static_selectorELNS0_4arch9wavefront6targetE1EEEvT1_,"axG",@progbits,_ZN7rocprim17ROCPRIM_400000_NS6detail17trampoline_kernelINS0_14default_configENS1_25partition_config_selectorILNS1_17partition_subalgoE8EjNS0_10empty_typeEbEEZZNS1_14partition_implILS5_8ELb0ES3_jN6thrust23THRUST_200600_302600_NS6detail15normal_iteratorINSA_10device_ptrIjEEEEPS6_PKS6_NS0_5tupleIJNSA_16discard_iteratorINSA_11use_defaultEEES6_EEENSJ_IJSG_SG_EEENS0_18inequality_wrapperINSA_8equal_toIjEEEEPmJS6_EEE10hipError_tPvRmT3_T4_T5_T6_T7_T9_mT8_P12ihipStream_tbDpT10_ENKUlT_T0_E_clISt17integral_constantIbLb1EES1D_EEDaS18_S19_EUlS18_E_NS1_11comp_targetILNS1_3genE3ELNS1_11target_archE908ELNS1_3gpuE7ELNS1_3repE0EEENS1_30default_config_static_selectorELNS0_4arch9wavefront6targetE1EEEvT1_,comdat
	.protected	_ZN7rocprim17ROCPRIM_400000_NS6detail17trampoline_kernelINS0_14default_configENS1_25partition_config_selectorILNS1_17partition_subalgoE8EjNS0_10empty_typeEbEEZZNS1_14partition_implILS5_8ELb0ES3_jN6thrust23THRUST_200600_302600_NS6detail15normal_iteratorINSA_10device_ptrIjEEEEPS6_PKS6_NS0_5tupleIJNSA_16discard_iteratorINSA_11use_defaultEEES6_EEENSJ_IJSG_SG_EEENS0_18inequality_wrapperINSA_8equal_toIjEEEEPmJS6_EEE10hipError_tPvRmT3_T4_T5_T6_T7_T9_mT8_P12ihipStream_tbDpT10_ENKUlT_T0_E_clISt17integral_constantIbLb1EES1D_EEDaS18_S19_EUlS18_E_NS1_11comp_targetILNS1_3genE3ELNS1_11target_archE908ELNS1_3gpuE7ELNS1_3repE0EEENS1_30default_config_static_selectorELNS0_4arch9wavefront6targetE1EEEvT1_ ; -- Begin function _ZN7rocprim17ROCPRIM_400000_NS6detail17trampoline_kernelINS0_14default_configENS1_25partition_config_selectorILNS1_17partition_subalgoE8EjNS0_10empty_typeEbEEZZNS1_14partition_implILS5_8ELb0ES3_jN6thrust23THRUST_200600_302600_NS6detail15normal_iteratorINSA_10device_ptrIjEEEEPS6_PKS6_NS0_5tupleIJNSA_16discard_iteratorINSA_11use_defaultEEES6_EEENSJ_IJSG_SG_EEENS0_18inequality_wrapperINSA_8equal_toIjEEEEPmJS6_EEE10hipError_tPvRmT3_T4_T5_T6_T7_T9_mT8_P12ihipStream_tbDpT10_ENKUlT_T0_E_clISt17integral_constantIbLb1EES1D_EEDaS18_S19_EUlS18_E_NS1_11comp_targetILNS1_3genE3ELNS1_11target_archE908ELNS1_3gpuE7ELNS1_3repE0EEENS1_30default_config_static_selectorELNS0_4arch9wavefront6targetE1EEEvT1_
	.globl	_ZN7rocprim17ROCPRIM_400000_NS6detail17trampoline_kernelINS0_14default_configENS1_25partition_config_selectorILNS1_17partition_subalgoE8EjNS0_10empty_typeEbEEZZNS1_14partition_implILS5_8ELb0ES3_jN6thrust23THRUST_200600_302600_NS6detail15normal_iteratorINSA_10device_ptrIjEEEEPS6_PKS6_NS0_5tupleIJNSA_16discard_iteratorINSA_11use_defaultEEES6_EEENSJ_IJSG_SG_EEENS0_18inequality_wrapperINSA_8equal_toIjEEEEPmJS6_EEE10hipError_tPvRmT3_T4_T5_T6_T7_T9_mT8_P12ihipStream_tbDpT10_ENKUlT_T0_E_clISt17integral_constantIbLb1EES1D_EEDaS18_S19_EUlS18_E_NS1_11comp_targetILNS1_3genE3ELNS1_11target_archE908ELNS1_3gpuE7ELNS1_3repE0EEENS1_30default_config_static_selectorELNS0_4arch9wavefront6targetE1EEEvT1_
	.p2align	8
	.type	_ZN7rocprim17ROCPRIM_400000_NS6detail17trampoline_kernelINS0_14default_configENS1_25partition_config_selectorILNS1_17partition_subalgoE8EjNS0_10empty_typeEbEEZZNS1_14partition_implILS5_8ELb0ES3_jN6thrust23THRUST_200600_302600_NS6detail15normal_iteratorINSA_10device_ptrIjEEEEPS6_PKS6_NS0_5tupleIJNSA_16discard_iteratorINSA_11use_defaultEEES6_EEENSJ_IJSG_SG_EEENS0_18inequality_wrapperINSA_8equal_toIjEEEEPmJS6_EEE10hipError_tPvRmT3_T4_T5_T6_T7_T9_mT8_P12ihipStream_tbDpT10_ENKUlT_T0_E_clISt17integral_constantIbLb1EES1D_EEDaS18_S19_EUlS18_E_NS1_11comp_targetILNS1_3genE3ELNS1_11target_archE908ELNS1_3gpuE7ELNS1_3repE0EEENS1_30default_config_static_selectorELNS0_4arch9wavefront6targetE1EEEvT1_,@function
_ZN7rocprim17ROCPRIM_400000_NS6detail17trampoline_kernelINS0_14default_configENS1_25partition_config_selectorILNS1_17partition_subalgoE8EjNS0_10empty_typeEbEEZZNS1_14partition_implILS5_8ELb0ES3_jN6thrust23THRUST_200600_302600_NS6detail15normal_iteratorINSA_10device_ptrIjEEEEPS6_PKS6_NS0_5tupleIJNSA_16discard_iteratorINSA_11use_defaultEEES6_EEENSJ_IJSG_SG_EEENS0_18inequality_wrapperINSA_8equal_toIjEEEEPmJS6_EEE10hipError_tPvRmT3_T4_T5_T6_T7_T9_mT8_P12ihipStream_tbDpT10_ENKUlT_T0_E_clISt17integral_constantIbLb1EES1D_EEDaS18_S19_EUlS18_E_NS1_11comp_targetILNS1_3genE3ELNS1_11target_archE908ELNS1_3gpuE7ELNS1_3repE0EEENS1_30default_config_static_selectorELNS0_4arch9wavefront6targetE1EEEvT1_: ; @_ZN7rocprim17ROCPRIM_400000_NS6detail17trampoline_kernelINS0_14default_configENS1_25partition_config_selectorILNS1_17partition_subalgoE8EjNS0_10empty_typeEbEEZZNS1_14partition_implILS5_8ELb0ES3_jN6thrust23THRUST_200600_302600_NS6detail15normal_iteratorINSA_10device_ptrIjEEEEPS6_PKS6_NS0_5tupleIJNSA_16discard_iteratorINSA_11use_defaultEEES6_EEENSJ_IJSG_SG_EEENS0_18inequality_wrapperINSA_8equal_toIjEEEEPmJS6_EEE10hipError_tPvRmT3_T4_T5_T6_T7_T9_mT8_P12ihipStream_tbDpT10_ENKUlT_T0_E_clISt17integral_constantIbLb1EES1D_EEDaS18_S19_EUlS18_E_NS1_11comp_targetILNS1_3genE3ELNS1_11target_archE908ELNS1_3gpuE7ELNS1_3repE0EEENS1_30default_config_static_selectorELNS0_4arch9wavefront6targetE1EEEvT1_
; %bb.0:
	.section	.rodata,"a",@progbits
	.p2align	6, 0x0
	.amdhsa_kernel _ZN7rocprim17ROCPRIM_400000_NS6detail17trampoline_kernelINS0_14default_configENS1_25partition_config_selectorILNS1_17partition_subalgoE8EjNS0_10empty_typeEbEEZZNS1_14partition_implILS5_8ELb0ES3_jN6thrust23THRUST_200600_302600_NS6detail15normal_iteratorINSA_10device_ptrIjEEEEPS6_PKS6_NS0_5tupleIJNSA_16discard_iteratorINSA_11use_defaultEEES6_EEENSJ_IJSG_SG_EEENS0_18inequality_wrapperINSA_8equal_toIjEEEEPmJS6_EEE10hipError_tPvRmT3_T4_T5_T6_T7_T9_mT8_P12ihipStream_tbDpT10_ENKUlT_T0_E_clISt17integral_constantIbLb1EES1D_EEDaS18_S19_EUlS18_E_NS1_11comp_targetILNS1_3genE3ELNS1_11target_archE908ELNS1_3gpuE7ELNS1_3repE0EEENS1_30default_config_static_selectorELNS0_4arch9wavefront6targetE1EEEvT1_
		.amdhsa_group_segment_fixed_size 0
		.amdhsa_private_segment_fixed_size 0
		.amdhsa_kernarg_size 136
		.amdhsa_user_sgpr_count 6
		.amdhsa_user_sgpr_private_segment_buffer 1
		.amdhsa_user_sgpr_dispatch_ptr 0
		.amdhsa_user_sgpr_queue_ptr 0
		.amdhsa_user_sgpr_kernarg_segment_ptr 1
		.amdhsa_user_sgpr_dispatch_id 0
		.amdhsa_user_sgpr_flat_scratch_init 0
		.amdhsa_user_sgpr_private_segment_size 0
		.amdhsa_uses_dynamic_stack 0
		.amdhsa_system_sgpr_private_segment_wavefront_offset 0
		.amdhsa_system_sgpr_workgroup_id_x 1
		.amdhsa_system_sgpr_workgroup_id_y 0
		.amdhsa_system_sgpr_workgroup_id_z 0
		.amdhsa_system_sgpr_workgroup_info 0
		.amdhsa_system_vgpr_workitem_id 0
		.amdhsa_next_free_vgpr 1
		.amdhsa_next_free_sgpr 0
		.amdhsa_reserve_vcc 0
		.amdhsa_reserve_flat_scratch 0
		.amdhsa_float_round_mode_32 0
		.amdhsa_float_round_mode_16_64 0
		.amdhsa_float_denorm_mode_32 3
		.amdhsa_float_denorm_mode_16_64 3
		.amdhsa_dx10_clamp 1
		.amdhsa_ieee_mode 1
		.amdhsa_fp16_overflow 0
		.amdhsa_exception_fp_ieee_invalid_op 0
		.amdhsa_exception_fp_denorm_src 0
		.amdhsa_exception_fp_ieee_div_zero 0
		.amdhsa_exception_fp_ieee_overflow 0
		.amdhsa_exception_fp_ieee_underflow 0
		.amdhsa_exception_fp_ieee_inexact 0
		.amdhsa_exception_int_div_zero 0
	.end_amdhsa_kernel
	.section	.text._ZN7rocprim17ROCPRIM_400000_NS6detail17trampoline_kernelINS0_14default_configENS1_25partition_config_selectorILNS1_17partition_subalgoE8EjNS0_10empty_typeEbEEZZNS1_14partition_implILS5_8ELb0ES3_jN6thrust23THRUST_200600_302600_NS6detail15normal_iteratorINSA_10device_ptrIjEEEEPS6_PKS6_NS0_5tupleIJNSA_16discard_iteratorINSA_11use_defaultEEES6_EEENSJ_IJSG_SG_EEENS0_18inequality_wrapperINSA_8equal_toIjEEEEPmJS6_EEE10hipError_tPvRmT3_T4_T5_T6_T7_T9_mT8_P12ihipStream_tbDpT10_ENKUlT_T0_E_clISt17integral_constantIbLb1EES1D_EEDaS18_S19_EUlS18_E_NS1_11comp_targetILNS1_3genE3ELNS1_11target_archE908ELNS1_3gpuE7ELNS1_3repE0EEENS1_30default_config_static_selectorELNS0_4arch9wavefront6targetE1EEEvT1_,"axG",@progbits,_ZN7rocprim17ROCPRIM_400000_NS6detail17trampoline_kernelINS0_14default_configENS1_25partition_config_selectorILNS1_17partition_subalgoE8EjNS0_10empty_typeEbEEZZNS1_14partition_implILS5_8ELb0ES3_jN6thrust23THRUST_200600_302600_NS6detail15normal_iteratorINSA_10device_ptrIjEEEEPS6_PKS6_NS0_5tupleIJNSA_16discard_iteratorINSA_11use_defaultEEES6_EEENSJ_IJSG_SG_EEENS0_18inequality_wrapperINSA_8equal_toIjEEEEPmJS6_EEE10hipError_tPvRmT3_T4_T5_T6_T7_T9_mT8_P12ihipStream_tbDpT10_ENKUlT_T0_E_clISt17integral_constantIbLb1EES1D_EEDaS18_S19_EUlS18_E_NS1_11comp_targetILNS1_3genE3ELNS1_11target_archE908ELNS1_3gpuE7ELNS1_3repE0EEENS1_30default_config_static_selectorELNS0_4arch9wavefront6targetE1EEEvT1_,comdat
.Lfunc_end576:
	.size	_ZN7rocprim17ROCPRIM_400000_NS6detail17trampoline_kernelINS0_14default_configENS1_25partition_config_selectorILNS1_17partition_subalgoE8EjNS0_10empty_typeEbEEZZNS1_14partition_implILS5_8ELb0ES3_jN6thrust23THRUST_200600_302600_NS6detail15normal_iteratorINSA_10device_ptrIjEEEEPS6_PKS6_NS0_5tupleIJNSA_16discard_iteratorINSA_11use_defaultEEES6_EEENSJ_IJSG_SG_EEENS0_18inequality_wrapperINSA_8equal_toIjEEEEPmJS6_EEE10hipError_tPvRmT3_T4_T5_T6_T7_T9_mT8_P12ihipStream_tbDpT10_ENKUlT_T0_E_clISt17integral_constantIbLb1EES1D_EEDaS18_S19_EUlS18_E_NS1_11comp_targetILNS1_3genE3ELNS1_11target_archE908ELNS1_3gpuE7ELNS1_3repE0EEENS1_30default_config_static_selectorELNS0_4arch9wavefront6targetE1EEEvT1_, .Lfunc_end576-_ZN7rocprim17ROCPRIM_400000_NS6detail17trampoline_kernelINS0_14default_configENS1_25partition_config_selectorILNS1_17partition_subalgoE8EjNS0_10empty_typeEbEEZZNS1_14partition_implILS5_8ELb0ES3_jN6thrust23THRUST_200600_302600_NS6detail15normal_iteratorINSA_10device_ptrIjEEEEPS6_PKS6_NS0_5tupleIJNSA_16discard_iteratorINSA_11use_defaultEEES6_EEENSJ_IJSG_SG_EEENS0_18inequality_wrapperINSA_8equal_toIjEEEEPmJS6_EEE10hipError_tPvRmT3_T4_T5_T6_T7_T9_mT8_P12ihipStream_tbDpT10_ENKUlT_T0_E_clISt17integral_constantIbLb1EES1D_EEDaS18_S19_EUlS18_E_NS1_11comp_targetILNS1_3genE3ELNS1_11target_archE908ELNS1_3gpuE7ELNS1_3repE0EEENS1_30default_config_static_selectorELNS0_4arch9wavefront6targetE1EEEvT1_
                                        ; -- End function
	.set _ZN7rocprim17ROCPRIM_400000_NS6detail17trampoline_kernelINS0_14default_configENS1_25partition_config_selectorILNS1_17partition_subalgoE8EjNS0_10empty_typeEbEEZZNS1_14partition_implILS5_8ELb0ES3_jN6thrust23THRUST_200600_302600_NS6detail15normal_iteratorINSA_10device_ptrIjEEEEPS6_PKS6_NS0_5tupleIJNSA_16discard_iteratorINSA_11use_defaultEEES6_EEENSJ_IJSG_SG_EEENS0_18inequality_wrapperINSA_8equal_toIjEEEEPmJS6_EEE10hipError_tPvRmT3_T4_T5_T6_T7_T9_mT8_P12ihipStream_tbDpT10_ENKUlT_T0_E_clISt17integral_constantIbLb1EES1D_EEDaS18_S19_EUlS18_E_NS1_11comp_targetILNS1_3genE3ELNS1_11target_archE908ELNS1_3gpuE7ELNS1_3repE0EEENS1_30default_config_static_selectorELNS0_4arch9wavefront6targetE1EEEvT1_.num_vgpr, 0
	.set _ZN7rocprim17ROCPRIM_400000_NS6detail17trampoline_kernelINS0_14default_configENS1_25partition_config_selectorILNS1_17partition_subalgoE8EjNS0_10empty_typeEbEEZZNS1_14partition_implILS5_8ELb0ES3_jN6thrust23THRUST_200600_302600_NS6detail15normal_iteratorINSA_10device_ptrIjEEEEPS6_PKS6_NS0_5tupleIJNSA_16discard_iteratorINSA_11use_defaultEEES6_EEENSJ_IJSG_SG_EEENS0_18inequality_wrapperINSA_8equal_toIjEEEEPmJS6_EEE10hipError_tPvRmT3_T4_T5_T6_T7_T9_mT8_P12ihipStream_tbDpT10_ENKUlT_T0_E_clISt17integral_constantIbLb1EES1D_EEDaS18_S19_EUlS18_E_NS1_11comp_targetILNS1_3genE3ELNS1_11target_archE908ELNS1_3gpuE7ELNS1_3repE0EEENS1_30default_config_static_selectorELNS0_4arch9wavefront6targetE1EEEvT1_.num_agpr, 0
	.set _ZN7rocprim17ROCPRIM_400000_NS6detail17trampoline_kernelINS0_14default_configENS1_25partition_config_selectorILNS1_17partition_subalgoE8EjNS0_10empty_typeEbEEZZNS1_14partition_implILS5_8ELb0ES3_jN6thrust23THRUST_200600_302600_NS6detail15normal_iteratorINSA_10device_ptrIjEEEEPS6_PKS6_NS0_5tupleIJNSA_16discard_iteratorINSA_11use_defaultEEES6_EEENSJ_IJSG_SG_EEENS0_18inequality_wrapperINSA_8equal_toIjEEEEPmJS6_EEE10hipError_tPvRmT3_T4_T5_T6_T7_T9_mT8_P12ihipStream_tbDpT10_ENKUlT_T0_E_clISt17integral_constantIbLb1EES1D_EEDaS18_S19_EUlS18_E_NS1_11comp_targetILNS1_3genE3ELNS1_11target_archE908ELNS1_3gpuE7ELNS1_3repE0EEENS1_30default_config_static_selectorELNS0_4arch9wavefront6targetE1EEEvT1_.numbered_sgpr, 0
	.set _ZN7rocprim17ROCPRIM_400000_NS6detail17trampoline_kernelINS0_14default_configENS1_25partition_config_selectorILNS1_17partition_subalgoE8EjNS0_10empty_typeEbEEZZNS1_14partition_implILS5_8ELb0ES3_jN6thrust23THRUST_200600_302600_NS6detail15normal_iteratorINSA_10device_ptrIjEEEEPS6_PKS6_NS0_5tupleIJNSA_16discard_iteratorINSA_11use_defaultEEES6_EEENSJ_IJSG_SG_EEENS0_18inequality_wrapperINSA_8equal_toIjEEEEPmJS6_EEE10hipError_tPvRmT3_T4_T5_T6_T7_T9_mT8_P12ihipStream_tbDpT10_ENKUlT_T0_E_clISt17integral_constantIbLb1EES1D_EEDaS18_S19_EUlS18_E_NS1_11comp_targetILNS1_3genE3ELNS1_11target_archE908ELNS1_3gpuE7ELNS1_3repE0EEENS1_30default_config_static_selectorELNS0_4arch9wavefront6targetE1EEEvT1_.num_named_barrier, 0
	.set _ZN7rocprim17ROCPRIM_400000_NS6detail17trampoline_kernelINS0_14default_configENS1_25partition_config_selectorILNS1_17partition_subalgoE8EjNS0_10empty_typeEbEEZZNS1_14partition_implILS5_8ELb0ES3_jN6thrust23THRUST_200600_302600_NS6detail15normal_iteratorINSA_10device_ptrIjEEEEPS6_PKS6_NS0_5tupleIJNSA_16discard_iteratorINSA_11use_defaultEEES6_EEENSJ_IJSG_SG_EEENS0_18inequality_wrapperINSA_8equal_toIjEEEEPmJS6_EEE10hipError_tPvRmT3_T4_T5_T6_T7_T9_mT8_P12ihipStream_tbDpT10_ENKUlT_T0_E_clISt17integral_constantIbLb1EES1D_EEDaS18_S19_EUlS18_E_NS1_11comp_targetILNS1_3genE3ELNS1_11target_archE908ELNS1_3gpuE7ELNS1_3repE0EEENS1_30default_config_static_selectorELNS0_4arch9wavefront6targetE1EEEvT1_.private_seg_size, 0
	.set _ZN7rocprim17ROCPRIM_400000_NS6detail17trampoline_kernelINS0_14default_configENS1_25partition_config_selectorILNS1_17partition_subalgoE8EjNS0_10empty_typeEbEEZZNS1_14partition_implILS5_8ELb0ES3_jN6thrust23THRUST_200600_302600_NS6detail15normal_iteratorINSA_10device_ptrIjEEEEPS6_PKS6_NS0_5tupleIJNSA_16discard_iteratorINSA_11use_defaultEEES6_EEENSJ_IJSG_SG_EEENS0_18inequality_wrapperINSA_8equal_toIjEEEEPmJS6_EEE10hipError_tPvRmT3_T4_T5_T6_T7_T9_mT8_P12ihipStream_tbDpT10_ENKUlT_T0_E_clISt17integral_constantIbLb1EES1D_EEDaS18_S19_EUlS18_E_NS1_11comp_targetILNS1_3genE3ELNS1_11target_archE908ELNS1_3gpuE7ELNS1_3repE0EEENS1_30default_config_static_selectorELNS0_4arch9wavefront6targetE1EEEvT1_.uses_vcc, 0
	.set _ZN7rocprim17ROCPRIM_400000_NS6detail17trampoline_kernelINS0_14default_configENS1_25partition_config_selectorILNS1_17partition_subalgoE8EjNS0_10empty_typeEbEEZZNS1_14partition_implILS5_8ELb0ES3_jN6thrust23THRUST_200600_302600_NS6detail15normal_iteratorINSA_10device_ptrIjEEEEPS6_PKS6_NS0_5tupleIJNSA_16discard_iteratorINSA_11use_defaultEEES6_EEENSJ_IJSG_SG_EEENS0_18inequality_wrapperINSA_8equal_toIjEEEEPmJS6_EEE10hipError_tPvRmT3_T4_T5_T6_T7_T9_mT8_P12ihipStream_tbDpT10_ENKUlT_T0_E_clISt17integral_constantIbLb1EES1D_EEDaS18_S19_EUlS18_E_NS1_11comp_targetILNS1_3genE3ELNS1_11target_archE908ELNS1_3gpuE7ELNS1_3repE0EEENS1_30default_config_static_selectorELNS0_4arch9wavefront6targetE1EEEvT1_.uses_flat_scratch, 0
	.set _ZN7rocprim17ROCPRIM_400000_NS6detail17trampoline_kernelINS0_14default_configENS1_25partition_config_selectorILNS1_17partition_subalgoE8EjNS0_10empty_typeEbEEZZNS1_14partition_implILS5_8ELb0ES3_jN6thrust23THRUST_200600_302600_NS6detail15normal_iteratorINSA_10device_ptrIjEEEEPS6_PKS6_NS0_5tupleIJNSA_16discard_iteratorINSA_11use_defaultEEES6_EEENSJ_IJSG_SG_EEENS0_18inequality_wrapperINSA_8equal_toIjEEEEPmJS6_EEE10hipError_tPvRmT3_T4_T5_T6_T7_T9_mT8_P12ihipStream_tbDpT10_ENKUlT_T0_E_clISt17integral_constantIbLb1EES1D_EEDaS18_S19_EUlS18_E_NS1_11comp_targetILNS1_3genE3ELNS1_11target_archE908ELNS1_3gpuE7ELNS1_3repE0EEENS1_30default_config_static_selectorELNS0_4arch9wavefront6targetE1EEEvT1_.has_dyn_sized_stack, 0
	.set _ZN7rocprim17ROCPRIM_400000_NS6detail17trampoline_kernelINS0_14default_configENS1_25partition_config_selectorILNS1_17partition_subalgoE8EjNS0_10empty_typeEbEEZZNS1_14partition_implILS5_8ELb0ES3_jN6thrust23THRUST_200600_302600_NS6detail15normal_iteratorINSA_10device_ptrIjEEEEPS6_PKS6_NS0_5tupleIJNSA_16discard_iteratorINSA_11use_defaultEEES6_EEENSJ_IJSG_SG_EEENS0_18inequality_wrapperINSA_8equal_toIjEEEEPmJS6_EEE10hipError_tPvRmT3_T4_T5_T6_T7_T9_mT8_P12ihipStream_tbDpT10_ENKUlT_T0_E_clISt17integral_constantIbLb1EES1D_EEDaS18_S19_EUlS18_E_NS1_11comp_targetILNS1_3genE3ELNS1_11target_archE908ELNS1_3gpuE7ELNS1_3repE0EEENS1_30default_config_static_selectorELNS0_4arch9wavefront6targetE1EEEvT1_.has_recursion, 0
	.set _ZN7rocprim17ROCPRIM_400000_NS6detail17trampoline_kernelINS0_14default_configENS1_25partition_config_selectorILNS1_17partition_subalgoE8EjNS0_10empty_typeEbEEZZNS1_14partition_implILS5_8ELb0ES3_jN6thrust23THRUST_200600_302600_NS6detail15normal_iteratorINSA_10device_ptrIjEEEEPS6_PKS6_NS0_5tupleIJNSA_16discard_iteratorINSA_11use_defaultEEES6_EEENSJ_IJSG_SG_EEENS0_18inequality_wrapperINSA_8equal_toIjEEEEPmJS6_EEE10hipError_tPvRmT3_T4_T5_T6_T7_T9_mT8_P12ihipStream_tbDpT10_ENKUlT_T0_E_clISt17integral_constantIbLb1EES1D_EEDaS18_S19_EUlS18_E_NS1_11comp_targetILNS1_3genE3ELNS1_11target_archE908ELNS1_3gpuE7ELNS1_3repE0EEENS1_30default_config_static_selectorELNS0_4arch9wavefront6targetE1EEEvT1_.has_indirect_call, 0
	.section	.AMDGPU.csdata,"",@progbits
; Kernel info:
; codeLenInByte = 0
; TotalNumSgprs: 4
; NumVgprs: 0
; ScratchSize: 0
; MemoryBound: 0
; FloatMode: 240
; IeeeMode: 1
; LDSByteSize: 0 bytes/workgroup (compile time only)
; SGPRBlocks: 0
; VGPRBlocks: 0
; NumSGPRsForWavesPerEU: 4
; NumVGPRsForWavesPerEU: 1
; Occupancy: 10
; WaveLimiterHint : 0
; COMPUTE_PGM_RSRC2:SCRATCH_EN: 0
; COMPUTE_PGM_RSRC2:USER_SGPR: 6
; COMPUTE_PGM_RSRC2:TRAP_HANDLER: 0
; COMPUTE_PGM_RSRC2:TGID_X_EN: 1
; COMPUTE_PGM_RSRC2:TGID_Y_EN: 0
; COMPUTE_PGM_RSRC2:TGID_Z_EN: 0
; COMPUTE_PGM_RSRC2:TIDIG_COMP_CNT: 0
	.section	.text._ZN7rocprim17ROCPRIM_400000_NS6detail17trampoline_kernelINS0_14default_configENS1_25partition_config_selectorILNS1_17partition_subalgoE8EjNS0_10empty_typeEbEEZZNS1_14partition_implILS5_8ELb0ES3_jN6thrust23THRUST_200600_302600_NS6detail15normal_iteratorINSA_10device_ptrIjEEEEPS6_PKS6_NS0_5tupleIJNSA_16discard_iteratorINSA_11use_defaultEEES6_EEENSJ_IJSG_SG_EEENS0_18inequality_wrapperINSA_8equal_toIjEEEEPmJS6_EEE10hipError_tPvRmT3_T4_T5_T6_T7_T9_mT8_P12ihipStream_tbDpT10_ENKUlT_T0_E_clISt17integral_constantIbLb1EES1D_EEDaS18_S19_EUlS18_E_NS1_11comp_targetILNS1_3genE2ELNS1_11target_archE906ELNS1_3gpuE6ELNS1_3repE0EEENS1_30default_config_static_selectorELNS0_4arch9wavefront6targetE1EEEvT1_,"axG",@progbits,_ZN7rocprim17ROCPRIM_400000_NS6detail17trampoline_kernelINS0_14default_configENS1_25partition_config_selectorILNS1_17partition_subalgoE8EjNS0_10empty_typeEbEEZZNS1_14partition_implILS5_8ELb0ES3_jN6thrust23THRUST_200600_302600_NS6detail15normal_iteratorINSA_10device_ptrIjEEEEPS6_PKS6_NS0_5tupleIJNSA_16discard_iteratorINSA_11use_defaultEEES6_EEENSJ_IJSG_SG_EEENS0_18inequality_wrapperINSA_8equal_toIjEEEEPmJS6_EEE10hipError_tPvRmT3_T4_T5_T6_T7_T9_mT8_P12ihipStream_tbDpT10_ENKUlT_T0_E_clISt17integral_constantIbLb1EES1D_EEDaS18_S19_EUlS18_E_NS1_11comp_targetILNS1_3genE2ELNS1_11target_archE906ELNS1_3gpuE6ELNS1_3repE0EEENS1_30default_config_static_selectorELNS0_4arch9wavefront6targetE1EEEvT1_,comdat
	.protected	_ZN7rocprim17ROCPRIM_400000_NS6detail17trampoline_kernelINS0_14default_configENS1_25partition_config_selectorILNS1_17partition_subalgoE8EjNS0_10empty_typeEbEEZZNS1_14partition_implILS5_8ELb0ES3_jN6thrust23THRUST_200600_302600_NS6detail15normal_iteratorINSA_10device_ptrIjEEEEPS6_PKS6_NS0_5tupleIJNSA_16discard_iteratorINSA_11use_defaultEEES6_EEENSJ_IJSG_SG_EEENS0_18inequality_wrapperINSA_8equal_toIjEEEEPmJS6_EEE10hipError_tPvRmT3_T4_T5_T6_T7_T9_mT8_P12ihipStream_tbDpT10_ENKUlT_T0_E_clISt17integral_constantIbLb1EES1D_EEDaS18_S19_EUlS18_E_NS1_11comp_targetILNS1_3genE2ELNS1_11target_archE906ELNS1_3gpuE6ELNS1_3repE0EEENS1_30default_config_static_selectorELNS0_4arch9wavefront6targetE1EEEvT1_ ; -- Begin function _ZN7rocprim17ROCPRIM_400000_NS6detail17trampoline_kernelINS0_14default_configENS1_25partition_config_selectorILNS1_17partition_subalgoE8EjNS0_10empty_typeEbEEZZNS1_14partition_implILS5_8ELb0ES3_jN6thrust23THRUST_200600_302600_NS6detail15normal_iteratorINSA_10device_ptrIjEEEEPS6_PKS6_NS0_5tupleIJNSA_16discard_iteratorINSA_11use_defaultEEES6_EEENSJ_IJSG_SG_EEENS0_18inequality_wrapperINSA_8equal_toIjEEEEPmJS6_EEE10hipError_tPvRmT3_T4_T5_T6_T7_T9_mT8_P12ihipStream_tbDpT10_ENKUlT_T0_E_clISt17integral_constantIbLb1EES1D_EEDaS18_S19_EUlS18_E_NS1_11comp_targetILNS1_3genE2ELNS1_11target_archE906ELNS1_3gpuE6ELNS1_3repE0EEENS1_30default_config_static_selectorELNS0_4arch9wavefront6targetE1EEEvT1_
	.globl	_ZN7rocprim17ROCPRIM_400000_NS6detail17trampoline_kernelINS0_14default_configENS1_25partition_config_selectorILNS1_17partition_subalgoE8EjNS0_10empty_typeEbEEZZNS1_14partition_implILS5_8ELb0ES3_jN6thrust23THRUST_200600_302600_NS6detail15normal_iteratorINSA_10device_ptrIjEEEEPS6_PKS6_NS0_5tupleIJNSA_16discard_iteratorINSA_11use_defaultEEES6_EEENSJ_IJSG_SG_EEENS0_18inequality_wrapperINSA_8equal_toIjEEEEPmJS6_EEE10hipError_tPvRmT3_T4_T5_T6_T7_T9_mT8_P12ihipStream_tbDpT10_ENKUlT_T0_E_clISt17integral_constantIbLb1EES1D_EEDaS18_S19_EUlS18_E_NS1_11comp_targetILNS1_3genE2ELNS1_11target_archE906ELNS1_3gpuE6ELNS1_3repE0EEENS1_30default_config_static_selectorELNS0_4arch9wavefront6targetE1EEEvT1_
	.p2align	8
	.type	_ZN7rocprim17ROCPRIM_400000_NS6detail17trampoline_kernelINS0_14default_configENS1_25partition_config_selectorILNS1_17partition_subalgoE8EjNS0_10empty_typeEbEEZZNS1_14partition_implILS5_8ELb0ES3_jN6thrust23THRUST_200600_302600_NS6detail15normal_iteratorINSA_10device_ptrIjEEEEPS6_PKS6_NS0_5tupleIJNSA_16discard_iteratorINSA_11use_defaultEEES6_EEENSJ_IJSG_SG_EEENS0_18inequality_wrapperINSA_8equal_toIjEEEEPmJS6_EEE10hipError_tPvRmT3_T4_T5_T6_T7_T9_mT8_P12ihipStream_tbDpT10_ENKUlT_T0_E_clISt17integral_constantIbLb1EES1D_EEDaS18_S19_EUlS18_E_NS1_11comp_targetILNS1_3genE2ELNS1_11target_archE906ELNS1_3gpuE6ELNS1_3repE0EEENS1_30default_config_static_selectorELNS0_4arch9wavefront6targetE1EEEvT1_,@function
_ZN7rocprim17ROCPRIM_400000_NS6detail17trampoline_kernelINS0_14default_configENS1_25partition_config_selectorILNS1_17partition_subalgoE8EjNS0_10empty_typeEbEEZZNS1_14partition_implILS5_8ELb0ES3_jN6thrust23THRUST_200600_302600_NS6detail15normal_iteratorINSA_10device_ptrIjEEEEPS6_PKS6_NS0_5tupleIJNSA_16discard_iteratorINSA_11use_defaultEEES6_EEENSJ_IJSG_SG_EEENS0_18inequality_wrapperINSA_8equal_toIjEEEEPmJS6_EEE10hipError_tPvRmT3_T4_T5_T6_T7_T9_mT8_P12ihipStream_tbDpT10_ENKUlT_T0_E_clISt17integral_constantIbLb1EES1D_EEDaS18_S19_EUlS18_E_NS1_11comp_targetILNS1_3genE2ELNS1_11target_archE906ELNS1_3gpuE6ELNS1_3repE0EEENS1_30default_config_static_selectorELNS0_4arch9wavefront6targetE1EEEvT1_: ; @_ZN7rocprim17ROCPRIM_400000_NS6detail17trampoline_kernelINS0_14default_configENS1_25partition_config_selectorILNS1_17partition_subalgoE8EjNS0_10empty_typeEbEEZZNS1_14partition_implILS5_8ELb0ES3_jN6thrust23THRUST_200600_302600_NS6detail15normal_iteratorINSA_10device_ptrIjEEEEPS6_PKS6_NS0_5tupleIJNSA_16discard_iteratorINSA_11use_defaultEEES6_EEENSJ_IJSG_SG_EEENS0_18inequality_wrapperINSA_8equal_toIjEEEEPmJS6_EEE10hipError_tPvRmT3_T4_T5_T6_T7_T9_mT8_P12ihipStream_tbDpT10_ENKUlT_T0_E_clISt17integral_constantIbLb1EES1D_EEDaS18_S19_EUlS18_E_NS1_11comp_targetILNS1_3genE2ELNS1_11target_archE906ELNS1_3gpuE6ELNS1_3repE0EEENS1_30default_config_static_selectorELNS0_4arch9wavefront6targetE1EEEvT1_
; %bb.0:
	s_endpgm
	.section	.rodata,"a",@progbits
	.p2align	6, 0x0
	.amdhsa_kernel _ZN7rocprim17ROCPRIM_400000_NS6detail17trampoline_kernelINS0_14default_configENS1_25partition_config_selectorILNS1_17partition_subalgoE8EjNS0_10empty_typeEbEEZZNS1_14partition_implILS5_8ELb0ES3_jN6thrust23THRUST_200600_302600_NS6detail15normal_iteratorINSA_10device_ptrIjEEEEPS6_PKS6_NS0_5tupleIJNSA_16discard_iteratorINSA_11use_defaultEEES6_EEENSJ_IJSG_SG_EEENS0_18inequality_wrapperINSA_8equal_toIjEEEEPmJS6_EEE10hipError_tPvRmT3_T4_T5_T6_T7_T9_mT8_P12ihipStream_tbDpT10_ENKUlT_T0_E_clISt17integral_constantIbLb1EES1D_EEDaS18_S19_EUlS18_E_NS1_11comp_targetILNS1_3genE2ELNS1_11target_archE906ELNS1_3gpuE6ELNS1_3repE0EEENS1_30default_config_static_selectorELNS0_4arch9wavefront6targetE1EEEvT1_
		.amdhsa_group_segment_fixed_size 0
		.amdhsa_private_segment_fixed_size 0
		.amdhsa_kernarg_size 136
		.amdhsa_user_sgpr_count 6
		.amdhsa_user_sgpr_private_segment_buffer 1
		.amdhsa_user_sgpr_dispatch_ptr 0
		.amdhsa_user_sgpr_queue_ptr 0
		.amdhsa_user_sgpr_kernarg_segment_ptr 1
		.amdhsa_user_sgpr_dispatch_id 0
		.amdhsa_user_sgpr_flat_scratch_init 0
		.amdhsa_user_sgpr_private_segment_size 0
		.amdhsa_uses_dynamic_stack 0
		.amdhsa_system_sgpr_private_segment_wavefront_offset 0
		.amdhsa_system_sgpr_workgroup_id_x 1
		.amdhsa_system_sgpr_workgroup_id_y 0
		.amdhsa_system_sgpr_workgroup_id_z 0
		.amdhsa_system_sgpr_workgroup_info 0
		.amdhsa_system_vgpr_workitem_id 0
		.amdhsa_next_free_vgpr 1
		.amdhsa_next_free_sgpr 0
		.amdhsa_reserve_vcc 0
		.amdhsa_reserve_flat_scratch 0
		.amdhsa_float_round_mode_32 0
		.amdhsa_float_round_mode_16_64 0
		.amdhsa_float_denorm_mode_32 3
		.amdhsa_float_denorm_mode_16_64 3
		.amdhsa_dx10_clamp 1
		.amdhsa_ieee_mode 1
		.amdhsa_fp16_overflow 0
		.amdhsa_exception_fp_ieee_invalid_op 0
		.amdhsa_exception_fp_denorm_src 0
		.amdhsa_exception_fp_ieee_div_zero 0
		.amdhsa_exception_fp_ieee_overflow 0
		.amdhsa_exception_fp_ieee_underflow 0
		.amdhsa_exception_fp_ieee_inexact 0
		.amdhsa_exception_int_div_zero 0
	.end_amdhsa_kernel
	.section	.text._ZN7rocprim17ROCPRIM_400000_NS6detail17trampoline_kernelINS0_14default_configENS1_25partition_config_selectorILNS1_17partition_subalgoE8EjNS0_10empty_typeEbEEZZNS1_14partition_implILS5_8ELb0ES3_jN6thrust23THRUST_200600_302600_NS6detail15normal_iteratorINSA_10device_ptrIjEEEEPS6_PKS6_NS0_5tupleIJNSA_16discard_iteratorINSA_11use_defaultEEES6_EEENSJ_IJSG_SG_EEENS0_18inequality_wrapperINSA_8equal_toIjEEEEPmJS6_EEE10hipError_tPvRmT3_T4_T5_T6_T7_T9_mT8_P12ihipStream_tbDpT10_ENKUlT_T0_E_clISt17integral_constantIbLb1EES1D_EEDaS18_S19_EUlS18_E_NS1_11comp_targetILNS1_3genE2ELNS1_11target_archE906ELNS1_3gpuE6ELNS1_3repE0EEENS1_30default_config_static_selectorELNS0_4arch9wavefront6targetE1EEEvT1_,"axG",@progbits,_ZN7rocprim17ROCPRIM_400000_NS6detail17trampoline_kernelINS0_14default_configENS1_25partition_config_selectorILNS1_17partition_subalgoE8EjNS0_10empty_typeEbEEZZNS1_14partition_implILS5_8ELb0ES3_jN6thrust23THRUST_200600_302600_NS6detail15normal_iteratorINSA_10device_ptrIjEEEEPS6_PKS6_NS0_5tupleIJNSA_16discard_iteratorINSA_11use_defaultEEES6_EEENSJ_IJSG_SG_EEENS0_18inequality_wrapperINSA_8equal_toIjEEEEPmJS6_EEE10hipError_tPvRmT3_T4_T5_T6_T7_T9_mT8_P12ihipStream_tbDpT10_ENKUlT_T0_E_clISt17integral_constantIbLb1EES1D_EEDaS18_S19_EUlS18_E_NS1_11comp_targetILNS1_3genE2ELNS1_11target_archE906ELNS1_3gpuE6ELNS1_3repE0EEENS1_30default_config_static_selectorELNS0_4arch9wavefront6targetE1EEEvT1_,comdat
.Lfunc_end577:
	.size	_ZN7rocprim17ROCPRIM_400000_NS6detail17trampoline_kernelINS0_14default_configENS1_25partition_config_selectorILNS1_17partition_subalgoE8EjNS0_10empty_typeEbEEZZNS1_14partition_implILS5_8ELb0ES3_jN6thrust23THRUST_200600_302600_NS6detail15normal_iteratorINSA_10device_ptrIjEEEEPS6_PKS6_NS0_5tupleIJNSA_16discard_iteratorINSA_11use_defaultEEES6_EEENSJ_IJSG_SG_EEENS0_18inequality_wrapperINSA_8equal_toIjEEEEPmJS6_EEE10hipError_tPvRmT3_T4_T5_T6_T7_T9_mT8_P12ihipStream_tbDpT10_ENKUlT_T0_E_clISt17integral_constantIbLb1EES1D_EEDaS18_S19_EUlS18_E_NS1_11comp_targetILNS1_3genE2ELNS1_11target_archE906ELNS1_3gpuE6ELNS1_3repE0EEENS1_30default_config_static_selectorELNS0_4arch9wavefront6targetE1EEEvT1_, .Lfunc_end577-_ZN7rocprim17ROCPRIM_400000_NS6detail17trampoline_kernelINS0_14default_configENS1_25partition_config_selectorILNS1_17partition_subalgoE8EjNS0_10empty_typeEbEEZZNS1_14partition_implILS5_8ELb0ES3_jN6thrust23THRUST_200600_302600_NS6detail15normal_iteratorINSA_10device_ptrIjEEEEPS6_PKS6_NS0_5tupleIJNSA_16discard_iteratorINSA_11use_defaultEEES6_EEENSJ_IJSG_SG_EEENS0_18inequality_wrapperINSA_8equal_toIjEEEEPmJS6_EEE10hipError_tPvRmT3_T4_T5_T6_T7_T9_mT8_P12ihipStream_tbDpT10_ENKUlT_T0_E_clISt17integral_constantIbLb1EES1D_EEDaS18_S19_EUlS18_E_NS1_11comp_targetILNS1_3genE2ELNS1_11target_archE906ELNS1_3gpuE6ELNS1_3repE0EEENS1_30default_config_static_selectorELNS0_4arch9wavefront6targetE1EEEvT1_
                                        ; -- End function
	.set _ZN7rocprim17ROCPRIM_400000_NS6detail17trampoline_kernelINS0_14default_configENS1_25partition_config_selectorILNS1_17partition_subalgoE8EjNS0_10empty_typeEbEEZZNS1_14partition_implILS5_8ELb0ES3_jN6thrust23THRUST_200600_302600_NS6detail15normal_iteratorINSA_10device_ptrIjEEEEPS6_PKS6_NS0_5tupleIJNSA_16discard_iteratorINSA_11use_defaultEEES6_EEENSJ_IJSG_SG_EEENS0_18inequality_wrapperINSA_8equal_toIjEEEEPmJS6_EEE10hipError_tPvRmT3_T4_T5_T6_T7_T9_mT8_P12ihipStream_tbDpT10_ENKUlT_T0_E_clISt17integral_constantIbLb1EES1D_EEDaS18_S19_EUlS18_E_NS1_11comp_targetILNS1_3genE2ELNS1_11target_archE906ELNS1_3gpuE6ELNS1_3repE0EEENS1_30default_config_static_selectorELNS0_4arch9wavefront6targetE1EEEvT1_.num_vgpr, 0
	.set _ZN7rocprim17ROCPRIM_400000_NS6detail17trampoline_kernelINS0_14default_configENS1_25partition_config_selectorILNS1_17partition_subalgoE8EjNS0_10empty_typeEbEEZZNS1_14partition_implILS5_8ELb0ES3_jN6thrust23THRUST_200600_302600_NS6detail15normal_iteratorINSA_10device_ptrIjEEEEPS6_PKS6_NS0_5tupleIJNSA_16discard_iteratorINSA_11use_defaultEEES6_EEENSJ_IJSG_SG_EEENS0_18inequality_wrapperINSA_8equal_toIjEEEEPmJS6_EEE10hipError_tPvRmT3_T4_T5_T6_T7_T9_mT8_P12ihipStream_tbDpT10_ENKUlT_T0_E_clISt17integral_constantIbLb1EES1D_EEDaS18_S19_EUlS18_E_NS1_11comp_targetILNS1_3genE2ELNS1_11target_archE906ELNS1_3gpuE6ELNS1_3repE0EEENS1_30default_config_static_selectorELNS0_4arch9wavefront6targetE1EEEvT1_.num_agpr, 0
	.set _ZN7rocprim17ROCPRIM_400000_NS6detail17trampoline_kernelINS0_14default_configENS1_25partition_config_selectorILNS1_17partition_subalgoE8EjNS0_10empty_typeEbEEZZNS1_14partition_implILS5_8ELb0ES3_jN6thrust23THRUST_200600_302600_NS6detail15normal_iteratorINSA_10device_ptrIjEEEEPS6_PKS6_NS0_5tupleIJNSA_16discard_iteratorINSA_11use_defaultEEES6_EEENSJ_IJSG_SG_EEENS0_18inequality_wrapperINSA_8equal_toIjEEEEPmJS6_EEE10hipError_tPvRmT3_T4_T5_T6_T7_T9_mT8_P12ihipStream_tbDpT10_ENKUlT_T0_E_clISt17integral_constantIbLb1EES1D_EEDaS18_S19_EUlS18_E_NS1_11comp_targetILNS1_3genE2ELNS1_11target_archE906ELNS1_3gpuE6ELNS1_3repE0EEENS1_30default_config_static_selectorELNS0_4arch9wavefront6targetE1EEEvT1_.numbered_sgpr, 0
	.set _ZN7rocprim17ROCPRIM_400000_NS6detail17trampoline_kernelINS0_14default_configENS1_25partition_config_selectorILNS1_17partition_subalgoE8EjNS0_10empty_typeEbEEZZNS1_14partition_implILS5_8ELb0ES3_jN6thrust23THRUST_200600_302600_NS6detail15normal_iteratorINSA_10device_ptrIjEEEEPS6_PKS6_NS0_5tupleIJNSA_16discard_iteratorINSA_11use_defaultEEES6_EEENSJ_IJSG_SG_EEENS0_18inequality_wrapperINSA_8equal_toIjEEEEPmJS6_EEE10hipError_tPvRmT3_T4_T5_T6_T7_T9_mT8_P12ihipStream_tbDpT10_ENKUlT_T0_E_clISt17integral_constantIbLb1EES1D_EEDaS18_S19_EUlS18_E_NS1_11comp_targetILNS1_3genE2ELNS1_11target_archE906ELNS1_3gpuE6ELNS1_3repE0EEENS1_30default_config_static_selectorELNS0_4arch9wavefront6targetE1EEEvT1_.num_named_barrier, 0
	.set _ZN7rocprim17ROCPRIM_400000_NS6detail17trampoline_kernelINS0_14default_configENS1_25partition_config_selectorILNS1_17partition_subalgoE8EjNS0_10empty_typeEbEEZZNS1_14partition_implILS5_8ELb0ES3_jN6thrust23THRUST_200600_302600_NS6detail15normal_iteratorINSA_10device_ptrIjEEEEPS6_PKS6_NS0_5tupleIJNSA_16discard_iteratorINSA_11use_defaultEEES6_EEENSJ_IJSG_SG_EEENS0_18inequality_wrapperINSA_8equal_toIjEEEEPmJS6_EEE10hipError_tPvRmT3_T4_T5_T6_T7_T9_mT8_P12ihipStream_tbDpT10_ENKUlT_T0_E_clISt17integral_constantIbLb1EES1D_EEDaS18_S19_EUlS18_E_NS1_11comp_targetILNS1_3genE2ELNS1_11target_archE906ELNS1_3gpuE6ELNS1_3repE0EEENS1_30default_config_static_selectorELNS0_4arch9wavefront6targetE1EEEvT1_.private_seg_size, 0
	.set _ZN7rocprim17ROCPRIM_400000_NS6detail17trampoline_kernelINS0_14default_configENS1_25partition_config_selectorILNS1_17partition_subalgoE8EjNS0_10empty_typeEbEEZZNS1_14partition_implILS5_8ELb0ES3_jN6thrust23THRUST_200600_302600_NS6detail15normal_iteratorINSA_10device_ptrIjEEEEPS6_PKS6_NS0_5tupleIJNSA_16discard_iteratorINSA_11use_defaultEEES6_EEENSJ_IJSG_SG_EEENS0_18inequality_wrapperINSA_8equal_toIjEEEEPmJS6_EEE10hipError_tPvRmT3_T4_T5_T6_T7_T9_mT8_P12ihipStream_tbDpT10_ENKUlT_T0_E_clISt17integral_constantIbLb1EES1D_EEDaS18_S19_EUlS18_E_NS1_11comp_targetILNS1_3genE2ELNS1_11target_archE906ELNS1_3gpuE6ELNS1_3repE0EEENS1_30default_config_static_selectorELNS0_4arch9wavefront6targetE1EEEvT1_.uses_vcc, 0
	.set _ZN7rocprim17ROCPRIM_400000_NS6detail17trampoline_kernelINS0_14default_configENS1_25partition_config_selectorILNS1_17partition_subalgoE8EjNS0_10empty_typeEbEEZZNS1_14partition_implILS5_8ELb0ES3_jN6thrust23THRUST_200600_302600_NS6detail15normal_iteratorINSA_10device_ptrIjEEEEPS6_PKS6_NS0_5tupleIJNSA_16discard_iteratorINSA_11use_defaultEEES6_EEENSJ_IJSG_SG_EEENS0_18inequality_wrapperINSA_8equal_toIjEEEEPmJS6_EEE10hipError_tPvRmT3_T4_T5_T6_T7_T9_mT8_P12ihipStream_tbDpT10_ENKUlT_T0_E_clISt17integral_constantIbLb1EES1D_EEDaS18_S19_EUlS18_E_NS1_11comp_targetILNS1_3genE2ELNS1_11target_archE906ELNS1_3gpuE6ELNS1_3repE0EEENS1_30default_config_static_selectorELNS0_4arch9wavefront6targetE1EEEvT1_.uses_flat_scratch, 0
	.set _ZN7rocprim17ROCPRIM_400000_NS6detail17trampoline_kernelINS0_14default_configENS1_25partition_config_selectorILNS1_17partition_subalgoE8EjNS0_10empty_typeEbEEZZNS1_14partition_implILS5_8ELb0ES3_jN6thrust23THRUST_200600_302600_NS6detail15normal_iteratorINSA_10device_ptrIjEEEEPS6_PKS6_NS0_5tupleIJNSA_16discard_iteratorINSA_11use_defaultEEES6_EEENSJ_IJSG_SG_EEENS0_18inequality_wrapperINSA_8equal_toIjEEEEPmJS6_EEE10hipError_tPvRmT3_T4_T5_T6_T7_T9_mT8_P12ihipStream_tbDpT10_ENKUlT_T0_E_clISt17integral_constantIbLb1EES1D_EEDaS18_S19_EUlS18_E_NS1_11comp_targetILNS1_3genE2ELNS1_11target_archE906ELNS1_3gpuE6ELNS1_3repE0EEENS1_30default_config_static_selectorELNS0_4arch9wavefront6targetE1EEEvT1_.has_dyn_sized_stack, 0
	.set _ZN7rocprim17ROCPRIM_400000_NS6detail17trampoline_kernelINS0_14default_configENS1_25partition_config_selectorILNS1_17partition_subalgoE8EjNS0_10empty_typeEbEEZZNS1_14partition_implILS5_8ELb0ES3_jN6thrust23THRUST_200600_302600_NS6detail15normal_iteratorINSA_10device_ptrIjEEEEPS6_PKS6_NS0_5tupleIJNSA_16discard_iteratorINSA_11use_defaultEEES6_EEENSJ_IJSG_SG_EEENS0_18inequality_wrapperINSA_8equal_toIjEEEEPmJS6_EEE10hipError_tPvRmT3_T4_T5_T6_T7_T9_mT8_P12ihipStream_tbDpT10_ENKUlT_T0_E_clISt17integral_constantIbLb1EES1D_EEDaS18_S19_EUlS18_E_NS1_11comp_targetILNS1_3genE2ELNS1_11target_archE906ELNS1_3gpuE6ELNS1_3repE0EEENS1_30default_config_static_selectorELNS0_4arch9wavefront6targetE1EEEvT1_.has_recursion, 0
	.set _ZN7rocprim17ROCPRIM_400000_NS6detail17trampoline_kernelINS0_14default_configENS1_25partition_config_selectorILNS1_17partition_subalgoE8EjNS0_10empty_typeEbEEZZNS1_14partition_implILS5_8ELb0ES3_jN6thrust23THRUST_200600_302600_NS6detail15normal_iteratorINSA_10device_ptrIjEEEEPS6_PKS6_NS0_5tupleIJNSA_16discard_iteratorINSA_11use_defaultEEES6_EEENSJ_IJSG_SG_EEENS0_18inequality_wrapperINSA_8equal_toIjEEEEPmJS6_EEE10hipError_tPvRmT3_T4_T5_T6_T7_T9_mT8_P12ihipStream_tbDpT10_ENKUlT_T0_E_clISt17integral_constantIbLb1EES1D_EEDaS18_S19_EUlS18_E_NS1_11comp_targetILNS1_3genE2ELNS1_11target_archE906ELNS1_3gpuE6ELNS1_3repE0EEENS1_30default_config_static_selectorELNS0_4arch9wavefront6targetE1EEEvT1_.has_indirect_call, 0
	.section	.AMDGPU.csdata,"",@progbits
; Kernel info:
; codeLenInByte = 4
; TotalNumSgprs: 4
; NumVgprs: 0
; ScratchSize: 0
; MemoryBound: 0
; FloatMode: 240
; IeeeMode: 1
; LDSByteSize: 0 bytes/workgroup (compile time only)
; SGPRBlocks: 0
; VGPRBlocks: 0
; NumSGPRsForWavesPerEU: 4
; NumVGPRsForWavesPerEU: 1
; Occupancy: 10
; WaveLimiterHint : 0
; COMPUTE_PGM_RSRC2:SCRATCH_EN: 0
; COMPUTE_PGM_RSRC2:USER_SGPR: 6
; COMPUTE_PGM_RSRC2:TRAP_HANDLER: 0
; COMPUTE_PGM_RSRC2:TGID_X_EN: 1
; COMPUTE_PGM_RSRC2:TGID_Y_EN: 0
; COMPUTE_PGM_RSRC2:TGID_Z_EN: 0
; COMPUTE_PGM_RSRC2:TIDIG_COMP_CNT: 0
	.section	.text._ZN7rocprim17ROCPRIM_400000_NS6detail17trampoline_kernelINS0_14default_configENS1_25partition_config_selectorILNS1_17partition_subalgoE8EjNS0_10empty_typeEbEEZZNS1_14partition_implILS5_8ELb0ES3_jN6thrust23THRUST_200600_302600_NS6detail15normal_iteratorINSA_10device_ptrIjEEEEPS6_PKS6_NS0_5tupleIJNSA_16discard_iteratorINSA_11use_defaultEEES6_EEENSJ_IJSG_SG_EEENS0_18inequality_wrapperINSA_8equal_toIjEEEEPmJS6_EEE10hipError_tPvRmT3_T4_T5_T6_T7_T9_mT8_P12ihipStream_tbDpT10_ENKUlT_T0_E_clISt17integral_constantIbLb1EES1D_EEDaS18_S19_EUlS18_E_NS1_11comp_targetILNS1_3genE10ELNS1_11target_archE1200ELNS1_3gpuE4ELNS1_3repE0EEENS1_30default_config_static_selectorELNS0_4arch9wavefront6targetE1EEEvT1_,"axG",@progbits,_ZN7rocprim17ROCPRIM_400000_NS6detail17trampoline_kernelINS0_14default_configENS1_25partition_config_selectorILNS1_17partition_subalgoE8EjNS0_10empty_typeEbEEZZNS1_14partition_implILS5_8ELb0ES3_jN6thrust23THRUST_200600_302600_NS6detail15normal_iteratorINSA_10device_ptrIjEEEEPS6_PKS6_NS0_5tupleIJNSA_16discard_iteratorINSA_11use_defaultEEES6_EEENSJ_IJSG_SG_EEENS0_18inequality_wrapperINSA_8equal_toIjEEEEPmJS6_EEE10hipError_tPvRmT3_T4_T5_T6_T7_T9_mT8_P12ihipStream_tbDpT10_ENKUlT_T0_E_clISt17integral_constantIbLb1EES1D_EEDaS18_S19_EUlS18_E_NS1_11comp_targetILNS1_3genE10ELNS1_11target_archE1200ELNS1_3gpuE4ELNS1_3repE0EEENS1_30default_config_static_selectorELNS0_4arch9wavefront6targetE1EEEvT1_,comdat
	.protected	_ZN7rocprim17ROCPRIM_400000_NS6detail17trampoline_kernelINS0_14default_configENS1_25partition_config_selectorILNS1_17partition_subalgoE8EjNS0_10empty_typeEbEEZZNS1_14partition_implILS5_8ELb0ES3_jN6thrust23THRUST_200600_302600_NS6detail15normal_iteratorINSA_10device_ptrIjEEEEPS6_PKS6_NS0_5tupleIJNSA_16discard_iteratorINSA_11use_defaultEEES6_EEENSJ_IJSG_SG_EEENS0_18inequality_wrapperINSA_8equal_toIjEEEEPmJS6_EEE10hipError_tPvRmT3_T4_T5_T6_T7_T9_mT8_P12ihipStream_tbDpT10_ENKUlT_T0_E_clISt17integral_constantIbLb1EES1D_EEDaS18_S19_EUlS18_E_NS1_11comp_targetILNS1_3genE10ELNS1_11target_archE1200ELNS1_3gpuE4ELNS1_3repE0EEENS1_30default_config_static_selectorELNS0_4arch9wavefront6targetE1EEEvT1_ ; -- Begin function _ZN7rocprim17ROCPRIM_400000_NS6detail17trampoline_kernelINS0_14default_configENS1_25partition_config_selectorILNS1_17partition_subalgoE8EjNS0_10empty_typeEbEEZZNS1_14partition_implILS5_8ELb0ES3_jN6thrust23THRUST_200600_302600_NS6detail15normal_iteratorINSA_10device_ptrIjEEEEPS6_PKS6_NS0_5tupleIJNSA_16discard_iteratorINSA_11use_defaultEEES6_EEENSJ_IJSG_SG_EEENS0_18inequality_wrapperINSA_8equal_toIjEEEEPmJS6_EEE10hipError_tPvRmT3_T4_T5_T6_T7_T9_mT8_P12ihipStream_tbDpT10_ENKUlT_T0_E_clISt17integral_constantIbLb1EES1D_EEDaS18_S19_EUlS18_E_NS1_11comp_targetILNS1_3genE10ELNS1_11target_archE1200ELNS1_3gpuE4ELNS1_3repE0EEENS1_30default_config_static_selectorELNS0_4arch9wavefront6targetE1EEEvT1_
	.globl	_ZN7rocprim17ROCPRIM_400000_NS6detail17trampoline_kernelINS0_14default_configENS1_25partition_config_selectorILNS1_17partition_subalgoE8EjNS0_10empty_typeEbEEZZNS1_14partition_implILS5_8ELb0ES3_jN6thrust23THRUST_200600_302600_NS6detail15normal_iteratorINSA_10device_ptrIjEEEEPS6_PKS6_NS0_5tupleIJNSA_16discard_iteratorINSA_11use_defaultEEES6_EEENSJ_IJSG_SG_EEENS0_18inequality_wrapperINSA_8equal_toIjEEEEPmJS6_EEE10hipError_tPvRmT3_T4_T5_T6_T7_T9_mT8_P12ihipStream_tbDpT10_ENKUlT_T0_E_clISt17integral_constantIbLb1EES1D_EEDaS18_S19_EUlS18_E_NS1_11comp_targetILNS1_3genE10ELNS1_11target_archE1200ELNS1_3gpuE4ELNS1_3repE0EEENS1_30default_config_static_selectorELNS0_4arch9wavefront6targetE1EEEvT1_
	.p2align	8
	.type	_ZN7rocprim17ROCPRIM_400000_NS6detail17trampoline_kernelINS0_14default_configENS1_25partition_config_selectorILNS1_17partition_subalgoE8EjNS0_10empty_typeEbEEZZNS1_14partition_implILS5_8ELb0ES3_jN6thrust23THRUST_200600_302600_NS6detail15normal_iteratorINSA_10device_ptrIjEEEEPS6_PKS6_NS0_5tupleIJNSA_16discard_iteratorINSA_11use_defaultEEES6_EEENSJ_IJSG_SG_EEENS0_18inequality_wrapperINSA_8equal_toIjEEEEPmJS6_EEE10hipError_tPvRmT3_T4_T5_T6_T7_T9_mT8_P12ihipStream_tbDpT10_ENKUlT_T0_E_clISt17integral_constantIbLb1EES1D_EEDaS18_S19_EUlS18_E_NS1_11comp_targetILNS1_3genE10ELNS1_11target_archE1200ELNS1_3gpuE4ELNS1_3repE0EEENS1_30default_config_static_selectorELNS0_4arch9wavefront6targetE1EEEvT1_,@function
_ZN7rocprim17ROCPRIM_400000_NS6detail17trampoline_kernelINS0_14default_configENS1_25partition_config_selectorILNS1_17partition_subalgoE8EjNS0_10empty_typeEbEEZZNS1_14partition_implILS5_8ELb0ES3_jN6thrust23THRUST_200600_302600_NS6detail15normal_iteratorINSA_10device_ptrIjEEEEPS6_PKS6_NS0_5tupleIJNSA_16discard_iteratorINSA_11use_defaultEEES6_EEENSJ_IJSG_SG_EEENS0_18inequality_wrapperINSA_8equal_toIjEEEEPmJS6_EEE10hipError_tPvRmT3_T4_T5_T6_T7_T9_mT8_P12ihipStream_tbDpT10_ENKUlT_T0_E_clISt17integral_constantIbLb1EES1D_EEDaS18_S19_EUlS18_E_NS1_11comp_targetILNS1_3genE10ELNS1_11target_archE1200ELNS1_3gpuE4ELNS1_3repE0EEENS1_30default_config_static_selectorELNS0_4arch9wavefront6targetE1EEEvT1_: ; @_ZN7rocprim17ROCPRIM_400000_NS6detail17trampoline_kernelINS0_14default_configENS1_25partition_config_selectorILNS1_17partition_subalgoE8EjNS0_10empty_typeEbEEZZNS1_14partition_implILS5_8ELb0ES3_jN6thrust23THRUST_200600_302600_NS6detail15normal_iteratorINSA_10device_ptrIjEEEEPS6_PKS6_NS0_5tupleIJNSA_16discard_iteratorINSA_11use_defaultEEES6_EEENSJ_IJSG_SG_EEENS0_18inequality_wrapperINSA_8equal_toIjEEEEPmJS6_EEE10hipError_tPvRmT3_T4_T5_T6_T7_T9_mT8_P12ihipStream_tbDpT10_ENKUlT_T0_E_clISt17integral_constantIbLb1EES1D_EEDaS18_S19_EUlS18_E_NS1_11comp_targetILNS1_3genE10ELNS1_11target_archE1200ELNS1_3gpuE4ELNS1_3repE0EEENS1_30default_config_static_selectorELNS0_4arch9wavefront6targetE1EEEvT1_
; %bb.0:
	.section	.rodata,"a",@progbits
	.p2align	6, 0x0
	.amdhsa_kernel _ZN7rocprim17ROCPRIM_400000_NS6detail17trampoline_kernelINS0_14default_configENS1_25partition_config_selectorILNS1_17partition_subalgoE8EjNS0_10empty_typeEbEEZZNS1_14partition_implILS5_8ELb0ES3_jN6thrust23THRUST_200600_302600_NS6detail15normal_iteratorINSA_10device_ptrIjEEEEPS6_PKS6_NS0_5tupleIJNSA_16discard_iteratorINSA_11use_defaultEEES6_EEENSJ_IJSG_SG_EEENS0_18inequality_wrapperINSA_8equal_toIjEEEEPmJS6_EEE10hipError_tPvRmT3_T4_T5_T6_T7_T9_mT8_P12ihipStream_tbDpT10_ENKUlT_T0_E_clISt17integral_constantIbLb1EES1D_EEDaS18_S19_EUlS18_E_NS1_11comp_targetILNS1_3genE10ELNS1_11target_archE1200ELNS1_3gpuE4ELNS1_3repE0EEENS1_30default_config_static_selectorELNS0_4arch9wavefront6targetE1EEEvT1_
		.amdhsa_group_segment_fixed_size 0
		.amdhsa_private_segment_fixed_size 0
		.amdhsa_kernarg_size 136
		.amdhsa_user_sgpr_count 6
		.amdhsa_user_sgpr_private_segment_buffer 1
		.amdhsa_user_sgpr_dispatch_ptr 0
		.amdhsa_user_sgpr_queue_ptr 0
		.amdhsa_user_sgpr_kernarg_segment_ptr 1
		.amdhsa_user_sgpr_dispatch_id 0
		.amdhsa_user_sgpr_flat_scratch_init 0
		.amdhsa_user_sgpr_private_segment_size 0
		.amdhsa_uses_dynamic_stack 0
		.amdhsa_system_sgpr_private_segment_wavefront_offset 0
		.amdhsa_system_sgpr_workgroup_id_x 1
		.amdhsa_system_sgpr_workgroup_id_y 0
		.amdhsa_system_sgpr_workgroup_id_z 0
		.amdhsa_system_sgpr_workgroup_info 0
		.amdhsa_system_vgpr_workitem_id 0
		.amdhsa_next_free_vgpr 1
		.amdhsa_next_free_sgpr 0
		.amdhsa_reserve_vcc 0
		.amdhsa_reserve_flat_scratch 0
		.amdhsa_float_round_mode_32 0
		.amdhsa_float_round_mode_16_64 0
		.amdhsa_float_denorm_mode_32 3
		.amdhsa_float_denorm_mode_16_64 3
		.amdhsa_dx10_clamp 1
		.amdhsa_ieee_mode 1
		.amdhsa_fp16_overflow 0
		.amdhsa_exception_fp_ieee_invalid_op 0
		.amdhsa_exception_fp_denorm_src 0
		.amdhsa_exception_fp_ieee_div_zero 0
		.amdhsa_exception_fp_ieee_overflow 0
		.amdhsa_exception_fp_ieee_underflow 0
		.amdhsa_exception_fp_ieee_inexact 0
		.amdhsa_exception_int_div_zero 0
	.end_amdhsa_kernel
	.section	.text._ZN7rocprim17ROCPRIM_400000_NS6detail17trampoline_kernelINS0_14default_configENS1_25partition_config_selectorILNS1_17partition_subalgoE8EjNS0_10empty_typeEbEEZZNS1_14partition_implILS5_8ELb0ES3_jN6thrust23THRUST_200600_302600_NS6detail15normal_iteratorINSA_10device_ptrIjEEEEPS6_PKS6_NS0_5tupleIJNSA_16discard_iteratorINSA_11use_defaultEEES6_EEENSJ_IJSG_SG_EEENS0_18inequality_wrapperINSA_8equal_toIjEEEEPmJS6_EEE10hipError_tPvRmT3_T4_T5_T6_T7_T9_mT8_P12ihipStream_tbDpT10_ENKUlT_T0_E_clISt17integral_constantIbLb1EES1D_EEDaS18_S19_EUlS18_E_NS1_11comp_targetILNS1_3genE10ELNS1_11target_archE1200ELNS1_3gpuE4ELNS1_3repE0EEENS1_30default_config_static_selectorELNS0_4arch9wavefront6targetE1EEEvT1_,"axG",@progbits,_ZN7rocprim17ROCPRIM_400000_NS6detail17trampoline_kernelINS0_14default_configENS1_25partition_config_selectorILNS1_17partition_subalgoE8EjNS0_10empty_typeEbEEZZNS1_14partition_implILS5_8ELb0ES3_jN6thrust23THRUST_200600_302600_NS6detail15normal_iteratorINSA_10device_ptrIjEEEEPS6_PKS6_NS0_5tupleIJNSA_16discard_iteratorINSA_11use_defaultEEES6_EEENSJ_IJSG_SG_EEENS0_18inequality_wrapperINSA_8equal_toIjEEEEPmJS6_EEE10hipError_tPvRmT3_T4_T5_T6_T7_T9_mT8_P12ihipStream_tbDpT10_ENKUlT_T0_E_clISt17integral_constantIbLb1EES1D_EEDaS18_S19_EUlS18_E_NS1_11comp_targetILNS1_3genE10ELNS1_11target_archE1200ELNS1_3gpuE4ELNS1_3repE0EEENS1_30default_config_static_selectorELNS0_4arch9wavefront6targetE1EEEvT1_,comdat
.Lfunc_end578:
	.size	_ZN7rocprim17ROCPRIM_400000_NS6detail17trampoline_kernelINS0_14default_configENS1_25partition_config_selectorILNS1_17partition_subalgoE8EjNS0_10empty_typeEbEEZZNS1_14partition_implILS5_8ELb0ES3_jN6thrust23THRUST_200600_302600_NS6detail15normal_iteratorINSA_10device_ptrIjEEEEPS6_PKS6_NS0_5tupleIJNSA_16discard_iteratorINSA_11use_defaultEEES6_EEENSJ_IJSG_SG_EEENS0_18inequality_wrapperINSA_8equal_toIjEEEEPmJS6_EEE10hipError_tPvRmT3_T4_T5_T6_T7_T9_mT8_P12ihipStream_tbDpT10_ENKUlT_T0_E_clISt17integral_constantIbLb1EES1D_EEDaS18_S19_EUlS18_E_NS1_11comp_targetILNS1_3genE10ELNS1_11target_archE1200ELNS1_3gpuE4ELNS1_3repE0EEENS1_30default_config_static_selectorELNS0_4arch9wavefront6targetE1EEEvT1_, .Lfunc_end578-_ZN7rocprim17ROCPRIM_400000_NS6detail17trampoline_kernelINS0_14default_configENS1_25partition_config_selectorILNS1_17partition_subalgoE8EjNS0_10empty_typeEbEEZZNS1_14partition_implILS5_8ELb0ES3_jN6thrust23THRUST_200600_302600_NS6detail15normal_iteratorINSA_10device_ptrIjEEEEPS6_PKS6_NS0_5tupleIJNSA_16discard_iteratorINSA_11use_defaultEEES6_EEENSJ_IJSG_SG_EEENS0_18inequality_wrapperINSA_8equal_toIjEEEEPmJS6_EEE10hipError_tPvRmT3_T4_T5_T6_T7_T9_mT8_P12ihipStream_tbDpT10_ENKUlT_T0_E_clISt17integral_constantIbLb1EES1D_EEDaS18_S19_EUlS18_E_NS1_11comp_targetILNS1_3genE10ELNS1_11target_archE1200ELNS1_3gpuE4ELNS1_3repE0EEENS1_30default_config_static_selectorELNS0_4arch9wavefront6targetE1EEEvT1_
                                        ; -- End function
	.set _ZN7rocprim17ROCPRIM_400000_NS6detail17trampoline_kernelINS0_14default_configENS1_25partition_config_selectorILNS1_17partition_subalgoE8EjNS0_10empty_typeEbEEZZNS1_14partition_implILS5_8ELb0ES3_jN6thrust23THRUST_200600_302600_NS6detail15normal_iteratorINSA_10device_ptrIjEEEEPS6_PKS6_NS0_5tupleIJNSA_16discard_iteratorINSA_11use_defaultEEES6_EEENSJ_IJSG_SG_EEENS0_18inequality_wrapperINSA_8equal_toIjEEEEPmJS6_EEE10hipError_tPvRmT3_T4_T5_T6_T7_T9_mT8_P12ihipStream_tbDpT10_ENKUlT_T0_E_clISt17integral_constantIbLb1EES1D_EEDaS18_S19_EUlS18_E_NS1_11comp_targetILNS1_3genE10ELNS1_11target_archE1200ELNS1_3gpuE4ELNS1_3repE0EEENS1_30default_config_static_selectorELNS0_4arch9wavefront6targetE1EEEvT1_.num_vgpr, 0
	.set _ZN7rocprim17ROCPRIM_400000_NS6detail17trampoline_kernelINS0_14default_configENS1_25partition_config_selectorILNS1_17partition_subalgoE8EjNS0_10empty_typeEbEEZZNS1_14partition_implILS5_8ELb0ES3_jN6thrust23THRUST_200600_302600_NS6detail15normal_iteratorINSA_10device_ptrIjEEEEPS6_PKS6_NS0_5tupleIJNSA_16discard_iteratorINSA_11use_defaultEEES6_EEENSJ_IJSG_SG_EEENS0_18inequality_wrapperINSA_8equal_toIjEEEEPmJS6_EEE10hipError_tPvRmT3_T4_T5_T6_T7_T9_mT8_P12ihipStream_tbDpT10_ENKUlT_T0_E_clISt17integral_constantIbLb1EES1D_EEDaS18_S19_EUlS18_E_NS1_11comp_targetILNS1_3genE10ELNS1_11target_archE1200ELNS1_3gpuE4ELNS1_3repE0EEENS1_30default_config_static_selectorELNS0_4arch9wavefront6targetE1EEEvT1_.num_agpr, 0
	.set _ZN7rocprim17ROCPRIM_400000_NS6detail17trampoline_kernelINS0_14default_configENS1_25partition_config_selectorILNS1_17partition_subalgoE8EjNS0_10empty_typeEbEEZZNS1_14partition_implILS5_8ELb0ES3_jN6thrust23THRUST_200600_302600_NS6detail15normal_iteratorINSA_10device_ptrIjEEEEPS6_PKS6_NS0_5tupleIJNSA_16discard_iteratorINSA_11use_defaultEEES6_EEENSJ_IJSG_SG_EEENS0_18inequality_wrapperINSA_8equal_toIjEEEEPmJS6_EEE10hipError_tPvRmT3_T4_T5_T6_T7_T9_mT8_P12ihipStream_tbDpT10_ENKUlT_T0_E_clISt17integral_constantIbLb1EES1D_EEDaS18_S19_EUlS18_E_NS1_11comp_targetILNS1_3genE10ELNS1_11target_archE1200ELNS1_3gpuE4ELNS1_3repE0EEENS1_30default_config_static_selectorELNS0_4arch9wavefront6targetE1EEEvT1_.numbered_sgpr, 0
	.set _ZN7rocprim17ROCPRIM_400000_NS6detail17trampoline_kernelINS0_14default_configENS1_25partition_config_selectorILNS1_17partition_subalgoE8EjNS0_10empty_typeEbEEZZNS1_14partition_implILS5_8ELb0ES3_jN6thrust23THRUST_200600_302600_NS6detail15normal_iteratorINSA_10device_ptrIjEEEEPS6_PKS6_NS0_5tupleIJNSA_16discard_iteratorINSA_11use_defaultEEES6_EEENSJ_IJSG_SG_EEENS0_18inequality_wrapperINSA_8equal_toIjEEEEPmJS6_EEE10hipError_tPvRmT3_T4_T5_T6_T7_T9_mT8_P12ihipStream_tbDpT10_ENKUlT_T0_E_clISt17integral_constantIbLb1EES1D_EEDaS18_S19_EUlS18_E_NS1_11comp_targetILNS1_3genE10ELNS1_11target_archE1200ELNS1_3gpuE4ELNS1_3repE0EEENS1_30default_config_static_selectorELNS0_4arch9wavefront6targetE1EEEvT1_.num_named_barrier, 0
	.set _ZN7rocprim17ROCPRIM_400000_NS6detail17trampoline_kernelINS0_14default_configENS1_25partition_config_selectorILNS1_17partition_subalgoE8EjNS0_10empty_typeEbEEZZNS1_14partition_implILS5_8ELb0ES3_jN6thrust23THRUST_200600_302600_NS6detail15normal_iteratorINSA_10device_ptrIjEEEEPS6_PKS6_NS0_5tupleIJNSA_16discard_iteratorINSA_11use_defaultEEES6_EEENSJ_IJSG_SG_EEENS0_18inequality_wrapperINSA_8equal_toIjEEEEPmJS6_EEE10hipError_tPvRmT3_T4_T5_T6_T7_T9_mT8_P12ihipStream_tbDpT10_ENKUlT_T0_E_clISt17integral_constantIbLb1EES1D_EEDaS18_S19_EUlS18_E_NS1_11comp_targetILNS1_3genE10ELNS1_11target_archE1200ELNS1_3gpuE4ELNS1_3repE0EEENS1_30default_config_static_selectorELNS0_4arch9wavefront6targetE1EEEvT1_.private_seg_size, 0
	.set _ZN7rocprim17ROCPRIM_400000_NS6detail17trampoline_kernelINS0_14default_configENS1_25partition_config_selectorILNS1_17partition_subalgoE8EjNS0_10empty_typeEbEEZZNS1_14partition_implILS5_8ELb0ES3_jN6thrust23THRUST_200600_302600_NS6detail15normal_iteratorINSA_10device_ptrIjEEEEPS6_PKS6_NS0_5tupleIJNSA_16discard_iteratorINSA_11use_defaultEEES6_EEENSJ_IJSG_SG_EEENS0_18inequality_wrapperINSA_8equal_toIjEEEEPmJS6_EEE10hipError_tPvRmT3_T4_T5_T6_T7_T9_mT8_P12ihipStream_tbDpT10_ENKUlT_T0_E_clISt17integral_constantIbLb1EES1D_EEDaS18_S19_EUlS18_E_NS1_11comp_targetILNS1_3genE10ELNS1_11target_archE1200ELNS1_3gpuE4ELNS1_3repE0EEENS1_30default_config_static_selectorELNS0_4arch9wavefront6targetE1EEEvT1_.uses_vcc, 0
	.set _ZN7rocprim17ROCPRIM_400000_NS6detail17trampoline_kernelINS0_14default_configENS1_25partition_config_selectorILNS1_17partition_subalgoE8EjNS0_10empty_typeEbEEZZNS1_14partition_implILS5_8ELb0ES3_jN6thrust23THRUST_200600_302600_NS6detail15normal_iteratorINSA_10device_ptrIjEEEEPS6_PKS6_NS0_5tupleIJNSA_16discard_iteratorINSA_11use_defaultEEES6_EEENSJ_IJSG_SG_EEENS0_18inequality_wrapperINSA_8equal_toIjEEEEPmJS6_EEE10hipError_tPvRmT3_T4_T5_T6_T7_T9_mT8_P12ihipStream_tbDpT10_ENKUlT_T0_E_clISt17integral_constantIbLb1EES1D_EEDaS18_S19_EUlS18_E_NS1_11comp_targetILNS1_3genE10ELNS1_11target_archE1200ELNS1_3gpuE4ELNS1_3repE0EEENS1_30default_config_static_selectorELNS0_4arch9wavefront6targetE1EEEvT1_.uses_flat_scratch, 0
	.set _ZN7rocprim17ROCPRIM_400000_NS6detail17trampoline_kernelINS0_14default_configENS1_25partition_config_selectorILNS1_17partition_subalgoE8EjNS0_10empty_typeEbEEZZNS1_14partition_implILS5_8ELb0ES3_jN6thrust23THRUST_200600_302600_NS6detail15normal_iteratorINSA_10device_ptrIjEEEEPS6_PKS6_NS0_5tupleIJNSA_16discard_iteratorINSA_11use_defaultEEES6_EEENSJ_IJSG_SG_EEENS0_18inequality_wrapperINSA_8equal_toIjEEEEPmJS6_EEE10hipError_tPvRmT3_T4_T5_T6_T7_T9_mT8_P12ihipStream_tbDpT10_ENKUlT_T0_E_clISt17integral_constantIbLb1EES1D_EEDaS18_S19_EUlS18_E_NS1_11comp_targetILNS1_3genE10ELNS1_11target_archE1200ELNS1_3gpuE4ELNS1_3repE0EEENS1_30default_config_static_selectorELNS0_4arch9wavefront6targetE1EEEvT1_.has_dyn_sized_stack, 0
	.set _ZN7rocprim17ROCPRIM_400000_NS6detail17trampoline_kernelINS0_14default_configENS1_25partition_config_selectorILNS1_17partition_subalgoE8EjNS0_10empty_typeEbEEZZNS1_14partition_implILS5_8ELb0ES3_jN6thrust23THRUST_200600_302600_NS6detail15normal_iteratorINSA_10device_ptrIjEEEEPS6_PKS6_NS0_5tupleIJNSA_16discard_iteratorINSA_11use_defaultEEES6_EEENSJ_IJSG_SG_EEENS0_18inequality_wrapperINSA_8equal_toIjEEEEPmJS6_EEE10hipError_tPvRmT3_T4_T5_T6_T7_T9_mT8_P12ihipStream_tbDpT10_ENKUlT_T0_E_clISt17integral_constantIbLb1EES1D_EEDaS18_S19_EUlS18_E_NS1_11comp_targetILNS1_3genE10ELNS1_11target_archE1200ELNS1_3gpuE4ELNS1_3repE0EEENS1_30default_config_static_selectorELNS0_4arch9wavefront6targetE1EEEvT1_.has_recursion, 0
	.set _ZN7rocprim17ROCPRIM_400000_NS6detail17trampoline_kernelINS0_14default_configENS1_25partition_config_selectorILNS1_17partition_subalgoE8EjNS0_10empty_typeEbEEZZNS1_14partition_implILS5_8ELb0ES3_jN6thrust23THRUST_200600_302600_NS6detail15normal_iteratorINSA_10device_ptrIjEEEEPS6_PKS6_NS0_5tupleIJNSA_16discard_iteratorINSA_11use_defaultEEES6_EEENSJ_IJSG_SG_EEENS0_18inequality_wrapperINSA_8equal_toIjEEEEPmJS6_EEE10hipError_tPvRmT3_T4_T5_T6_T7_T9_mT8_P12ihipStream_tbDpT10_ENKUlT_T0_E_clISt17integral_constantIbLb1EES1D_EEDaS18_S19_EUlS18_E_NS1_11comp_targetILNS1_3genE10ELNS1_11target_archE1200ELNS1_3gpuE4ELNS1_3repE0EEENS1_30default_config_static_selectorELNS0_4arch9wavefront6targetE1EEEvT1_.has_indirect_call, 0
	.section	.AMDGPU.csdata,"",@progbits
; Kernel info:
; codeLenInByte = 0
; TotalNumSgprs: 4
; NumVgprs: 0
; ScratchSize: 0
; MemoryBound: 0
; FloatMode: 240
; IeeeMode: 1
; LDSByteSize: 0 bytes/workgroup (compile time only)
; SGPRBlocks: 0
; VGPRBlocks: 0
; NumSGPRsForWavesPerEU: 4
; NumVGPRsForWavesPerEU: 1
; Occupancy: 10
; WaveLimiterHint : 0
; COMPUTE_PGM_RSRC2:SCRATCH_EN: 0
; COMPUTE_PGM_RSRC2:USER_SGPR: 6
; COMPUTE_PGM_RSRC2:TRAP_HANDLER: 0
; COMPUTE_PGM_RSRC2:TGID_X_EN: 1
; COMPUTE_PGM_RSRC2:TGID_Y_EN: 0
; COMPUTE_PGM_RSRC2:TGID_Z_EN: 0
; COMPUTE_PGM_RSRC2:TIDIG_COMP_CNT: 0
	.section	.text._ZN7rocprim17ROCPRIM_400000_NS6detail17trampoline_kernelINS0_14default_configENS1_25partition_config_selectorILNS1_17partition_subalgoE8EjNS0_10empty_typeEbEEZZNS1_14partition_implILS5_8ELb0ES3_jN6thrust23THRUST_200600_302600_NS6detail15normal_iteratorINSA_10device_ptrIjEEEEPS6_PKS6_NS0_5tupleIJNSA_16discard_iteratorINSA_11use_defaultEEES6_EEENSJ_IJSG_SG_EEENS0_18inequality_wrapperINSA_8equal_toIjEEEEPmJS6_EEE10hipError_tPvRmT3_T4_T5_T6_T7_T9_mT8_P12ihipStream_tbDpT10_ENKUlT_T0_E_clISt17integral_constantIbLb1EES1D_EEDaS18_S19_EUlS18_E_NS1_11comp_targetILNS1_3genE9ELNS1_11target_archE1100ELNS1_3gpuE3ELNS1_3repE0EEENS1_30default_config_static_selectorELNS0_4arch9wavefront6targetE1EEEvT1_,"axG",@progbits,_ZN7rocprim17ROCPRIM_400000_NS6detail17trampoline_kernelINS0_14default_configENS1_25partition_config_selectorILNS1_17partition_subalgoE8EjNS0_10empty_typeEbEEZZNS1_14partition_implILS5_8ELb0ES3_jN6thrust23THRUST_200600_302600_NS6detail15normal_iteratorINSA_10device_ptrIjEEEEPS6_PKS6_NS0_5tupleIJNSA_16discard_iteratorINSA_11use_defaultEEES6_EEENSJ_IJSG_SG_EEENS0_18inequality_wrapperINSA_8equal_toIjEEEEPmJS6_EEE10hipError_tPvRmT3_T4_T5_T6_T7_T9_mT8_P12ihipStream_tbDpT10_ENKUlT_T0_E_clISt17integral_constantIbLb1EES1D_EEDaS18_S19_EUlS18_E_NS1_11comp_targetILNS1_3genE9ELNS1_11target_archE1100ELNS1_3gpuE3ELNS1_3repE0EEENS1_30default_config_static_selectorELNS0_4arch9wavefront6targetE1EEEvT1_,comdat
	.protected	_ZN7rocprim17ROCPRIM_400000_NS6detail17trampoline_kernelINS0_14default_configENS1_25partition_config_selectorILNS1_17partition_subalgoE8EjNS0_10empty_typeEbEEZZNS1_14partition_implILS5_8ELb0ES3_jN6thrust23THRUST_200600_302600_NS6detail15normal_iteratorINSA_10device_ptrIjEEEEPS6_PKS6_NS0_5tupleIJNSA_16discard_iteratorINSA_11use_defaultEEES6_EEENSJ_IJSG_SG_EEENS0_18inequality_wrapperINSA_8equal_toIjEEEEPmJS6_EEE10hipError_tPvRmT3_T4_T5_T6_T7_T9_mT8_P12ihipStream_tbDpT10_ENKUlT_T0_E_clISt17integral_constantIbLb1EES1D_EEDaS18_S19_EUlS18_E_NS1_11comp_targetILNS1_3genE9ELNS1_11target_archE1100ELNS1_3gpuE3ELNS1_3repE0EEENS1_30default_config_static_selectorELNS0_4arch9wavefront6targetE1EEEvT1_ ; -- Begin function _ZN7rocprim17ROCPRIM_400000_NS6detail17trampoline_kernelINS0_14default_configENS1_25partition_config_selectorILNS1_17partition_subalgoE8EjNS0_10empty_typeEbEEZZNS1_14partition_implILS5_8ELb0ES3_jN6thrust23THRUST_200600_302600_NS6detail15normal_iteratorINSA_10device_ptrIjEEEEPS6_PKS6_NS0_5tupleIJNSA_16discard_iteratorINSA_11use_defaultEEES6_EEENSJ_IJSG_SG_EEENS0_18inequality_wrapperINSA_8equal_toIjEEEEPmJS6_EEE10hipError_tPvRmT3_T4_T5_T6_T7_T9_mT8_P12ihipStream_tbDpT10_ENKUlT_T0_E_clISt17integral_constantIbLb1EES1D_EEDaS18_S19_EUlS18_E_NS1_11comp_targetILNS1_3genE9ELNS1_11target_archE1100ELNS1_3gpuE3ELNS1_3repE0EEENS1_30default_config_static_selectorELNS0_4arch9wavefront6targetE1EEEvT1_
	.globl	_ZN7rocprim17ROCPRIM_400000_NS6detail17trampoline_kernelINS0_14default_configENS1_25partition_config_selectorILNS1_17partition_subalgoE8EjNS0_10empty_typeEbEEZZNS1_14partition_implILS5_8ELb0ES3_jN6thrust23THRUST_200600_302600_NS6detail15normal_iteratorINSA_10device_ptrIjEEEEPS6_PKS6_NS0_5tupleIJNSA_16discard_iteratorINSA_11use_defaultEEES6_EEENSJ_IJSG_SG_EEENS0_18inequality_wrapperINSA_8equal_toIjEEEEPmJS6_EEE10hipError_tPvRmT3_T4_T5_T6_T7_T9_mT8_P12ihipStream_tbDpT10_ENKUlT_T0_E_clISt17integral_constantIbLb1EES1D_EEDaS18_S19_EUlS18_E_NS1_11comp_targetILNS1_3genE9ELNS1_11target_archE1100ELNS1_3gpuE3ELNS1_3repE0EEENS1_30default_config_static_selectorELNS0_4arch9wavefront6targetE1EEEvT1_
	.p2align	8
	.type	_ZN7rocprim17ROCPRIM_400000_NS6detail17trampoline_kernelINS0_14default_configENS1_25partition_config_selectorILNS1_17partition_subalgoE8EjNS0_10empty_typeEbEEZZNS1_14partition_implILS5_8ELb0ES3_jN6thrust23THRUST_200600_302600_NS6detail15normal_iteratorINSA_10device_ptrIjEEEEPS6_PKS6_NS0_5tupleIJNSA_16discard_iteratorINSA_11use_defaultEEES6_EEENSJ_IJSG_SG_EEENS0_18inequality_wrapperINSA_8equal_toIjEEEEPmJS6_EEE10hipError_tPvRmT3_T4_T5_T6_T7_T9_mT8_P12ihipStream_tbDpT10_ENKUlT_T0_E_clISt17integral_constantIbLb1EES1D_EEDaS18_S19_EUlS18_E_NS1_11comp_targetILNS1_3genE9ELNS1_11target_archE1100ELNS1_3gpuE3ELNS1_3repE0EEENS1_30default_config_static_selectorELNS0_4arch9wavefront6targetE1EEEvT1_,@function
_ZN7rocprim17ROCPRIM_400000_NS6detail17trampoline_kernelINS0_14default_configENS1_25partition_config_selectorILNS1_17partition_subalgoE8EjNS0_10empty_typeEbEEZZNS1_14partition_implILS5_8ELb0ES3_jN6thrust23THRUST_200600_302600_NS6detail15normal_iteratorINSA_10device_ptrIjEEEEPS6_PKS6_NS0_5tupleIJNSA_16discard_iteratorINSA_11use_defaultEEES6_EEENSJ_IJSG_SG_EEENS0_18inequality_wrapperINSA_8equal_toIjEEEEPmJS6_EEE10hipError_tPvRmT3_T4_T5_T6_T7_T9_mT8_P12ihipStream_tbDpT10_ENKUlT_T0_E_clISt17integral_constantIbLb1EES1D_EEDaS18_S19_EUlS18_E_NS1_11comp_targetILNS1_3genE9ELNS1_11target_archE1100ELNS1_3gpuE3ELNS1_3repE0EEENS1_30default_config_static_selectorELNS0_4arch9wavefront6targetE1EEEvT1_: ; @_ZN7rocprim17ROCPRIM_400000_NS6detail17trampoline_kernelINS0_14default_configENS1_25partition_config_selectorILNS1_17partition_subalgoE8EjNS0_10empty_typeEbEEZZNS1_14partition_implILS5_8ELb0ES3_jN6thrust23THRUST_200600_302600_NS6detail15normal_iteratorINSA_10device_ptrIjEEEEPS6_PKS6_NS0_5tupleIJNSA_16discard_iteratorINSA_11use_defaultEEES6_EEENSJ_IJSG_SG_EEENS0_18inequality_wrapperINSA_8equal_toIjEEEEPmJS6_EEE10hipError_tPvRmT3_T4_T5_T6_T7_T9_mT8_P12ihipStream_tbDpT10_ENKUlT_T0_E_clISt17integral_constantIbLb1EES1D_EEDaS18_S19_EUlS18_E_NS1_11comp_targetILNS1_3genE9ELNS1_11target_archE1100ELNS1_3gpuE3ELNS1_3repE0EEENS1_30default_config_static_selectorELNS0_4arch9wavefront6targetE1EEEvT1_
; %bb.0:
	.section	.rodata,"a",@progbits
	.p2align	6, 0x0
	.amdhsa_kernel _ZN7rocprim17ROCPRIM_400000_NS6detail17trampoline_kernelINS0_14default_configENS1_25partition_config_selectorILNS1_17partition_subalgoE8EjNS0_10empty_typeEbEEZZNS1_14partition_implILS5_8ELb0ES3_jN6thrust23THRUST_200600_302600_NS6detail15normal_iteratorINSA_10device_ptrIjEEEEPS6_PKS6_NS0_5tupleIJNSA_16discard_iteratorINSA_11use_defaultEEES6_EEENSJ_IJSG_SG_EEENS0_18inequality_wrapperINSA_8equal_toIjEEEEPmJS6_EEE10hipError_tPvRmT3_T4_T5_T6_T7_T9_mT8_P12ihipStream_tbDpT10_ENKUlT_T0_E_clISt17integral_constantIbLb1EES1D_EEDaS18_S19_EUlS18_E_NS1_11comp_targetILNS1_3genE9ELNS1_11target_archE1100ELNS1_3gpuE3ELNS1_3repE0EEENS1_30default_config_static_selectorELNS0_4arch9wavefront6targetE1EEEvT1_
		.amdhsa_group_segment_fixed_size 0
		.amdhsa_private_segment_fixed_size 0
		.amdhsa_kernarg_size 136
		.amdhsa_user_sgpr_count 6
		.amdhsa_user_sgpr_private_segment_buffer 1
		.amdhsa_user_sgpr_dispatch_ptr 0
		.amdhsa_user_sgpr_queue_ptr 0
		.amdhsa_user_sgpr_kernarg_segment_ptr 1
		.amdhsa_user_sgpr_dispatch_id 0
		.amdhsa_user_sgpr_flat_scratch_init 0
		.amdhsa_user_sgpr_private_segment_size 0
		.amdhsa_uses_dynamic_stack 0
		.amdhsa_system_sgpr_private_segment_wavefront_offset 0
		.amdhsa_system_sgpr_workgroup_id_x 1
		.amdhsa_system_sgpr_workgroup_id_y 0
		.amdhsa_system_sgpr_workgroup_id_z 0
		.amdhsa_system_sgpr_workgroup_info 0
		.amdhsa_system_vgpr_workitem_id 0
		.amdhsa_next_free_vgpr 1
		.amdhsa_next_free_sgpr 0
		.amdhsa_reserve_vcc 0
		.amdhsa_reserve_flat_scratch 0
		.amdhsa_float_round_mode_32 0
		.amdhsa_float_round_mode_16_64 0
		.amdhsa_float_denorm_mode_32 3
		.amdhsa_float_denorm_mode_16_64 3
		.amdhsa_dx10_clamp 1
		.amdhsa_ieee_mode 1
		.amdhsa_fp16_overflow 0
		.amdhsa_exception_fp_ieee_invalid_op 0
		.amdhsa_exception_fp_denorm_src 0
		.amdhsa_exception_fp_ieee_div_zero 0
		.amdhsa_exception_fp_ieee_overflow 0
		.amdhsa_exception_fp_ieee_underflow 0
		.amdhsa_exception_fp_ieee_inexact 0
		.amdhsa_exception_int_div_zero 0
	.end_amdhsa_kernel
	.section	.text._ZN7rocprim17ROCPRIM_400000_NS6detail17trampoline_kernelINS0_14default_configENS1_25partition_config_selectorILNS1_17partition_subalgoE8EjNS0_10empty_typeEbEEZZNS1_14partition_implILS5_8ELb0ES3_jN6thrust23THRUST_200600_302600_NS6detail15normal_iteratorINSA_10device_ptrIjEEEEPS6_PKS6_NS0_5tupleIJNSA_16discard_iteratorINSA_11use_defaultEEES6_EEENSJ_IJSG_SG_EEENS0_18inequality_wrapperINSA_8equal_toIjEEEEPmJS6_EEE10hipError_tPvRmT3_T4_T5_T6_T7_T9_mT8_P12ihipStream_tbDpT10_ENKUlT_T0_E_clISt17integral_constantIbLb1EES1D_EEDaS18_S19_EUlS18_E_NS1_11comp_targetILNS1_3genE9ELNS1_11target_archE1100ELNS1_3gpuE3ELNS1_3repE0EEENS1_30default_config_static_selectorELNS0_4arch9wavefront6targetE1EEEvT1_,"axG",@progbits,_ZN7rocprim17ROCPRIM_400000_NS6detail17trampoline_kernelINS0_14default_configENS1_25partition_config_selectorILNS1_17partition_subalgoE8EjNS0_10empty_typeEbEEZZNS1_14partition_implILS5_8ELb0ES3_jN6thrust23THRUST_200600_302600_NS6detail15normal_iteratorINSA_10device_ptrIjEEEEPS6_PKS6_NS0_5tupleIJNSA_16discard_iteratorINSA_11use_defaultEEES6_EEENSJ_IJSG_SG_EEENS0_18inequality_wrapperINSA_8equal_toIjEEEEPmJS6_EEE10hipError_tPvRmT3_T4_T5_T6_T7_T9_mT8_P12ihipStream_tbDpT10_ENKUlT_T0_E_clISt17integral_constantIbLb1EES1D_EEDaS18_S19_EUlS18_E_NS1_11comp_targetILNS1_3genE9ELNS1_11target_archE1100ELNS1_3gpuE3ELNS1_3repE0EEENS1_30default_config_static_selectorELNS0_4arch9wavefront6targetE1EEEvT1_,comdat
.Lfunc_end579:
	.size	_ZN7rocprim17ROCPRIM_400000_NS6detail17trampoline_kernelINS0_14default_configENS1_25partition_config_selectorILNS1_17partition_subalgoE8EjNS0_10empty_typeEbEEZZNS1_14partition_implILS5_8ELb0ES3_jN6thrust23THRUST_200600_302600_NS6detail15normal_iteratorINSA_10device_ptrIjEEEEPS6_PKS6_NS0_5tupleIJNSA_16discard_iteratorINSA_11use_defaultEEES6_EEENSJ_IJSG_SG_EEENS0_18inequality_wrapperINSA_8equal_toIjEEEEPmJS6_EEE10hipError_tPvRmT3_T4_T5_T6_T7_T9_mT8_P12ihipStream_tbDpT10_ENKUlT_T0_E_clISt17integral_constantIbLb1EES1D_EEDaS18_S19_EUlS18_E_NS1_11comp_targetILNS1_3genE9ELNS1_11target_archE1100ELNS1_3gpuE3ELNS1_3repE0EEENS1_30default_config_static_selectorELNS0_4arch9wavefront6targetE1EEEvT1_, .Lfunc_end579-_ZN7rocprim17ROCPRIM_400000_NS6detail17trampoline_kernelINS0_14default_configENS1_25partition_config_selectorILNS1_17partition_subalgoE8EjNS0_10empty_typeEbEEZZNS1_14partition_implILS5_8ELb0ES3_jN6thrust23THRUST_200600_302600_NS6detail15normal_iteratorINSA_10device_ptrIjEEEEPS6_PKS6_NS0_5tupleIJNSA_16discard_iteratorINSA_11use_defaultEEES6_EEENSJ_IJSG_SG_EEENS0_18inequality_wrapperINSA_8equal_toIjEEEEPmJS6_EEE10hipError_tPvRmT3_T4_T5_T6_T7_T9_mT8_P12ihipStream_tbDpT10_ENKUlT_T0_E_clISt17integral_constantIbLb1EES1D_EEDaS18_S19_EUlS18_E_NS1_11comp_targetILNS1_3genE9ELNS1_11target_archE1100ELNS1_3gpuE3ELNS1_3repE0EEENS1_30default_config_static_selectorELNS0_4arch9wavefront6targetE1EEEvT1_
                                        ; -- End function
	.set _ZN7rocprim17ROCPRIM_400000_NS6detail17trampoline_kernelINS0_14default_configENS1_25partition_config_selectorILNS1_17partition_subalgoE8EjNS0_10empty_typeEbEEZZNS1_14partition_implILS5_8ELb0ES3_jN6thrust23THRUST_200600_302600_NS6detail15normal_iteratorINSA_10device_ptrIjEEEEPS6_PKS6_NS0_5tupleIJNSA_16discard_iteratorINSA_11use_defaultEEES6_EEENSJ_IJSG_SG_EEENS0_18inequality_wrapperINSA_8equal_toIjEEEEPmJS6_EEE10hipError_tPvRmT3_T4_T5_T6_T7_T9_mT8_P12ihipStream_tbDpT10_ENKUlT_T0_E_clISt17integral_constantIbLb1EES1D_EEDaS18_S19_EUlS18_E_NS1_11comp_targetILNS1_3genE9ELNS1_11target_archE1100ELNS1_3gpuE3ELNS1_3repE0EEENS1_30default_config_static_selectorELNS0_4arch9wavefront6targetE1EEEvT1_.num_vgpr, 0
	.set _ZN7rocprim17ROCPRIM_400000_NS6detail17trampoline_kernelINS0_14default_configENS1_25partition_config_selectorILNS1_17partition_subalgoE8EjNS0_10empty_typeEbEEZZNS1_14partition_implILS5_8ELb0ES3_jN6thrust23THRUST_200600_302600_NS6detail15normal_iteratorINSA_10device_ptrIjEEEEPS6_PKS6_NS0_5tupleIJNSA_16discard_iteratorINSA_11use_defaultEEES6_EEENSJ_IJSG_SG_EEENS0_18inequality_wrapperINSA_8equal_toIjEEEEPmJS6_EEE10hipError_tPvRmT3_T4_T5_T6_T7_T9_mT8_P12ihipStream_tbDpT10_ENKUlT_T0_E_clISt17integral_constantIbLb1EES1D_EEDaS18_S19_EUlS18_E_NS1_11comp_targetILNS1_3genE9ELNS1_11target_archE1100ELNS1_3gpuE3ELNS1_3repE0EEENS1_30default_config_static_selectorELNS0_4arch9wavefront6targetE1EEEvT1_.num_agpr, 0
	.set _ZN7rocprim17ROCPRIM_400000_NS6detail17trampoline_kernelINS0_14default_configENS1_25partition_config_selectorILNS1_17partition_subalgoE8EjNS0_10empty_typeEbEEZZNS1_14partition_implILS5_8ELb0ES3_jN6thrust23THRUST_200600_302600_NS6detail15normal_iteratorINSA_10device_ptrIjEEEEPS6_PKS6_NS0_5tupleIJNSA_16discard_iteratorINSA_11use_defaultEEES6_EEENSJ_IJSG_SG_EEENS0_18inequality_wrapperINSA_8equal_toIjEEEEPmJS6_EEE10hipError_tPvRmT3_T4_T5_T6_T7_T9_mT8_P12ihipStream_tbDpT10_ENKUlT_T0_E_clISt17integral_constantIbLb1EES1D_EEDaS18_S19_EUlS18_E_NS1_11comp_targetILNS1_3genE9ELNS1_11target_archE1100ELNS1_3gpuE3ELNS1_3repE0EEENS1_30default_config_static_selectorELNS0_4arch9wavefront6targetE1EEEvT1_.numbered_sgpr, 0
	.set _ZN7rocprim17ROCPRIM_400000_NS6detail17trampoline_kernelINS0_14default_configENS1_25partition_config_selectorILNS1_17partition_subalgoE8EjNS0_10empty_typeEbEEZZNS1_14partition_implILS5_8ELb0ES3_jN6thrust23THRUST_200600_302600_NS6detail15normal_iteratorINSA_10device_ptrIjEEEEPS6_PKS6_NS0_5tupleIJNSA_16discard_iteratorINSA_11use_defaultEEES6_EEENSJ_IJSG_SG_EEENS0_18inequality_wrapperINSA_8equal_toIjEEEEPmJS6_EEE10hipError_tPvRmT3_T4_T5_T6_T7_T9_mT8_P12ihipStream_tbDpT10_ENKUlT_T0_E_clISt17integral_constantIbLb1EES1D_EEDaS18_S19_EUlS18_E_NS1_11comp_targetILNS1_3genE9ELNS1_11target_archE1100ELNS1_3gpuE3ELNS1_3repE0EEENS1_30default_config_static_selectorELNS0_4arch9wavefront6targetE1EEEvT1_.num_named_barrier, 0
	.set _ZN7rocprim17ROCPRIM_400000_NS6detail17trampoline_kernelINS0_14default_configENS1_25partition_config_selectorILNS1_17partition_subalgoE8EjNS0_10empty_typeEbEEZZNS1_14partition_implILS5_8ELb0ES3_jN6thrust23THRUST_200600_302600_NS6detail15normal_iteratorINSA_10device_ptrIjEEEEPS6_PKS6_NS0_5tupleIJNSA_16discard_iteratorINSA_11use_defaultEEES6_EEENSJ_IJSG_SG_EEENS0_18inequality_wrapperINSA_8equal_toIjEEEEPmJS6_EEE10hipError_tPvRmT3_T4_T5_T6_T7_T9_mT8_P12ihipStream_tbDpT10_ENKUlT_T0_E_clISt17integral_constantIbLb1EES1D_EEDaS18_S19_EUlS18_E_NS1_11comp_targetILNS1_3genE9ELNS1_11target_archE1100ELNS1_3gpuE3ELNS1_3repE0EEENS1_30default_config_static_selectorELNS0_4arch9wavefront6targetE1EEEvT1_.private_seg_size, 0
	.set _ZN7rocprim17ROCPRIM_400000_NS6detail17trampoline_kernelINS0_14default_configENS1_25partition_config_selectorILNS1_17partition_subalgoE8EjNS0_10empty_typeEbEEZZNS1_14partition_implILS5_8ELb0ES3_jN6thrust23THRUST_200600_302600_NS6detail15normal_iteratorINSA_10device_ptrIjEEEEPS6_PKS6_NS0_5tupleIJNSA_16discard_iteratorINSA_11use_defaultEEES6_EEENSJ_IJSG_SG_EEENS0_18inequality_wrapperINSA_8equal_toIjEEEEPmJS6_EEE10hipError_tPvRmT3_T4_T5_T6_T7_T9_mT8_P12ihipStream_tbDpT10_ENKUlT_T0_E_clISt17integral_constantIbLb1EES1D_EEDaS18_S19_EUlS18_E_NS1_11comp_targetILNS1_3genE9ELNS1_11target_archE1100ELNS1_3gpuE3ELNS1_3repE0EEENS1_30default_config_static_selectorELNS0_4arch9wavefront6targetE1EEEvT1_.uses_vcc, 0
	.set _ZN7rocprim17ROCPRIM_400000_NS6detail17trampoline_kernelINS0_14default_configENS1_25partition_config_selectorILNS1_17partition_subalgoE8EjNS0_10empty_typeEbEEZZNS1_14partition_implILS5_8ELb0ES3_jN6thrust23THRUST_200600_302600_NS6detail15normal_iteratorINSA_10device_ptrIjEEEEPS6_PKS6_NS0_5tupleIJNSA_16discard_iteratorINSA_11use_defaultEEES6_EEENSJ_IJSG_SG_EEENS0_18inequality_wrapperINSA_8equal_toIjEEEEPmJS6_EEE10hipError_tPvRmT3_T4_T5_T6_T7_T9_mT8_P12ihipStream_tbDpT10_ENKUlT_T0_E_clISt17integral_constantIbLb1EES1D_EEDaS18_S19_EUlS18_E_NS1_11comp_targetILNS1_3genE9ELNS1_11target_archE1100ELNS1_3gpuE3ELNS1_3repE0EEENS1_30default_config_static_selectorELNS0_4arch9wavefront6targetE1EEEvT1_.uses_flat_scratch, 0
	.set _ZN7rocprim17ROCPRIM_400000_NS6detail17trampoline_kernelINS0_14default_configENS1_25partition_config_selectorILNS1_17partition_subalgoE8EjNS0_10empty_typeEbEEZZNS1_14partition_implILS5_8ELb0ES3_jN6thrust23THRUST_200600_302600_NS6detail15normal_iteratorINSA_10device_ptrIjEEEEPS6_PKS6_NS0_5tupleIJNSA_16discard_iteratorINSA_11use_defaultEEES6_EEENSJ_IJSG_SG_EEENS0_18inequality_wrapperINSA_8equal_toIjEEEEPmJS6_EEE10hipError_tPvRmT3_T4_T5_T6_T7_T9_mT8_P12ihipStream_tbDpT10_ENKUlT_T0_E_clISt17integral_constantIbLb1EES1D_EEDaS18_S19_EUlS18_E_NS1_11comp_targetILNS1_3genE9ELNS1_11target_archE1100ELNS1_3gpuE3ELNS1_3repE0EEENS1_30default_config_static_selectorELNS0_4arch9wavefront6targetE1EEEvT1_.has_dyn_sized_stack, 0
	.set _ZN7rocprim17ROCPRIM_400000_NS6detail17trampoline_kernelINS0_14default_configENS1_25partition_config_selectorILNS1_17partition_subalgoE8EjNS0_10empty_typeEbEEZZNS1_14partition_implILS5_8ELb0ES3_jN6thrust23THRUST_200600_302600_NS6detail15normal_iteratorINSA_10device_ptrIjEEEEPS6_PKS6_NS0_5tupleIJNSA_16discard_iteratorINSA_11use_defaultEEES6_EEENSJ_IJSG_SG_EEENS0_18inequality_wrapperINSA_8equal_toIjEEEEPmJS6_EEE10hipError_tPvRmT3_T4_T5_T6_T7_T9_mT8_P12ihipStream_tbDpT10_ENKUlT_T0_E_clISt17integral_constantIbLb1EES1D_EEDaS18_S19_EUlS18_E_NS1_11comp_targetILNS1_3genE9ELNS1_11target_archE1100ELNS1_3gpuE3ELNS1_3repE0EEENS1_30default_config_static_selectorELNS0_4arch9wavefront6targetE1EEEvT1_.has_recursion, 0
	.set _ZN7rocprim17ROCPRIM_400000_NS6detail17trampoline_kernelINS0_14default_configENS1_25partition_config_selectorILNS1_17partition_subalgoE8EjNS0_10empty_typeEbEEZZNS1_14partition_implILS5_8ELb0ES3_jN6thrust23THRUST_200600_302600_NS6detail15normal_iteratorINSA_10device_ptrIjEEEEPS6_PKS6_NS0_5tupleIJNSA_16discard_iteratorINSA_11use_defaultEEES6_EEENSJ_IJSG_SG_EEENS0_18inequality_wrapperINSA_8equal_toIjEEEEPmJS6_EEE10hipError_tPvRmT3_T4_T5_T6_T7_T9_mT8_P12ihipStream_tbDpT10_ENKUlT_T0_E_clISt17integral_constantIbLb1EES1D_EEDaS18_S19_EUlS18_E_NS1_11comp_targetILNS1_3genE9ELNS1_11target_archE1100ELNS1_3gpuE3ELNS1_3repE0EEENS1_30default_config_static_selectorELNS0_4arch9wavefront6targetE1EEEvT1_.has_indirect_call, 0
	.section	.AMDGPU.csdata,"",@progbits
; Kernel info:
; codeLenInByte = 0
; TotalNumSgprs: 4
; NumVgprs: 0
; ScratchSize: 0
; MemoryBound: 0
; FloatMode: 240
; IeeeMode: 1
; LDSByteSize: 0 bytes/workgroup (compile time only)
; SGPRBlocks: 0
; VGPRBlocks: 0
; NumSGPRsForWavesPerEU: 4
; NumVGPRsForWavesPerEU: 1
; Occupancy: 10
; WaveLimiterHint : 0
; COMPUTE_PGM_RSRC2:SCRATCH_EN: 0
; COMPUTE_PGM_RSRC2:USER_SGPR: 6
; COMPUTE_PGM_RSRC2:TRAP_HANDLER: 0
; COMPUTE_PGM_RSRC2:TGID_X_EN: 1
; COMPUTE_PGM_RSRC2:TGID_Y_EN: 0
; COMPUTE_PGM_RSRC2:TGID_Z_EN: 0
; COMPUTE_PGM_RSRC2:TIDIG_COMP_CNT: 0
	.section	.text._ZN7rocprim17ROCPRIM_400000_NS6detail17trampoline_kernelINS0_14default_configENS1_25partition_config_selectorILNS1_17partition_subalgoE8EjNS0_10empty_typeEbEEZZNS1_14partition_implILS5_8ELb0ES3_jN6thrust23THRUST_200600_302600_NS6detail15normal_iteratorINSA_10device_ptrIjEEEEPS6_PKS6_NS0_5tupleIJNSA_16discard_iteratorINSA_11use_defaultEEES6_EEENSJ_IJSG_SG_EEENS0_18inequality_wrapperINSA_8equal_toIjEEEEPmJS6_EEE10hipError_tPvRmT3_T4_T5_T6_T7_T9_mT8_P12ihipStream_tbDpT10_ENKUlT_T0_E_clISt17integral_constantIbLb1EES1D_EEDaS18_S19_EUlS18_E_NS1_11comp_targetILNS1_3genE8ELNS1_11target_archE1030ELNS1_3gpuE2ELNS1_3repE0EEENS1_30default_config_static_selectorELNS0_4arch9wavefront6targetE1EEEvT1_,"axG",@progbits,_ZN7rocprim17ROCPRIM_400000_NS6detail17trampoline_kernelINS0_14default_configENS1_25partition_config_selectorILNS1_17partition_subalgoE8EjNS0_10empty_typeEbEEZZNS1_14partition_implILS5_8ELb0ES3_jN6thrust23THRUST_200600_302600_NS6detail15normal_iteratorINSA_10device_ptrIjEEEEPS6_PKS6_NS0_5tupleIJNSA_16discard_iteratorINSA_11use_defaultEEES6_EEENSJ_IJSG_SG_EEENS0_18inequality_wrapperINSA_8equal_toIjEEEEPmJS6_EEE10hipError_tPvRmT3_T4_T5_T6_T7_T9_mT8_P12ihipStream_tbDpT10_ENKUlT_T0_E_clISt17integral_constantIbLb1EES1D_EEDaS18_S19_EUlS18_E_NS1_11comp_targetILNS1_3genE8ELNS1_11target_archE1030ELNS1_3gpuE2ELNS1_3repE0EEENS1_30default_config_static_selectorELNS0_4arch9wavefront6targetE1EEEvT1_,comdat
	.protected	_ZN7rocprim17ROCPRIM_400000_NS6detail17trampoline_kernelINS0_14default_configENS1_25partition_config_selectorILNS1_17partition_subalgoE8EjNS0_10empty_typeEbEEZZNS1_14partition_implILS5_8ELb0ES3_jN6thrust23THRUST_200600_302600_NS6detail15normal_iteratorINSA_10device_ptrIjEEEEPS6_PKS6_NS0_5tupleIJNSA_16discard_iteratorINSA_11use_defaultEEES6_EEENSJ_IJSG_SG_EEENS0_18inequality_wrapperINSA_8equal_toIjEEEEPmJS6_EEE10hipError_tPvRmT3_T4_T5_T6_T7_T9_mT8_P12ihipStream_tbDpT10_ENKUlT_T0_E_clISt17integral_constantIbLb1EES1D_EEDaS18_S19_EUlS18_E_NS1_11comp_targetILNS1_3genE8ELNS1_11target_archE1030ELNS1_3gpuE2ELNS1_3repE0EEENS1_30default_config_static_selectorELNS0_4arch9wavefront6targetE1EEEvT1_ ; -- Begin function _ZN7rocprim17ROCPRIM_400000_NS6detail17trampoline_kernelINS0_14default_configENS1_25partition_config_selectorILNS1_17partition_subalgoE8EjNS0_10empty_typeEbEEZZNS1_14partition_implILS5_8ELb0ES3_jN6thrust23THRUST_200600_302600_NS6detail15normal_iteratorINSA_10device_ptrIjEEEEPS6_PKS6_NS0_5tupleIJNSA_16discard_iteratorINSA_11use_defaultEEES6_EEENSJ_IJSG_SG_EEENS0_18inequality_wrapperINSA_8equal_toIjEEEEPmJS6_EEE10hipError_tPvRmT3_T4_T5_T6_T7_T9_mT8_P12ihipStream_tbDpT10_ENKUlT_T0_E_clISt17integral_constantIbLb1EES1D_EEDaS18_S19_EUlS18_E_NS1_11comp_targetILNS1_3genE8ELNS1_11target_archE1030ELNS1_3gpuE2ELNS1_3repE0EEENS1_30default_config_static_selectorELNS0_4arch9wavefront6targetE1EEEvT1_
	.globl	_ZN7rocprim17ROCPRIM_400000_NS6detail17trampoline_kernelINS0_14default_configENS1_25partition_config_selectorILNS1_17partition_subalgoE8EjNS0_10empty_typeEbEEZZNS1_14partition_implILS5_8ELb0ES3_jN6thrust23THRUST_200600_302600_NS6detail15normal_iteratorINSA_10device_ptrIjEEEEPS6_PKS6_NS0_5tupleIJNSA_16discard_iteratorINSA_11use_defaultEEES6_EEENSJ_IJSG_SG_EEENS0_18inequality_wrapperINSA_8equal_toIjEEEEPmJS6_EEE10hipError_tPvRmT3_T4_T5_T6_T7_T9_mT8_P12ihipStream_tbDpT10_ENKUlT_T0_E_clISt17integral_constantIbLb1EES1D_EEDaS18_S19_EUlS18_E_NS1_11comp_targetILNS1_3genE8ELNS1_11target_archE1030ELNS1_3gpuE2ELNS1_3repE0EEENS1_30default_config_static_selectorELNS0_4arch9wavefront6targetE1EEEvT1_
	.p2align	8
	.type	_ZN7rocprim17ROCPRIM_400000_NS6detail17trampoline_kernelINS0_14default_configENS1_25partition_config_selectorILNS1_17partition_subalgoE8EjNS0_10empty_typeEbEEZZNS1_14partition_implILS5_8ELb0ES3_jN6thrust23THRUST_200600_302600_NS6detail15normal_iteratorINSA_10device_ptrIjEEEEPS6_PKS6_NS0_5tupleIJNSA_16discard_iteratorINSA_11use_defaultEEES6_EEENSJ_IJSG_SG_EEENS0_18inequality_wrapperINSA_8equal_toIjEEEEPmJS6_EEE10hipError_tPvRmT3_T4_T5_T6_T7_T9_mT8_P12ihipStream_tbDpT10_ENKUlT_T0_E_clISt17integral_constantIbLb1EES1D_EEDaS18_S19_EUlS18_E_NS1_11comp_targetILNS1_3genE8ELNS1_11target_archE1030ELNS1_3gpuE2ELNS1_3repE0EEENS1_30default_config_static_selectorELNS0_4arch9wavefront6targetE1EEEvT1_,@function
_ZN7rocprim17ROCPRIM_400000_NS6detail17trampoline_kernelINS0_14default_configENS1_25partition_config_selectorILNS1_17partition_subalgoE8EjNS0_10empty_typeEbEEZZNS1_14partition_implILS5_8ELb0ES3_jN6thrust23THRUST_200600_302600_NS6detail15normal_iteratorINSA_10device_ptrIjEEEEPS6_PKS6_NS0_5tupleIJNSA_16discard_iteratorINSA_11use_defaultEEES6_EEENSJ_IJSG_SG_EEENS0_18inequality_wrapperINSA_8equal_toIjEEEEPmJS6_EEE10hipError_tPvRmT3_T4_T5_T6_T7_T9_mT8_P12ihipStream_tbDpT10_ENKUlT_T0_E_clISt17integral_constantIbLb1EES1D_EEDaS18_S19_EUlS18_E_NS1_11comp_targetILNS1_3genE8ELNS1_11target_archE1030ELNS1_3gpuE2ELNS1_3repE0EEENS1_30default_config_static_selectorELNS0_4arch9wavefront6targetE1EEEvT1_: ; @_ZN7rocprim17ROCPRIM_400000_NS6detail17trampoline_kernelINS0_14default_configENS1_25partition_config_selectorILNS1_17partition_subalgoE8EjNS0_10empty_typeEbEEZZNS1_14partition_implILS5_8ELb0ES3_jN6thrust23THRUST_200600_302600_NS6detail15normal_iteratorINSA_10device_ptrIjEEEEPS6_PKS6_NS0_5tupleIJNSA_16discard_iteratorINSA_11use_defaultEEES6_EEENSJ_IJSG_SG_EEENS0_18inequality_wrapperINSA_8equal_toIjEEEEPmJS6_EEE10hipError_tPvRmT3_T4_T5_T6_T7_T9_mT8_P12ihipStream_tbDpT10_ENKUlT_T0_E_clISt17integral_constantIbLb1EES1D_EEDaS18_S19_EUlS18_E_NS1_11comp_targetILNS1_3genE8ELNS1_11target_archE1030ELNS1_3gpuE2ELNS1_3repE0EEENS1_30default_config_static_selectorELNS0_4arch9wavefront6targetE1EEEvT1_
; %bb.0:
	.section	.rodata,"a",@progbits
	.p2align	6, 0x0
	.amdhsa_kernel _ZN7rocprim17ROCPRIM_400000_NS6detail17trampoline_kernelINS0_14default_configENS1_25partition_config_selectorILNS1_17partition_subalgoE8EjNS0_10empty_typeEbEEZZNS1_14partition_implILS5_8ELb0ES3_jN6thrust23THRUST_200600_302600_NS6detail15normal_iteratorINSA_10device_ptrIjEEEEPS6_PKS6_NS0_5tupleIJNSA_16discard_iteratorINSA_11use_defaultEEES6_EEENSJ_IJSG_SG_EEENS0_18inequality_wrapperINSA_8equal_toIjEEEEPmJS6_EEE10hipError_tPvRmT3_T4_T5_T6_T7_T9_mT8_P12ihipStream_tbDpT10_ENKUlT_T0_E_clISt17integral_constantIbLb1EES1D_EEDaS18_S19_EUlS18_E_NS1_11comp_targetILNS1_3genE8ELNS1_11target_archE1030ELNS1_3gpuE2ELNS1_3repE0EEENS1_30default_config_static_selectorELNS0_4arch9wavefront6targetE1EEEvT1_
		.amdhsa_group_segment_fixed_size 0
		.amdhsa_private_segment_fixed_size 0
		.amdhsa_kernarg_size 136
		.amdhsa_user_sgpr_count 6
		.amdhsa_user_sgpr_private_segment_buffer 1
		.amdhsa_user_sgpr_dispatch_ptr 0
		.amdhsa_user_sgpr_queue_ptr 0
		.amdhsa_user_sgpr_kernarg_segment_ptr 1
		.amdhsa_user_sgpr_dispatch_id 0
		.amdhsa_user_sgpr_flat_scratch_init 0
		.amdhsa_user_sgpr_private_segment_size 0
		.amdhsa_uses_dynamic_stack 0
		.amdhsa_system_sgpr_private_segment_wavefront_offset 0
		.amdhsa_system_sgpr_workgroup_id_x 1
		.amdhsa_system_sgpr_workgroup_id_y 0
		.amdhsa_system_sgpr_workgroup_id_z 0
		.amdhsa_system_sgpr_workgroup_info 0
		.amdhsa_system_vgpr_workitem_id 0
		.amdhsa_next_free_vgpr 1
		.amdhsa_next_free_sgpr 0
		.amdhsa_reserve_vcc 0
		.amdhsa_reserve_flat_scratch 0
		.amdhsa_float_round_mode_32 0
		.amdhsa_float_round_mode_16_64 0
		.amdhsa_float_denorm_mode_32 3
		.amdhsa_float_denorm_mode_16_64 3
		.amdhsa_dx10_clamp 1
		.amdhsa_ieee_mode 1
		.amdhsa_fp16_overflow 0
		.amdhsa_exception_fp_ieee_invalid_op 0
		.amdhsa_exception_fp_denorm_src 0
		.amdhsa_exception_fp_ieee_div_zero 0
		.amdhsa_exception_fp_ieee_overflow 0
		.amdhsa_exception_fp_ieee_underflow 0
		.amdhsa_exception_fp_ieee_inexact 0
		.amdhsa_exception_int_div_zero 0
	.end_amdhsa_kernel
	.section	.text._ZN7rocprim17ROCPRIM_400000_NS6detail17trampoline_kernelINS0_14default_configENS1_25partition_config_selectorILNS1_17partition_subalgoE8EjNS0_10empty_typeEbEEZZNS1_14partition_implILS5_8ELb0ES3_jN6thrust23THRUST_200600_302600_NS6detail15normal_iteratorINSA_10device_ptrIjEEEEPS6_PKS6_NS0_5tupleIJNSA_16discard_iteratorINSA_11use_defaultEEES6_EEENSJ_IJSG_SG_EEENS0_18inequality_wrapperINSA_8equal_toIjEEEEPmJS6_EEE10hipError_tPvRmT3_T4_T5_T6_T7_T9_mT8_P12ihipStream_tbDpT10_ENKUlT_T0_E_clISt17integral_constantIbLb1EES1D_EEDaS18_S19_EUlS18_E_NS1_11comp_targetILNS1_3genE8ELNS1_11target_archE1030ELNS1_3gpuE2ELNS1_3repE0EEENS1_30default_config_static_selectorELNS0_4arch9wavefront6targetE1EEEvT1_,"axG",@progbits,_ZN7rocprim17ROCPRIM_400000_NS6detail17trampoline_kernelINS0_14default_configENS1_25partition_config_selectorILNS1_17partition_subalgoE8EjNS0_10empty_typeEbEEZZNS1_14partition_implILS5_8ELb0ES3_jN6thrust23THRUST_200600_302600_NS6detail15normal_iteratorINSA_10device_ptrIjEEEEPS6_PKS6_NS0_5tupleIJNSA_16discard_iteratorINSA_11use_defaultEEES6_EEENSJ_IJSG_SG_EEENS0_18inequality_wrapperINSA_8equal_toIjEEEEPmJS6_EEE10hipError_tPvRmT3_T4_T5_T6_T7_T9_mT8_P12ihipStream_tbDpT10_ENKUlT_T0_E_clISt17integral_constantIbLb1EES1D_EEDaS18_S19_EUlS18_E_NS1_11comp_targetILNS1_3genE8ELNS1_11target_archE1030ELNS1_3gpuE2ELNS1_3repE0EEENS1_30default_config_static_selectorELNS0_4arch9wavefront6targetE1EEEvT1_,comdat
.Lfunc_end580:
	.size	_ZN7rocprim17ROCPRIM_400000_NS6detail17trampoline_kernelINS0_14default_configENS1_25partition_config_selectorILNS1_17partition_subalgoE8EjNS0_10empty_typeEbEEZZNS1_14partition_implILS5_8ELb0ES3_jN6thrust23THRUST_200600_302600_NS6detail15normal_iteratorINSA_10device_ptrIjEEEEPS6_PKS6_NS0_5tupleIJNSA_16discard_iteratorINSA_11use_defaultEEES6_EEENSJ_IJSG_SG_EEENS0_18inequality_wrapperINSA_8equal_toIjEEEEPmJS6_EEE10hipError_tPvRmT3_T4_T5_T6_T7_T9_mT8_P12ihipStream_tbDpT10_ENKUlT_T0_E_clISt17integral_constantIbLb1EES1D_EEDaS18_S19_EUlS18_E_NS1_11comp_targetILNS1_3genE8ELNS1_11target_archE1030ELNS1_3gpuE2ELNS1_3repE0EEENS1_30default_config_static_selectorELNS0_4arch9wavefront6targetE1EEEvT1_, .Lfunc_end580-_ZN7rocprim17ROCPRIM_400000_NS6detail17trampoline_kernelINS0_14default_configENS1_25partition_config_selectorILNS1_17partition_subalgoE8EjNS0_10empty_typeEbEEZZNS1_14partition_implILS5_8ELb0ES3_jN6thrust23THRUST_200600_302600_NS6detail15normal_iteratorINSA_10device_ptrIjEEEEPS6_PKS6_NS0_5tupleIJNSA_16discard_iteratorINSA_11use_defaultEEES6_EEENSJ_IJSG_SG_EEENS0_18inequality_wrapperINSA_8equal_toIjEEEEPmJS6_EEE10hipError_tPvRmT3_T4_T5_T6_T7_T9_mT8_P12ihipStream_tbDpT10_ENKUlT_T0_E_clISt17integral_constantIbLb1EES1D_EEDaS18_S19_EUlS18_E_NS1_11comp_targetILNS1_3genE8ELNS1_11target_archE1030ELNS1_3gpuE2ELNS1_3repE0EEENS1_30default_config_static_selectorELNS0_4arch9wavefront6targetE1EEEvT1_
                                        ; -- End function
	.set _ZN7rocprim17ROCPRIM_400000_NS6detail17trampoline_kernelINS0_14default_configENS1_25partition_config_selectorILNS1_17partition_subalgoE8EjNS0_10empty_typeEbEEZZNS1_14partition_implILS5_8ELb0ES3_jN6thrust23THRUST_200600_302600_NS6detail15normal_iteratorINSA_10device_ptrIjEEEEPS6_PKS6_NS0_5tupleIJNSA_16discard_iteratorINSA_11use_defaultEEES6_EEENSJ_IJSG_SG_EEENS0_18inequality_wrapperINSA_8equal_toIjEEEEPmJS6_EEE10hipError_tPvRmT3_T4_T5_T6_T7_T9_mT8_P12ihipStream_tbDpT10_ENKUlT_T0_E_clISt17integral_constantIbLb1EES1D_EEDaS18_S19_EUlS18_E_NS1_11comp_targetILNS1_3genE8ELNS1_11target_archE1030ELNS1_3gpuE2ELNS1_3repE0EEENS1_30default_config_static_selectorELNS0_4arch9wavefront6targetE1EEEvT1_.num_vgpr, 0
	.set _ZN7rocprim17ROCPRIM_400000_NS6detail17trampoline_kernelINS0_14default_configENS1_25partition_config_selectorILNS1_17partition_subalgoE8EjNS0_10empty_typeEbEEZZNS1_14partition_implILS5_8ELb0ES3_jN6thrust23THRUST_200600_302600_NS6detail15normal_iteratorINSA_10device_ptrIjEEEEPS6_PKS6_NS0_5tupleIJNSA_16discard_iteratorINSA_11use_defaultEEES6_EEENSJ_IJSG_SG_EEENS0_18inequality_wrapperINSA_8equal_toIjEEEEPmJS6_EEE10hipError_tPvRmT3_T4_T5_T6_T7_T9_mT8_P12ihipStream_tbDpT10_ENKUlT_T0_E_clISt17integral_constantIbLb1EES1D_EEDaS18_S19_EUlS18_E_NS1_11comp_targetILNS1_3genE8ELNS1_11target_archE1030ELNS1_3gpuE2ELNS1_3repE0EEENS1_30default_config_static_selectorELNS0_4arch9wavefront6targetE1EEEvT1_.num_agpr, 0
	.set _ZN7rocprim17ROCPRIM_400000_NS6detail17trampoline_kernelINS0_14default_configENS1_25partition_config_selectorILNS1_17partition_subalgoE8EjNS0_10empty_typeEbEEZZNS1_14partition_implILS5_8ELb0ES3_jN6thrust23THRUST_200600_302600_NS6detail15normal_iteratorINSA_10device_ptrIjEEEEPS6_PKS6_NS0_5tupleIJNSA_16discard_iteratorINSA_11use_defaultEEES6_EEENSJ_IJSG_SG_EEENS0_18inequality_wrapperINSA_8equal_toIjEEEEPmJS6_EEE10hipError_tPvRmT3_T4_T5_T6_T7_T9_mT8_P12ihipStream_tbDpT10_ENKUlT_T0_E_clISt17integral_constantIbLb1EES1D_EEDaS18_S19_EUlS18_E_NS1_11comp_targetILNS1_3genE8ELNS1_11target_archE1030ELNS1_3gpuE2ELNS1_3repE0EEENS1_30default_config_static_selectorELNS0_4arch9wavefront6targetE1EEEvT1_.numbered_sgpr, 0
	.set _ZN7rocprim17ROCPRIM_400000_NS6detail17trampoline_kernelINS0_14default_configENS1_25partition_config_selectorILNS1_17partition_subalgoE8EjNS0_10empty_typeEbEEZZNS1_14partition_implILS5_8ELb0ES3_jN6thrust23THRUST_200600_302600_NS6detail15normal_iteratorINSA_10device_ptrIjEEEEPS6_PKS6_NS0_5tupleIJNSA_16discard_iteratorINSA_11use_defaultEEES6_EEENSJ_IJSG_SG_EEENS0_18inequality_wrapperINSA_8equal_toIjEEEEPmJS6_EEE10hipError_tPvRmT3_T4_T5_T6_T7_T9_mT8_P12ihipStream_tbDpT10_ENKUlT_T0_E_clISt17integral_constantIbLb1EES1D_EEDaS18_S19_EUlS18_E_NS1_11comp_targetILNS1_3genE8ELNS1_11target_archE1030ELNS1_3gpuE2ELNS1_3repE0EEENS1_30default_config_static_selectorELNS0_4arch9wavefront6targetE1EEEvT1_.num_named_barrier, 0
	.set _ZN7rocprim17ROCPRIM_400000_NS6detail17trampoline_kernelINS0_14default_configENS1_25partition_config_selectorILNS1_17partition_subalgoE8EjNS0_10empty_typeEbEEZZNS1_14partition_implILS5_8ELb0ES3_jN6thrust23THRUST_200600_302600_NS6detail15normal_iteratorINSA_10device_ptrIjEEEEPS6_PKS6_NS0_5tupleIJNSA_16discard_iteratorINSA_11use_defaultEEES6_EEENSJ_IJSG_SG_EEENS0_18inequality_wrapperINSA_8equal_toIjEEEEPmJS6_EEE10hipError_tPvRmT3_T4_T5_T6_T7_T9_mT8_P12ihipStream_tbDpT10_ENKUlT_T0_E_clISt17integral_constantIbLb1EES1D_EEDaS18_S19_EUlS18_E_NS1_11comp_targetILNS1_3genE8ELNS1_11target_archE1030ELNS1_3gpuE2ELNS1_3repE0EEENS1_30default_config_static_selectorELNS0_4arch9wavefront6targetE1EEEvT1_.private_seg_size, 0
	.set _ZN7rocprim17ROCPRIM_400000_NS6detail17trampoline_kernelINS0_14default_configENS1_25partition_config_selectorILNS1_17partition_subalgoE8EjNS0_10empty_typeEbEEZZNS1_14partition_implILS5_8ELb0ES3_jN6thrust23THRUST_200600_302600_NS6detail15normal_iteratorINSA_10device_ptrIjEEEEPS6_PKS6_NS0_5tupleIJNSA_16discard_iteratorINSA_11use_defaultEEES6_EEENSJ_IJSG_SG_EEENS0_18inequality_wrapperINSA_8equal_toIjEEEEPmJS6_EEE10hipError_tPvRmT3_T4_T5_T6_T7_T9_mT8_P12ihipStream_tbDpT10_ENKUlT_T0_E_clISt17integral_constantIbLb1EES1D_EEDaS18_S19_EUlS18_E_NS1_11comp_targetILNS1_3genE8ELNS1_11target_archE1030ELNS1_3gpuE2ELNS1_3repE0EEENS1_30default_config_static_selectorELNS0_4arch9wavefront6targetE1EEEvT1_.uses_vcc, 0
	.set _ZN7rocprim17ROCPRIM_400000_NS6detail17trampoline_kernelINS0_14default_configENS1_25partition_config_selectorILNS1_17partition_subalgoE8EjNS0_10empty_typeEbEEZZNS1_14partition_implILS5_8ELb0ES3_jN6thrust23THRUST_200600_302600_NS6detail15normal_iteratorINSA_10device_ptrIjEEEEPS6_PKS6_NS0_5tupleIJNSA_16discard_iteratorINSA_11use_defaultEEES6_EEENSJ_IJSG_SG_EEENS0_18inequality_wrapperINSA_8equal_toIjEEEEPmJS6_EEE10hipError_tPvRmT3_T4_T5_T6_T7_T9_mT8_P12ihipStream_tbDpT10_ENKUlT_T0_E_clISt17integral_constantIbLb1EES1D_EEDaS18_S19_EUlS18_E_NS1_11comp_targetILNS1_3genE8ELNS1_11target_archE1030ELNS1_3gpuE2ELNS1_3repE0EEENS1_30default_config_static_selectorELNS0_4arch9wavefront6targetE1EEEvT1_.uses_flat_scratch, 0
	.set _ZN7rocprim17ROCPRIM_400000_NS6detail17trampoline_kernelINS0_14default_configENS1_25partition_config_selectorILNS1_17partition_subalgoE8EjNS0_10empty_typeEbEEZZNS1_14partition_implILS5_8ELb0ES3_jN6thrust23THRUST_200600_302600_NS6detail15normal_iteratorINSA_10device_ptrIjEEEEPS6_PKS6_NS0_5tupleIJNSA_16discard_iteratorINSA_11use_defaultEEES6_EEENSJ_IJSG_SG_EEENS0_18inequality_wrapperINSA_8equal_toIjEEEEPmJS6_EEE10hipError_tPvRmT3_T4_T5_T6_T7_T9_mT8_P12ihipStream_tbDpT10_ENKUlT_T0_E_clISt17integral_constantIbLb1EES1D_EEDaS18_S19_EUlS18_E_NS1_11comp_targetILNS1_3genE8ELNS1_11target_archE1030ELNS1_3gpuE2ELNS1_3repE0EEENS1_30default_config_static_selectorELNS0_4arch9wavefront6targetE1EEEvT1_.has_dyn_sized_stack, 0
	.set _ZN7rocprim17ROCPRIM_400000_NS6detail17trampoline_kernelINS0_14default_configENS1_25partition_config_selectorILNS1_17partition_subalgoE8EjNS0_10empty_typeEbEEZZNS1_14partition_implILS5_8ELb0ES3_jN6thrust23THRUST_200600_302600_NS6detail15normal_iteratorINSA_10device_ptrIjEEEEPS6_PKS6_NS0_5tupleIJNSA_16discard_iteratorINSA_11use_defaultEEES6_EEENSJ_IJSG_SG_EEENS0_18inequality_wrapperINSA_8equal_toIjEEEEPmJS6_EEE10hipError_tPvRmT3_T4_T5_T6_T7_T9_mT8_P12ihipStream_tbDpT10_ENKUlT_T0_E_clISt17integral_constantIbLb1EES1D_EEDaS18_S19_EUlS18_E_NS1_11comp_targetILNS1_3genE8ELNS1_11target_archE1030ELNS1_3gpuE2ELNS1_3repE0EEENS1_30default_config_static_selectorELNS0_4arch9wavefront6targetE1EEEvT1_.has_recursion, 0
	.set _ZN7rocprim17ROCPRIM_400000_NS6detail17trampoline_kernelINS0_14default_configENS1_25partition_config_selectorILNS1_17partition_subalgoE8EjNS0_10empty_typeEbEEZZNS1_14partition_implILS5_8ELb0ES3_jN6thrust23THRUST_200600_302600_NS6detail15normal_iteratorINSA_10device_ptrIjEEEEPS6_PKS6_NS0_5tupleIJNSA_16discard_iteratorINSA_11use_defaultEEES6_EEENSJ_IJSG_SG_EEENS0_18inequality_wrapperINSA_8equal_toIjEEEEPmJS6_EEE10hipError_tPvRmT3_T4_T5_T6_T7_T9_mT8_P12ihipStream_tbDpT10_ENKUlT_T0_E_clISt17integral_constantIbLb1EES1D_EEDaS18_S19_EUlS18_E_NS1_11comp_targetILNS1_3genE8ELNS1_11target_archE1030ELNS1_3gpuE2ELNS1_3repE0EEENS1_30default_config_static_selectorELNS0_4arch9wavefront6targetE1EEEvT1_.has_indirect_call, 0
	.section	.AMDGPU.csdata,"",@progbits
; Kernel info:
; codeLenInByte = 0
; TotalNumSgprs: 4
; NumVgprs: 0
; ScratchSize: 0
; MemoryBound: 0
; FloatMode: 240
; IeeeMode: 1
; LDSByteSize: 0 bytes/workgroup (compile time only)
; SGPRBlocks: 0
; VGPRBlocks: 0
; NumSGPRsForWavesPerEU: 4
; NumVGPRsForWavesPerEU: 1
; Occupancy: 10
; WaveLimiterHint : 0
; COMPUTE_PGM_RSRC2:SCRATCH_EN: 0
; COMPUTE_PGM_RSRC2:USER_SGPR: 6
; COMPUTE_PGM_RSRC2:TRAP_HANDLER: 0
; COMPUTE_PGM_RSRC2:TGID_X_EN: 1
; COMPUTE_PGM_RSRC2:TGID_Y_EN: 0
; COMPUTE_PGM_RSRC2:TGID_Z_EN: 0
; COMPUTE_PGM_RSRC2:TIDIG_COMP_CNT: 0
	.section	.text._ZN7rocprim17ROCPRIM_400000_NS6detail17trampoline_kernelINS0_14default_configENS1_25partition_config_selectorILNS1_17partition_subalgoE8EjNS0_10empty_typeEbEEZZNS1_14partition_implILS5_8ELb0ES3_jN6thrust23THRUST_200600_302600_NS6detail15normal_iteratorINSA_10device_ptrIjEEEEPS6_PKS6_NS0_5tupleIJNSA_16discard_iteratorINSA_11use_defaultEEES6_EEENSJ_IJSG_SG_EEENS0_18inequality_wrapperINSA_8equal_toIjEEEEPmJS6_EEE10hipError_tPvRmT3_T4_T5_T6_T7_T9_mT8_P12ihipStream_tbDpT10_ENKUlT_T0_E_clISt17integral_constantIbLb1EES1C_IbLb0EEEEDaS18_S19_EUlS18_E_NS1_11comp_targetILNS1_3genE0ELNS1_11target_archE4294967295ELNS1_3gpuE0ELNS1_3repE0EEENS1_30default_config_static_selectorELNS0_4arch9wavefront6targetE1EEEvT1_,"axG",@progbits,_ZN7rocprim17ROCPRIM_400000_NS6detail17trampoline_kernelINS0_14default_configENS1_25partition_config_selectorILNS1_17partition_subalgoE8EjNS0_10empty_typeEbEEZZNS1_14partition_implILS5_8ELb0ES3_jN6thrust23THRUST_200600_302600_NS6detail15normal_iteratorINSA_10device_ptrIjEEEEPS6_PKS6_NS0_5tupleIJNSA_16discard_iteratorINSA_11use_defaultEEES6_EEENSJ_IJSG_SG_EEENS0_18inequality_wrapperINSA_8equal_toIjEEEEPmJS6_EEE10hipError_tPvRmT3_T4_T5_T6_T7_T9_mT8_P12ihipStream_tbDpT10_ENKUlT_T0_E_clISt17integral_constantIbLb1EES1C_IbLb0EEEEDaS18_S19_EUlS18_E_NS1_11comp_targetILNS1_3genE0ELNS1_11target_archE4294967295ELNS1_3gpuE0ELNS1_3repE0EEENS1_30default_config_static_selectorELNS0_4arch9wavefront6targetE1EEEvT1_,comdat
	.protected	_ZN7rocprim17ROCPRIM_400000_NS6detail17trampoline_kernelINS0_14default_configENS1_25partition_config_selectorILNS1_17partition_subalgoE8EjNS0_10empty_typeEbEEZZNS1_14partition_implILS5_8ELb0ES3_jN6thrust23THRUST_200600_302600_NS6detail15normal_iteratorINSA_10device_ptrIjEEEEPS6_PKS6_NS0_5tupleIJNSA_16discard_iteratorINSA_11use_defaultEEES6_EEENSJ_IJSG_SG_EEENS0_18inequality_wrapperINSA_8equal_toIjEEEEPmJS6_EEE10hipError_tPvRmT3_T4_T5_T6_T7_T9_mT8_P12ihipStream_tbDpT10_ENKUlT_T0_E_clISt17integral_constantIbLb1EES1C_IbLb0EEEEDaS18_S19_EUlS18_E_NS1_11comp_targetILNS1_3genE0ELNS1_11target_archE4294967295ELNS1_3gpuE0ELNS1_3repE0EEENS1_30default_config_static_selectorELNS0_4arch9wavefront6targetE1EEEvT1_ ; -- Begin function _ZN7rocprim17ROCPRIM_400000_NS6detail17trampoline_kernelINS0_14default_configENS1_25partition_config_selectorILNS1_17partition_subalgoE8EjNS0_10empty_typeEbEEZZNS1_14partition_implILS5_8ELb0ES3_jN6thrust23THRUST_200600_302600_NS6detail15normal_iteratorINSA_10device_ptrIjEEEEPS6_PKS6_NS0_5tupleIJNSA_16discard_iteratorINSA_11use_defaultEEES6_EEENSJ_IJSG_SG_EEENS0_18inequality_wrapperINSA_8equal_toIjEEEEPmJS6_EEE10hipError_tPvRmT3_T4_T5_T6_T7_T9_mT8_P12ihipStream_tbDpT10_ENKUlT_T0_E_clISt17integral_constantIbLb1EES1C_IbLb0EEEEDaS18_S19_EUlS18_E_NS1_11comp_targetILNS1_3genE0ELNS1_11target_archE4294967295ELNS1_3gpuE0ELNS1_3repE0EEENS1_30default_config_static_selectorELNS0_4arch9wavefront6targetE1EEEvT1_
	.globl	_ZN7rocprim17ROCPRIM_400000_NS6detail17trampoline_kernelINS0_14default_configENS1_25partition_config_selectorILNS1_17partition_subalgoE8EjNS0_10empty_typeEbEEZZNS1_14partition_implILS5_8ELb0ES3_jN6thrust23THRUST_200600_302600_NS6detail15normal_iteratorINSA_10device_ptrIjEEEEPS6_PKS6_NS0_5tupleIJNSA_16discard_iteratorINSA_11use_defaultEEES6_EEENSJ_IJSG_SG_EEENS0_18inequality_wrapperINSA_8equal_toIjEEEEPmJS6_EEE10hipError_tPvRmT3_T4_T5_T6_T7_T9_mT8_P12ihipStream_tbDpT10_ENKUlT_T0_E_clISt17integral_constantIbLb1EES1C_IbLb0EEEEDaS18_S19_EUlS18_E_NS1_11comp_targetILNS1_3genE0ELNS1_11target_archE4294967295ELNS1_3gpuE0ELNS1_3repE0EEENS1_30default_config_static_selectorELNS0_4arch9wavefront6targetE1EEEvT1_
	.p2align	8
	.type	_ZN7rocprim17ROCPRIM_400000_NS6detail17trampoline_kernelINS0_14default_configENS1_25partition_config_selectorILNS1_17partition_subalgoE8EjNS0_10empty_typeEbEEZZNS1_14partition_implILS5_8ELb0ES3_jN6thrust23THRUST_200600_302600_NS6detail15normal_iteratorINSA_10device_ptrIjEEEEPS6_PKS6_NS0_5tupleIJNSA_16discard_iteratorINSA_11use_defaultEEES6_EEENSJ_IJSG_SG_EEENS0_18inequality_wrapperINSA_8equal_toIjEEEEPmJS6_EEE10hipError_tPvRmT3_T4_T5_T6_T7_T9_mT8_P12ihipStream_tbDpT10_ENKUlT_T0_E_clISt17integral_constantIbLb1EES1C_IbLb0EEEEDaS18_S19_EUlS18_E_NS1_11comp_targetILNS1_3genE0ELNS1_11target_archE4294967295ELNS1_3gpuE0ELNS1_3repE0EEENS1_30default_config_static_selectorELNS0_4arch9wavefront6targetE1EEEvT1_,@function
_ZN7rocprim17ROCPRIM_400000_NS6detail17trampoline_kernelINS0_14default_configENS1_25partition_config_selectorILNS1_17partition_subalgoE8EjNS0_10empty_typeEbEEZZNS1_14partition_implILS5_8ELb0ES3_jN6thrust23THRUST_200600_302600_NS6detail15normal_iteratorINSA_10device_ptrIjEEEEPS6_PKS6_NS0_5tupleIJNSA_16discard_iteratorINSA_11use_defaultEEES6_EEENSJ_IJSG_SG_EEENS0_18inequality_wrapperINSA_8equal_toIjEEEEPmJS6_EEE10hipError_tPvRmT3_T4_T5_T6_T7_T9_mT8_P12ihipStream_tbDpT10_ENKUlT_T0_E_clISt17integral_constantIbLb1EES1C_IbLb0EEEEDaS18_S19_EUlS18_E_NS1_11comp_targetILNS1_3genE0ELNS1_11target_archE4294967295ELNS1_3gpuE0ELNS1_3repE0EEENS1_30default_config_static_selectorELNS0_4arch9wavefront6targetE1EEEvT1_: ; @_ZN7rocprim17ROCPRIM_400000_NS6detail17trampoline_kernelINS0_14default_configENS1_25partition_config_selectorILNS1_17partition_subalgoE8EjNS0_10empty_typeEbEEZZNS1_14partition_implILS5_8ELb0ES3_jN6thrust23THRUST_200600_302600_NS6detail15normal_iteratorINSA_10device_ptrIjEEEEPS6_PKS6_NS0_5tupleIJNSA_16discard_iteratorINSA_11use_defaultEEES6_EEENSJ_IJSG_SG_EEENS0_18inequality_wrapperINSA_8equal_toIjEEEEPmJS6_EEE10hipError_tPvRmT3_T4_T5_T6_T7_T9_mT8_P12ihipStream_tbDpT10_ENKUlT_T0_E_clISt17integral_constantIbLb1EES1C_IbLb0EEEEDaS18_S19_EUlS18_E_NS1_11comp_targetILNS1_3genE0ELNS1_11target_archE4294967295ELNS1_3gpuE0ELNS1_3repE0EEENS1_30default_config_static_selectorELNS0_4arch9wavefront6targetE1EEEvT1_
; %bb.0:
	.section	.rodata,"a",@progbits
	.p2align	6, 0x0
	.amdhsa_kernel _ZN7rocprim17ROCPRIM_400000_NS6detail17trampoline_kernelINS0_14default_configENS1_25partition_config_selectorILNS1_17partition_subalgoE8EjNS0_10empty_typeEbEEZZNS1_14partition_implILS5_8ELb0ES3_jN6thrust23THRUST_200600_302600_NS6detail15normal_iteratorINSA_10device_ptrIjEEEEPS6_PKS6_NS0_5tupleIJNSA_16discard_iteratorINSA_11use_defaultEEES6_EEENSJ_IJSG_SG_EEENS0_18inequality_wrapperINSA_8equal_toIjEEEEPmJS6_EEE10hipError_tPvRmT3_T4_T5_T6_T7_T9_mT8_P12ihipStream_tbDpT10_ENKUlT_T0_E_clISt17integral_constantIbLb1EES1C_IbLb0EEEEDaS18_S19_EUlS18_E_NS1_11comp_targetILNS1_3genE0ELNS1_11target_archE4294967295ELNS1_3gpuE0ELNS1_3repE0EEENS1_30default_config_static_selectorELNS0_4arch9wavefront6targetE1EEEvT1_
		.amdhsa_group_segment_fixed_size 0
		.amdhsa_private_segment_fixed_size 0
		.amdhsa_kernarg_size 120
		.amdhsa_user_sgpr_count 6
		.amdhsa_user_sgpr_private_segment_buffer 1
		.amdhsa_user_sgpr_dispatch_ptr 0
		.amdhsa_user_sgpr_queue_ptr 0
		.amdhsa_user_sgpr_kernarg_segment_ptr 1
		.amdhsa_user_sgpr_dispatch_id 0
		.amdhsa_user_sgpr_flat_scratch_init 0
		.amdhsa_user_sgpr_private_segment_size 0
		.amdhsa_uses_dynamic_stack 0
		.amdhsa_system_sgpr_private_segment_wavefront_offset 0
		.amdhsa_system_sgpr_workgroup_id_x 1
		.amdhsa_system_sgpr_workgroup_id_y 0
		.amdhsa_system_sgpr_workgroup_id_z 0
		.amdhsa_system_sgpr_workgroup_info 0
		.amdhsa_system_vgpr_workitem_id 0
		.amdhsa_next_free_vgpr 1
		.amdhsa_next_free_sgpr 0
		.amdhsa_reserve_vcc 0
		.amdhsa_reserve_flat_scratch 0
		.amdhsa_float_round_mode_32 0
		.amdhsa_float_round_mode_16_64 0
		.amdhsa_float_denorm_mode_32 3
		.amdhsa_float_denorm_mode_16_64 3
		.amdhsa_dx10_clamp 1
		.amdhsa_ieee_mode 1
		.amdhsa_fp16_overflow 0
		.amdhsa_exception_fp_ieee_invalid_op 0
		.amdhsa_exception_fp_denorm_src 0
		.amdhsa_exception_fp_ieee_div_zero 0
		.amdhsa_exception_fp_ieee_overflow 0
		.amdhsa_exception_fp_ieee_underflow 0
		.amdhsa_exception_fp_ieee_inexact 0
		.amdhsa_exception_int_div_zero 0
	.end_amdhsa_kernel
	.section	.text._ZN7rocprim17ROCPRIM_400000_NS6detail17trampoline_kernelINS0_14default_configENS1_25partition_config_selectorILNS1_17partition_subalgoE8EjNS0_10empty_typeEbEEZZNS1_14partition_implILS5_8ELb0ES3_jN6thrust23THRUST_200600_302600_NS6detail15normal_iteratorINSA_10device_ptrIjEEEEPS6_PKS6_NS0_5tupleIJNSA_16discard_iteratorINSA_11use_defaultEEES6_EEENSJ_IJSG_SG_EEENS0_18inequality_wrapperINSA_8equal_toIjEEEEPmJS6_EEE10hipError_tPvRmT3_T4_T5_T6_T7_T9_mT8_P12ihipStream_tbDpT10_ENKUlT_T0_E_clISt17integral_constantIbLb1EES1C_IbLb0EEEEDaS18_S19_EUlS18_E_NS1_11comp_targetILNS1_3genE0ELNS1_11target_archE4294967295ELNS1_3gpuE0ELNS1_3repE0EEENS1_30default_config_static_selectorELNS0_4arch9wavefront6targetE1EEEvT1_,"axG",@progbits,_ZN7rocprim17ROCPRIM_400000_NS6detail17trampoline_kernelINS0_14default_configENS1_25partition_config_selectorILNS1_17partition_subalgoE8EjNS0_10empty_typeEbEEZZNS1_14partition_implILS5_8ELb0ES3_jN6thrust23THRUST_200600_302600_NS6detail15normal_iteratorINSA_10device_ptrIjEEEEPS6_PKS6_NS0_5tupleIJNSA_16discard_iteratorINSA_11use_defaultEEES6_EEENSJ_IJSG_SG_EEENS0_18inequality_wrapperINSA_8equal_toIjEEEEPmJS6_EEE10hipError_tPvRmT3_T4_T5_T6_T7_T9_mT8_P12ihipStream_tbDpT10_ENKUlT_T0_E_clISt17integral_constantIbLb1EES1C_IbLb0EEEEDaS18_S19_EUlS18_E_NS1_11comp_targetILNS1_3genE0ELNS1_11target_archE4294967295ELNS1_3gpuE0ELNS1_3repE0EEENS1_30default_config_static_selectorELNS0_4arch9wavefront6targetE1EEEvT1_,comdat
.Lfunc_end581:
	.size	_ZN7rocprim17ROCPRIM_400000_NS6detail17trampoline_kernelINS0_14default_configENS1_25partition_config_selectorILNS1_17partition_subalgoE8EjNS0_10empty_typeEbEEZZNS1_14partition_implILS5_8ELb0ES3_jN6thrust23THRUST_200600_302600_NS6detail15normal_iteratorINSA_10device_ptrIjEEEEPS6_PKS6_NS0_5tupleIJNSA_16discard_iteratorINSA_11use_defaultEEES6_EEENSJ_IJSG_SG_EEENS0_18inequality_wrapperINSA_8equal_toIjEEEEPmJS6_EEE10hipError_tPvRmT3_T4_T5_T6_T7_T9_mT8_P12ihipStream_tbDpT10_ENKUlT_T0_E_clISt17integral_constantIbLb1EES1C_IbLb0EEEEDaS18_S19_EUlS18_E_NS1_11comp_targetILNS1_3genE0ELNS1_11target_archE4294967295ELNS1_3gpuE0ELNS1_3repE0EEENS1_30default_config_static_selectorELNS0_4arch9wavefront6targetE1EEEvT1_, .Lfunc_end581-_ZN7rocprim17ROCPRIM_400000_NS6detail17trampoline_kernelINS0_14default_configENS1_25partition_config_selectorILNS1_17partition_subalgoE8EjNS0_10empty_typeEbEEZZNS1_14partition_implILS5_8ELb0ES3_jN6thrust23THRUST_200600_302600_NS6detail15normal_iteratorINSA_10device_ptrIjEEEEPS6_PKS6_NS0_5tupleIJNSA_16discard_iteratorINSA_11use_defaultEEES6_EEENSJ_IJSG_SG_EEENS0_18inequality_wrapperINSA_8equal_toIjEEEEPmJS6_EEE10hipError_tPvRmT3_T4_T5_T6_T7_T9_mT8_P12ihipStream_tbDpT10_ENKUlT_T0_E_clISt17integral_constantIbLb1EES1C_IbLb0EEEEDaS18_S19_EUlS18_E_NS1_11comp_targetILNS1_3genE0ELNS1_11target_archE4294967295ELNS1_3gpuE0ELNS1_3repE0EEENS1_30default_config_static_selectorELNS0_4arch9wavefront6targetE1EEEvT1_
                                        ; -- End function
	.set _ZN7rocprim17ROCPRIM_400000_NS6detail17trampoline_kernelINS0_14default_configENS1_25partition_config_selectorILNS1_17partition_subalgoE8EjNS0_10empty_typeEbEEZZNS1_14partition_implILS5_8ELb0ES3_jN6thrust23THRUST_200600_302600_NS6detail15normal_iteratorINSA_10device_ptrIjEEEEPS6_PKS6_NS0_5tupleIJNSA_16discard_iteratorINSA_11use_defaultEEES6_EEENSJ_IJSG_SG_EEENS0_18inequality_wrapperINSA_8equal_toIjEEEEPmJS6_EEE10hipError_tPvRmT3_T4_T5_T6_T7_T9_mT8_P12ihipStream_tbDpT10_ENKUlT_T0_E_clISt17integral_constantIbLb1EES1C_IbLb0EEEEDaS18_S19_EUlS18_E_NS1_11comp_targetILNS1_3genE0ELNS1_11target_archE4294967295ELNS1_3gpuE0ELNS1_3repE0EEENS1_30default_config_static_selectorELNS0_4arch9wavefront6targetE1EEEvT1_.num_vgpr, 0
	.set _ZN7rocprim17ROCPRIM_400000_NS6detail17trampoline_kernelINS0_14default_configENS1_25partition_config_selectorILNS1_17partition_subalgoE8EjNS0_10empty_typeEbEEZZNS1_14partition_implILS5_8ELb0ES3_jN6thrust23THRUST_200600_302600_NS6detail15normal_iteratorINSA_10device_ptrIjEEEEPS6_PKS6_NS0_5tupleIJNSA_16discard_iteratorINSA_11use_defaultEEES6_EEENSJ_IJSG_SG_EEENS0_18inequality_wrapperINSA_8equal_toIjEEEEPmJS6_EEE10hipError_tPvRmT3_T4_T5_T6_T7_T9_mT8_P12ihipStream_tbDpT10_ENKUlT_T0_E_clISt17integral_constantIbLb1EES1C_IbLb0EEEEDaS18_S19_EUlS18_E_NS1_11comp_targetILNS1_3genE0ELNS1_11target_archE4294967295ELNS1_3gpuE0ELNS1_3repE0EEENS1_30default_config_static_selectorELNS0_4arch9wavefront6targetE1EEEvT1_.num_agpr, 0
	.set _ZN7rocprim17ROCPRIM_400000_NS6detail17trampoline_kernelINS0_14default_configENS1_25partition_config_selectorILNS1_17partition_subalgoE8EjNS0_10empty_typeEbEEZZNS1_14partition_implILS5_8ELb0ES3_jN6thrust23THRUST_200600_302600_NS6detail15normal_iteratorINSA_10device_ptrIjEEEEPS6_PKS6_NS0_5tupleIJNSA_16discard_iteratorINSA_11use_defaultEEES6_EEENSJ_IJSG_SG_EEENS0_18inequality_wrapperINSA_8equal_toIjEEEEPmJS6_EEE10hipError_tPvRmT3_T4_T5_T6_T7_T9_mT8_P12ihipStream_tbDpT10_ENKUlT_T0_E_clISt17integral_constantIbLb1EES1C_IbLb0EEEEDaS18_S19_EUlS18_E_NS1_11comp_targetILNS1_3genE0ELNS1_11target_archE4294967295ELNS1_3gpuE0ELNS1_3repE0EEENS1_30default_config_static_selectorELNS0_4arch9wavefront6targetE1EEEvT1_.numbered_sgpr, 0
	.set _ZN7rocprim17ROCPRIM_400000_NS6detail17trampoline_kernelINS0_14default_configENS1_25partition_config_selectorILNS1_17partition_subalgoE8EjNS0_10empty_typeEbEEZZNS1_14partition_implILS5_8ELb0ES3_jN6thrust23THRUST_200600_302600_NS6detail15normal_iteratorINSA_10device_ptrIjEEEEPS6_PKS6_NS0_5tupleIJNSA_16discard_iteratorINSA_11use_defaultEEES6_EEENSJ_IJSG_SG_EEENS0_18inequality_wrapperINSA_8equal_toIjEEEEPmJS6_EEE10hipError_tPvRmT3_T4_T5_T6_T7_T9_mT8_P12ihipStream_tbDpT10_ENKUlT_T0_E_clISt17integral_constantIbLb1EES1C_IbLb0EEEEDaS18_S19_EUlS18_E_NS1_11comp_targetILNS1_3genE0ELNS1_11target_archE4294967295ELNS1_3gpuE0ELNS1_3repE0EEENS1_30default_config_static_selectorELNS0_4arch9wavefront6targetE1EEEvT1_.num_named_barrier, 0
	.set _ZN7rocprim17ROCPRIM_400000_NS6detail17trampoline_kernelINS0_14default_configENS1_25partition_config_selectorILNS1_17partition_subalgoE8EjNS0_10empty_typeEbEEZZNS1_14partition_implILS5_8ELb0ES3_jN6thrust23THRUST_200600_302600_NS6detail15normal_iteratorINSA_10device_ptrIjEEEEPS6_PKS6_NS0_5tupleIJNSA_16discard_iteratorINSA_11use_defaultEEES6_EEENSJ_IJSG_SG_EEENS0_18inequality_wrapperINSA_8equal_toIjEEEEPmJS6_EEE10hipError_tPvRmT3_T4_T5_T6_T7_T9_mT8_P12ihipStream_tbDpT10_ENKUlT_T0_E_clISt17integral_constantIbLb1EES1C_IbLb0EEEEDaS18_S19_EUlS18_E_NS1_11comp_targetILNS1_3genE0ELNS1_11target_archE4294967295ELNS1_3gpuE0ELNS1_3repE0EEENS1_30default_config_static_selectorELNS0_4arch9wavefront6targetE1EEEvT1_.private_seg_size, 0
	.set _ZN7rocprim17ROCPRIM_400000_NS6detail17trampoline_kernelINS0_14default_configENS1_25partition_config_selectorILNS1_17partition_subalgoE8EjNS0_10empty_typeEbEEZZNS1_14partition_implILS5_8ELb0ES3_jN6thrust23THRUST_200600_302600_NS6detail15normal_iteratorINSA_10device_ptrIjEEEEPS6_PKS6_NS0_5tupleIJNSA_16discard_iteratorINSA_11use_defaultEEES6_EEENSJ_IJSG_SG_EEENS0_18inequality_wrapperINSA_8equal_toIjEEEEPmJS6_EEE10hipError_tPvRmT3_T4_T5_T6_T7_T9_mT8_P12ihipStream_tbDpT10_ENKUlT_T0_E_clISt17integral_constantIbLb1EES1C_IbLb0EEEEDaS18_S19_EUlS18_E_NS1_11comp_targetILNS1_3genE0ELNS1_11target_archE4294967295ELNS1_3gpuE0ELNS1_3repE0EEENS1_30default_config_static_selectorELNS0_4arch9wavefront6targetE1EEEvT1_.uses_vcc, 0
	.set _ZN7rocprim17ROCPRIM_400000_NS6detail17trampoline_kernelINS0_14default_configENS1_25partition_config_selectorILNS1_17partition_subalgoE8EjNS0_10empty_typeEbEEZZNS1_14partition_implILS5_8ELb0ES3_jN6thrust23THRUST_200600_302600_NS6detail15normal_iteratorINSA_10device_ptrIjEEEEPS6_PKS6_NS0_5tupleIJNSA_16discard_iteratorINSA_11use_defaultEEES6_EEENSJ_IJSG_SG_EEENS0_18inequality_wrapperINSA_8equal_toIjEEEEPmJS6_EEE10hipError_tPvRmT3_T4_T5_T6_T7_T9_mT8_P12ihipStream_tbDpT10_ENKUlT_T0_E_clISt17integral_constantIbLb1EES1C_IbLb0EEEEDaS18_S19_EUlS18_E_NS1_11comp_targetILNS1_3genE0ELNS1_11target_archE4294967295ELNS1_3gpuE0ELNS1_3repE0EEENS1_30default_config_static_selectorELNS0_4arch9wavefront6targetE1EEEvT1_.uses_flat_scratch, 0
	.set _ZN7rocprim17ROCPRIM_400000_NS6detail17trampoline_kernelINS0_14default_configENS1_25partition_config_selectorILNS1_17partition_subalgoE8EjNS0_10empty_typeEbEEZZNS1_14partition_implILS5_8ELb0ES3_jN6thrust23THRUST_200600_302600_NS6detail15normal_iteratorINSA_10device_ptrIjEEEEPS6_PKS6_NS0_5tupleIJNSA_16discard_iteratorINSA_11use_defaultEEES6_EEENSJ_IJSG_SG_EEENS0_18inequality_wrapperINSA_8equal_toIjEEEEPmJS6_EEE10hipError_tPvRmT3_T4_T5_T6_T7_T9_mT8_P12ihipStream_tbDpT10_ENKUlT_T0_E_clISt17integral_constantIbLb1EES1C_IbLb0EEEEDaS18_S19_EUlS18_E_NS1_11comp_targetILNS1_3genE0ELNS1_11target_archE4294967295ELNS1_3gpuE0ELNS1_3repE0EEENS1_30default_config_static_selectorELNS0_4arch9wavefront6targetE1EEEvT1_.has_dyn_sized_stack, 0
	.set _ZN7rocprim17ROCPRIM_400000_NS6detail17trampoline_kernelINS0_14default_configENS1_25partition_config_selectorILNS1_17partition_subalgoE8EjNS0_10empty_typeEbEEZZNS1_14partition_implILS5_8ELb0ES3_jN6thrust23THRUST_200600_302600_NS6detail15normal_iteratorINSA_10device_ptrIjEEEEPS6_PKS6_NS0_5tupleIJNSA_16discard_iteratorINSA_11use_defaultEEES6_EEENSJ_IJSG_SG_EEENS0_18inequality_wrapperINSA_8equal_toIjEEEEPmJS6_EEE10hipError_tPvRmT3_T4_T5_T6_T7_T9_mT8_P12ihipStream_tbDpT10_ENKUlT_T0_E_clISt17integral_constantIbLb1EES1C_IbLb0EEEEDaS18_S19_EUlS18_E_NS1_11comp_targetILNS1_3genE0ELNS1_11target_archE4294967295ELNS1_3gpuE0ELNS1_3repE0EEENS1_30default_config_static_selectorELNS0_4arch9wavefront6targetE1EEEvT1_.has_recursion, 0
	.set _ZN7rocprim17ROCPRIM_400000_NS6detail17trampoline_kernelINS0_14default_configENS1_25partition_config_selectorILNS1_17partition_subalgoE8EjNS0_10empty_typeEbEEZZNS1_14partition_implILS5_8ELb0ES3_jN6thrust23THRUST_200600_302600_NS6detail15normal_iteratorINSA_10device_ptrIjEEEEPS6_PKS6_NS0_5tupleIJNSA_16discard_iteratorINSA_11use_defaultEEES6_EEENSJ_IJSG_SG_EEENS0_18inequality_wrapperINSA_8equal_toIjEEEEPmJS6_EEE10hipError_tPvRmT3_T4_T5_T6_T7_T9_mT8_P12ihipStream_tbDpT10_ENKUlT_T0_E_clISt17integral_constantIbLb1EES1C_IbLb0EEEEDaS18_S19_EUlS18_E_NS1_11comp_targetILNS1_3genE0ELNS1_11target_archE4294967295ELNS1_3gpuE0ELNS1_3repE0EEENS1_30default_config_static_selectorELNS0_4arch9wavefront6targetE1EEEvT1_.has_indirect_call, 0
	.section	.AMDGPU.csdata,"",@progbits
; Kernel info:
; codeLenInByte = 0
; TotalNumSgprs: 4
; NumVgprs: 0
; ScratchSize: 0
; MemoryBound: 0
; FloatMode: 240
; IeeeMode: 1
; LDSByteSize: 0 bytes/workgroup (compile time only)
; SGPRBlocks: 0
; VGPRBlocks: 0
; NumSGPRsForWavesPerEU: 4
; NumVGPRsForWavesPerEU: 1
; Occupancy: 10
; WaveLimiterHint : 0
; COMPUTE_PGM_RSRC2:SCRATCH_EN: 0
; COMPUTE_PGM_RSRC2:USER_SGPR: 6
; COMPUTE_PGM_RSRC2:TRAP_HANDLER: 0
; COMPUTE_PGM_RSRC2:TGID_X_EN: 1
; COMPUTE_PGM_RSRC2:TGID_Y_EN: 0
; COMPUTE_PGM_RSRC2:TGID_Z_EN: 0
; COMPUTE_PGM_RSRC2:TIDIG_COMP_CNT: 0
	.section	.text._ZN7rocprim17ROCPRIM_400000_NS6detail17trampoline_kernelINS0_14default_configENS1_25partition_config_selectorILNS1_17partition_subalgoE8EjNS0_10empty_typeEbEEZZNS1_14partition_implILS5_8ELb0ES3_jN6thrust23THRUST_200600_302600_NS6detail15normal_iteratorINSA_10device_ptrIjEEEEPS6_PKS6_NS0_5tupleIJNSA_16discard_iteratorINSA_11use_defaultEEES6_EEENSJ_IJSG_SG_EEENS0_18inequality_wrapperINSA_8equal_toIjEEEEPmJS6_EEE10hipError_tPvRmT3_T4_T5_T6_T7_T9_mT8_P12ihipStream_tbDpT10_ENKUlT_T0_E_clISt17integral_constantIbLb1EES1C_IbLb0EEEEDaS18_S19_EUlS18_E_NS1_11comp_targetILNS1_3genE5ELNS1_11target_archE942ELNS1_3gpuE9ELNS1_3repE0EEENS1_30default_config_static_selectorELNS0_4arch9wavefront6targetE1EEEvT1_,"axG",@progbits,_ZN7rocprim17ROCPRIM_400000_NS6detail17trampoline_kernelINS0_14default_configENS1_25partition_config_selectorILNS1_17partition_subalgoE8EjNS0_10empty_typeEbEEZZNS1_14partition_implILS5_8ELb0ES3_jN6thrust23THRUST_200600_302600_NS6detail15normal_iteratorINSA_10device_ptrIjEEEEPS6_PKS6_NS0_5tupleIJNSA_16discard_iteratorINSA_11use_defaultEEES6_EEENSJ_IJSG_SG_EEENS0_18inequality_wrapperINSA_8equal_toIjEEEEPmJS6_EEE10hipError_tPvRmT3_T4_T5_T6_T7_T9_mT8_P12ihipStream_tbDpT10_ENKUlT_T0_E_clISt17integral_constantIbLb1EES1C_IbLb0EEEEDaS18_S19_EUlS18_E_NS1_11comp_targetILNS1_3genE5ELNS1_11target_archE942ELNS1_3gpuE9ELNS1_3repE0EEENS1_30default_config_static_selectorELNS0_4arch9wavefront6targetE1EEEvT1_,comdat
	.protected	_ZN7rocprim17ROCPRIM_400000_NS6detail17trampoline_kernelINS0_14default_configENS1_25partition_config_selectorILNS1_17partition_subalgoE8EjNS0_10empty_typeEbEEZZNS1_14partition_implILS5_8ELb0ES3_jN6thrust23THRUST_200600_302600_NS6detail15normal_iteratorINSA_10device_ptrIjEEEEPS6_PKS6_NS0_5tupleIJNSA_16discard_iteratorINSA_11use_defaultEEES6_EEENSJ_IJSG_SG_EEENS0_18inequality_wrapperINSA_8equal_toIjEEEEPmJS6_EEE10hipError_tPvRmT3_T4_T5_T6_T7_T9_mT8_P12ihipStream_tbDpT10_ENKUlT_T0_E_clISt17integral_constantIbLb1EES1C_IbLb0EEEEDaS18_S19_EUlS18_E_NS1_11comp_targetILNS1_3genE5ELNS1_11target_archE942ELNS1_3gpuE9ELNS1_3repE0EEENS1_30default_config_static_selectorELNS0_4arch9wavefront6targetE1EEEvT1_ ; -- Begin function _ZN7rocprim17ROCPRIM_400000_NS6detail17trampoline_kernelINS0_14default_configENS1_25partition_config_selectorILNS1_17partition_subalgoE8EjNS0_10empty_typeEbEEZZNS1_14partition_implILS5_8ELb0ES3_jN6thrust23THRUST_200600_302600_NS6detail15normal_iteratorINSA_10device_ptrIjEEEEPS6_PKS6_NS0_5tupleIJNSA_16discard_iteratorINSA_11use_defaultEEES6_EEENSJ_IJSG_SG_EEENS0_18inequality_wrapperINSA_8equal_toIjEEEEPmJS6_EEE10hipError_tPvRmT3_T4_T5_T6_T7_T9_mT8_P12ihipStream_tbDpT10_ENKUlT_T0_E_clISt17integral_constantIbLb1EES1C_IbLb0EEEEDaS18_S19_EUlS18_E_NS1_11comp_targetILNS1_3genE5ELNS1_11target_archE942ELNS1_3gpuE9ELNS1_3repE0EEENS1_30default_config_static_selectorELNS0_4arch9wavefront6targetE1EEEvT1_
	.globl	_ZN7rocprim17ROCPRIM_400000_NS6detail17trampoline_kernelINS0_14default_configENS1_25partition_config_selectorILNS1_17partition_subalgoE8EjNS0_10empty_typeEbEEZZNS1_14partition_implILS5_8ELb0ES3_jN6thrust23THRUST_200600_302600_NS6detail15normal_iteratorINSA_10device_ptrIjEEEEPS6_PKS6_NS0_5tupleIJNSA_16discard_iteratorINSA_11use_defaultEEES6_EEENSJ_IJSG_SG_EEENS0_18inequality_wrapperINSA_8equal_toIjEEEEPmJS6_EEE10hipError_tPvRmT3_T4_T5_T6_T7_T9_mT8_P12ihipStream_tbDpT10_ENKUlT_T0_E_clISt17integral_constantIbLb1EES1C_IbLb0EEEEDaS18_S19_EUlS18_E_NS1_11comp_targetILNS1_3genE5ELNS1_11target_archE942ELNS1_3gpuE9ELNS1_3repE0EEENS1_30default_config_static_selectorELNS0_4arch9wavefront6targetE1EEEvT1_
	.p2align	8
	.type	_ZN7rocprim17ROCPRIM_400000_NS6detail17trampoline_kernelINS0_14default_configENS1_25partition_config_selectorILNS1_17partition_subalgoE8EjNS0_10empty_typeEbEEZZNS1_14partition_implILS5_8ELb0ES3_jN6thrust23THRUST_200600_302600_NS6detail15normal_iteratorINSA_10device_ptrIjEEEEPS6_PKS6_NS0_5tupleIJNSA_16discard_iteratorINSA_11use_defaultEEES6_EEENSJ_IJSG_SG_EEENS0_18inequality_wrapperINSA_8equal_toIjEEEEPmJS6_EEE10hipError_tPvRmT3_T4_T5_T6_T7_T9_mT8_P12ihipStream_tbDpT10_ENKUlT_T0_E_clISt17integral_constantIbLb1EES1C_IbLb0EEEEDaS18_S19_EUlS18_E_NS1_11comp_targetILNS1_3genE5ELNS1_11target_archE942ELNS1_3gpuE9ELNS1_3repE0EEENS1_30default_config_static_selectorELNS0_4arch9wavefront6targetE1EEEvT1_,@function
_ZN7rocprim17ROCPRIM_400000_NS6detail17trampoline_kernelINS0_14default_configENS1_25partition_config_selectorILNS1_17partition_subalgoE8EjNS0_10empty_typeEbEEZZNS1_14partition_implILS5_8ELb0ES3_jN6thrust23THRUST_200600_302600_NS6detail15normal_iteratorINSA_10device_ptrIjEEEEPS6_PKS6_NS0_5tupleIJNSA_16discard_iteratorINSA_11use_defaultEEES6_EEENSJ_IJSG_SG_EEENS0_18inequality_wrapperINSA_8equal_toIjEEEEPmJS6_EEE10hipError_tPvRmT3_T4_T5_T6_T7_T9_mT8_P12ihipStream_tbDpT10_ENKUlT_T0_E_clISt17integral_constantIbLb1EES1C_IbLb0EEEEDaS18_S19_EUlS18_E_NS1_11comp_targetILNS1_3genE5ELNS1_11target_archE942ELNS1_3gpuE9ELNS1_3repE0EEENS1_30default_config_static_selectorELNS0_4arch9wavefront6targetE1EEEvT1_: ; @_ZN7rocprim17ROCPRIM_400000_NS6detail17trampoline_kernelINS0_14default_configENS1_25partition_config_selectorILNS1_17partition_subalgoE8EjNS0_10empty_typeEbEEZZNS1_14partition_implILS5_8ELb0ES3_jN6thrust23THRUST_200600_302600_NS6detail15normal_iteratorINSA_10device_ptrIjEEEEPS6_PKS6_NS0_5tupleIJNSA_16discard_iteratorINSA_11use_defaultEEES6_EEENSJ_IJSG_SG_EEENS0_18inequality_wrapperINSA_8equal_toIjEEEEPmJS6_EEE10hipError_tPvRmT3_T4_T5_T6_T7_T9_mT8_P12ihipStream_tbDpT10_ENKUlT_T0_E_clISt17integral_constantIbLb1EES1C_IbLb0EEEEDaS18_S19_EUlS18_E_NS1_11comp_targetILNS1_3genE5ELNS1_11target_archE942ELNS1_3gpuE9ELNS1_3repE0EEENS1_30default_config_static_selectorELNS0_4arch9wavefront6targetE1EEEvT1_
; %bb.0:
	.section	.rodata,"a",@progbits
	.p2align	6, 0x0
	.amdhsa_kernel _ZN7rocprim17ROCPRIM_400000_NS6detail17trampoline_kernelINS0_14default_configENS1_25partition_config_selectorILNS1_17partition_subalgoE8EjNS0_10empty_typeEbEEZZNS1_14partition_implILS5_8ELb0ES3_jN6thrust23THRUST_200600_302600_NS6detail15normal_iteratorINSA_10device_ptrIjEEEEPS6_PKS6_NS0_5tupleIJNSA_16discard_iteratorINSA_11use_defaultEEES6_EEENSJ_IJSG_SG_EEENS0_18inequality_wrapperINSA_8equal_toIjEEEEPmJS6_EEE10hipError_tPvRmT3_T4_T5_T6_T7_T9_mT8_P12ihipStream_tbDpT10_ENKUlT_T0_E_clISt17integral_constantIbLb1EES1C_IbLb0EEEEDaS18_S19_EUlS18_E_NS1_11comp_targetILNS1_3genE5ELNS1_11target_archE942ELNS1_3gpuE9ELNS1_3repE0EEENS1_30default_config_static_selectorELNS0_4arch9wavefront6targetE1EEEvT1_
		.amdhsa_group_segment_fixed_size 0
		.amdhsa_private_segment_fixed_size 0
		.amdhsa_kernarg_size 120
		.amdhsa_user_sgpr_count 6
		.amdhsa_user_sgpr_private_segment_buffer 1
		.amdhsa_user_sgpr_dispatch_ptr 0
		.amdhsa_user_sgpr_queue_ptr 0
		.amdhsa_user_sgpr_kernarg_segment_ptr 1
		.amdhsa_user_sgpr_dispatch_id 0
		.amdhsa_user_sgpr_flat_scratch_init 0
		.amdhsa_user_sgpr_private_segment_size 0
		.amdhsa_uses_dynamic_stack 0
		.amdhsa_system_sgpr_private_segment_wavefront_offset 0
		.amdhsa_system_sgpr_workgroup_id_x 1
		.amdhsa_system_sgpr_workgroup_id_y 0
		.amdhsa_system_sgpr_workgroup_id_z 0
		.amdhsa_system_sgpr_workgroup_info 0
		.amdhsa_system_vgpr_workitem_id 0
		.amdhsa_next_free_vgpr 1
		.amdhsa_next_free_sgpr 0
		.amdhsa_reserve_vcc 0
		.amdhsa_reserve_flat_scratch 0
		.amdhsa_float_round_mode_32 0
		.amdhsa_float_round_mode_16_64 0
		.amdhsa_float_denorm_mode_32 3
		.amdhsa_float_denorm_mode_16_64 3
		.amdhsa_dx10_clamp 1
		.amdhsa_ieee_mode 1
		.amdhsa_fp16_overflow 0
		.amdhsa_exception_fp_ieee_invalid_op 0
		.amdhsa_exception_fp_denorm_src 0
		.amdhsa_exception_fp_ieee_div_zero 0
		.amdhsa_exception_fp_ieee_overflow 0
		.amdhsa_exception_fp_ieee_underflow 0
		.amdhsa_exception_fp_ieee_inexact 0
		.amdhsa_exception_int_div_zero 0
	.end_amdhsa_kernel
	.section	.text._ZN7rocprim17ROCPRIM_400000_NS6detail17trampoline_kernelINS0_14default_configENS1_25partition_config_selectorILNS1_17partition_subalgoE8EjNS0_10empty_typeEbEEZZNS1_14partition_implILS5_8ELb0ES3_jN6thrust23THRUST_200600_302600_NS6detail15normal_iteratorINSA_10device_ptrIjEEEEPS6_PKS6_NS0_5tupleIJNSA_16discard_iteratorINSA_11use_defaultEEES6_EEENSJ_IJSG_SG_EEENS0_18inequality_wrapperINSA_8equal_toIjEEEEPmJS6_EEE10hipError_tPvRmT3_T4_T5_T6_T7_T9_mT8_P12ihipStream_tbDpT10_ENKUlT_T0_E_clISt17integral_constantIbLb1EES1C_IbLb0EEEEDaS18_S19_EUlS18_E_NS1_11comp_targetILNS1_3genE5ELNS1_11target_archE942ELNS1_3gpuE9ELNS1_3repE0EEENS1_30default_config_static_selectorELNS0_4arch9wavefront6targetE1EEEvT1_,"axG",@progbits,_ZN7rocprim17ROCPRIM_400000_NS6detail17trampoline_kernelINS0_14default_configENS1_25partition_config_selectorILNS1_17partition_subalgoE8EjNS0_10empty_typeEbEEZZNS1_14partition_implILS5_8ELb0ES3_jN6thrust23THRUST_200600_302600_NS6detail15normal_iteratorINSA_10device_ptrIjEEEEPS6_PKS6_NS0_5tupleIJNSA_16discard_iteratorINSA_11use_defaultEEES6_EEENSJ_IJSG_SG_EEENS0_18inequality_wrapperINSA_8equal_toIjEEEEPmJS6_EEE10hipError_tPvRmT3_T4_T5_T6_T7_T9_mT8_P12ihipStream_tbDpT10_ENKUlT_T0_E_clISt17integral_constantIbLb1EES1C_IbLb0EEEEDaS18_S19_EUlS18_E_NS1_11comp_targetILNS1_3genE5ELNS1_11target_archE942ELNS1_3gpuE9ELNS1_3repE0EEENS1_30default_config_static_selectorELNS0_4arch9wavefront6targetE1EEEvT1_,comdat
.Lfunc_end582:
	.size	_ZN7rocprim17ROCPRIM_400000_NS6detail17trampoline_kernelINS0_14default_configENS1_25partition_config_selectorILNS1_17partition_subalgoE8EjNS0_10empty_typeEbEEZZNS1_14partition_implILS5_8ELb0ES3_jN6thrust23THRUST_200600_302600_NS6detail15normal_iteratorINSA_10device_ptrIjEEEEPS6_PKS6_NS0_5tupleIJNSA_16discard_iteratorINSA_11use_defaultEEES6_EEENSJ_IJSG_SG_EEENS0_18inequality_wrapperINSA_8equal_toIjEEEEPmJS6_EEE10hipError_tPvRmT3_T4_T5_T6_T7_T9_mT8_P12ihipStream_tbDpT10_ENKUlT_T0_E_clISt17integral_constantIbLb1EES1C_IbLb0EEEEDaS18_S19_EUlS18_E_NS1_11comp_targetILNS1_3genE5ELNS1_11target_archE942ELNS1_3gpuE9ELNS1_3repE0EEENS1_30default_config_static_selectorELNS0_4arch9wavefront6targetE1EEEvT1_, .Lfunc_end582-_ZN7rocprim17ROCPRIM_400000_NS6detail17trampoline_kernelINS0_14default_configENS1_25partition_config_selectorILNS1_17partition_subalgoE8EjNS0_10empty_typeEbEEZZNS1_14partition_implILS5_8ELb0ES3_jN6thrust23THRUST_200600_302600_NS6detail15normal_iteratorINSA_10device_ptrIjEEEEPS6_PKS6_NS0_5tupleIJNSA_16discard_iteratorINSA_11use_defaultEEES6_EEENSJ_IJSG_SG_EEENS0_18inequality_wrapperINSA_8equal_toIjEEEEPmJS6_EEE10hipError_tPvRmT3_T4_T5_T6_T7_T9_mT8_P12ihipStream_tbDpT10_ENKUlT_T0_E_clISt17integral_constantIbLb1EES1C_IbLb0EEEEDaS18_S19_EUlS18_E_NS1_11comp_targetILNS1_3genE5ELNS1_11target_archE942ELNS1_3gpuE9ELNS1_3repE0EEENS1_30default_config_static_selectorELNS0_4arch9wavefront6targetE1EEEvT1_
                                        ; -- End function
	.set _ZN7rocprim17ROCPRIM_400000_NS6detail17trampoline_kernelINS0_14default_configENS1_25partition_config_selectorILNS1_17partition_subalgoE8EjNS0_10empty_typeEbEEZZNS1_14partition_implILS5_8ELb0ES3_jN6thrust23THRUST_200600_302600_NS6detail15normal_iteratorINSA_10device_ptrIjEEEEPS6_PKS6_NS0_5tupleIJNSA_16discard_iteratorINSA_11use_defaultEEES6_EEENSJ_IJSG_SG_EEENS0_18inequality_wrapperINSA_8equal_toIjEEEEPmJS6_EEE10hipError_tPvRmT3_T4_T5_T6_T7_T9_mT8_P12ihipStream_tbDpT10_ENKUlT_T0_E_clISt17integral_constantIbLb1EES1C_IbLb0EEEEDaS18_S19_EUlS18_E_NS1_11comp_targetILNS1_3genE5ELNS1_11target_archE942ELNS1_3gpuE9ELNS1_3repE0EEENS1_30default_config_static_selectorELNS0_4arch9wavefront6targetE1EEEvT1_.num_vgpr, 0
	.set _ZN7rocprim17ROCPRIM_400000_NS6detail17trampoline_kernelINS0_14default_configENS1_25partition_config_selectorILNS1_17partition_subalgoE8EjNS0_10empty_typeEbEEZZNS1_14partition_implILS5_8ELb0ES3_jN6thrust23THRUST_200600_302600_NS6detail15normal_iteratorINSA_10device_ptrIjEEEEPS6_PKS6_NS0_5tupleIJNSA_16discard_iteratorINSA_11use_defaultEEES6_EEENSJ_IJSG_SG_EEENS0_18inequality_wrapperINSA_8equal_toIjEEEEPmJS6_EEE10hipError_tPvRmT3_T4_T5_T6_T7_T9_mT8_P12ihipStream_tbDpT10_ENKUlT_T0_E_clISt17integral_constantIbLb1EES1C_IbLb0EEEEDaS18_S19_EUlS18_E_NS1_11comp_targetILNS1_3genE5ELNS1_11target_archE942ELNS1_3gpuE9ELNS1_3repE0EEENS1_30default_config_static_selectorELNS0_4arch9wavefront6targetE1EEEvT1_.num_agpr, 0
	.set _ZN7rocprim17ROCPRIM_400000_NS6detail17trampoline_kernelINS0_14default_configENS1_25partition_config_selectorILNS1_17partition_subalgoE8EjNS0_10empty_typeEbEEZZNS1_14partition_implILS5_8ELb0ES3_jN6thrust23THRUST_200600_302600_NS6detail15normal_iteratorINSA_10device_ptrIjEEEEPS6_PKS6_NS0_5tupleIJNSA_16discard_iteratorINSA_11use_defaultEEES6_EEENSJ_IJSG_SG_EEENS0_18inequality_wrapperINSA_8equal_toIjEEEEPmJS6_EEE10hipError_tPvRmT3_T4_T5_T6_T7_T9_mT8_P12ihipStream_tbDpT10_ENKUlT_T0_E_clISt17integral_constantIbLb1EES1C_IbLb0EEEEDaS18_S19_EUlS18_E_NS1_11comp_targetILNS1_3genE5ELNS1_11target_archE942ELNS1_3gpuE9ELNS1_3repE0EEENS1_30default_config_static_selectorELNS0_4arch9wavefront6targetE1EEEvT1_.numbered_sgpr, 0
	.set _ZN7rocprim17ROCPRIM_400000_NS6detail17trampoline_kernelINS0_14default_configENS1_25partition_config_selectorILNS1_17partition_subalgoE8EjNS0_10empty_typeEbEEZZNS1_14partition_implILS5_8ELb0ES3_jN6thrust23THRUST_200600_302600_NS6detail15normal_iteratorINSA_10device_ptrIjEEEEPS6_PKS6_NS0_5tupleIJNSA_16discard_iteratorINSA_11use_defaultEEES6_EEENSJ_IJSG_SG_EEENS0_18inequality_wrapperINSA_8equal_toIjEEEEPmJS6_EEE10hipError_tPvRmT3_T4_T5_T6_T7_T9_mT8_P12ihipStream_tbDpT10_ENKUlT_T0_E_clISt17integral_constantIbLb1EES1C_IbLb0EEEEDaS18_S19_EUlS18_E_NS1_11comp_targetILNS1_3genE5ELNS1_11target_archE942ELNS1_3gpuE9ELNS1_3repE0EEENS1_30default_config_static_selectorELNS0_4arch9wavefront6targetE1EEEvT1_.num_named_barrier, 0
	.set _ZN7rocprim17ROCPRIM_400000_NS6detail17trampoline_kernelINS0_14default_configENS1_25partition_config_selectorILNS1_17partition_subalgoE8EjNS0_10empty_typeEbEEZZNS1_14partition_implILS5_8ELb0ES3_jN6thrust23THRUST_200600_302600_NS6detail15normal_iteratorINSA_10device_ptrIjEEEEPS6_PKS6_NS0_5tupleIJNSA_16discard_iteratorINSA_11use_defaultEEES6_EEENSJ_IJSG_SG_EEENS0_18inequality_wrapperINSA_8equal_toIjEEEEPmJS6_EEE10hipError_tPvRmT3_T4_T5_T6_T7_T9_mT8_P12ihipStream_tbDpT10_ENKUlT_T0_E_clISt17integral_constantIbLb1EES1C_IbLb0EEEEDaS18_S19_EUlS18_E_NS1_11comp_targetILNS1_3genE5ELNS1_11target_archE942ELNS1_3gpuE9ELNS1_3repE0EEENS1_30default_config_static_selectorELNS0_4arch9wavefront6targetE1EEEvT1_.private_seg_size, 0
	.set _ZN7rocprim17ROCPRIM_400000_NS6detail17trampoline_kernelINS0_14default_configENS1_25partition_config_selectorILNS1_17partition_subalgoE8EjNS0_10empty_typeEbEEZZNS1_14partition_implILS5_8ELb0ES3_jN6thrust23THRUST_200600_302600_NS6detail15normal_iteratorINSA_10device_ptrIjEEEEPS6_PKS6_NS0_5tupleIJNSA_16discard_iteratorINSA_11use_defaultEEES6_EEENSJ_IJSG_SG_EEENS0_18inequality_wrapperINSA_8equal_toIjEEEEPmJS6_EEE10hipError_tPvRmT3_T4_T5_T6_T7_T9_mT8_P12ihipStream_tbDpT10_ENKUlT_T0_E_clISt17integral_constantIbLb1EES1C_IbLb0EEEEDaS18_S19_EUlS18_E_NS1_11comp_targetILNS1_3genE5ELNS1_11target_archE942ELNS1_3gpuE9ELNS1_3repE0EEENS1_30default_config_static_selectorELNS0_4arch9wavefront6targetE1EEEvT1_.uses_vcc, 0
	.set _ZN7rocprim17ROCPRIM_400000_NS6detail17trampoline_kernelINS0_14default_configENS1_25partition_config_selectorILNS1_17partition_subalgoE8EjNS0_10empty_typeEbEEZZNS1_14partition_implILS5_8ELb0ES3_jN6thrust23THRUST_200600_302600_NS6detail15normal_iteratorINSA_10device_ptrIjEEEEPS6_PKS6_NS0_5tupleIJNSA_16discard_iteratorINSA_11use_defaultEEES6_EEENSJ_IJSG_SG_EEENS0_18inequality_wrapperINSA_8equal_toIjEEEEPmJS6_EEE10hipError_tPvRmT3_T4_T5_T6_T7_T9_mT8_P12ihipStream_tbDpT10_ENKUlT_T0_E_clISt17integral_constantIbLb1EES1C_IbLb0EEEEDaS18_S19_EUlS18_E_NS1_11comp_targetILNS1_3genE5ELNS1_11target_archE942ELNS1_3gpuE9ELNS1_3repE0EEENS1_30default_config_static_selectorELNS0_4arch9wavefront6targetE1EEEvT1_.uses_flat_scratch, 0
	.set _ZN7rocprim17ROCPRIM_400000_NS6detail17trampoline_kernelINS0_14default_configENS1_25partition_config_selectorILNS1_17partition_subalgoE8EjNS0_10empty_typeEbEEZZNS1_14partition_implILS5_8ELb0ES3_jN6thrust23THRUST_200600_302600_NS6detail15normal_iteratorINSA_10device_ptrIjEEEEPS6_PKS6_NS0_5tupleIJNSA_16discard_iteratorINSA_11use_defaultEEES6_EEENSJ_IJSG_SG_EEENS0_18inequality_wrapperINSA_8equal_toIjEEEEPmJS6_EEE10hipError_tPvRmT3_T4_T5_T6_T7_T9_mT8_P12ihipStream_tbDpT10_ENKUlT_T0_E_clISt17integral_constantIbLb1EES1C_IbLb0EEEEDaS18_S19_EUlS18_E_NS1_11comp_targetILNS1_3genE5ELNS1_11target_archE942ELNS1_3gpuE9ELNS1_3repE0EEENS1_30default_config_static_selectorELNS0_4arch9wavefront6targetE1EEEvT1_.has_dyn_sized_stack, 0
	.set _ZN7rocprim17ROCPRIM_400000_NS6detail17trampoline_kernelINS0_14default_configENS1_25partition_config_selectorILNS1_17partition_subalgoE8EjNS0_10empty_typeEbEEZZNS1_14partition_implILS5_8ELb0ES3_jN6thrust23THRUST_200600_302600_NS6detail15normal_iteratorINSA_10device_ptrIjEEEEPS6_PKS6_NS0_5tupleIJNSA_16discard_iteratorINSA_11use_defaultEEES6_EEENSJ_IJSG_SG_EEENS0_18inequality_wrapperINSA_8equal_toIjEEEEPmJS6_EEE10hipError_tPvRmT3_T4_T5_T6_T7_T9_mT8_P12ihipStream_tbDpT10_ENKUlT_T0_E_clISt17integral_constantIbLb1EES1C_IbLb0EEEEDaS18_S19_EUlS18_E_NS1_11comp_targetILNS1_3genE5ELNS1_11target_archE942ELNS1_3gpuE9ELNS1_3repE0EEENS1_30default_config_static_selectorELNS0_4arch9wavefront6targetE1EEEvT1_.has_recursion, 0
	.set _ZN7rocprim17ROCPRIM_400000_NS6detail17trampoline_kernelINS0_14default_configENS1_25partition_config_selectorILNS1_17partition_subalgoE8EjNS0_10empty_typeEbEEZZNS1_14partition_implILS5_8ELb0ES3_jN6thrust23THRUST_200600_302600_NS6detail15normal_iteratorINSA_10device_ptrIjEEEEPS6_PKS6_NS0_5tupleIJNSA_16discard_iteratorINSA_11use_defaultEEES6_EEENSJ_IJSG_SG_EEENS0_18inequality_wrapperINSA_8equal_toIjEEEEPmJS6_EEE10hipError_tPvRmT3_T4_T5_T6_T7_T9_mT8_P12ihipStream_tbDpT10_ENKUlT_T0_E_clISt17integral_constantIbLb1EES1C_IbLb0EEEEDaS18_S19_EUlS18_E_NS1_11comp_targetILNS1_3genE5ELNS1_11target_archE942ELNS1_3gpuE9ELNS1_3repE0EEENS1_30default_config_static_selectorELNS0_4arch9wavefront6targetE1EEEvT1_.has_indirect_call, 0
	.section	.AMDGPU.csdata,"",@progbits
; Kernel info:
; codeLenInByte = 0
; TotalNumSgprs: 4
; NumVgprs: 0
; ScratchSize: 0
; MemoryBound: 0
; FloatMode: 240
; IeeeMode: 1
; LDSByteSize: 0 bytes/workgroup (compile time only)
; SGPRBlocks: 0
; VGPRBlocks: 0
; NumSGPRsForWavesPerEU: 4
; NumVGPRsForWavesPerEU: 1
; Occupancy: 10
; WaveLimiterHint : 0
; COMPUTE_PGM_RSRC2:SCRATCH_EN: 0
; COMPUTE_PGM_RSRC2:USER_SGPR: 6
; COMPUTE_PGM_RSRC2:TRAP_HANDLER: 0
; COMPUTE_PGM_RSRC2:TGID_X_EN: 1
; COMPUTE_PGM_RSRC2:TGID_Y_EN: 0
; COMPUTE_PGM_RSRC2:TGID_Z_EN: 0
; COMPUTE_PGM_RSRC2:TIDIG_COMP_CNT: 0
	.section	.text._ZN7rocprim17ROCPRIM_400000_NS6detail17trampoline_kernelINS0_14default_configENS1_25partition_config_selectorILNS1_17partition_subalgoE8EjNS0_10empty_typeEbEEZZNS1_14partition_implILS5_8ELb0ES3_jN6thrust23THRUST_200600_302600_NS6detail15normal_iteratorINSA_10device_ptrIjEEEEPS6_PKS6_NS0_5tupleIJNSA_16discard_iteratorINSA_11use_defaultEEES6_EEENSJ_IJSG_SG_EEENS0_18inequality_wrapperINSA_8equal_toIjEEEEPmJS6_EEE10hipError_tPvRmT3_T4_T5_T6_T7_T9_mT8_P12ihipStream_tbDpT10_ENKUlT_T0_E_clISt17integral_constantIbLb1EES1C_IbLb0EEEEDaS18_S19_EUlS18_E_NS1_11comp_targetILNS1_3genE4ELNS1_11target_archE910ELNS1_3gpuE8ELNS1_3repE0EEENS1_30default_config_static_selectorELNS0_4arch9wavefront6targetE1EEEvT1_,"axG",@progbits,_ZN7rocprim17ROCPRIM_400000_NS6detail17trampoline_kernelINS0_14default_configENS1_25partition_config_selectorILNS1_17partition_subalgoE8EjNS0_10empty_typeEbEEZZNS1_14partition_implILS5_8ELb0ES3_jN6thrust23THRUST_200600_302600_NS6detail15normal_iteratorINSA_10device_ptrIjEEEEPS6_PKS6_NS0_5tupleIJNSA_16discard_iteratorINSA_11use_defaultEEES6_EEENSJ_IJSG_SG_EEENS0_18inequality_wrapperINSA_8equal_toIjEEEEPmJS6_EEE10hipError_tPvRmT3_T4_T5_T6_T7_T9_mT8_P12ihipStream_tbDpT10_ENKUlT_T0_E_clISt17integral_constantIbLb1EES1C_IbLb0EEEEDaS18_S19_EUlS18_E_NS1_11comp_targetILNS1_3genE4ELNS1_11target_archE910ELNS1_3gpuE8ELNS1_3repE0EEENS1_30default_config_static_selectorELNS0_4arch9wavefront6targetE1EEEvT1_,comdat
	.protected	_ZN7rocprim17ROCPRIM_400000_NS6detail17trampoline_kernelINS0_14default_configENS1_25partition_config_selectorILNS1_17partition_subalgoE8EjNS0_10empty_typeEbEEZZNS1_14partition_implILS5_8ELb0ES3_jN6thrust23THRUST_200600_302600_NS6detail15normal_iteratorINSA_10device_ptrIjEEEEPS6_PKS6_NS0_5tupleIJNSA_16discard_iteratorINSA_11use_defaultEEES6_EEENSJ_IJSG_SG_EEENS0_18inequality_wrapperINSA_8equal_toIjEEEEPmJS6_EEE10hipError_tPvRmT3_T4_T5_T6_T7_T9_mT8_P12ihipStream_tbDpT10_ENKUlT_T0_E_clISt17integral_constantIbLb1EES1C_IbLb0EEEEDaS18_S19_EUlS18_E_NS1_11comp_targetILNS1_3genE4ELNS1_11target_archE910ELNS1_3gpuE8ELNS1_3repE0EEENS1_30default_config_static_selectorELNS0_4arch9wavefront6targetE1EEEvT1_ ; -- Begin function _ZN7rocprim17ROCPRIM_400000_NS6detail17trampoline_kernelINS0_14default_configENS1_25partition_config_selectorILNS1_17partition_subalgoE8EjNS0_10empty_typeEbEEZZNS1_14partition_implILS5_8ELb0ES3_jN6thrust23THRUST_200600_302600_NS6detail15normal_iteratorINSA_10device_ptrIjEEEEPS6_PKS6_NS0_5tupleIJNSA_16discard_iteratorINSA_11use_defaultEEES6_EEENSJ_IJSG_SG_EEENS0_18inequality_wrapperINSA_8equal_toIjEEEEPmJS6_EEE10hipError_tPvRmT3_T4_T5_T6_T7_T9_mT8_P12ihipStream_tbDpT10_ENKUlT_T0_E_clISt17integral_constantIbLb1EES1C_IbLb0EEEEDaS18_S19_EUlS18_E_NS1_11comp_targetILNS1_3genE4ELNS1_11target_archE910ELNS1_3gpuE8ELNS1_3repE0EEENS1_30default_config_static_selectorELNS0_4arch9wavefront6targetE1EEEvT1_
	.globl	_ZN7rocprim17ROCPRIM_400000_NS6detail17trampoline_kernelINS0_14default_configENS1_25partition_config_selectorILNS1_17partition_subalgoE8EjNS0_10empty_typeEbEEZZNS1_14partition_implILS5_8ELb0ES3_jN6thrust23THRUST_200600_302600_NS6detail15normal_iteratorINSA_10device_ptrIjEEEEPS6_PKS6_NS0_5tupleIJNSA_16discard_iteratorINSA_11use_defaultEEES6_EEENSJ_IJSG_SG_EEENS0_18inequality_wrapperINSA_8equal_toIjEEEEPmJS6_EEE10hipError_tPvRmT3_T4_T5_T6_T7_T9_mT8_P12ihipStream_tbDpT10_ENKUlT_T0_E_clISt17integral_constantIbLb1EES1C_IbLb0EEEEDaS18_S19_EUlS18_E_NS1_11comp_targetILNS1_3genE4ELNS1_11target_archE910ELNS1_3gpuE8ELNS1_3repE0EEENS1_30default_config_static_selectorELNS0_4arch9wavefront6targetE1EEEvT1_
	.p2align	8
	.type	_ZN7rocprim17ROCPRIM_400000_NS6detail17trampoline_kernelINS0_14default_configENS1_25partition_config_selectorILNS1_17partition_subalgoE8EjNS0_10empty_typeEbEEZZNS1_14partition_implILS5_8ELb0ES3_jN6thrust23THRUST_200600_302600_NS6detail15normal_iteratorINSA_10device_ptrIjEEEEPS6_PKS6_NS0_5tupleIJNSA_16discard_iteratorINSA_11use_defaultEEES6_EEENSJ_IJSG_SG_EEENS0_18inequality_wrapperINSA_8equal_toIjEEEEPmJS6_EEE10hipError_tPvRmT3_T4_T5_T6_T7_T9_mT8_P12ihipStream_tbDpT10_ENKUlT_T0_E_clISt17integral_constantIbLb1EES1C_IbLb0EEEEDaS18_S19_EUlS18_E_NS1_11comp_targetILNS1_3genE4ELNS1_11target_archE910ELNS1_3gpuE8ELNS1_3repE0EEENS1_30default_config_static_selectorELNS0_4arch9wavefront6targetE1EEEvT1_,@function
_ZN7rocprim17ROCPRIM_400000_NS6detail17trampoline_kernelINS0_14default_configENS1_25partition_config_selectorILNS1_17partition_subalgoE8EjNS0_10empty_typeEbEEZZNS1_14partition_implILS5_8ELb0ES3_jN6thrust23THRUST_200600_302600_NS6detail15normal_iteratorINSA_10device_ptrIjEEEEPS6_PKS6_NS0_5tupleIJNSA_16discard_iteratorINSA_11use_defaultEEES6_EEENSJ_IJSG_SG_EEENS0_18inequality_wrapperINSA_8equal_toIjEEEEPmJS6_EEE10hipError_tPvRmT3_T4_T5_T6_T7_T9_mT8_P12ihipStream_tbDpT10_ENKUlT_T0_E_clISt17integral_constantIbLb1EES1C_IbLb0EEEEDaS18_S19_EUlS18_E_NS1_11comp_targetILNS1_3genE4ELNS1_11target_archE910ELNS1_3gpuE8ELNS1_3repE0EEENS1_30default_config_static_selectorELNS0_4arch9wavefront6targetE1EEEvT1_: ; @_ZN7rocprim17ROCPRIM_400000_NS6detail17trampoline_kernelINS0_14default_configENS1_25partition_config_selectorILNS1_17partition_subalgoE8EjNS0_10empty_typeEbEEZZNS1_14partition_implILS5_8ELb0ES3_jN6thrust23THRUST_200600_302600_NS6detail15normal_iteratorINSA_10device_ptrIjEEEEPS6_PKS6_NS0_5tupleIJNSA_16discard_iteratorINSA_11use_defaultEEES6_EEENSJ_IJSG_SG_EEENS0_18inequality_wrapperINSA_8equal_toIjEEEEPmJS6_EEE10hipError_tPvRmT3_T4_T5_T6_T7_T9_mT8_P12ihipStream_tbDpT10_ENKUlT_T0_E_clISt17integral_constantIbLb1EES1C_IbLb0EEEEDaS18_S19_EUlS18_E_NS1_11comp_targetILNS1_3genE4ELNS1_11target_archE910ELNS1_3gpuE8ELNS1_3repE0EEENS1_30default_config_static_selectorELNS0_4arch9wavefront6targetE1EEEvT1_
; %bb.0:
	.section	.rodata,"a",@progbits
	.p2align	6, 0x0
	.amdhsa_kernel _ZN7rocprim17ROCPRIM_400000_NS6detail17trampoline_kernelINS0_14default_configENS1_25partition_config_selectorILNS1_17partition_subalgoE8EjNS0_10empty_typeEbEEZZNS1_14partition_implILS5_8ELb0ES3_jN6thrust23THRUST_200600_302600_NS6detail15normal_iteratorINSA_10device_ptrIjEEEEPS6_PKS6_NS0_5tupleIJNSA_16discard_iteratorINSA_11use_defaultEEES6_EEENSJ_IJSG_SG_EEENS0_18inequality_wrapperINSA_8equal_toIjEEEEPmJS6_EEE10hipError_tPvRmT3_T4_T5_T6_T7_T9_mT8_P12ihipStream_tbDpT10_ENKUlT_T0_E_clISt17integral_constantIbLb1EES1C_IbLb0EEEEDaS18_S19_EUlS18_E_NS1_11comp_targetILNS1_3genE4ELNS1_11target_archE910ELNS1_3gpuE8ELNS1_3repE0EEENS1_30default_config_static_selectorELNS0_4arch9wavefront6targetE1EEEvT1_
		.amdhsa_group_segment_fixed_size 0
		.amdhsa_private_segment_fixed_size 0
		.amdhsa_kernarg_size 120
		.amdhsa_user_sgpr_count 6
		.amdhsa_user_sgpr_private_segment_buffer 1
		.amdhsa_user_sgpr_dispatch_ptr 0
		.amdhsa_user_sgpr_queue_ptr 0
		.amdhsa_user_sgpr_kernarg_segment_ptr 1
		.amdhsa_user_sgpr_dispatch_id 0
		.amdhsa_user_sgpr_flat_scratch_init 0
		.amdhsa_user_sgpr_private_segment_size 0
		.amdhsa_uses_dynamic_stack 0
		.amdhsa_system_sgpr_private_segment_wavefront_offset 0
		.amdhsa_system_sgpr_workgroup_id_x 1
		.amdhsa_system_sgpr_workgroup_id_y 0
		.amdhsa_system_sgpr_workgroup_id_z 0
		.amdhsa_system_sgpr_workgroup_info 0
		.amdhsa_system_vgpr_workitem_id 0
		.amdhsa_next_free_vgpr 1
		.amdhsa_next_free_sgpr 0
		.amdhsa_reserve_vcc 0
		.amdhsa_reserve_flat_scratch 0
		.amdhsa_float_round_mode_32 0
		.amdhsa_float_round_mode_16_64 0
		.amdhsa_float_denorm_mode_32 3
		.amdhsa_float_denorm_mode_16_64 3
		.amdhsa_dx10_clamp 1
		.amdhsa_ieee_mode 1
		.amdhsa_fp16_overflow 0
		.amdhsa_exception_fp_ieee_invalid_op 0
		.amdhsa_exception_fp_denorm_src 0
		.amdhsa_exception_fp_ieee_div_zero 0
		.amdhsa_exception_fp_ieee_overflow 0
		.amdhsa_exception_fp_ieee_underflow 0
		.amdhsa_exception_fp_ieee_inexact 0
		.amdhsa_exception_int_div_zero 0
	.end_amdhsa_kernel
	.section	.text._ZN7rocprim17ROCPRIM_400000_NS6detail17trampoline_kernelINS0_14default_configENS1_25partition_config_selectorILNS1_17partition_subalgoE8EjNS0_10empty_typeEbEEZZNS1_14partition_implILS5_8ELb0ES3_jN6thrust23THRUST_200600_302600_NS6detail15normal_iteratorINSA_10device_ptrIjEEEEPS6_PKS6_NS0_5tupleIJNSA_16discard_iteratorINSA_11use_defaultEEES6_EEENSJ_IJSG_SG_EEENS0_18inequality_wrapperINSA_8equal_toIjEEEEPmJS6_EEE10hipError_tPvRmT3_T4_T5_T6_T7_T9_mT8_P12ihipStream_tbDpT10_ENKUlT_T0_E_clISt17integral_constantIbLb1EES1C_IbLb0EEEEDaS18_S19_EUlS18_E_NS1_11comp_targetILNS1_3genE4ELNS1_11target_archE910ELNS1_3gpuE8ELNS1_3repE0EEENS1_30default_config_static_selectorELNS0_4arch9wavefront6targetE1EEEvT1_,"axG",@progbits,_ZN7rocprim17ROCPRIM_400000_NS6detail17trampoline_kernelINS0_14default_configENS1_25partition_config_selectorILNS1_17partition_subalgoE8EjNS0_10empty_typeEbEEZZNS1_14partition_implILS5_8ELb0ES3_jN6thrust23THRUST_200600_302600_NS6detail15normal_iteratorINSA_10device_ptrIjEEEEPS6_PKS6_NS0_5tupleIJNSA_16discard_iteratorINSA_11use_defaultEEES6_EEENSJ_IJSG_SG_EEENS0_18inequality_wrapperINSA_8equal_toIjEEEEPmJS6_EEE10hipError_tPvRmT3_T4_T5_T6_T7_T9_mT8_P12ihipStream_tbDpT10_ENKUlT_T0_E_clISt17integral_constantIbLb1EES1C_IbLb0EEEEDaS18_S19_EUlS18_E_NS1_11comp_targetILNS1_3genE4ELNS1_11target_archE910ELNS1_3gpuE8ELNS1_3repE0EEENS1_30default_config_static_selectorELNS0_4arch9wavefront6targetE1EEEvT1_,comdat
.Lfunc_end583:
	.size	_ZN7rocprim17ROCPRIM_400000_NS6detail17trampoline_kernelINS0_14default_configENS1_25partition_config_selectorILNS1_17partition_subalgoE8EjNS0_10empty_typeEbEEZZNS1_14partition_implILS5_8ELb0ES3_jN6thrust23THRUST_200600_302600_NS6detail15normal_iteratorINSA_10device_ptrIjEEEEPS6_PKS6_NS0_5tupleIJNSA_16discard_iteratorINSA_11use_defaultEEES6_EEENSJ_IJSG_SG_EEENS0_18inequality_wrapperINSA_8equal_toIjEEEEPmJS6_EEE10hipError_tPvRmT3_T4_T5_T6_T7_T9_mT8_P12ihipStream_tbDpT10_ENKUlT_T0_E_clISt17integral_constantIbLb1EES1C_IbLb0EEEEDaS18_S19_EUlS18_E_NS1_11comp_targetILNS1_3genE4ELNS1_11target_archE910ELNS1_3gpuE8ELNS1_3repE0EEENS1_30default_config_static_selectorELNS0_4arch9wavefront6targetE1EEEvT1_, .Lfunc_end583-_ZN7rocprim17ROCPRIM_400000_NS6detail17trampoline_kernelINS0_14default_configENS1_25partition_config_selectorILNS1_17partition_subalgoE8EjNS0_10empty_typeEbEEZZNS1_14partition_implILS5_8ELb0ES3_jN6thrust23THRUST_200600_302600_NS6detail15normal_iteratorINSA_10device_ptrIjEEEEPS6_PKS6_NS0_5tupleIJNSA_16discard_iteratorINSA_11use_defaultEEES6_EEENSJ_IJSG_SG_EEENS0_18inequality_wrapperINSA_8equal_toIjEEEEPmJS6_EEE10hipError_tPvRmT3_T4_T5_T6_T7_T9_mT8_P12ihipStream_tbDpT10_ENKUlT_T0_E_clISt17integral_constantIbLb1EES1C_IbLb0EEEEDaS18_S19_EUlS18_E_NS1_11comp_targetILNS1_3genE4ELNS1_11target_archE910ELNS1_3gpuE8ELNS1_3repE0EEENS1_30default_config_static_selectorELNS0_4arch9wavefront6targetE1EEEvT1_
                                        ; -- End function
	.set _ZN7rocprim17ROCPRIM_400000_NS6detail17trampoline_kernelINS0_14default_configENS1_25partition_config_selectorILNS1_17partition_subalgoE8EjNS0_10empty_typeEbEEZZNS1_14partition_implILS5_8ELb0ES3_jN6thrust23THRUST_200600_302600_NS6detail15normal_iteratorINSA_10device_ptrIjEEEEPS6_PKS6_NS0_5tupleIJNSA_16discard_iteratorINSA_11use_defaultEEES6_EEENSJ_IJSG_SG_EEENS0_18inequality_wrapperINSA_8equal_toIjEEEEPmJS6_EEE10hipError_tPvRmT3_T4_T5_T6_T7_T9_mT8_P12ihipStream_tbDpT10_ENKUlT_T0_E_clISt17integral_constantIbLb1EES1C_IbLb0EEEEDaS18_S19_EUlS18_E_NS1_11comp_targetILNS1_3genE4ELNS1_11target_archE910ELNS1_3gpuE8ELNS1_3repE0EEENS1_30default_config_static_selectorELNS0_4arch9wavefront6targetE1EEEvT1_.num_vgpr, 0
	.set _ZN7rocprim17ROCPRIM_400000_NS6detail17trampoline_kernelINS0_14default_configENS1_25partition_config_selectorILNS1_17partition_subalgoE8EjNS0_10empty_typeEbEEZZNS1_14partition_implILS5_8ELb0ES3_jN6thrust23THRUST_200600_302600_NS6detail15normal_iteratorINSA_10device_ptrIjEEEEPS6_PKS6_NS0_5tupleIJNSA_16discard_iteratorINSA_11use_defaultEEES6_EEENSJ_IJSG_SG_EEENS0_18inequality_wrapperINSA_8equal_toIjEEEEPmJS6_EEE10hipError_tPvRmT3_T4_T5_T6_T7_T9_mT8_P12ihipStream_tbDpT10_ENKUlT_T0_E_clISt17integral_constantIbLb1EES1C_IbLb0EEEEDaS18_S19_EUlS18_E_NS1_11comp_targetILNS1_3genE4ELNS1_11target_archE910ELNS1_3gpuE8ELNS1_3repE0EEENS1_30default_config_static_selectorELNS0_4arch9wavefront6targetE1EEEvT1_.num_agpr, 0
	.set _ZN7rocprim17ROCPRIM_400000_NS6detail17trampoline_kernelINS0_14default_configENS1_25partition_config_selectorILNS1_17partition_subalgoE8EjNS0_10empty_typeEbEEZZNS1_14partition_implILS5_8ELb0ES3_jN6thrust23THRUST_200600_302600_NS6detail15normal_iteratorINSA_10device_ptrIjEEEEPS6_PKS6_NS0_5tupleIJNSA_16discard_iteratorINSA_11use_defaultEEES6_EEENSJ_IJSG_SG_EEENS0_18inequality_wrapperINSA_8equal_toIjEEEEPmJS6_EEE10hipError_tPvRmT3_T4_T5_T6_T7_T9_mT8_P12ihipStream_tbDpT10_ENKUlT_T0_E_clISt17integral_constantIbLb1EES1C_IbLb0EEEEDaS18_S19_EUlS18_E_NS1_11comp_targetILNS1_3genE4ELNS1_11target_archE910ELNS1_3gpuE8ELNS1_3repE0EEENS1_30default_config_static_selectorELNS0_4arch9wavefront6targetE1EEEvT1_.numbered_sgpr, 0
	.set _ZN7rocprim17ROCPRIM_400000_NS6detail17trampoline_kernelINS0_14default_configENS1_25partition_config_selectorILNS1_17partition_subalgoE8EjNS0_10empty_typeEbEEZZNS1_14partition_implILS5_8ELb0ES3_jN6thrust23THRUST_200600_302600_NS6detail15normal_iteratorINSA_10device_ptrIjEEEEPS6_PKS6_NS0_5tupleIJNSA_16discard_iteratorINSA_11use_defaultEEES6_EEENSJ_IJSG_SG_EEENS0_18inequality_wrapperINSA_8equal_toIjEEEEPmJS6_EEE10hipError_tPvRmT3_T4_T5_T6_T7_T9_mT8_P12ihipStream_tbDpT10_ENKUlT_T0_E_clISt17integral_constantIbLb1EES1C_IbLb0EEEEDaS18_S19_EUlS18_E_NS1_11comp_targetILNS1_3genE4ELNS1_11target_archE910ELNS1_3gpuE8ELNS1_3repE0EEENS1_30default_config_static_selectorELNS0_4arch9wavefront6targetE1EEEvT1_.num_named_barrier, 0
	.set _ZN7rocprim17ROCPRIM_400000_NS6detail17trampoline_kernelINS0_14default_configENS1_25partition_config_selectorILNS1_17partition_subalgoE8EjNS0_10empty_typeEbEEZZNS1_14partition_implILS5_8ELb0ES3_jN6thrust23THRUST_200600_302600_NS6detail15normal_iteratorINSA_10device_ptrIjEEEEPS6_PKS6_NS0_5tupleIJNSA_16discard_iteratorINSA_11use_defaultEEES6_EEENSJ_IJSG_SG_EEENS0_18inequality_wrapperINSA_8equal_toIjEEEEPmJS6_EEE10hipError_tPvRmT3_T4_T5_T6_T7_T9_mT8_P12ihipStream_tbDpT10_ENKUlT_T0_E_clISt17integral_constantIbLb1EES1C_IbLb0EEEEDaS18_S19_EUlS18_E_NS1_11comp_targetILNS1_3genE4ELNS1_11target_archE910ELNS1_3gpuE8ELNS1_3repE0EEENS1_30default_config_static_selectorELNS0_4arch9wavefront6targetE1EEEvT1_.private_seg_size, 0
	.set _ZN7rocprim17ROCPRIM_400000_NS6detail17trampoline_kernelINS0_14default_configENS1_25partition_config_selectorILNS1_17partition_subalgoE8EjNS0_10empty_typeEbEEZZNS1_14partition_implILS5_8ELb0ES3_jN6thrust23THRUST_200600_302600_NS6detail15normal_iteratorINSA_10device_ptrIjEEEEPS6_PKS6_NS0_5tupleIJNSA_16discard_iteratorINSA_11use_defaultEEES6_EEENSJ_IJSG_SG_EEENS0_18inequality_wrapperINSA_8equal_toIjEEEEPmJS6_EEE10hipError_tPvRmT3_T4_T5_T6_T7_T9_mT8_P12ihipStream_tbDpT10_ENKUlT_T0_E_clISt17integral_constantIbLb1EES1C_IbLb0EEEEDaS18_S19_EUlS18_E_NS1_11comp_targetILNS1_3genE4ELNS1_11target_archE910ELNS1_3gpuE8ELNS1_3repE0EEENS1_30default_config_static_selectorELNS0_4arch9wavefront6targetE1EEEvT1_.uses_vcc, 0
	.set _ZN7rocprim17ROCPRIM_400000_NS6detail17trampoline_kernelINS0_14default_configENS1_25partition_config_selectorILNS1_17partition_subalgoE8EjNS0_10empty_typeEbEEZZNS1_14partition_implILS5_8ELb0ES3_jN6thrust23THRUST_200600_302600_NS6detail15normal_iteratorINSA_10device_ptrIjEEEEPS6_PKS6_NS0_5tupleIJNSA_16discard_iteratorINSA_11use_defaultEEES6_EEENSJ_IJSG_SG_EEENS0_18inequality_wrapperINSA_8equal_toIjEEEEPmJS6_EEE10hipError_tPvRmT3_T4_T5_T6_T7_T9_mT8_P12ihipStream_tbDpT10_ENKUlT_T0_E_clISt17integral_constantIbLb1EES1C_IbLb0EEEEDaS18_S19_EUlS18_E_NS1_11comp_targetILNS1_3genE4ELNS1_11target_archE910ELNS1_3gpuE8ELNS1_3repE0EEENS1_30default_config_static_selectorELNS0_4arch9wavefront6targetE1EEEvT1_.uses_flat_scratch, 0
	.set _ZN7rocprim17ROCPRIM_400000_NS6detail17trampoline_kernelINS0_14default_configENS1_25partition_config_selectorILNS1_17partition_subalgoE8EjNS0_10empty_typeEbEEZZNS1_14partition_implILS5_8ELb0ES3_jN6thrust23THRUST_200600_302600_NS6detail15normal_iteratorINSA_10device_ptrIjEEEEPS6_PKS6_NS0_5tupleIJNSA_16discard_iteratorINSA_11use_defaultEEES6_EEENSJ_IJSG_SG_EEENS0_18inequality_wrapperINSA_8equal_toIjEEEEPmJS6_EEE10hipError_tPvRmT3_T4_T5_T6_T7_T9_mT8_P12ihipStream_tbDpT10_ENKUlT_T0_E_clISt17integral_constantIbLb1EES1C_IbLb0EEEEDaS18_S19_EUlS18_E_NS1_11comp_targetILNS1_3genE4ELNS1_11target_archE910ELNS1_3gpuE8ELNS1_3repE0EEENS1_30default_config_static_selectorELNS0_4arch9wavefront6targetE1EEEvT1_.has_dyn_sized_stack, 0
	.set _ZN7rocprim17ROCPRIM_400000_NS6detail17trampoline_kernelINS0_14default_configENS1_25partition_config_selectorILNS1_17partition_subalgoE8EjNS0_10empty_typeEbEEZZNS1_14partition_implILS5_8ELb0ES3_jN6thrust23THRUST_200600_302600_NS6detail15normal_iteratorINSA_10device_ptrIjEEEEPS6_PKS6_NS0_5tupleIJNSA_16discard_iteratorINSA_11use_defaultEEES6_EEENSJ_IJSG_SG_EEENS0_18inequality_wrapperINSA_8equal_toIjEEEEPmJS6_EEE10hipError_tPvRmT3_T4_T5_T6_T7_T9_mT8_P12ihipStream_tbDpT10_ENKUlT_T0_E_clISt17integral_constantIbLb1EES1C_IbLb0EEEEDaS18_S19_EUlS18_E_NS1_11comp_targetILNS1_3genE4ELNS1_11target_archE910ELNS1_3gpuE8ELNS1_3repE0EEENS1_30default_config_static_selectorELNS0_4arch9wavefront6targetE1EEEvT1_.has_recursion, 0
	.set _ZN7rocprim17ROCPRIM_400000_NS6detail17trampoline_kernelINS0_14default_configENS1_25partition_config_selectorILNS1_17partition_subalgoE8EjNS0_10empty_typeEbEEZZNS1_14partition_implILS5_8ELb0ES3_jN6thrust23THRUST_200600_302600_NS6detail15normal_iteratorINSA_10device_ptrIjEEEEPS6_PKS6_NS0_5tupleIJNSA_16discard_iteratorINSA_11use_defaultEEES6_EEENSJ_IJSG_SG_EEENS0_18inequality_wrapperINSA_8equal_toIjEEEEPmJS6_EEE10hipError_tPvRmT3_T4_T5_T6_T7_T9_mT8_P12ihipStream_tbDpT10_ENKUlT_T0_E_clISt17integral_constantIbLb1EES1C_IbLb0EEEEDaS18_S19_EUlS18_E_NS1_11comp_targetILNS1_3genE4ELNS1_11target_archE910ELNS1_3gpuE8ELNS1_3repE0EEENS1_30default_config_static_selectorELNS0_4arch9wavefront6targetE1EEEvT1_.has_indirect_call, 0
	.section	.AMDGPU.csdata,"",@progbits
; Kernel info:
; codeLenInByte = 0
; TotalNumSgprs: 4
; NumVgprs: 0
; ScratchSize: 0
; MemoryBound: 0
; FloatMode: 240
; IeeeMode: 1
; LDSByteSize: 0 bytes/workgroup (compile time only)
; SGPRBlocks: 0
; VGPRBlocks: 0
; NumSGPRsForWavesPerEU: 4
; NumVGPRsForWavesPerEU: 1
; Occupancy: 10
; WaveLimiterHint : 0
; COMPUTE_PGM_RSRC2:SCRATCH_EN: 0
; COMPUTE_PGM_RSRC2:USER_SGPR: 6
; COMPUTE_PGM_RSRC2:TRAP_HANDLER: 0
; COMPUTE_PGM_RSRC2:TGID_X_EN: 1
; COMPUTE_PGM_RSRC2:TGID_Y_EN: 0
; COMPUTE_PGM_RSRC2:TGID_Z_EN: 0
; COMPUTE_PGM_RSRC2:TIDIG_COMP_CNT: 0
	.section	.text._ZN7rocprim17ROCPRIM_400000_NS6detail17trampoline_kernelINS0_14default_configENS1_25partition_config_selectorILNS1_17partition_subalgoE8EjNS0_10empty_typeEbEEZZNS1_14partition_implILS5_8ELb0ES3_jN6thrust23THRUST_200600_302600_NS6detail15normal_iteratorINSA_10device_ptrIjEEEEPS6_PKS6_NS0_5tupleIJNSA_16discard_iteratorINSA_11use_defaultEEES6_EEENSJ_IJSG_SG_EEENS0_18inequality_wrapperINSA_8equal_toIjEEEEPmJS6_EEE10hipError_tPvRmT3_T4_T5_T6_T7_T9_mT8_P12ihipStream_tbDpT10_ENKUlT_T0_E_clISt17integral_constantIbLb1EES1C_IbLb0EEEEDaS18_S19_EUlS18_E_NS1_11comp_targetILNS1_3genE3ELNS1_11target_archE908ELNS1_3gpuE7ELNS1_3repE0EEENS1_30default_config_static_selectorELNS0_4arch9wavefront6targetE1EEEvT1_,"axG",@progbits,_ZN7rocprim17ROCPRIM_400000_NS6detail17trampoline_kernelINS0_14default_configENS1_25partition_config_selectorILNS1_17partition_subalgoE8EjNS0_10empty_typeEbEEZZNS1_14partition_implILS5_8ELb0ES3_jN6thrust23THRUST_200600_302600_NS6detail15normal_iteratorINSA_10device_ptrIjEEEEPS6_PKS6_NS0_5tupleIJNSA_16discard_iteratorINSA_11use_defaultEEES6_EEENSJ_IJSG_SG_EEENS0_18inequality_wrapperINSA_8equal_toIjEEEEPmJS6_EEE10hipError_tPvRmT3_T4_T5_T6_T7_T9_mT8_P12ihipStream_tbDpT10_ENKUlT_T0_E_clISt17integral_constantIbLb1EES1C_IbLb0EEEEDaS18_S19_EUlS18_E_NS1_11comp_targetILNS1_3genE3ELNS1_11target_archE908ELNS1_3gpuE7ELNS1_3repE0EEENS1_30default_config_static_selectorELNS0_4arch9wavefront6targetE1EEEvT1_,comdat
	.protected	_ZN7rocprim17ROCPRIM_400000_NS6detail17trampoline_kernelINS0_14default_configENS1_25partition_config_selectorILNS1_17partition_subalgoE8EjNS0_10empty_typeEbEEZZNS1_14partition_implILS5_8ELb0ES3_jN6thrust23THRUST_200600_302600_NS6detail15normal_iteratorINSA_10device_ptrIjEEEEPS6_PKS6_NS0_5tupleIJNSA_16discard_iteratorINSA_11use_defaultEEES6_EEENSJ_IJSG_SG_EEENS0_18inequality_wrapperINSA_8equal_toIjEEEEPmJS6_EEE10hipError_tPvRmT3_T4_T5_T6_T7_T9_mT8_P12ihipStream_tbDpT10_ENKUlT_T0_E_clISt17integral_constantIbLb1EES1C_IbLb0EEEEDaS18_S19_EUlS18_E_NS1_11comp_targetILNS1_3genE3ELNS1_11target_archE908ELNS1_3gpuE7ELNS1_3repE0EEENS1_30default_config_static_selectorELNS0_4arch9wavefront6targetE1EEEvT1_ ; -- Begin function _ZN7rocprim17ROCPRIM_400000_NS6detail17trampoline_kernelINS0_14default_configENS1_25partition_config_selectorILNS1_17partition_subalgoE8EjNS0_10empty_typeEbEEZZNS1_14partition_implILS5_8ELb0ES3_jN6thrust23THRUST_200600_302600_NS6detail15normal_iteratorINSA_10device_ptrIjEEEEPS6_PKS6_NS0_5tupleIJNSA_16discard_iteratorINSA_11use_defaultEEES6_EEENSJ_IJSG_SG_EEENS0_18inequality_wrapperINSA_8equal_toIjEEEEPmJS6_EEE10hipError_tPvRmT3_T4_T5_T6_T7_T9_mT8_P12ihipStream_tbDpT10_ENKUlT_T0_E_clISt17integral_constantIbLb1EES1C_IbLb0EEEEDaS18_S19_EUlS18_E_NS1_11comp_targetILNS1_3genE3ELNS1_11target_archE908ELNS1_3gpuE7ELNS1_3repE0EEENS1_30default_config_static_selectorELNS0_4arch9wavefront6targetE1EEEvT1_
	.globl	_ZN7rocprim17ROCPRIM_400000_NS6detail17trampoline_kernelINS0_14default_configENS1_25partition_config_selectorILNS1_17partition_subalgoE8EjNS0_10empty_typeEbEEZZNS1_14partition_implILS5_8ELb0ES3_jN6thrust23THRUST_200600_302600_NS6detail15normal_iteratorINSA_10device_ptrIjEEEEPS6_PKS6_NS0_5tupleIJNSA_16discard_iteratorINSA_11use_defaultEEES6_EEENSJ_IJSG_SG_EEENS0_18inequality_wrapperINSA_8equal_toIjEEEEPmJS6_EEE10hipError_tPvRmT3_T4_T5_T6_T7_T9_mT8_P12ihipStream_tbDpT10_ENKUlT_T0_E_clISt17integral_constantIbLb1EES1C_IbLb0EEEEDaS18_S19_EUlS18_E_NS1_11comp_targetILNS1_3genE3ELNS1_11target_archE908ELNS1_3gpuE7ELNS1_3repE0EEENS1_30default_config_static_selectorELNS0_4arch9wavefront6targetE1EEEvT1_
	.p2align	8
	.type	_ZN7rocprim17ROCPRIM_400000_NS6detail17trampoline_kernelINS0_14default_configENS1_25partition_config_selectorILNS1_17partition_subalgoE8EjNS0_10empty_typeEbEEZZNS1_14partition_implILS5_8ELb0ES3_jN6thrust23THRUST_200600_302600_NS6detail15normal_iteratorINSA_10device_ptrIjEEEEPS6_PKS6_NS0_5tupleIJNSA_16discard_iteratorINSA_11use_defaultEEES6_EEENSJ_IJSG_SG_EEENS0_18inequality_wrapperINSA_8equal_toIjEEEEPmJS6_EEE10hipError_tPvRmT3_T4_T5_T6_T7_T9_mT8_P12ihipStream_tbDpT10_ENKUlT_T0_E_clISt17integral_constantIbLb1EES1C_IbLb0EEEEDaS18_S19_EUlS18_E_NS1_11comp_targetILNS1_3genE3ELNS1_11target_archE908ELNS1_3gpuE7ELNS1_3repE0EEENS1_30default_config_static_selectorELNS0_4arch9wavefront6targetE1EEEvT1_,@function
_ZN7rocprim17ROCPRIM_400000_NS6detail17trampoline_kernelINS0_14default_configENS1_25partition_config_selectorILNS1_17partition_subalgoE8EjNS0_10empty_typeEbEEZZNS1_14partition_implILS5_8ELb0ES3_jN6thrust23THRUST_200600_302600_NS6detail15normal_iteratorINSA_10device_ptrIjEEEEPS6_PKS6_NS0_5tupleIJNSA_16discard_iteratorINSA_11use_defaultEEES6_EEENSJ_IJSG_SG_EEENS0_18inequality_wrapperINSA_8equal_toIjEEEEPmJS6_EEE10hipError_tPvRmT3_T4_T5_T6_T7_T9_mT8_P12ihipStream_tbDpT10_ENKUlT_T0_E_clISt17integral_constantIbLb1EES1C_IbLb0EEEEDaS18_S19_EUlS18_E_NS1_11comp_targetILNS1_3genE3ELNS1_11target_archE908ELNS1_3gpuE7ELNS1_3repE0EEENS1_30default_config_static_selectorELNS0_4arch9wavefront6targetE1EEEvT1_: ; @_ZN7rocprim17ROCPRIM_400000_NS6detail17trampoline_kernelINS0_14default_configENS1_25partition_config_selectorILNS1_17partition_subalgoE8EjNS0_10empty_typeEbEEZZNS1_14partition_implILS5_8ELb0ES3_jN6thrust23THRUST_200600_302600_NS6detail15normal_iteratorINSA_10device_ptrIjEEEEPS6_PKS6_NS0_5tupleIJNSA_16discard_iteratorINSA_11use_defaultEEES6_EEENSJ_IJSG_SG_EEENS0_18inequality_wrapperINSA_8equal_toIjEEEEPmJS6_EEE10hipError_tPvRmT3_T4_T5_T6_T7_T9_mT8_P12ihipStream_tbDpT10_ENKUlT_T0_E_clISt17integral_constantIbLb1EES1C_IbLb0EEEEDaS18_S19_EUlS18_E_NS1_11comp_targetILNS1_3genE3ELNS1_11target_archE908ELNS1_3gpuE7ELNS1_3repE0EEENS1_30default_config_static_selectorELNS0_4arch9wavefront6targetE1EEEvT1_
; %bb.0:
	.section	.rodata,"a",@progbits
	.p2align	6, 0x0
	.amdhsa_kernel _ZN7rocprim17ROCPRIM_400000_NS6detail17trampoline_kernelINS0_14default_configENS1_25partition_config_selectorILNS1_17partition_subalgoE8EjNS0_10empty_typeEbEEZZNS1_14partition_implILS5_8ELb0ES3_jN6thrust23THRUST_200600_302600_NS6detail15normal_iteratorINSA_10device_ptrIjEEEEPS6_PKS6_NS0_5tupleIJNSA_16discard_iteratorINSA_11use_defaultEEES6_EEENSJ_IJSG_SG_EEENS0_18inequality_wrapperINSA_8equal_toIjEEEEPmJS6_EEE10hipError_tPvRmT3_T4_T5_T6_T7_T9_mT8_P12ihipStream_tbDpT10_ENKUlT_T0_E_clISt17integral_constantIbLb1EES1C_IbLb0EEEEDaS18_S19_EUlS18_E_NS1_11comp_targetILNS1_3genE3ELNS1_11target_archE908ELNS1_3gpuE7ELNS1_3repE0EEENS1_30default_config_static_selectorELNS0_4arch9wavefront6targetE1EEEvT1_
		.amdhsa_group_segment_fixed_size 0
		.amdhsa_private_segment_fixed_size 0
		.amdhsa_kernarg_size 120
		.amdhsa_user_sgpr_count 6
		.amdhsa_user_sgpr_private_segment_buffer 1
		.amdhsa_user_sgpr_dispatch_ptr 0
		.amdhsa_user_sgpr_queue_ptr 0
		.amdhsa_user_sgpr_kernarg_segment_ptr 1
		.amdhsa_user_sgpr_dispatch_id 0
		.amdhsa_user_sgpr_flat_scratch_init 0
		.amdhsa_user_sgpr_private_segment_size 0
		.amdhsa_uses_dynamic_stack 0
		.amdhsa_system_sgpr_private_segment_wavefront_offset 0
		.amdhsa_system_sgpr_workgroup_id_x 1
		.amdhsa_system_sgpr_workgroup_id_y 0
		.amdhsa_system_sgpr_workgroup_id_z 0
		.amdhsa_system_sgpr_workgroup_info 0
		.amdhsa_system_vgpr_workitem_id 0
		.amdhsa_next_free_vgpr 1
		.amdhsa_next_free_sgpr 0
		.amdhsa_reserve_vcc 0
		.amdhsa_reserve_flat_scratch 0
		.amdhsa_float_round_mode_32 0
		.amdhsa_float_round_mode_16_64 0
		.amdhsa_float_denorm_mode_32 3
		.amdhsa_float_denorm_mode_16_64 3
		.amdhsa_dx10_clamp 1
		.amdhsa_ieee_mode 1
		.amdhsa_fp16_overflow 0
		.amdhsa_exception_fp_ieee_invalid_op 0
		.amdhsa_exception_fp_denorm_src 0
		.amdhsa_exception_fp_ieee_div_zero 0
		.amdhsa_exception_fp_ieee_overflow 0
		.amdhsa_exception_fp_ieee_underflow 0
		.amdhsa_exception_fp_ieee_inexact 0
		.amdhsa_exception_int_div_zero 0
	.end_amdhsa_kernel
	.section	.text._ZN7rocprim17ROCPRIM_400000_NS6detail17trampoline_kernelINS0_14default_configENS1_25partition_config_selectorILNS1_17partition_subalgoE8EjNS0_10empty_typeEbEEZZNS1_14partition_implILS5_8ELb0ES3_jN6thrust23THRUST_200600_302600_NS6detail15normal_iteratorINSA_10device_ptrIjEEEEPS6_PKS6_NS0_5tupleIJNSA_16discard_iteratorINSA_11use_defaultEEES6_EEENSJ_IJSG_SG_EEENS0_18inequality_wrapperINSA_8equal_toIjEEEEPmJS6_EEE10hipError_tPvRmT3_T4_T5_T6_T7_T9_mT8_P12ihipStream_tbDpT10_ENKUlT_T0_E_clISt17integral_constantIbLb1EES1C_IbLb0EEEEDaS18_S19_EUlS18_E_NS1_11comp_targetILNS1_3genE3ELNS1_11target_archE908ELNS1_3gpuE7ELNS1_3repE0EEENS1_30default_config_static_selectorELNS0_4arch9wavefront6targetE1EEEvT1_,"axG",@progbits,_ZN7rocprim17ROCPRIM_400000_NS6detail17trampoline_kernelINS0_14default_configENS1_25partition_config_selectorILNS1_17partition_subalgoE8EjNS0_10empty_typeEbEEZZNS1_14partition_implILS5_8ELb0ES3_jN6thrust23THRUST_200600_302600_NS6detail15normal_iteratorINSA_10device_ptrIjEEEEPS6_PKS6_NS0_5tupleIJNSA_16discard_iteratorINSA_11use_defaultEEES6_EEENSJ_IJSG_SG_EEENS0_18inequality_wrapperINSA_8equal_toIjEEEEPmJS6_EEE10hipError_tPvRmT3_T4_T5_T6_T7_T9_mT8_P12ihipStream_tbDpT10_ENKUlT_T0_E_clISt17integral_constantIbLb1EES1C_IbLb0EEEEDaS18_S19_EUlS18_E_NS1_11comp_targetILNS1_3genE3ELNS1_11target_archE908ELNS1_3gpuE7ELNS1_3repE0EEENS1_30default_config_static_selectorELNS0_4arch9wavefront6targetE1EEEvT1_,comdat
.Lfunc_end584:
	.size	_ZN7rocprim17ROCPRIM_400000_NS6detail17trampoline_kernelINS0_14default_configENS1_25partition_config_selectorILNS1_17partition_subalgoE8EjNS0_10empty_typeEbEEZZNS1_14partition_implILS5_8ELb0ES3_jN6thrust23THRUST_200600_302600_NS6detail15normal_iteratorINSA_10device_ptrIjEEEEPS6_PKS6_NS0_5tupleIJNSA_16discard_iteratorINSA_11use_defaultEEES6_EEENSJ_IJSG_SG_EEENS0_18inequality_wrapperINSA_8equal_toIjEEEEPmJS6_EEE10hipError_tPvRmT3_T4_T5_T6_T7_T9_mT8_P12ihipStream_tbDpT10_ENKUlT_T0_E_clISt17integral_constantIbLb1EES1C_IbLb0EEEEDaS18_S19_EUlS18_E_NS1_11comp_targetILNS1_3genE3ELNS1_11target_archE908ELNS1_3gpuE7ELNS1_3repE0EEENS1_30default_config_static_selectorELNS0_4arch9wavefront6targetE1EEEvT1_, .Lfunc_end584-_ZN7rocprim17ROCPRIM_400000_NS6detail17trampoline_kernelINS0_14default_configENS1_25partition_config_selectorILNS1_17partition_subalgoE8EjNS0_10empty_typeEbEEZZNS1_14partition_implILS5_8ELb0ES3_jN6thrust23THRUST_200600_302600_NS6detail15normal_iteratorINSA_10device_ptrIjEEEEPS6_PKS6_NS0_5tupleIJNSA_16discard_iteratorINSA_11use_defaultEEES6_EEENSJ_IJSG_SG_EEENS0_18inequality_wrapperINSA_8equal_toIjEEEEPmJS6_EEE10hipError_tPvRmT3_T4_T5_T6_T7_T9_mT8_P12ihipStream_tbDpT10_ENKUlT_T0_E_clISt17integral_constantIbLb1EES1C_IbLb0EEEEDaS18_S19_EUlS18_E_NS1_11comp_targetILNS1_3genE3ELNS1_11target_archE908ELNS1_3gpuE7ELNS1_3repE0EEENS1_30default_config_static_selectorELNS0_4arch9wavefront6targetE1EEEvT1_
                                        ; -- End function
	.set _ZN7rocprim17ROCPRIM_400000_NS6detail17trampoline_kernelINS0_14default_configENS1_25partition_config_selectorILNS1_17partition_subalgoE8EjNS0_10empty_typeEbEEZZNS1_14partition_implILS5_8ELb0ES3_jN6thrust23THRUST_200600_302600_NS6detail15normal_iteratorINSA_10device_ptrIjEEEEPS6_PKS6_NS0_5tupleIJNSA_16discard_iteratorINSA_11use_defaultEEES6_EEENSJ_IJSG_SG_EEENS0_18inequality_wrapperINSA_8equal_toIjEEEEPmJS6_EEE10hipError_tPvRmT3_T4_T5_T6_T7_T9_mT8_P12ihipStream_tbDpT10_ENKUlT_T0_E_clISt17integral_constantIbLb1EES1C_IbLb0EEEEDaS18_S19_EUlS18_E_NS1_11comp_targetILNS1_3genE3ELNS1_11target_archE908ELNS1_3gpuE7ELNS1_3repE0EEENS1_30default_config_static_selectorELNS0_4arch9wavefront6targetE1EEEvT1_.num_vgpr, 0
	.set _ZN7rocprim17ROCPRIM_400000_NS6detail17trampoline_kernelINS0_14default_configENS1_25partition_config_selectorILNS1_17partition_subalgoE8EjNS0_10empty_typeEbEEZZNS1_14partition_implILS5_8ELb0ES3_jN6thrust23THRUST_200600_302600_NS6detail15normal_iteratorINSA_10device_ptrIjEEEEPS6_PKS6_NS0_5tupleIJNSA_16discard_iteratorINSA_11use_defaultEEES6_EEENSJ_IJSG_SG_EEENS0_18inequality_wrapperINSA_8equal_toIjEEEEPmJS6_EEE10hipError_tPvRmT3_T4_T5_T6_T7_T9_mT8_P12ihipStream_tbDpT10_ENKUlT_T0_E_clISt17integral_constantIbLb1EES1C_IbLb0EEEEDaS18_S19_EUlS18_E_NS1_11comp_targetILNS1_3genE3ELNS1_11target_archE908ELNS1_3gpuE7ELNS1_3repE0EEENS1_30default_config_static_selectorELNS0_4arch9wavefront6targetE1EEEvT1_.num_agpr, 0
	.set _ZN7rocprim17ROCPRIM_400000_NS6detail17trampoline_kernelINS0_14default_configENS1_25partition_config_selectorILNS1_17partition_subalgoE8EjNS0_10empty_typeEbEEZZNS1_14partition_implILS5_8ELb0ES3_jN6thrust23THRUST_200600_302600_NS6detail15normal_iteratorINSA_10device_ptrIjEEEEPS6_PKS6_NS0_5tupleIJNSA_16discard_iteratorINSA_11use_defaultEEES6_EEENSJ_IJSG_SG_EEENS0_18inequality_wrapperINSA_8equal_toIjEEEEPmJS6_EEE10hipError_tPvRmT3_T4_T5_T6_T7_T9_mT8_P12ihipStream_tbDpT10_ENKUlT_T0_E_clISt17integral_constantIbLb1EES1C_IbLb0EEEEDaS18_S19_EUlS18_E_NS1_11comp_targetILNS1_3genE3ELNS1_11target_archE908ELNS1_3gpuE7ELNS1_3repE0EEENS1_30default_config_static_selectorELNS0_4arch9wavefront6targetE1EEEvT1_.numbered_sgpr, 0
	.set _ZN7rocprim17ROCPRIM_400000_NS6detail17trampoline_kernelINS0_14default_configENS1_25partition_config_selectorILNS1_17partition_subalgoE8EjNS0_10empty_typeEbEEZZNS1_14partition_implILS5_8ELb0ES3_jN6thrust23THRUST_200600_302600_NS6detail15normal_iteratorINSA_10device_ptrIjEEEEPS6_PKS6_NS0_5tupleIJNSA_16discard_iteratorINSA_11use_defaultEEES6_EEENSJ_IJSG_SG_EEENS0_18inequality_wrapperINSA_8equal_toIjEEEEPmJS6_EEE10hipError_tPvRmT3_T4_T5_T6_T7_T9_mT8_P12ihipStream_tbDpT10_ENKUlT_T0_E_clISt17integral_constantIbLb1EES1C_IbLb0EEEEDaS18_S19_EUlS18_E_NS1_11comp_targetILNS1_3genE3ELNS1_11target_archE908ELNS1_3gpuE7ELNS1_3repE0EEENS1_30default_config_static_selectorELNS0_4arch9wavefront6targetE1EEEvT1_.num_named_barrier, 0
	.set _ZN7rocprim17ROCPRIM_400000_NS6detail17trampoline_kernelINS0_14default_configENS1_25partition_config_selectorILNS1_17partition_subalgoE8EjNS0_10empty_typeEbEEZZNS1_14partition_implILS5_8ELb0ES3_jN6thrust23THRUST_200600_302600_NS6detail15normal_iteratorINSA_10device_ptrIjEEEEPS6_PKS6_NS0_5tupleIJNSA_16discard_iteratorINSA_11use_defaultEEES6_EEENSJ_IJSG_SG_EEENS0_18inequality_wrapperINSA_8equal_toIjEEEEPmJS6_EEE10hipError_tPvRmT3_T4_T5_T6_T7_T9_mT8_P12ihipStream_tbDpT10_ENKUlT_T0_E_clISt17integral_constantIbLb1EES1C_IbLb0EEEEDaS18_S19_EUlS18_E_NS1_11comp_targetILNS1_3genE3ELNS1_11target_archE908ELNS1_3gpuE7ELNS1_3repE0EEENS1_30default_config_static_selectorELNS0_4arch9wavefront6targetE1EEEvT1_.private_seg_size, 0
	.set _ZN7rocprim17ROCPRIM_400000_NS6detail17trampoline_kernelINS0_14default_configENS1_25partition_config_selectorILNS1_17partition_subalgoE8EjNS0_10empty_typeEbEEZZNS1_14partition_implILS5_8ELb0ES3_jN6thrust23THRUST_200600_302600_NS6detail15normal_iteratorINSA_10device_ptrIjEEEEPS6_PKS6_NS0_5tupleIJNSA_16discard_iteratorINSA_11use_defaultEEES6_EEENSJ_IJSG_SG_EEENS0_18inequality_wrapperINSA_8equal_toIjEEEEPmJS6_EEE10hipError_tPvRmT3_T4_T5_T6_T7_T9_mT8_P12ihipStream_tbDpT10_ENKUlT_T0_E_clISt17integral_constantIbLb1EES1C_IbLb0EEEEDaS18_S19_EUlS18_E_NS1_11comp_targetILNS1_3genE3ELNS1_11target_archE908ELNS1_3gpuE7ELNS1_3repE0EEENS1_30default_config_static_selectorELNS0_4arch9wavefront6targetE1EEEvT1_.uses_vcc, 0
	.set _ZN7rocprim17ROCPRIM_400000_NS6detail17trampoline_kernelINS0_14default_configENS1_25partition_config_selectorILNS1_17partition_subalgoE8EjNS0_10empty_typeEbEEZZNS1_14partition_implILS5_8ELb0ES3_jN6thrust23THRUST_200600_302600_NS6detail15normal_iteratorINSA_10device_ptrIjEEEEPS6_PKS6_NS0_5tupleIJNSA_16discard_iteratorINSA_11use_defaultEEES6_EEENSJ_IJSG_SG_EEENS0_18inequality_wrapperINSA_8equal_toIjEEEEPmJS6_EEE10hipError_tPvRmT3_T4_T5_T6_T7_T9_mT8_P12ihipStream_tbDpT10_ENKUlT_T0_E_clISt17integral_constantIbLb1EES1C_IbLb0EEEEDaS18_S19_EUlS18_E_NS1_11comp_targetILNS1_3genE3ELNS1_11target_archE908ELNS1_3gpuE7ELNS1_3repE0EEENS1_30default_config_static_selectorELNS0_4arch9wavefront6targetE1EEEvT1_.uses_flat_scratch, 0
	.set _ZN7rocprim17ROCPRIM_400000_NS6detail17trampoline_kernelINS0_14default_configENS1_25partition_config_selectorILNS1_17partition_subalgoE8EjNS0_10empty_typeEbEEZZNS1_14partition_implILS5_8ELb0ES3_jN6thrust23THRUST_200600_302600_NS6detail15normal_iteratorINSA_10device_ptrIjEEEEPS6_PKS6_NS0_5tupleIJNSA_16discard_iteratorINSA_11use_defaultEEES6_EEENSJ_IJSG_SG_EEENS0_18inequality_wrapperINSA_8equal_toIjEEEEPmJS6_EEE10hipError_tPvRmT3_T4_T5_T6_T7_T9_mT8_P12ihipStream_tbDpT10_ENKUlT_T0_E_clISt17integral_constantIbLb1EES1C_IbLb0EEEEDaS18_S19_EUlS18_E_NS1_11comp_targetILNS1_3genE3ELNS1_11target_archE908ELNS1_3gpuE7ELNS1_3repE0EEENS1_30default_config_static_selectorELNS0_4arch9wavefront6targetE1EEEvT1_.has_dyn_sized_stack, 0
	.set _ZN7rocprim17ROCPRIM_400000_NS6detail17trampoline_kernelINS0_14default_configENS1_25partition_config_selectorILNS1_17partition_subalgoE8EjNS0_10empty_typeEbEEZZNS1_14partition_implILS5_8ELb0ES3_jN6thrust23THRUST_200600_302600_NS6detail15normal_iteratorINSA_10device_ptrIjEEEEPS6_PKS6_NS0_5tupleIJNSA_16discard_iteratorINSA_11use_defaultEEES6_EEENSJ_IJSG_SG_EEENS0_18inequality_wrapperINSA_8equal_toIjEEEEPmJS6_EEE10hipError_tPvRmT3_T4_T5_T6_T7_T9_mT8_P12ihipStream_tbDpT10_ENKUlT_T0_E_clISt17integral_constantIbLb1EES1C_IbLb0EEEEDaS18_S19_EUlS18_E_NS1_11comp_targetILNS1_3genE3ELNS1_11target_archE908ELNS1_3gpuE7ELNS1_3repE0EEENS1_30default_config_static_selectorELNS0_4arch9wavefront6targetE1EEEvT1_.has_recursion, 0
	.set _ZN7rocprim17ROCPRIM_400000_NS6detail17trampoline_kernelINS0_14default_configENS1_25partition_config_selectorILNS1_17partition_subalgoE8EjNS0_10empty_typeEbEEZZNS1_14partition_implILS5_8ELb0ES3_jN6thrust23THRUST_200600_302600_NS6detail15normal_iteratorINSA_10device_ptrIjEEEEPS6_PKS6_NS0_5tupleIJNSA_16discard_iteratorINSA_11use_defaultEEES6_EEENSJ_IJSG_SG_EEENS0_18inequality_wrapperINSA_8equal_toIjEEEEPmJS6_EEE10hipError_tPvRmT3_T4_T5_T6_T7_T9_mT8_P12ihipStream_tbDpT10_ENKUlT_T0_E_clISt17integral_constantIbLb1EES1C_IbLb0EEEEDaS18_S19_EUlS18_E_NS1_11comp_targetILNS1_3genE3ELNS1_11target_archE908ELNS1_3gpuE7ELNS1_3repE0EEENS1_30default_config_static_selectorELNS0_4arch9wavefront6targetE1EEEvT1_.has_indirect_call, 0
	.section	.AMDGPU.csdata,"",@progbits
; Kernel info:
; codeLenInByte = 0
; TotalNumSgprs: 4
; NumVgprs: 0
; ScratchSize: 0
; MemoryBound: 0
; FloatMode: 240
; IeeeMode: 1
; LDSByteSize: 0 bytes/workgroup (compile time only)
; SGPRBlocks: 0
; VGPRBlocks: 0
; NumSGPRsForWavesPerEU: 4
; NumVGPRsForWavesPerEU: 1
; Occupancy: 10
; WaveLimiterHint : 0
; COMPUTE_PGM_RSRC2:SCRATCH_EN: 0
; COMPUTE_PGM_RSRC2:USER_SGPR: 6
; COMPUTE_PGM_RSRC2:TRAP_HANDLER: 0
; COMPUTE_PGM_RSRC2:TGID_X_EN: 1
; COMPUTE_PGM_RSRC2:TGID_Y_EN: 0
; COMPUTE_PGM_RSRC2:TGID_Z_EN: 0
; COMPUTE_PGM_RSRC2:TIDIG_COMP_CNT: 0
	.section	.text._ZN7rocprim17ROCPRIM_400000_NS6detail17trampoline_kernelINS0_14default_configENS1_25partition_config_selectorILNS1_17partition_subalgoE8EjNS0_10empty_typeEbEEZZNS1_14partition_implILS5_8ELb0ES3_jN6thrust23THRUST_200600_302600_NS6detail15normal_iteratorINSA_10device_ptrIjEEEEPS6_PKS6_NS0_5tupleIJNSA_16discard_iteratorINSA_11use_defaultEEES6_EEENSJ_IJSG_SG_EEENS0_18inequality_wrapperINSA_8equal_toIjEEEEPmJS6_EEE10hipError_tPvRmT3_T4_T5_T6_T7_T9_mT8_P12ihipStream_tbDpT10_ENKUlT_T0_E_clISt17integral_constantIbLb1EES1C_IbLb0EEEEDaS18_S19_EUlS18_E_NS1_11comp_targetILNS1_3genE2ELNS1_11target_archE906ELNS1_3gpuE6ELNS1_3repE0EEENS1_30default_config_static_selectorELNS0_4arch9wavefront6targetE1EEEvT1_,"axG",@progbits,_ZN7rocprim17ROCPRIM_400000_NS6detail17trampoline_kernelINS0_14default_configENS1_25partition_config_selectorILNS1_17partition_subalgoE8EjNS0_10empty_typeEbEEZZNS1_14partition_implILS5_8ELb0ES3_jN6thrust23THRUST_200600_302600_NS6detail15normal_iteratorINSA_10device_ptrIjEEEEPS6_PKS6_NS0_5tupleIJNSA_16discard_iteratorINSA_11use_defaultEEES6_EEENSJ_IJSG_SG_EEENS0_18inequality_wrapperINSA_8equal_toIjEEEEPmJS6_EEE10hipError_tPvRmT3_T4_T5_T6_T7_T9_mT8_P12ihipStream_tbDpT10_ENKUlT_T0_E_clISt17integral_constantIbLb1EES1C_IbLb0EEEEDaS18_S19_EUlS18_E_NS1_11comp_targetILNS1_3genE2ELNS1_11target_archE906ELNS1_3gpuE6ELNS1_3repE0EEENS1_30default_config_static_selectorELNS0_4arch9wavefront6targetE1EEEvT1_,comdat
	.protected	_ZN7rocprim17ROCPRIM_400000_NS6detail17trampoline_kernelINS0_14default_configENS1_25partition_config_selectorILNS1_17partition_subalgoE8EjNS0_10empty_typeEbEEZZNS1_14partition_implILS5_8ELb0ES3_jN6thrust23THRUST_200600_302600_NS6detail15normal_iteratorINSA_10device_ptrIjEEEEPS6_PKS6_NS0_5tupleIJNSA_16discard_iteratorINSA_11use_defaultEEES6_EEENSJ_IJSG_SG_EEENS0_18inequality_wrapperINSA_8equal_toIjEEEEPmJS6_EEE10hipError_tPvRmT3_T4_T5_T6_T7_T9_mT8_P12ihipStream_tbDpT10_ENKUlT_T0_E_clISt17integral_constantIbLb1EES1C_IbLb0EEEEDaS18_S19_EUlS18_E_NS1_11comp_targetILNS1_3genE2ELNS1_11target_archE906ELNS1_3gpuE6ELNS1_3repE0EEENS1_30default_config_static_selectorELNS0_4arch9wavefront6targetE1EEEvT1_ ; -- Begin function _ZN7rocprim17ROCPRIM_400000_NS6detail17trampoline_kernelINS0_14default_configENS1_25partition_config_selectorILNS1_17partition_subalgoE8EjNS0_10empty_typeEbEEZZNS1_14partition_implILS5_8ELb0ES3_jN6thrust23THRUST_200600_302600_NS6detail15normal_iteratorINSA_10device_ptrIjEEEEPS6_PKS6_NS0_5tupleIJNSA_16discard_iteratorINSA_11use_defaultEEES6_EEENSJ_IJSG_SG_EEENS0_18inequality_wrapperINSA_8equal_toIjEEEEPmJS6_EEE10hipError_tPvRmT3_T4_T5_T6_T7_T9_mT8_P12ihipStream_tbDpT10_ENKUlT_T0_E_clISt17integral_constantIbLb1EES1C_IbLb0EEEEDaS18_S19_EUlS18_E_NS1_11comp_targetILNS1_3genE2ELNS1_11target_archE906ELNS1_3gpuE6ELNS1_3repE0EEENS1_30default_config_static_selectorELNS0_4arch9wavefront6targetE1EEEvT1_
	.globl	_ZN7rocprim17ROCPRIM_400000_NS6detail17trampoline_kernelINS0_14default_configENS1_25partition_config_selectorILNS1_17partition_subalgoE8EjNS0_10empty_typeEbEEZZNS1_14partition_implILS5_8ELb0ES3_jN6thrust23THRUST_200600_302600_NS6detail15normal_iteratorINSA_10device_ptrIjEEEEPS6_PKS6_NS0_5tupleIJNSA_16discard_iteratorINSA_11use_defaultEEES6_EEENSJ_IJSG_SG_EEENS0_18inequality_wrapperINSA_8equal_toIjEEEEPmJS6_EEE10hipError_tPvRmT3_T4_T5_T6_T7_T9_mT8_P12ihipStream_tbDpT10_ENKUlT_T0_E_clISt17integral_constantIbLb1EES1C_IbLb0EEEEDaS18_S19_EUlS18_E_NS1_11comp_targetILNS1_3genE2ELNS1_11target_archE906ELNS1_3gpuE6ELNS1_3repE0EEENS1_30default_config_static_selectorELNS0_4arch9wavefront6targetE1EEEvT1_
	.p2align	8
	.type	_ZN7rocprim17ROCPRIM_400000_NS6detail17trampoline_kernelINS0_14default_configENS1_25partition_config_selectorILNS1_17partition_subalgoE8EjNS0_10empty_typeEbEEZZNS1_14partition_implILS5_8ELb0ES3_jN6thrust23THRUST_200600_302600_NS6detail15normal_iteratorINSA_10device_ptrIjEEEEPS6_PKS6_NS0_5tupleIJNSA_16discard_iteratorINSA_11use_defaultEEES6_EEENSJ_IJSG_SG_EEENS0_18inequality_wrapperINSA_8equal_toIjEEEEPmJS6_EEE10hipError_tPvRmT3_T4_T5_T6_T7_T9_mT8_P12ihipStream_tbDpT10_ENKUlT_T0_E_clISt17integral_constantIbLb1EES1C_IbLb0EEEEDaS18_S19_EUlS18_E_NS1_11comp_targetILNS1_3genE2ELNS1_11target_archE906ELNS1_3gpuE6ELNS1_3repE0EEENS1_30default_config_static_selectorELNS0_4arch9wavefront6targetE1EEEvT1_,@function
_ZN7rocprim17ROCPRIM_400000_NS6detail17trampoline_kernelINS0_14default_configENS1_25partition_config_selectorILNS1_17partition_subalgoE8EjNS0_10empty_typeEbEEZZNS1_14partition_implILS5_8ELb0ES3_jN6thrust23THRUST_200600_302600_NS6detail15normal_iteratorINSA_10device_ptrIjEEEEPS6_PKS6_NS0_5tupleIJNSA_16discard_iteratorINSA_11use_defaultEEES6_EEENSJ_IJSG_SG_EEENS0_18inequality_wrapperINSA_8equal_toIjEEEEPmJS6_EEE10hipError_tPvRmT3_T4_T5_T6_T7_T9_mT8_P12ihipStream_tbDpT10_ENKUlT_T0_E_clISt17integral_constantIbLb1EES1C_IbLb0EEEEDaS18_S19_EUlS18_E_NS1_11comp_targetILNS1_3genE2ELNS1_11target_archE906ELNS1_3gpuE6ELNS1_3repE0EEENS1_30default_config_static_selectorELNS0_4arch9wavefront6targetE1EEEvT1_: ; @_ZN7rocprim17ROCPRIM_400000_NS6detail17trampoline_kernelINS0_14default_configENS1_25partition_config_selectorILNS1_17partition_subalgoE8EjNS0_10empty_typeEbEEZZNS1_14partition_implILS5_8ELb0ES3_jN6thrust23THRUST_200600_302600_NS6detail15normal_iteratorINSA_10device_ptrIjEEEEPS6_PKS6_NS0_5tupleIJNSA_16discard_iteratorINSA_11use_defaultEEES6_EEENSJ_IJSG_SG_EEENS0_18inequality_wrapperINSA_8equal_toIjEEEEPmJS6_EEE10hipError_tPvRmT3_T4_T5_T6_T7_T9_mT8_P12ihipStream_tbDpT10_ENKUlT_T0_E_clISt17integral_constantIbLb1EES1C_IbLb0EEEEDaS18_S19_EUlS18_E_NS1_11comp_targetILNS1_3genE2ELNS1_11target_archE906ELNS1_3gpuE6ELNS1_3repE0EEENS1_30default_config_static_selectorELNS0_4arch9wavefront6targetE1EEEvT1_
; %bb.0:
	s_endpgm
	.section	.rodata,"a",@progbits
	.p2align	6, 0x0
	.amdhsa_kernel _ZN7rocprim17ROCPRIM_400000_NS6detail17trampoline_kernelINS0_14default_configENS1_25partition_config_selectorILNS1_17partition_subalgoE8EjNS0_10empty_typeEbEEZZNS1_14partition_implILS5_8ELb0ES3_jN6thrust23THRUST_200600_302600_NS6detail15normal_iteratorINSA_10device_ptrIjEEEEPS6_PKS6_NS0_5tupleIJNSA_16discard_iteratorINSA_11use_defaultEEES6_EEENSJ_IJSG_SG_EEENS0_18inequality_wrapperINSA_8equal_toIjEEEEPmJS6_EEE10hipError_tPvRmT3_T4_T5_T6_T7_T9_mT8_P12ihipStream_tbDpT10_ENKUlT_T0_E_clISt17integral_constantIbLb1EES1C_IbLb0EEEEDaS18_S19_EUlS18_E_NS1_11comp_targetILNS1_3genE2ELNS1_11target_archE906ELNS1_3gpuE6ELNS1_3repE0EEENS1_30default_config_static_selectorELNS0_4arch9wavefront6targetE1EEEvT1_
		.amdhsa_group_segment_fixed_size 0
		.amdhsa_private_segment_fixed_size 0
		.amdhsa_kernarg_size 120
		.amdhsa_user_sgpr_count 6
		.amdhsa_user_sgpr_private_segment_buffer 1
		.amdhsa_user_sgpr_dispatch_ptr 0
		.amdhsa_user_sgpr_queue_ptr 0
		.amdhsa_user_sgpr_kernarg_segment_ptr 1
		.amdhsa_user_sgpr_dispatch_id 0
		.amdhsa_user_sgpr_flat_scratch_init 0
		.amdhsa_user_sgpr_private_segment_size 0
		.amdhsa_uses_dynamic_stack 0
		.amdhsa_system_sgpr_private_segment_wavefront_offset 0
		.amdhsa_system_sgpr_workgroup_id_x 1
		.amdhsa_system_sgpr_workgroup_id_y 0
		.amdhsa_system_sgpr_workgroup_id_z 0
		.amdhsa_system_sgpr_workgroup_info 0
		.amdhsa_system_vgpr_workitem_id 0
		.amdhsa_next_free_vgpr 1
		.amdhsa_next_free_sgpr 0
		.amdhsa_reserve_vcc 0
		.amdhsa_reserve_flat_scratch 0
		.amdhsa_float_round_mode_32 0
		.amdhsa_float_round_mode_16_64 0
		.amdhsa_float_denorm_mode_32 3
		.amdhsa_float_denorm_mode_16_64 3
		.amdhsa_dx10_clamp 1
		.amdhsa_ieee_mode 1
		.amdhsa_fp16_overflow 0
		.amdhsa_exception_fp_ieee_invalid_op 0
		.amdhsa_exception_fp_denorm_src 0
		.amdhsa_exception_fp_ieee_div_zero 0
		.amdhsa_exception_fp_ieee_overflow 0
		.amdhsa_exception_fp_ieee_underflow 0
		.amdhsa_exception_fp_ieee_inexact 0
		.amdhsa_exception_int_div_zero 0
	.end_amdhsa_kernel
	.section	.text._ZN7rocprim17ROCPRIM_400000_NS6detail17trampoline_kernelINS0_14default_configENS1_25partition_config_selectorILNS1_17partition_subalgoE8EjNS0_10empty_typeEbEEZZNS1_14partition_implILS5_8ELb0ES3_jN6thrust23THRUST_200600_302600_NS6detail15normal_iteratorINSA_10device_ptrIjEEEEPS6_PKS6_NS0_5tupleIJNSA_16discard_iteratorINSA_11use_defaultEEES6_EEENSJ_IJSG_SG_EEENS0_18inequality_wrapperINSA_8equal_toIjEEEEPmJS6_EEE10hipError_tPvRmT3_T4_T5_T6_T7_T9_mT8_P12ihipStream_tbDpT10_ENKUlT_T0_E_clISt17integral_constantIbLb1EES1C_IbLb0EEEEDaS18_S19_EUlS18_E_NS1_11comp_targetILNS1_3genE2ELNS1_11target_archE906ELNS1_3gpuE6ELNS1_3repE0EEENS1_30default_config_static_selectorELNS0_4arch9wavefront6targetE1EEEvT1_,"axG",@progbits,_ZN7rocprim17ROCPRIM_400000_NS6detail17trampoline_kernelINS0_14default_configENS1_25partition_config_selectorILNS1_17partition_subalgoE8EjNS0_10empty_typeEbEEZZNS1_14partition_implILS5_8ELb0ES3_jN6thrust23THRUST_200600_302600_NS6detail15normal_iteratorINSA_10device_ptrIjEEEEPS6_PKS6_NS0_5tupleIJNSA_16discard_iteratorINSA_11use_defaultEEES6_EEENSJ_IJSG_SG_EEENS0_18inequality_wrapperINSA_8equal_toIjEEEEPmJS6_EEE10hipError_tPvRmT3_T4_T5_T6_T7_T9_mT8_P12ihipStream_tbDpT10_ENKUlT_T0_E_clISt17integral_constantIbLb1EES1C_IbLb0EEEEDaS18_S19_EUlS18_E_NS1_11comp_targetILNS1_3genE2ELNS1_11target_archE906ELNS1_3gpuE6ELNS1_3repE0EEENS1_30default_config_static_selectorELNS0_4arch9wavefront6targetE1EEEvT1_,comdat
.Lfunc_end585:
	.size	_ZN7rocprim17ROCPRIM_400000_NS6detail17trampoline_kernelINS0_14default_configENS1_25partition_config_selectorILNS1_17partition_subalgoE8EjNS0_10empty_typeEbEEZZNS1_14partition_implILS5_8ELb0ES3_jN6thrust23THRUST_200600_302600_NS6detail15normal_iteratorINSA_10device_ptrIjEEEEPS6_PKS6_NS0_5tupleIJNSA_16discard_iteratorINSA_11use_defaultEEES6_EEENSJ_IJSG_SG_EEENS0_18inequality_wrapperINSA_8equal_toIjEEEEPmJS6_EEE10hipError_tPvRmT3_T4_T5_T6_T7_T9_mT8_P12ihipStream_tbDpT10_ENKUlT_T0_E_clISt17integral_constantIbLb1EES1C_IbLb0EEEEDaS18_S19_EUlS18_E_NS1_11comp_targetILNS1_3genE2ELNS1_11target_archE906ELNS1_3gpuE6ELNS1_3repE0EEENS1_30default_config_static_selectorELNS0_4arch9wavefront6targetE1EEEvT1_, .Lfunc_end585-_ZN7rocprim17ROCPRIM_400000_NS6detail17trampoline_kernelINS0_14default_configENS1_25partition_config_selectorILNS1_17partition_subalgoE8EjNS0_10empty_typeEbEEZZNS1_14partition_implILS5_8ELb0ES3_jN6thrust23THRUST_200600_302600_NS6detail15normal_iteratorINSA_10device_ptrIjEEEEPS6_PKS6_NS0_5tupleIJNSA_16discard_iteratorINSA_11use_defaultEEES6_EEENSJ_IJSG_SG_EEENS0_18inequality_wrapperINSA_8equal_toIjEEEEPmJS6_EEE10hipError_tPvRmT3_T4_T5_T6_T7_T9_mT8_P12ihipStream_tbDpT10_ENKUlT_T0_E_clISt17integral_constantIbLb1EES1C_IbLb0EEEEDaS18_S19_EUlS18_E_NS1_11comp_targetILNS1_3genE2ELNS1_11target_archE906ELNS1_3gpuE6ELNS1_3repE0EEENS1_30default_config_static_selectorELNS0_4arch9wavefront6targetE1EEEvT1_
                                        ; -- End function
	.set _ZN7rocprim17ROCPRIM_400000_NS6detail17trampoline_kernelINS0_14default_configENS1_25partition_config_selectorILNS1_17partition_subalgoE8EjNS0_10empty_typeEbEEZZNS1_14partition_implILS5_8ELb0ES3_jN6thrust23THRUST_200600_302600_NS6detail15normal_iteratorINSA_10device_ptrIjEEEEPS6_PKS6_NS0_5tupleIJNSA_16discard_iteratorINSA_11use_defaultEEES6_EEENSJ_IJSG_SG_EEENS0_18inequality_wrapperINSA_8equal_toIjEEEEPmJS6_EEE10hipError_tPvRmT3_T4_T5_T6_T7_T9_mT8_P12ihipStream_tbDpT10_ENKUlT_T0_E_clISt17integral_constantIbLb1EES1C_IbLb0EEEEDaS18_S19_EUlS18_E_NS1_11comp_targetILNS1_3genE2ELNS1_11target_archE906ELNS1_3gpuE6ELNS1_3repE0EEENS1_30default_config_static_selectorELNS0_4arch9wavefront6targetE1EEEvT1_.num_vgpr, 0
	.set _ZN7rocprim17ROCPRIM_400000_NS6detail17trampoline_kernelINS0_14default_configENS1_25partition_config_selectorILNS1_17partition_subalgoE8EjNS0_10empty_typeEbEEZZNS1_14partition_implILS5_8ELb0ES3_jN6thrust23THRUST_200600_302600_NS6detail15normal_iteratorINSA_10device_ptrIjEEEEPS6_PKS6_NS0_5tupleIJNSA_16discard_iteratorINSA_11use_defaultEEES6_EEENSJ_IJSG_SG_EEENS0_18inequality_wrapperINSA_8equal_toIjEEEEPmJS6_EEE10hipError_tPvRmT3_T4_T5_T6_T7_T9_mT8_P12ihipStream_tbDpT10_ENKUlT_T0_E_clISt17integral_constantIbLb1EES1C_IbLb0EEEEDaS18_S19_EUlS18_E_NS1_11comp_targetILNS1_3genE2ELNS1_11target_archE906ELNS1_3gpuE6ELNS1_3repE0EEENS1_30default_config_static_selectorELNS0_4arch9wavefront6targetE1EEEvT1_.num_agpr, 0
	.set _ZN7rocprim17ROCPRIM_400000_NS6detail17trampoline_kernelINS0_14default_configENS1_25partition_config_selectorILNS1_17partition_subalgoE8EjNS0_10empty_typeEbEEZZNS1_14partition_implILS5_8ELb0ES3_jN6thrust23THRUST_200600_302600_NS6detail15normal_iteratorINSA_10device_ptrIjEEEEPS6_PKS6_NS0_5tupleIJNSA_16discard_iteratorINSA_11use_defaultEEES6_EEENSJ_IJSG_SG_EEENS0_18inequality_wrapperINSA_8equal_toIjEEEEPmJS6_EEE10hipError_tPvRmT3_T4_T5_T6_T7_T9_mT8_P12ihipStream_tbDpT10_ENKUlT_T0_E_clISt17integral_constantIbLb1EES1C_IbLb0EEEEDaS18_S19_EUlS18_E_NS1_11comp_targetILNS1_3genE2ELNS1_11target_archE906ELNS1_3gpuE6ELNS1_3repE0EEENS1_30default_config_static_selectorELNS0_4arch9wavefront6targetE1EEEvT1_.numbered_sgpr, 0
	.set _ZN7rocprim17ROCPRIM_400000_NS6detail17trampoline_kernelINS0_14default_configENS1_25partition_config_selectorILNS1_17partition_subalgoE8EjNS0_10empty_typeEbEEZZNS1_14partition_implILS5_8ELb0ES3_jN6thrust23THRUST_200600_302600_NS6detail15normal_iteratorINSA_10device_ptrIjEEEEPS6_PKS6_NS0_5tupleIJNSA_16discard_iteratorINSA_11use_defaultEEES6_EEENSJ_IJSG_SG_EEENS0_18inequality_wrapperINSA_8equal_toIjEEEEPmJS6_EEE10hipError_tPvRmT3_T4_T5_T6_T7_T9_mT8_P12ihipStream_tbDpT10_ENKUlT_T0_E_clISt17integral_constantIbLb1EES1C_IbLb0EEEEDaS18_S19_EUlS18_E_NS1_11comp_targetILNS1_3genE2ELNS1_11target_archE906ELNS1_3gpuE6ELNS1_3repE0EEENS1_30default_config_static_selectorELNS0_4arch9wavefront6targetE1EEEvT1_.num_named_barrier, 0
	.set _ZN7rocprim17ROCPRIM_400000_NS6detail17trampoline_kernelINS0_14default_configENS1_25partition_config_selectorILNS1_17partition_subalgoE8EjNS0_10empty_typeEbEEZZNS1_14partition_implILS5_8ELb0ES3_jN6thrust23THRUST_200600_302600_NS6detail15normal_iteratorINSA_10device_ptrIjEEEEPS6_PKS6_NS0_5tupleIJNSA_16discard_iteratorINSA_11use_defaultEEES6_EEENSJ_IJSG_SG_EEENS0_18inequality_wrapperINSA_8equal_toIjEEEEPmJS6_EEE10hipError_tPvRmT3_T4_T5_T6_T7_T9_mT8_P12ihipStream_tbDpT10_ENKUlT_T0_E_clISt17integral_constantIbLb1EES1C_IbLb0EEEEDaS18_S19_EUlS18_E_NS1_11comp_targetILNS1_3genE2ELNS1_11target_archE906ELNS1_3gpuE6ELNS1_3repE0EEENS1_30default_config_static_selectorELNS0_4arch9wavefront6targetE1EEEvT1_.private_seg_size, 0
	.set _ZN7rocprim17ROCPRIM_400000_NS6detail17trampoline_kernelINS0_14default_configENS1_25partition_config_selectorILNS1_17partition_subalgoE8EjNS0_10empty_typeEbEEZZNS1_14partition_implILS5_8ELb0ES3_jN6thrust23THRUST_200600_302600_NS6detail15normal_iteratorINSA_10device_ptrIjEEEEPS6_PKS6_NS0_5tupleIJNSA_16discard_iteratorINSA_11use_defaultEEES6_EEENSJ_IJSG_SG_EEENS0_18inequality_wrapperINSA_8equal_toIjEEEEPmJS6_EEE10hipError_tPvRmT3_T4_T5_T6_T7_T9_mT8_P12ihipStream_tbDpT10_ENKUlT_T0_E_clISt17integral_constantIbLb1EES1C_IbLb0EEEEDaS18_S19_EUlS18_E_NS1_11comp_targetILNS1_3genE2ELNS1_11target_archE906ELNS1_3gpuE6ELNS1_3repE0EEENS1_30default_config_static_selectorELNS0_4arch9wavefront6targetE1EEEvT1_.uses_vcc, 0
	.set _ZN7rocprim17ROCPRIM_400000_NS6detail17trampoline_kernelINS0_14default_configENS1_25partition_config_selectorILNS1_17partition_subalgoE8EjNS0_10empty_typeEbEEZZNS1_14partition_implILS5_8ELb0ES3_jN6thrust23THRUST_200600_302600_NS6detail15normal_iteratorINSA_10device_ptrIjEEEEPS6_PKS6_NS0_5tupleIJNSA_16discard_iteratorINSA_11use_defaultEEES6_EEENSJ_IJSG_SG_EEENS0_18inequality_wrapperINSA_8equal_toIjEEEEPmJS6_EEE10hipError_tPvRmT3_T4_T5_T6_T7_T9_mT8_P12ihipStream_tbDpT10_ENKUlT_T0_E_clISt17integral_constantIbLb1EES1C_IbLb0EEEEDaS18_S19_EUlS18_E_NS1_11comp_targetILNS1_3genE2ELNS1_11target_archE906ELNS1_3gpuE6ELNS1_3repE0EEENS1_30default_config_static_selectorELNS0_4arch9wavefront6targetE1EEEvT1_.uses_flat_scratch, 0
	.set _ZN7rocprim17ROCPRIM_400000_NS6detail17trampoline_kernelINS0_14default_configENS1_25partition_config_selectorILNS1_17partition_subalgoE8EjNS0_10empty_typeEbEEZZNS1_14partition_implILS5_8ELb0ES3_jN6thrust23THRUST_200600_302600_NS6detail15normal_iteratorINSA_10device_ptrIjEEEEPS6_PKS6_NS0_5tupleIJNSA_16discard_iteratorINSA_11use_defaultEEES6_EEENSJ_IJSG_SG_EEENS0_18inequality_wrapperINSA_8equal_toIjEEEEPmJS6_EEE10hipError_tPvRmT3_T4_T5_T6_T7_T9_mT8_P12ihipStream_tbDpT10_ENKUlT_T0_E_clISt17integral_constantIbLb1EES1C_IbLb0EEEEDaS18_S19_EUlS18_E_NS1_11comp_targetILNS1_3genE2ELNS1_11target_archE906ELNS1_3gpuE6ELNS1_3repE0EEENS1_30default_config_static_selectorELNS0_4arch9wavefront6targetE1EEEvT1_.has_dyn_sized_stack, 0
	.set _ZN7rocprim17ROCPRIM_400000_NS6detail17trampoline_kernelINS0_14default_configENS1_25partition_config_selectorILNS1_17partition_subalgoE8EjNS0_10empty_typeEbEEZZNS1_14partition_implILS5_8ELb0ES3_jN6thrust23THRUST_200600_302600_NS6detail15normal_iteratorINSA_10device_ptrIjEEEEPS6_PKS6_NS0_5tupleIJNSA_16discard_iteratorINSA_11use_defaultEEES6_EEENSJ_IJSG_SG_EEENS0_18inequality_wrapperINSA_8equal_toIjEEEEPmJS6_EEE10hipError_tPvRmT3_T4_T5_T6_T7_T9_mT8_P12ihipStream_tbDpT10_ENKUlT_T0_E_clISt17integral_constantIbLb1EES1C_IbLb0EEEEDaS18_S19_EUlS18_E_NS1_11comp_targetILNS1_3genE2ELNS1_11target_archE906ELNS1_3gpuE6ELNS1_3repE0EEENS1_30default_config_static_selectorELNS0_4arch9wavefront6targetE1EEEvT1_.has_recursion, 0
	.set _ZN7rocprim17ROCPRIM_400000_NS6detail17trampoline_kernelINS0_14default_configENS1_25partition_config_selectorILNS1_17partition_subalgoE8EjNS0_10empty_typeEbEEZZNS1_14partition_implILS5_8ELb0ES3_jN6thrust23THRUST_200600_302600_NS6detail15normal_iteratorINSA_10device_ptrIjEEEEPS6_PKS6_NS0_5tupleIJNSA_16discard_iteratorINSA_11use_defaultEEES6_EEENSJ_IJSG_SG_EEENS0_18inequality_wrapperINSA_8equal_toIjEEEEPmJS6_EEE10hipError_tPvRmT3_T4_T5_T6_T7_T9_mT8_P12ihipStream_tbDpT10_ENKUlT_T0_E_clISt17integral_constantIbLb1EES1C_IbLb0EEEEDaS18_S19_EUlS18_E_NS1_11comp_targetILNS1_3genE2ELNS1_11target_archE906ELNS1_3gpuE6ELNS1_3repE0EEENS1_30default_config_static_selectorELNS0_4arch9wavefront6targetE1EEEvT1_.has_indirect_call, 0
	.section	.AMDGPU.csdata,"",@progbits
; Kernel info:
; codeLenInByte = 4
; TotalNumSgprs: 4
; NumVgprs: 0
; ScratchSize: 0
; MemoryBound: 0
; FloatMode: 240
; IeeeMode: 1
; LDSByteSize: 0 bytes/workgroup (compile time only)
; SGPRBlocks: 0
; VGPRBlocks: 0
; NumSGPRsForWavesPerEU: 4
; NumVGPRsForWavesPerEU: 1
; Occupancy: 10
; WaveLimiterHint : 0
; COMPUTE_PGM_RSRC2:SCRATCH_EN: 0
; COMPUTE_PGM_RSRC2:USER_SGPR: 6
; COMPUTE_PGM_RSRC2:TRAP_HANDLER: 0
; COMPUTE_PGM_RSRC2:TGID_X_EN: 1
; COMPUTE_PGM_RSRC2:TGID_Y_EN: 0
; COMPUTE_PGM_RSRC2:TGID_Z_EN: 0
; COMPUTE_PGM_RSRC2:TIDIG_COMP_CNT: 0
	.section	.text._ZN7rocprim17ROCPRIM_400000_NS6detail17trampoline_kernelINS0_14default_configENS1_25partition_config_selectorILNS1_17partition_subalgoE8EjNS0_10empty_typeEbEEZZNS1_14partition_implILS5_8ELb0ES3_jN6thrust23THRUST_200600_302600_NS6detail15normal_iteratorINSA_10device_ptrIjEEEEPS6_PKS6_NS0_5tupleIJNSA_16discard_iteratorINSA_11use_defaultEEES6_EEENSJ_IJSG_SG_EEENS0_18inequality_wrapperINSA_8equal_toIjEEEEPmJS6_EEE10hipError_tPvRmT3_T4_T5_T6_T7_T9_mT8_P12ihipStream_tbDpT10_ENKUlT_T0_E_clISt17integral_constantIbLb1EES1C_IbLb0EEEEDaS18_S19_EUlS18_E_NS1_11comp_targetILNS1_3genE10ELNS1_11target_archE1200ELNS1_3gpuE4ELNS1_3repE0EEENS1_30default_config_static_selectorELNS0_4arch9wavefront6targetE1EEEvT1_,"axG",@progbits,_ZN7rocprim17ROCPRIM_400000_NS6detail17trampoline_kernelINS0_14default_configENS1_25partition_config_selectorILNS1_17partition_subalgoE8EjNS0_10empty_typeEbEEZZNS1_14partition_implILS5_8ELb0ES3_jN6thrust23THRUST_200600_302600_NS6detail15normal_iteratorINSA_10device_ptrIjEEEEPS6_PKS6_NS0_5tupleIJNSA_16discard_iteratorINSA_11use_defaultEEES6_EEENSJ_IJSG_SG_EEENS0_18inequality_wrapperINSA_8equal_toIjEEEEPmJS6_EEE10hipError_tPvRmT3_T4_T5_T6_T7_T9_mT8_P12ihipStream_tbDpT10_ENKUlT_T0_E_clISt17integral_constantIbLb1EES1C_IbLb0EEEEDaS18_S19_EUlS18_E_NS1_11comp_targetILNS1_3genE10ELNS1_11target_archE1200ELNS1_3gpuE4ELNS1_3repE0EEENS1_30default_config_static_selectorELNS0_4arch9wavefront6targetE1EEEvT1_,comdat
	.protected	_ZN7rocprim17ROCPRIM_400000_NS6detail17trampoline_kernelINS0_14default_configENS1_25partition_config_selectorILNS1_17partition_subalgoE8EjNS0_10empty_typeEbEEZZNS1_14partition_implILS5_8ELb0ES3_jN6thrust23THRUST_200600_302600_NS6detail15normal_iteratorINSA_10device_ptrIjEEEEPS6_PKS6_NS0_5tupleIJNSA_16discard_iteratorINSA_11use_defaultEEES6_EEENSJ_IJSG_SG_EEENS0_18inequality_wrapperINSA_8equal_toIjEEEEPmJS6_EEE10hipError_tPvRmT3_T4_T5_T6_T7_T9_mT8_P12ihipStream_tbDpT10_ENKUlT_T0_E_clISt17integral_constantIbLb1EES1C_IbLb0EEEEDaS18_S19_EUlS18_E_NS1_11comp_targetILNS1_3genE10ELNS1_11target_archE1200ELNS1_3gpuE4ELNS1_3repE0EEENS1_30default_config_static_selectorELNS0_4arch9wavefront6targetE1EEEvT1_ ; -- Begin function _ZN7rocprim17ROCPRIM_400000_NS6detail17trampoline_kernelINS0_14default_configENS1_25partition_config_selectorILNS1_17partition_subalgoE8EjNS0_10empty_typeEbEEZZNS1_14partition_implILS5_8ELb0ES3_jN6thrust23THRUST_200600_302600_NS6detail15normal_iteratorINSA_10device_ptrIjEEEEPS6_PKS6_NS0_5tupleIJNSA_16discard_iteratorINSA_11use_defaultEEES6_EEENSJ_IJSG_SG_EEENS0_18inequality_wrapperINSA_8equal_toIjEEEEPmJS6_EEE10hipError_tPvRmT3_T4_T5_T6_T7_T9_mT8_P12ihipStream_tbDpT10_ENKUlT_T0_E_clISt17integral_constantIbLb1EES1C_IbLb0EEEEDaS18_S19_EUlS18_E_NS1_11comp_targetILNS1_3genE10ELNS1_11target_archE1200ELNS1_3gpuE4ELNS1_3repE0EEENS1_30default_config_static_selectorELNS0_4arch9wavefront6targetE1EEEvT1_
	.globl	_ZN7rocprim17ROCPRIM_400000_NS6detail17trampoline_kernelINS0_14default_configENS1_25partition_config_selectorILNS1_17partition_subalgoE8EjNS0_10empty_typeEbEEZZNS1_14partition_implILS5_8ELb0ES3_jN6thrust23THRUST_200600_302600_NS6detail15normal_iteratorINSA_10device_ptrIjEEEEPS6_PKS6_NS0_5tupleIJNSA_16discard_iteratorINSA_11use_defaultEEES6_EEENSJ_IJSG_SG_EEENS0_18inequality_wrapperINSA_8equal_toIjEEEEPmJS6_EEE10hipError_tPvRmT3_T4_T5_T6_T7_T9_mT8_P12ihipStream_tbDpT10_ENKUlT_T0_E_clISt17integral_constantIbLb1EES1C_IbLb0EEEEDaS18_S19_EUlS18_E_NS1_11comp_targetILNS1_3genE10ELNS1_11target_archE1200ELNS1_3gpuE4ELNS1_3repE0EEENS1_30default_config_static_selectorELNS0_4arch9wavefront6targetE1EEEvT1_
	.p2align	8
	.type	_ZN7rocprim17ROCPRIM_400000_NS6detail17trampoline_kernelINS0_14default_configENS1_25partition_config_selectorILNS1_17partition_subalgoE8EjNS0_10empty_typeEbEEZZNS1_14partition_implILS5_8ELb0ES3_jN6thrust23THRUST_200600_302600_NS6detail15normal_iteratorINSA_10device_ptrIjEEEEPS6_PKS6_NS0_5tupleIJNSA_16discard_iteratorINSA_11use_defaultEEES6_EEENSJ_IJSG_SG_EEENS0_18inequality_wrapperINSA_8equal_toIjEEEEPmJS6_EEE10hipError_tPvRmT3_T4_T5_T6_T7_T9_mT8_P12ihipStream_tbDpT10_ENKUlT_T0_E_clISt17integral_constantIbLb1EES1C_IbLb0EEEEDaS18_S19_EUlS18_E_NS1_11comp_targetILNS1_3genE10ELNS1_11target_archE1200ELNS1_3gpuE4ELNS1_3repE0EEENS1_30default_config_static_selectorELNS0_4arch9wavefront6targetE1EEEvT1_,@function
_ZN7rocprim17ROCPRIM_400000_NS6detail17trampoline_kernelINS0_14default_configENS1_25partition_config_selectorILNS1_17partition_subalgoE8EjNS0_10empty_typeEbEEZZNS1_14partition_implILS5_8ELb0ES3_jN6thrust23THRUST_200600_302600_NS6detail15normal_iteratorINSA_10device_ptrIjEEEEPS6_PKS6_NS0_5tupleIJNSA_16discard_iteratorINSA_11use_defaultEEES6_EEENSJ_IJSG_SG_EEENS0_18inequality_wrapperINSA_8equal_toIjEEEEPmJS6_EEE10hipError_tPvRmT3_T4_T5_T6_T7_T9_mT8_P12ihipStream_tbDpT10_ENKUlT_T0_E_clISt17integral_constantIbLb1EES1C_IbLb0EEEEDaS18_S19_EUlS18_E_NS1_11comp_targetILNS1_3genE10ELNS1_11target_archE1200ELNS1_3gpuE4ELNS1_3repE0EEENS1_30default_config_static_selectorELNS0_4arch9wavefront6targetE1EEEvT1_: ; @_ZN7rocprim17ROCPRIM_400000_NS6detail17trampoline_kernelINS0_14default_configENS1_25partition_config_selectorILNS1_17partition_subalgoE8EjNS0_10empty_typeEbEEZZNS1_14partition_implILS5_8ELb0ES3_jN6thrust23THRUST_200600_302600_NS6detail15normal_iteratorINSA_10device_ptrIjEEEEPS6_PKS6_NS0_5tupleIJNSA_16discard_iteratorINSA_11use_defaultEEES6_EEENSJ_IJSG_SG_EEENS0_18inequality_wrapperINSA_8equal_toIjEEEEPmJS6_EEE10hipError_tPvRmT3_T4_T5_T6_T7_T9_mT8_P12ihipStream_tbDpT10_ENKUlT_T0_E_clISt17integral_constantIbLb1EES1C_IbLb0EEEEDaS18_S19_EUlS18_E_NS1_11comp_targetILNS1_3genE10ELNS1_11target_archE1200ELNS1_3gpuE4ELNS1_3repE0EEENS1_30default_config_static_selectorELNS0_4arch9wavefront6targetE1EEEvT1_
; %bb.0:
	.section	.rodata,"a",@progbits
	.p2align	6, 0x0
	.amdhsa_kernel _ZN7rocprim17ROCPRIM_400000_NS6detail17trampoline_kernelINS0_14default_configENS1_25partition_config_selectorILNS1_17partition_subalgoE8EjNS0_10empty_typeEbEEZZNS1_14partition_implILS5_8ELb0ES3_jN6thrust23THRUST_200600_302600_NS6detail15normal_iteratorINSA_10device_ptrIjEEEEPS6_PKS6_NS0_5tupleIJNSA_16discard_iteratorINSA_11use_defaultEEES6_EEENSJ_IJSG_SG_EEENS0_18inequality_wrapperINSA_8equal_toIjEEEEPmJS6_EEE10hipError_tPvRmT3_T4_T5_T6_T7_T9_mT8_P12ihipStream_tbDpT10_ENKUlT_T0_E_clISt17integral_constantIbLb1EES1C_IbLb0EEEEDaS18_S19_EUlS18_E_NS1_11comp_targetILNS1_3genE10ELNS1_11target_archE1200ELNS1_3gpuE4ELNS1_3repE0EEENS1_30default_config_static_selectorELNS0_4arch9wavefront6targetE1EEEvT1_
		.amdhsa_group_segment_fixed_size 0
		.amdhsa_private_segment_fixed_size 0
		.amdhsa_kernarg_size 120
		.amdhsa_user_sgpr_count 6
		.amdhsa_user_sgpr_private_segment_buffer 1
		.amdhsa_user_sgpr_dispatch_ptr 0
		.amdhsa_user_sgpr_queue_ptr 0
		.amdhsa_user_sgpr_kernarg_segment_ptr 1
		.amdhsa_user_sgpr_dispatch_id 0
		.amdhsa_user_sgpr_flat_scratch_init 0
		.amdhsa_user_sgpr_private_segment_size 0
		.amdhsa_uses_dynamic_stack 0
		.amdhsa_system_sgpr_private_segment_wavefront_offset 0
		.amdhsa_system_sgpr_workgroup_id_x 1
		.amdhsa_system_sgpr_workgroup_id_y 0
		.amdhsa_system_sgpr_workgroup_id_z 0
		.amdhsa_system_sgpr_workgroup_info 0
		.amdhsa_system_vgpr_workitem_id 0
		.amdhsa_next_free_vgpr 1
		.amdhsa_next_free_sgpr 0
		.amdhsa_reserve_vcc 0
		.amdhsa_reserve_flat_scratch 0
		.amdhsa_float_round_mode_32 0
		.amdhsa_float_round_mode_16_64 0
		.amdhsa_float_denorm_mode_32 3
		.amdhsa_float_denorm_mode_16_64 3
		.amdhsa_dx10_clamp 1
		.amdhsa_ieee_mode 1
		.amdhsa_fp16_overflow 0
		.amdhsa_exception_fp_ieee_invalid_op 0
		.amdhsa_exception_fp_denorm_src 0
		.amdhsa_exception_fp_ieee_div_zero 0
		.amdhsa_exception_fp_ieee_overflow 0
		.amdhsa_exception_fp_ieee_underflow 0
		.amdhsa_exception_fp_ieee_inexact 0
		.amdhsa_exception_int_div_zero 0
	.end_amdhsa_kernel
	.section	.text._ZN7rocprim17ROCPRIM_400000_NS6detail17trampoline_kernelINS0_14default_configENS1_25partition_config_selectorILNS1_17partition_subalgoE8EjNS0_10empty_typeEbEEZZNS1_14partition_implILS5_8ELb0ES3_jN6thrust23THRUST_200600_302600_NS6detail15normal_iteratorINSA_10device_ptrIjEEEEPS6_PKS6_NS0_5tupleIJNSA_16discard_iteratorINSA_11use_defaultEEES6_EEENSJ_IJSG_SG_EEENS0_18inequality_wrapperINSA_8equal_toIjEEEEPmJS6_EEE10hipError_tPvRmT3_T4_T5_T6_T7_T9_mT8_P12ihipStream_tbDpT10_ENKUlT_T0_E_clISt17integral_constantIbLb1EES1C_IbLb0EEEEDaS18_S19_EUlS18_E_NS1_11comp_targetILNS1_3genE10ELNS1_11target_archE1200ELNS1_3gpuE4ELNS1_3repE0EEENS1_30default_config_static_selectorELNS0_4arch9wavefront6targetE1EEEvT1_,"axG",@progbits,_ZN7rocprim17ROCPRIM_400000_NS6detail17trampoline_kernelINS0_14default_configENS1_25partition_config_selectorILNS1_17partition_subalgoE8EjNS0_10empty_typeEbEEZZNS1_14partition_implILS5_8ELb0ES3_jN6thrust23THRUST_200600_302600_NS6detail15normal_iteratorINSA_10device_ptrIjEEEEPS6_PKS6_NS0_5tupleIJNSA_16discard_iteratorINSA_11use_defaultEEES6_EEENSJ_IJSG_SG_EEENS0_18inequality_wrapperINSA_8equal_toIjEEEEPmJS6_EEE10hipError_tPvRmT3_T4_T5_T6_T7_T9_mT8_P12ihipStream_tbDpT10_ENKUlT_T0_E_clISt17integral_constantIbLb1EES1C_IbLb0EEEEDaS18_S19_EUlS18_E_NS1_11comp_targetILNS1_3genE10ELNS1_11target_archE1200ELNS1_3gpuE4ELNS1_3repE0EEENS1_30default_config_static_selectorELNS0_4arch9wavefront6targetE1EEEvT1_,comdat
.Lfunc_end586:
	.size	_ZN7rocprim17ROCPRIM_400000_NS6detail17trampoline_kernelINS0_14default_configENS1_25partition_config_selectorILNS1_17partition_subalgoE8EjNS0_10empty_typeEbEEZZNS1_14partition_implILS5_8ELb0ES3_jN6thrust23THRUST_200600_302600_NS6detail15normal_iteratorINSA_10device_ptrIjEEEEPS6_PKS6_NS0_5tupleIJNSA_16discard_iteratorINSA_11use_defaultEEES6_EEENSJ_IJSG_SG_EEENS0_18inequality_wrapperINSA_8equal_toIjEEEEPmJS6_EEE10hipError_tPvRmT3_T4_T5_T6_T7_T9_mT8_P12ihipStream_tbDpT10_ENKUlT_T0_E_clISt17integral_constantIbLb1EES1C_IbLb0EEEEDaS18_S19_EUlS18_E_NS1_11comp_targetILNS1_3genE10ELNS1_11target_archE1200ELNS1_3gpuE4ELNS1_3repE0EEENS1_30default_config_static_selectorELNS0_4arch9wavefront6targetE1EEEvT1_, .Lfunc_end586-_ZN7rocprim17ROCPRIM_400000_NS6detail17trampoline_kernelINS0_14default_configENS1_25partition_config_selectorILNS1_17partition_subalgoE8EjNS0_10empty_typeEbEEZZNS1_14partition_implILS5_8ELb0ES3_jN6thrust23THRUST_200600_302600_NS6detail15normal_iteratorINSA_10device_ptrIjEEEEPS6_PKS6_NS0_5tupleIJNSA_16discard_iteratorINSA_11use_defaultEEES6_EEENSJ_IJSG_SG_EEENS0_18inequality_wrapperINSA_8equal_toIjEEEEPmJS6_EEE10hipError_tPvRmT3_T4_T5_T6_T7_T9_mT8_P12ihipStream_tbDpT10_ENKUlT_T0_E_clISt17integral_constantIbLb1EES1C_IbLb0EEEEDaS18_S19_EUlS18_E_NS1_11comp_targetILNS1_3genE10ELNS1_11target_archE1200ELNS1_3gpuE4ELNS1_3repE0EEENS1_30default_config_static_selectorELNS0_4arch9wavefront6targetE1EEEvT1_
                                        ; -- End function
	.set _ZN7rocprim17ROCPRIM_400000_NS6detail17trampoline_kernelINS0_14default_configENS1_25partition_config_selectorILNS1_17partition_subalgoE8EjNS0_10empty_typeEbEEZZNS1_14partition_implILS5_8ELb0ES3_jN6thrust23THRUST_200600_302600_NS6detail15normal_iteratorINSA_10device_ptrIjEEEEPS6_PKS6_NS0_5tupleIJNSA_16discard_iteratorINSA_11use_defaultEEES6_EEENSJ_IJSG_SG_EEENS0_18inequality_wrapperINSA_8equal_toIjEEEEPmJS6_EEE10hipError_tPvRmT3_T4_T5_T6_T7_T9_mT8_P12ihipStream_tbDpT10_ENKUlT_T0_E_clISt17integral_constantIbLb1EES1C_IbLb0EEEEDaS18_S19_EUlS18_E_NS1_11comp_targetILNS1_3genE10ELNS1_11target_archE1200ELNS1_3gpuE4ELNS1_3repE0EEENS1_30default_config_static_selectorELNS0_4arch9wavefront6targetE1EEEvT1_.num_vgpr, 0
	.set _ZN7rocprim17ROCPRIM_400000_NS6detail17trampoline_kernelINS0_14default_configENS1_25partition_config_selectorILNS1_17partition_subalgoE8EjNS0_10empty_typeEbEEZZNS1_14partition_implILS5_8ELb0ES3_jN6thrust23THRUST_200600_302600_NS6detail15normal_iteratorINSA_10device_ptrIjEEEEPS6_PKS6_NS0_5tupleIJNSA_16discard_iteratorINSA_11use_defaultEEES6_EEENSJ_IJSG_SG_EEENS0_18inequality_wrapperINSA_8equal_toIjEEEEPmJS6_EEE10hipError_tPvRmT3_T4_T5_T6_T7_T9_mT8_P12ihipStream_tbDpT10_ENKUlT_T0_E_clISt17integral_constantIbLb1EES1C_IbLb0EEEEDaS18_S19_EUlS18_E_NS1_11comp_targetILNS1_3genE10ELNS1_11target_archE1200ELNS1_3gpuE4ELNS1_3repE0EEENS1_30default_config_static_selectorELNS0_4arch9wavefront6targetE1EEEvT1_.num_agpr, 0
	.set _ZN7rocprim17ROCPRIM_400000_NS6detail17trampoline_kernelINS0_14default_configENS1_25partition_config_selectorILNS1_17partition_subalgoE8EjNS0_10empty_typeEbEEZZNS1_14partition_implILS5_8ELb0ES3_jN6thrust23THRUST_200600_302600_NS6detail15normal_iteratorINSA_10device_ptrIjEEEEPS6_PKS6_NS0_5tupleIJNSA_16discard_iteratorINSA_11use_defaultEEES6_EEENSJ_IJSG_SG_EEENS0_18inequality_wrapperINSA_8equal_toIjEEEEPmJS6_EEE10hipError_tPvRmT3_T4_T5_T6_T7_T9_mT8_P12ihipStream_tbDpT10_ENKUlT_T0_E_clISt17integral_constantIbLb1EES1C_IbLb0EEEEDaS18_S19_EUlS18_E_NS1_11comp_targetILNS1_3genE10ELNS1_11target_archE1200ELNS1_3gpuE4ELNS1_3repE0EEENS1_30default_config_static_selectorELNS0_4arch9wavefront6targetE1EEEvT1_.numbered_sgpr, 0
	.set _ZN7rocprim17ROCPRIM_400000_NS6detail17trampoline_kernelINS0_14default_configENS1_25partition_config_selectorILNS1_17partition_subalgoE8EjNS0_10empty_typeEbEEZZNS1_14partition_implILS5_8ELb0ES3_jN6thrust23THRUST_200600_302600_NS6detail15normal_iteratorINSA_10device_ptrIjEEEEPS6_PKS6_NS0_5tupleIJNSA_16discard_iteratorINSA_11use_defaultEEES6_EEENSJ_IJSG_SG_EEENS0_18inequality_wrapperINSA_8equal_toIjEEEEPmJS6_EEE10hipError_tPvRmT3_T4_T5_T6_T7_T9_mT8_P12ihipStream_tbDpT10_ENKUlT_T0_E_clISt17integral_constantIbLb1EES1C_IbLb0EEEEDaS18_S19_EUlS18_E_NS1_11comp_targetILNS1_3genE10ELNS1_11target_archE1200ELNS1_3gpuE4ELNS1_3repE0EEENS1_30default_config_static_selectorELNS0_4arch9wavefront6targetE1EEEvT1_.num_named_barrier, 0
	.set _ZN7rocprim17ROCPRIM_400000_NS6detail17trampoline_kernelINS0_14default_configENS1_25partition_config_selectorILNS1_17partition_subalgoE8EjNS0_10empty_typeEbEEZZNS1_14partition_implILS5_8ELb0ES3_jN6thrust23THRUST_200600_302600_NS6detail15normal_iteratorINSA_10device_ptrIjEEEEPS6_PKS6_NS0_5tupleIJNSA_16discard_iteratorINSA_11use_defaultEEES6_EEENSJ_IJSG_SG_EEENS0_18inequality_wrapperINSA_8equal_toIjEEEEPmJS6_EEE10hipError_tPvRmT3_T4_T5_T6_T7_T9_mT8_P12ihipStream_tbDpT10_ENKUlT_T0_E_clISt17integral_constantIbLb1EES1C_IbLb0EEEEDaS18_S19_EUlS18_E_NS1_11comp_targetILNS1_3genE10ELNS1_11target_archE1200ELNS1_3gpuE4ELNS1_3repE0EEENS1_30default_config_static_selectorELNS0_4arch9wavefront6targetE1EEEvT1_.private_seg_size, 0
	.set _ZN7rocprim17ROCPRIM_400000_NS6detail17trampoline_kernelINS0_14default_configENS1_25partition_config_selectorILNS1_17partition_subalgoE8EjNS0_10empty_typeEbEEZZNS1_14partition_implILS5_8ELb0ES3_jN6thrust23THRUST_200600_302600_NS6detail15normal_iteratorINSA_10device_ptrIjEEEEPS6_PKS6_NS0_5tupleIJNSA_16discard_iteratorINSA_11use_defaultEEES6_EEENSJ_IJSG_SG_EEENS0_18inequality_wrapperINSA_8equal_toIjEEEEPmJS6_EEE10hipError_tPvRmT3_T4_T5_T6_T7_T9_mT8_P12ihipStream_tbDpT10_ENKUlT_T0_E_clISt17integral_constantIbLb1EES1C_IbLb0EEEEDaS18_S19_EUlS18_E_NS1_11comp_targetILNS1_3genE10ELNS1_11target_archE1200ELNS1_3gpuE4ELNS1_3repE0EEENS1_30default_config_static_selectorELNS0_4arch9wavefront6targetE1EEEvT1_.uses_vcc, 0
	.set _ZN7rocprim17ROCPRIM_400000_NS6detail17trampoline_kernelINS0_14default_configENS1_25partition_config_selectorILNS1_17partition_subalgoE8EjNS0_10empty_typeEbEEZZNS1_14partition_implILS5_8ELb0ES3_jN6thrust23THRUST_200600_302600_NS6detail15normal_iteratorINSA_10device_ptrIjEEEEPS6_PKS6_NS0_5tupleIJNSA_16discard_iteratorINSA_11use_defaultEEES6_EEENSJ_IJSG_SG_EEENS0_18inequality_wrapperINSA_8equal_toIjEEEEPmJS6_EEE10hipError_tPvRmT3_T4_T5_T6_T7_T9_mT8_P12ihipStream_tbDpT10_ENKUlT_T0_E_clISt17integral_constantIbLb1EES1C_IbLb0EEEEDaS18_S19_EUlS18_E_NS1_11comp_targetILNS1_3genE10ELNS1_11target_archE1200ELNS1_3gpuE4ELNS1_3repE0EEENS1_30default_config_static_selectorELNS0_4arch9wavefront6targetE1EEEvT1_.uses_flat_scratch, 0
	.set _ZN7rocprim17ROCPRIM_400000_NS6detail17trampoline_kernelINS0_14default_configENS1_25partition_config_selectorILNS1_17partition_subalgoE8EjNS0_10empty_typeEbEEZZNS1_14partition_implILS5_8ELb0ES3_jN6thrust23THRUST_200600_302600_NS6detail15normal_iteratorINSA_10device_ptrIjEEEEPS6_PKS6_NS0_5tupleIJNSA_16discard_iteratorINSA_11use_defaultEEES6_EEENSJ_IJSG_SG_EEENS0_18inequality_wrapperINSA_8equal_toIjEEEEPmJS6_EEE10hipError_tPvRmT3_T4_T5_T6_T7_T9_mT8_P12ihipStream_tbDpT10_ENKUlT_T0_E_clISt17integral_constantIbLb1EES1C_IbLb0EEEEDaS18_S19_EUlS18_E_NS1_11comp_targetILNS1_3genE10ELNS1_11target_archE1200ELNS1_3gpuE4ELNS1_3repE0EEENS1_30default_config_static_selectorELNS0_4arch9wavefront6targetE1EEEvT1_.has_dyn_sized_stack, 0
	.set _ZN7rocprim17ROCPRIM_400000_NS6detail17trampoline_kernelINS0_14default_configENS1_25partition_config_selectorILNS1_17partition_subalgoE8EjNS0_10empty_typeEbEEZZNS1_14partition_implILS5_8ELb0ES3_jN6thrust23THRUST_200600_302600_NS6detail15normal_iteratorINSA_10device_ptrIjEEEEPS6_PKS6_NS0_5tupleIJNSA_16discard_iteratorINSA_11use_defaultEEES6_EEENSJ_IJSG_SG_EEENS0_18inequality_wrapperINSA_8equal_toIjEEEEPmJS6_EEE10hipError_tPvRmT3_T4_T5_T6_T7_T9_mT8_P12ihipStream_tbDpT10_ENKUlT_T0_E_clISt17integral_constantIbLb1EES1C_IbLb0EEEEDaS18_S19_EUlS18_E_NS1_11comp_targetILNS1_3genE10ELNS1_11target_archE1200ELNS1_3gpuE4ELNS1_3repE0EEENS1_30default_config_static_selectorELNS0_4arch9wavefront6targetE1EEEvT1_.has_recursion, 0
	.set _ZN7rocprim17ROCPRIM_400000_NS6detail17trampoline_kernelINS0_14default_configENS1_25partition_config_selectorILNS1_17partition_subalgoE8EjNS0_10empty_typeEbEEZZNS1_14partition_implILS5_8ELb0ES3_jN6thrust23THRUST_200600_302600_NS6detail15normal_iteratorINSA_10device_ptrIjEEEEPS6_PKS6_NS0_5tupleIJNSA_16discard_iteratorINSA_11use_defaultEEES6_EEENSJ_IJSG_SG_EEENS0_18inequality_wrapperINSA_8equal_toIjEEEEPmJS6_EEE10hipError_tPvRmT3_T4_T5_T6_T7_T9_mT8_P12ihipStream_tbDpT10_ENKUlT_T0_E_clISt17integral_constantIbLb1EES1C_IbLb0EEEEDaS18_S19_EUlS18_E_NS1_11comp_targetILNS1_3genE10ELNS1_11target_archE1200ELNS1_3gpuE4ELNS1_3repE0EEENS1_30default_config_static_selectorELNS0_4arch9wavefront6targetE1EEEvT1_.has_indirect_call, 0
	.section	.AMDGPU.csdata,"",@progbits
; Kernel info:
; codeLenInByte = 0
; TotalNumSgprs: 4
; NumVgprs: 0
; ScratchSize: 0
; MemoryBound: 0
; FloatMode: 240
; IeeeMode: 1
; LDSByteSize: 0 bytes/workgroup (compile time only)
; SGPRBlocks: 0
; VGPRBlocks: 0
; NumSGPRsForWavesPerEU: 4
; NumVGPRsForWavesPerEU: 1
; Occupancy: 10
; WaveLimiterHint : 0
; COMPUTE_PGM_RSRC2:SCRATCH_EN: 0
; COMPUTE_PGM_RSRC2:USER_SGPR: 6
; COMPUTE_PGM_RSRC2:TRAP_HANDLER: 0
; COMPUTE_PGM_RSRC2:TGID_X_EN: 1
; COMPUTE_PGM_RSRC2:TGID_Y_EN: 0
; COMPUTE_PGM_RSRC2:TGID_Z_EN: 0
; COMPUTE_PGM_RSRC2:TIDIG_COMP_CNT: 0
	.section	.text._ZN7rocprim17ROCPRIM_400000_NS6detail17trampoline_kernelINS0_14default_configENS1_25partition_config_selectorILNS1_17partition_subalgoE8EjNS0_10empty_typeEbEEZZNS1_14partition_implILS5_8ELb0ES3_jN6thrust23THRUST_200600_302600_NS6detail15normal_iteratorINSA_10device_ptrIjEEEEPS6_PKS6_NS0_5tupleIJNSA_16discard_iteratorINSA_11use_defaultEEES6_EEENSJ_IJSG_SG_EEENS0_18inequality_wrapperINSA_8equal_toIjEEEEPmJS6_EEE10hipError_tPvRmT3_T4_T5_T6_T7_T9_mT8_P12ihipStream_tbDpT10_ENKUlT_T0_E_clISt17integral_constantIbLb1EES1C_IbLb0EEEEDaS18_S19_EUlS18_E_NS1_11comp_targetILNS1_3genE9ELNS1_11target_archE1100ELNS1_3gpuE3ELNS1_3repE0EEENS1_30default_config_static_selectorELNS0_4arch9wavefront6targetE1EEEvT1_,"axG",@progbits,_ZN7rocprim17ROCPRIM_400000_NS6detail17trampoline_kernelINS0_14default_configENS1_25partition_config_selectorILNS1_17partition_subalgoE8EjNS0_10empty_typeEbEEZZNS1_14partition_implILS5_8ELb0ES3_jN6thrust23THRUST_200600_302600_NS6detail15normal_iteratorINSA_10device_ptrIjEEEEPS6_PKS6_NS0_5tupleIJNSA_16discard_iteratorINSA_11use_defaultEEES6_EEENSJ_IJSG_SG_EEENS0_18inequality_wrapperINSA_8equal_toIjEEEEPmJS6_EEE10hipError_tPvRmT3_T4_T5_T6_T7_T9_mT8_P12ihipStream_tbDpT10_ENKUlT_T0_E_clISt17integral_constantIbLb1EES1C_IbLb0EEEEDaS18_S19_EUlS18_E_NS1_11comp_targetILNS1_3genE9ELNS1_11target_archE1100ELNS1_3gpuE3ELNS1_3repE0EEENS1_30default_config_static_selectorELNS0_4arch9wavefront6targetE1EEEvT1_,comdat
	.protected	_ZN7rocprim17ROCPRIM_400000_NS6detail17trampoline_kernelINS0_14default_configENS1_25partition_config_selectorILNS1_17partition_subalgoE8EjNS0_10empty_typeEbEEZZNS1_14partition_implILS5_8ELb0ES3_jN6thrust23THRUST_200600_302600_NS6detail15normal_iteratorINSA_10device_ptrIjEEEEPS6_PKS6_NS0_5tupleIJNSA_16discard_iteratorINSA_11use_defaultEEES6_EEENSJ_IJSG_SG_EEENS0_18inequality_wrapperINSA_8equal_toIjEEEEPmJS6_EEE10hipError_tPvRmT3_T4_T5_T6_T7_T9_mT8_P12ihipStream_tbDpT10_ENKUlT_T0_E_clISt17integral_constantIbLb1EES1C_IbLb0EEEEDaS18_S19_EUlS18_E_NS1_11comp_targetILNS1_3genE9ELNS1_11target_archE1100ELNS1_3gpuE3ELNS1_3repE0EEENS1_30default_config_static_selectorELNS0_4arch9wavefront6targetE1EEEvT1_ ; -- Begin function _ZN7rocprim17ROCPRIM_400000_NS6detail17trampoline_kernelINS0_14default_configENS1_25partition_config_selectorILNS1_17partition_subalgoE8EjNS0_10empty_typeEbEEZZNS1_14partition_implILS5_8ELb0ES3_jN6thrust23THRUST_200600_302600_NS6detail15normal_iteratorINSA_10device_ptrIjEEEEPS6_PKS6_NS0_5tupleIJNSA_16discard_iteratorINSA_11use_defaultEEES6_EEENSJ_IJSG_SG_EEENS0_18inequality_wrapperINSA_8equal_toIjEEEEPmJS6_EEE10hipError_tPvRmT3_T4_T5_T6_T7_T9_mT8_P12ihipStream_tbDpT10_ENKUlT_T0_E_clISt17integral_constantIbLb1EES1C_IbLb0EEEEDaS18_S19_EUlS18_E_NS1_11comp_targetILNS1_3genE9ELNS1_11target_archE1100ELNS1_3gpuE3ELNS1_3repE0EEENS1_30default_config_static_selectorELNS0_4arch9wavefront6targetE1EEEvT1_
	.globl	_ZN7rocprim17ROCPRIM_400000_NS6detail17trampoline_kernelINS0_14default_configENS1_25partition_config_selectorILNS1_17partition_subalgoE8EjNS0_10empty_typeEbEEZZNS1_14partition_implILS5_8ELb0ES3_jN6thrust23THRUST_200600_302600_NS6detail15normal_iteratorINSA_10device_ptrIjEEEEPS6_PKS6_NS0_5tupleIJNSA_16discard_iteratorINSA_11use_defaultEEES6_EEENSJ_IJSG_SG_EEENS0_18inequality_wrapperINSA_8equal_toIjEEEEPmJS6_EEE10hipError_tPvRmT3_T4_T5_T6_T7_T9_mT8_P12ihipStream_tbDpT10_ENKUlT_T0_E_clISt17integral_constantIbLb1EES1C_IbLb0EEEEDaS18_S19_EUlS18_E_NS1_11comp_targetILNS1_3genE9ELNS1_11target_archE1100ELNS1_3gpuE3ELNS1_3repE0EEENS1_30default_config_static_selectorELNS0_4arch9wavefront6targetE1EEEvT1_
	.p2align	8
	.type	_ZN7rocprim17ROCPRIM_400000_NS6detail17trampoline_kernelINS0_14default_configENS1_25partition_config_selectorILNS1_17partition_subalgoE8EjNS0_10empty_typeEbEEZZNS1_14partition_implILS5_8ELb0ES3_jN6thrust23THRUST_200600_302600_NS6detail15normal_iteratorINSA_10device_ptrIjEEEEPS6_PKS6_NS0_5tupleIJNSA_16discard_iteratorINSA_11use_defaultEEES6_EEENSJ_IJSG_SG_EEENS0_18inequality_wrapperINSA_8equal_toIjEEEEPmJS6_EEE10hipError_tPvRmT3_T4_T5_T6_T7_T9_mT8_P12ihipStream_tbDpT10_ENKUlT_T0_E_clISt17integral_constantIbLb1EES1C_IbLb0EEEEDaS18_S19_EUlS18_E_NS1_11comp_targetILNS1_3genE9ELNS1_11target_archE1100ELNS1_3gpuE3ELNS1_3repE0EEENS1_30default_config_static_selectorELNS0_4arch9wavefront6targetE1EEEvT1_,@function
_ZN7rocprim17ROCPRIM_400000_NS6detail17trampoline_kernelINS0_14default_configENS1_25partition_config_selectorILNS1_17partition_subalgoE8EjNS0_10empty_typeEbEEZZNS1_14partition_implILS5_8ELb0ES3_jN6thrust23THRUST_200600_302600_NS6detail15normal_iteratorINSA_10device_ptrIjEEEEPS6_PKS6_NS0_5tupleIJNSA_16discard_iteratorINSA_11use_defaultEEES6_EEENSJ_IJSG_SG_EEENS0_18inequality_wrapperINSA_8equal_toIjEEEEPmJS6_EEE10hipError_tPvRmT3_T4_T5_T6_T7_T9_mT8_P12ihipStream_tbDpT10_ENKUlT_T0_E_clISt17integral_constantIbLb1EES1C_IbLb0EEEEDaS18_S19_EUlS18_E_NS1_11comp_targetILNS1_3genE9ELNS1_11target_archE1100ELNS1_3gpuE3ELNS1_3repE0EEENS1_30default_config_static_selectorELNS0_4arch9wavefront6targetE1EEEvT1_: ; @_ZN7rocprim17ROCPRIM_400000_NS6detail17trampoline_kernelINS0_14default_configENS1_25partition_config_selectorILNS1_17partition_subalgoE8EjNS0_10empty_typeEbEEZZNS1_14partition_implILS5_8ELb0ES3_jN6thrust23THRUST_200600_302600_NS6detail15normal_iteratorINSA_10device_ptrIjEEEEPS6_PKS6_NS0_5tupleIJNSA_16discard_iteratorINSA_11use_defaultEEES6_EEENSJ_IJSG_SG_EEENS0_18inequality_wrapperINSA_8equal_toIjEEEEPmJS6_EEE10hipError_tPvRmT3_T4_T5_T6_T7_T9_mT8_P12ihipStream_tbDpT10_ENKUlT_T0_E_clISt17integral_constantIbLb1EES1C_IbLb0EEEEDaS18_S19_EUlS18_E_NS1_11comp_targetILNS1_3genE9ELNS1_11target_archE1100ELNS1_3gpuE3ELNS1_3repE0EEENS1_30default_config_static_selectorELNS0_4arch9wavefront6targetE1EEEvT1_
; %bb.0:
	.section	.rodata,"a",@progbits
	.p2align	6, 0x0
	.amdhsa_kernel _ZN7rocprim17ROCPRIM_400000_NS6detail17trampoline_kernelINS0_14default_configENS1_25partition_config_selectorILNS1_17partition_subalgoE8EjNS0_10empty_typeEbEEZZNS1_14partition_implILS5_8ELb0ES3_jN6thrust23THRUST_200600_302600_NS6detail15normal_iteratorINSA_10device_ptrIjEEEEPS6_PKS6_NS0_5tupleIJNSA_16discard_iteratorINSA_11use_defaultEEES6_EEENSJ_IJSG_SG_EEENS0_18inequality_wrapperINSA_8equal_toIjEEEEPmJS6_EEE10hipError_tPvRmT3_T4_T5_T6_T7_T9_mT8_P12ihipStream_tbDpT10_ENKUlT_T0_E_clISt17integral_constantIbLb1EES1C_IbLb0EEEEDaS18_S19_EUlS18_E_NS1_11comp_targetILNS1_3genE9ELNS1_11target_archE1100ELNS1_3gpuE3ELNS1_3repE0EEENS1_30default_config_static_selectorELNS0_4arch9wavefront6targetE1EEEvT1_
		.amdhsa_group_segment_fixed_size 0
		.amdhsa_private_segment_fixed_size 0
		.amdhsa_kernarg_size 120
		.amdhsa_user_sgpr_count 6
		.amdhsa_user_sgpr_private_segment_buffer 1
		.amdhsa_user_sgpr_dispatch_ptr 0
		.amdhsa_user_sgpr_queue_ptr 0
		.amdhsa_user_sgpr_kernarg_segment_ptr 1
		.amdhsa_user_sgpr_dispatch_id 0
		.amdhsa_user_sgpr_flat_scratch_init 0
		.amdhsa_user_sgpr_private_segment_size 0
		.amdhsa_uses_dynamic_stack 0
		.amdhsa_system_sgpr_private_segment_wavefront_offset 0
		.amdhsa_system_sgpr_workgroup_id_x 1
		.amdhsa_system_sgpr_workgroup_id_y 0
		.amdhsa_system_sgpr_workgroup_id_z 0
		.amdhsa_system_sgpr_workgroup_info 0
		.amdhsa_system_vgpr_workitem_id 0
		.amdhsa_next_free_vgpr 1
		.amdhsa_next_free_sgpr 0
		.amdhsa_reserve_vcc 0
		.amdhsa_reserve_flat_scratch 0
		.amdhsa_float_round_mode_32 0
		.amdhsa_float_round_mode_16_64 0
		.amdhsa_float_denorm_mode_32 3
		.amdhsa_float_denorm_mode_16_64 3
		.amdhsa_dx10_clamp 1
		.amdhsa_ieee_mode 1
		.amdhsa_fp16_overflow 0
		.amdhsa_exception_fp_ieee_invalid_op 0
		.amdhsa_exception_fp_denorm_src 0
		.amdhsa_exception_fp_ieee_div_zero 0
		.amdhsa_exception_fp_ieee_overflow 0
		.amdhsa_exception_fp_ieee_underflow 0
		.amdhsa_exception_fp_ieee_inexact 0
		.amdhsa_exception_int_div_zero 0
	.end_amdhsa_kernel
	.section	.text._ZN7rocprim17ROCPRIM_400000_NS6detail17trampoline_kernelINS0_14default_configENS1_25partition_config_selectorILNS1_17partition_subalgoE8EjNS0_10empty_typeEbEEZZNS1_14partition_implILS5_8ELb0ES3_jN6thrust23THRUST_200600_302600_NS6detail15normal_iteratorINSA_10device_ptrIjEEEEPS6_PKS6_NS0_5tupleIJNSA_16discard_iteratorINSA_11use_defaultEEES6_EEENSJ_IJSG_SG_EEENS0_18inequality_wrapperINSA_8equal_toIjEEEEPmJS6_EEE10hipError_tPvRmT3_T4_T5_T6_T7_T9_mT8_P12ihipStream_tbDpT10_ENKUlT_T0_E_clISt17integral_constantIbLb1EES1C_IbLb0EEEEDaS18_S19_EUlS18_E_NS1_11comp_targetILNS1_3genE9ELNS1_11target_archE1100ELNS1_3gpuE3ELNS1_3repE0EEENS1_30default_config_static_selectorELNS0_4arch9wavefront6targetE1EEEvT1_,"axG",@progbits,_ZN7rocprim17ROCPRIM_400000_NS6detail17trampoline_kernelINS0_14default_configENS1_25partition_config_selectorILNS1_17partition_subalgoE8EjNS0_10empty_typeEbEEZZNS1_14partition_implILS5_8ELb0ES3_jN6thrust23THRUST_200600_302600_NS6detail15normal_iteratorINSA_10device_ptrIjEEEEPS6_PKS6_NS0_5tupleIJNSA_16discard_iteratorINSA_11use_defaultEEES6_EEENSJ_IJSG_SG_EEENS0_18inequality_wrapperINSA_8equal_toIjEEEEPmJS6_EEE10hipError_tPvRmT3_T4_T5_T6_T7_T9_mT8_P12ihipStream_tbDpT10_ENKUlT_T0_E_clISt17integral_constantIbLb1EES1C_IbLb0EEEEDaS18_S19_EUlS18_E_NS1_11comp_targetILNS1_3genE9ELNS1_11target_archE1100ELNS1_3gpuE3ELNS1_3repE0EEENS1_30default_config_static_selectorELNS0_4arch9wavefront6targetE1EEEvT1_,comdat
.Lfunc_end587:
	.size	_ZN7rocprim17ROCPRIM_400000_NS6detail17trampoline_kernelINS0_14default_configENS1_25partition_config_selectorILNS1_17partition_subalgoE8EjNS0_10empty_typeEbEEZZNS1_14partition_implILS5_8ELb0ES3_jN6thrust23THRUST_200600_302600_NS6detail15normal_iteratorINSA_10device_ptrIjEEEEPS6_PKS6_NS0_5tupleIJNSA_16discard_iteratorINSA_11use_defaultEEES6_EEENSJ_IJSG_SG_EEENS0_18inequality_wrapperINSA_8equal_toIjEEEEPmJS6_EEE10hipError_tPvRmT3_T4_T5_T6_T7_T9_mT8_P12ihipStream_tbDpT10_ENKUlT_T0_E_clISt17integral_constantIbLb1EES1C_IbLb0EEEEDaS18_S19_EUlS18_E_NS1_11comp_targetILNS1_3genE9ELNS1_11target_archE1100ELNS1_3gpuE3ELNS1_3repE0EEENS1_30default_config_static_selectorELNS0_4arch9wavefront6targetE1EEEvT1_, .Lfunc_end587-_ZN7rocprim17ROCPRIM_400000_NS6detail17trampoline_kernelINS0_14default_configENS1_25partition_config_selectorILNS1_17partition_subalgoE8EjNS0_10empty_typeEbEEZZNS1_14partition_implILS5_8ELb0ES3_jN6thrust23THRUST_200600_302600_NS6detail15normal_iteratorINSA_10device_ptrIjEEEEPS6_PKS6_NS0_5tupleIJNSA_16discard_iteratorINSA_11use_defaultEEES6_EEENSJ_IJSG_SG_EEENS0_18inequality_wrapperINSA_8equal_toIjEEEEPmJS6_EEE10hipError_tPvRmT3_T4_T5_T6_T7_T9_mT8_P12ihipStream_tbDpT10_ENKUlT_T0_E_clISt17integral_constantIbLb1EES1C_IbLb0EEEEDaS18_S19_EUlS18_E_NS1_11comp_targetILNS1_3genE9ELNS1_11target_archE1100ELNS1_3gpuE3ELNS1_3repE0EEENS1_30default_config_static_selectorELNS0_4arch9wavefront6targetE1EEEvT1_
                                        ; -- End function
	.set _ZN7rocprim17ROCPRIM_400000_NS6detail17trampoline_kernelINS0_14default_configENS1_25partition_config_selectorILNS1_17partition_subalgoE8EjNS0_10empty_typeEbEEZZNS1_14partition_implILS5_8ELb0ES3_jN6thrust23THRUST_200600_302600_NS6detail15normal_iteratorINSA_10device_ptrIjEEEEPS6_PKS6_NS0_5tupleIJNSA_16discard_iteratorINSA_11use_defaultEEES6_EEENSJ_IJSG_SG_EEENS0_18inequality_wrapperINSA_8equal_toIjEEEEPmJS6_EEE10hipError_tPvRmT3_T4_T5_T6_T7_T9_mT8_P12ihipStream_tbDpT10_ENKUlT_T0_E_clISt17integral_constantIbLb1EES1C_IbLb0EEEEDaS18_S19_EUlS18_E_NS1_11comp_targetILNS1_3genE9ELNS1_11target_archE1100ELNS1_3gpuE3ELNS1_3repE0EEENS1_30default_config_static_selectorELNS0_4arch9wavefront6targetE1EEEvT1_.num_vgpr, 0
	.set _ZN7rocprim17ROCPRIM_400000_NS6detail17trampoline_kernelINS0_14default_configENS1_25partition_config_selectorILNS1_17partition_subalgoE8EjNS0_10empty_typeEbEEZZNS1_14partition_implILS5_8ELb0ES3_jN6thrust23THRUST_200600_302600_NS6detail15normal_iteratorINSA_10device_ptrIjEEEEPS6_PKS6_NS0_5tupleIJNSA_16discard_iteratorINSA_11use_defaultEEES6_EEENSJ_IJSG_SG_EEENS0_18inequality_wrapperINSA_8equal_toIjEEEEPmJS6_EEE10hipError_tPvRmT3_T4_T5_T6_T7_T9_mT8_P12ihipStream_tbDpT10_ENKUlT_T0_E_clISt17integral_constantIbLb1EES1C_IbLb0EEEEDaS18_S19_EUlS18_E_NS1_11comp_targetILNS1_3genE9ELNS1_11target_archE1100ELNS1_3gpuE3ELNS1_3repE0EEENS1_30default_config_static_selectorELNS0_4arch9wavefront6targetE1EEEvT1_.num_agpr, 0
	.set _ZN7rocprim17ROCPRIM_400000_NS6detail17trampoline_kernelINS0_14default_configENS1_25partition_config_selectorILNS1_17partition_subalgoE8EjNS0_10empty_typeEbEEZZNS1_14partition_implILS5_8ELb0ES3_jN6thrust23THRUST_200600_302600_NS6detail15normal_iteratorINSA_10device_ptrIjEEEEPS6_PKS6_NS0_5tupleIJNSA_16discard_iteratorINSA_11use_defaultEEES6_EEENSJ_IJSG_SG_EEENS0_18inequality_wrapperINSA_8equal_toIjEEEEPmJS6_EEE10hipError_tPvRmT3_T4_T5_T6_T7_T9_mT8_P12ihipStream_tbDpT10_ENKUlT_T0_E_clISt17integral_constantIbLb1EES1C_IbLb0EEEEDaS18_S19_EUlS18_E_NS1_11comp_targetILNS1_3genE9ELNS1_11target_archE1100ELNS1_3gpuE3ELNS1_3repE0EEENS1_30default_config_static_selectorELNS0_4arch9wavefront6targetE1EEEvT1_.numbered_sgpr, 0
	.set _ZN7rocprim17ROCPRIM_400000_NS6detail17trampoline_kernelINS0_14default_configENS1_25partition_config_selectorILNS1_17partition_subalgoE8EjNS0_10empty_typeEbEEZZNS1_14partition_implILS5_8ELb0ES3_jN6thrust23THRUST_200600_302600_NS6detail15normal_iteratorINSA_10device_ptrIjEEEEPS6_PKS6_NS0_5tupleIJNSA_16discard_iteratorINSA_11use_defaultEEES6_EEENSJ_IJSG_SG_EEENS0_18inequality_wrapperINSA_8equal_toIjEEEEPmJS6_EEE10hipError_tPvRmT3_T4_T5_T6_T7_T9_mT8_P12ihipStream_tbDpT10_ENKUlT_T0_E_clISt17integral_constantIbLb1EES1C_IbLb0EEEEDaS18_S19_EUlS18_E_NS1_11comp_targetILNS1_3genE9ELNS1_11target_archE1100ELNS1_3gpuE3ELNS1_3repE0EEENS1_30default_config_static_selectorELNS0_4arch9wavefront6targetE1EEEvT1_.num_named_barrier, 0
	.set _ZN7rocprim17ROCPRIM_400000_NS6detail17trampoline_kernelINS0_14default_configENS1_25partition_config_selectorILNS1_17partition_subalgoE8EjNS0_10empty_typeEbEEZZNS1_14partition_implILS5_8ELb0ES3_jN6thrust23THRUST_200600_302600_NS6detail15normal_iteratorINSA_10device_ptrIjEEEEPS6_PKS6_NS0_5tupleIJNSA_16discard_iteratorINSA_11use_defaultEEES6_EEENSJ_IJSG_SG_EEENS0_18inequality_wrapperINSA_8equal_toIjEEEEPmJS6_EEE10hipError_tPvRmT3_T4_T5_T6_T7_T9_mT8_P12ihipStream_tbDpT10_ENKUlT_T0_E_clISt17integral_constantIbLb1EES1C_IbLb0EEEEDaS18_S19_EUlS18_E_NS1_11comp_targetILNS1_3genE9ELNS1_11target_archE1100ELNS1_3gpuE3ELNS1_3repE0EEENS1_30default_config_static_selectorELNS0_4arch9wavefront6targetE1EEEvT1_.private_seg_size, 0
	.set _ZN7rocprim17ROCPRIM_400000_NS6detail17trampoline_kernelINS0_14default_configENS1_25partition_config_selectorILNS1_17partition_subalgoE8EjNS0_10empty_typeEbEEZZNS1_14partition_implILS5_8ELb0ES3_jN6thrust23THRUST_200600_302600_NS6detail15normal_iteratorINSA_10device_ptrIjEEEEPS6_PKS6_NS0_5tupleIJNSA_16discard_iteratorINSA_11use_defaultEEES6_EEENSJ_IJSG_SG_EEENS0_18inequality_wrapperINSA_8equal_toIjEEEEPmJS6_EEE10hipError_tPvRmT3_T4_T5_T6_T7_T9_mT8_P12ihipStream_tbDpT10_ENKUlT_T0_E_clISt17integral_constantIbLb1EES1C_IbLb0EEEEDaS18_S19_EUlS18_E_NS1_11comp_targetILNS1_3genE9ELNS1_11target_archE1100ELNS1_3gpuE3ELNS1_3repE0EEENS1_30default_config_static_selectorELNS0_4arch9wavefront6targetE1EEEvT1_.uses_vcc, 0
	.set _ZN7rocprim17ROCPRIM_400000_NS6detail17trampoline_kernelINS0_14default_configENS1_25partition_config_selectorILNS1_17partition_subalgoE8EjNS0_10empty_typeEbEEZZNS1_14partition_implILS5_8ELb0ES3_jN6thrust23THRUST_200600_302600_NS6detail15normal_iteratorINSA_10device_ptrIjEEEEPS6_PKS6_NS0_5tupleIJNSA_16discard_iteratorINSA_11use_defaultEEES6_EEENSJ_IJSG_SG_EEENS0_18inequality_wrapperINSA_8equal_toIjEEEEPmJS6_EEE10hipError_tPvRmT3_T4_T5_T6_T7_T9_mT8_P12ihipStream_tbDpT10_ENKUlT_T0_E_clISt17integral_constantIbLb1EES1C_IbLb0EEEEDaS18_S19_EUlS18_E_NS1_11comp_targetILNS1_3genE9ELNS1_11target_archE1100ELNS1_3gpuE3ELNS1_3repE0EEENS1_30default_config_static_selectorELNS0_4arch9wavefront6targetE1EEEvT1_.uses_flat_scratch, 0
	.set _ZN7rocprim17ROCPRIM_400000_NS6detail17trampoline_kernelINS0_14default_configENS1_25partition_config_selectorILNS1_17partition_subalgoE8EjNS0_10empty_typeEbEEZZNS1_14partition_implILS5_8ELb0ES3_jN6thrust23THRUST_200600_302600_NS6detail15normal_iteratorINSA_10device_ptrIjEEEEPS6_PKS6_NS0_5tupleIJNSA_16discard_iteratorINSA_11use_defaultEEES6_EEENSJ_IJSG_SG_EEENS0_18inequality_wrapperINSA_8equal_toIjEEEEPmJS6_EEE10hipError_tPvRmT3_T4_T5_T6_T7_T9_mT8_P12ihipStream_tbDpT10_ENKUlT_T0_E_clISt17integral_constantIbLb1EES1C_IbLb0EEEEDaS18_S19_EUlS18_E_NS1_11comp_targetILNS1_3genE9ELNS1_11target_archE1100ELNS1_3gpuE3ELNS1_3repE0EEENS1_30default_config_static_selectorELNS0_4arch9wavefront6targetE1EEEvT1_.has_dyn_sized_stack, 0
	.set _ZN7rocprim17ROCPRIM_400000_NS6detail17trampoline_kernelINS0_14default_configENS1_25partition_config_selectorILNS1_17partition_subalgoE8EjNS0_10empty_typeEbEEZZNS1_14partition_implILS5_8ELb0ES3_jN6thrust23THRUST_200600_302600_NS6detail15normal_iteratorINSA_10device_ptrIjEEEEPS6_PKS6_NS0_5tupleIJNSA_16discard_iteratorINSA_11use_defaultEEES6_EEENSJ_IJSG_SG_EEENS0_18inequality_wrapperINSA_8equal_toIjEEEEPmJS6_EEE10hipError_tPvRmT3_T4_T5_T6_T7_T9_mT8_P12ihipStream_tbDpT10_ENKUlT_T0_E_clISt17integral_constantIbLb1EES1C_IbLb0EEEEDaS18_S19_EUlS18_E_NS1_11comp_targetILNS1_3genE9ELNS1_11target_archE1100ELNS1_3gpuE3ELNS1_3repE0EEENS1_30default_config_static_selectorELNS0_4arch9wavefront6targetE1EEEvT1_.has_recursion, 0
	.set _ZN7rocprim17ROCPRIM_400000_NS6detail17trampoline_kernelINS0_14default_configENS1_25partition_config_selectorILNS1_17partition_subalgoE8EjNS0_10empty_typeEbEEZZNS1_14partition_implILS5_8ELb0ES3_jN6thrust23THRUST_200600_302600_NS6detail15normal_iteratorINSA_10device_ptrIjEEEEPS6_PKS6_NS0_5tupleIJNSA_16discard_iteratorINSA_11use_defaultEEES6_EEENSJ_IJSG_SG_EEENS0_18inequality_wrapperINSA_8equal_toIjEEEEPmJS6_EEE10hipError_tPvRmT3_T4_T5_T6_T7_T9_mT8_P12ihipStream_tbDpT10_ENKUlT_T0_E_clISt17integral_constantIbLb1EES1C_IbLb0EEEEDaS18_S19_EUlS18_E_NS1_11comp_targetILNS1_3genE9ELNS1_11target_archE1100ELNS1_3gpuE3ELNS1_3repE0EEENS1_30default_config_static_selectorELNS0_4arch9wavefront6targetE1EEEvT1_.has_indirect_call, 0
	.section	.AMDGPU.csdata,"",@progbits
; Kernel info:
; codeLenInByte = 0
; TotalNumSgprs: 4
; NumVgprs: 0
; ScratchSize: 0
; MemoryBound: 0
; FloatMode: 240
; IeeeMode: 1
; LDSByteSize: 0 bytes/workgroup (compile time only)
; SGPRBlocks: 0
; VGPRBlocks: 0
; NumSGPRsForWavesPerEU: 4
; NumVGPRsForWavesPerEU: 1
; Occupancy: 10
; WaveLimiterHint : 0
; COMPUTE_PGM_RSRC2:SCRATCH_EN: 0
; COMPUTE_PGM_RSRC2:USER_SGPR: 6
; COMPUTE_PGM_RSRC2:TRAP_HANDLER: 0
; COMPUTE_PGM_RSRC2:TGID_X_EN: 1
; COMPUTE_PGM_RSRC2:TGID_Y_EN: 0
; COMPUTE_PGM_RSRC2:TGID_Z_EN: 0
; COMPUTE_PGM_RSRC2:TIDIG_COMP_CNT: 0
	.section	.text._ZN7rocprim17ROCPRIM_400000_NS6detail17trampoline_kernelINS0_14default_configENS1_25partition_config_selectorILNS1_17partition_subalgoE8EjNS0_10empty_typeEbEEZZNS1_14partition_implILS5_8ELb0ES3_jN6thrust23THRUST_200600_302600_NS6detail15normal_iteratorINSA_10device_ptrIjEEEEPS6_PKS6_NS0_5tupleIJNSA_16discard_iteratorINSA_11use_defaultEEES6_EEENSJ_IJSG_SG_EEENS0_18inequality_wrapperINSA_8equal_toIjEEEEPmJS6_EEE10hipError_tPvRmT3_T4_T5_T6_T7_T9_mT8_P12ihipStream_tbDpT10_ENKUlT_T0_E_clISt17integral_constantIbLb1EES1C_IbLb0EEEEDaS18_S19_EUlS18_E_NS1_11comp_targetILNS1_3genE8ELNS1_11target_archE1030ELNS1_3gpuE2ELNS1_3repE0EEENS1_30default_config_static_selectorELNS0_4arch9wavefront6targetE1EEEvT1_,"axG",@progbits,_ZN7rocprim17ROCPRIM_400000_NS6detail17trampoline_kernelINS0_14default_configENS1_25partition_config_selectorILNS1_17partition_subalgoE8EjNS0_10empty_typeEbEEZZNS1_14partition_implILS5_8ELb0ES3_jN6thrust23THRUST_200600_302600_NS6detail15normal_iteratorINSA_10device_ptrIjEEEEPS6_PKS6_NS0_5tupleIJNSA_16discard_iteratorINSA_11use_defaultEEES6_EEENSJ_IJSG_SG_EEENS0_18inequality_wrapperINSA_8equal_toIjEEEEPmJS6_EEE10hipError_tPvRmT3_T4_T5_T6_T7_T9_mT8_P12ihipStream_tbDpT10_ENKUlT_T0_E_clISt17integral_constantIbLb1EES1C_IbLb0EEEEDaS18_S19_EUlS18_E_NS1_11comp_targetILNS1_3genE8ELNS1_11target_archE1030ELNS1_3gpuE2ELNS1_3repE0EEENS1_30default_config_static_selectorELNS0_4arch9wavefront6targetE1EEEvT1_,comdat
	.protected	_ZN7rocprim17ROCPRIM_400000_NS6detail17trampoline_kernelINS0_14default_configENS1_25partition_config_selectorILNS1_17partition_subalgoE8EjNS0_10empty_typeEbEEZZNS1_14partition_implILS5_8ELb0ES3_jN6thrust23THRUST_200600_302600_NS6detail15normal_iteratorINSA_10device_ptrIjEEEEPS6_PKS6_NS0_5tupleIJNSA_16discard_iteratorINSA_11use_defaultEEES6_EEENSJ_IJSG_SG_EEENS0_18inequality_wrapperINSA_8equal_toIjEEEEPmJS6_EEE10hipError_tPvRmT3_T4_T5_T6_T7_T9_mT8_P12ihipStream_tbDpT10_ENKUlT_T0_E_clISt17integral_constantIbLb1EES1C_IbLb0EEEEDaS18_S19_EUlS18_E_NS1_11comp_targetILNS1_3genE8ELNS1_11target_archE1030ELNS1_3gpuE2ELNS1_3repE0EEENS1_30default_config_static_selectorELNS0_4arch9wavefront6targetE1EEEvT1_ ; -- Begin function _ZN7rocprim17ROCPRIM_400000_NS6detail17trampoline_kernelINS0_14default_configENS1_25partition_config_selectorILNS1_17partition_subalgoE8EjNS0_10empty_typeEbEEZZNS1_14partition_implILS5_8ELb0ES3_jN6thrust23THRUST_200600_302600_NS6detail15normal_iteratorINSA_10device_ptrIjEEEEPS6_PKS6_NS0_5tupleIJNSA_16discard_iteratorINSA_11use_defaultEEES6_EEENSJ_IJSG_SG_EEENS0_18inequality_wrapperINSA_8equal_toIjEEEEPmJS6_EEE10hipError_tPvRmT3_T4_T5_T6_T7_T9_mT8_P12ihipStream_tbDpT10_ENKUlT_T0_E_clISt17integral_constantIbLb1EES1C_IbLb0EEEEDaS18_S19_EUlS18_E_NS1_11comp_targetILNS1_3genE8ELNS1_11target_archE1030ELNS1_3gpuE2ELNS1_3repE0EEENS1_30default_config_static_selectorELNS0_4arch9wavefront6targetE1EEEvT1_
	.globl	_ZN7rocprim17ROCPRIM_400000_NS6detail17trampoline_kernelINS0_14default_configENS1_25partition_config_selectorILNS1_17partition_subalgoE8EjNS0_10empty_typeEbEEZZNS1_14partition_implILS5_8ELb0ES3_jN6thrust23THRUST_200600_302600_NS6detail15normal_iteratorINSA_10device_ptrIjEEEEPS6_PKS6_NS0_5tupleIJNSA_16discard_iteratorINSA_11use_defaultEEES6_EEENSJ_IJSG_SG_EEENS0_18inequality_wrapperINSA_8equal_toIjEEEEPmJS6_EEE10hipError_tPvRmT3_T4_T5_T6_T7_T9_mT8_P12ihipStream_tbDpT10_ENKUlT_T0_E_clISt17integral_constantIbLb1EES1C_IbLb0EEEEDaS18_S19_EUlS18_E_NS1_11comp_targetILNS1_3genE8ELNS1_11target_archE1030ELNS1_3gpuE2ELNS1_3repE0EEENS1_30default_config_static_selectorELNS0_4arch9wavefront6targetE1EEEvT1_
	.p2align	8
	.type	_ZN7rocprim17ROCPRIM_400000_NS6detail17trampoline_kernelINS0_14default_configENS1_25partition_config_selectorILNS1_17partition_subalgoE8EjNS0_10empty_typeEbEEZZNS1_14partition_implILS5_8ELb0ES3_jN6thrust23THRUST_200600_302600_NS6detail15normal_iteratorINSA_10device_ptrIjEEEEPS6_PKS6_NS0_5tupleIJNSA_16discard_iteratorINSA_11use_defaultEEES6_EEENSJ_IJSG_SG_EEENS0_18inequality_wrapperINSA_8equal_toIjEEEEPmJS6_EEE10hipError_tPvRmT3_T4_T5_T6_T7_T9_mT8_P12ihipStream_tbDpT10_ENKUlT_T0_E_clISt17integral_constantIbLb1EES1C_IbLb0EEEEDaS18_S19_EUlS18_E_NS1_11comp_targetILNS1_3genE8ELNS1_11target_archE1030ELNS1_3gpuE2ELNS1_3repE0EEENS1_30default_config_static_selectorELNS0_4arch9wavefront6targetE1EEEvT1_,@function
_ZN7rocprim17ROCPRIM_400000_NS6detail17trampoline_kernelINS0_14default_configENS1_25partition_config_selectorILNS1_17partition_subalgoE8EjNS0_10empty_typeEbEEZZNS1_14partition_implILS5_8ELb0ES3_jN6thrust23THRUST_200600_302600_NS6detail15normal_iteratorINSA_10device_ptrIjEEEEPS6_PKS6_NS0_5tupleIJNSA_16discard_iteratorINSA_11use_defaultEEES6_EEENSJ_IJSG_SG_EEENS0_18inequality_wrapperINSA_8equal_toIjEEEEPmJS6_EEE10hipError_tPvRmT3_T4_T5_T6_T7_T9_mT8_P12ihipStream_tbDpT10_ENKUlT_T0_E_clISt17integral_constantIbLb1EES1C_IbLb0EEEEDaS18_S19_EUlS18_E_NS1_11comp_targetILNS1_3genE8ELNS1_11target_archE1030ELNS1_3gpuE2ELNS1_3repE0EEENS1_30default_config_static_selectorELNS0_4arch9wavefront6targetE1EEEvT1_: ; @_ZN7rocprim17ROCPRIM_400000_NS6detail17trampoline_kernelINS0_14default_configENS1_25partition_config_selectorILNS1_17partition_subalgoE8EjNS0_10empty_typeEbEEZZNS1_14partition_implILS5_8ELb0ES3_jN6thrust23THRUST_200600_302600_NS6detail15normal_iteratorINSA_10device_ptrIjEEEEPS6_PKS6_NS0_5tupleIJNSA_16discard_iteratorINSA_11use_defaultEEES6_EEENSJ_IJSG_SG_EEENS0_18inequality_wrapperINSA_8equal_toIjEEEEPmJS6_EEE10hipError_tPvRmT3_T4_T5_T6_T7_T9_mT8_P12ihipStream_tbDpT10_ENKUlT_T0_E_clISt17integral_constantIbLb1EES1C_IbLb0EEEEDaS18_S19_EUlS18_E_NS1_11comp_targetILNS1_3genE8ELNS1_11target_archE1030ELNS1_3gpuE2ELNS1_3repE0EEENS1_30default_config_static_selectorELNS0_4arch9wavefront6targetE1EEEvT1_
; %bb.0:
	.section	.rodata,"a",@progbits
	.p2align	6, 0x0
	.amdhsa_kernel _ZN7rocprim17ROCPRIM_400000_NS6detail17trampoline_kernelINS0_14default_configENS1_25partition_config_selectorILNS1_17partition_subalgoE8EjNS0_10empty_typeEbEEZZNS1_14partition_implILS5_8ELb0ES3_jN6thrust23THRUST_200600_302600_NS6detail15normal_iteratorINSA_10device_ptrIjEEEEPS6_PKS6_NS0_5tupleIJNSA_16discard_iteratorINSA_11use_defaultEEES6_EEENSJ_IJSG_SG_EEENS0_18inequality_wrapperINSA_8equal_toIjEEEEPmJS6_EEE10hipError_tPvRmT3_T4_T5_T6_T7_T9_mT8_P12ihipStream_tbDpT10_ENKUlT_T0_E_clISt17integral_constantIbLb1EES1C_IbLb0EEEEDaS18_S19_EUlS18_E_NS1_11comp_targetILNS1_3genE8ELNS1_11target_archE1030ELNS1_3gpuE2ELNS1_3repE0EEENS1_30default_config_static_selectorELNS0_4arch9wavefront6targetE1EEEvT1_
		.amdhsa_group_segment_fixed_size 0
		.amdhsa_private_segment_fixed_size 0
		.amdhsa_kernarg_size 120
		.amdhsa_user_sgpr_count 6
		.amdhsa_user_sgpr_private_segment_buffer 1
		.amdhsa_user_sgpr_dispatch_ptr 0
		.amdhsa_user_sgpr_queue_ptr 0
		.amdhsa_user_sgpr_kernarg_segment_ptr 1
		.amdhsa_user_sgpr_dispatch_id 0
		.amdhsa_user_sgpr_flat_scratch_init 0
		.amdhsa_user_sgpr_private_segment_size 0
		.amdhsa_uses_dynamic_stack 0
		.amdhsa_system_sgpr_private_segment_wavefront_offset 0
		.amdhsa_system_sgpr_workgroup_id_x 1
		.amdhsa_system_sgpr_workgroup_id_y 0
		.amdhsa_system_sgpr_workgroup_id_z 0
		.amdhsa_system_sgpr_workgroup_info 0
		.amdhsa_system_vgpr_workitem_id 0
		.amdhsa_next_free_vgpr 1
		.amdhsa_next_free_sgpr 0
		.amdhsa_reserve_vcc 0
		.amdhsa_reserve_flat_scratch 0
		.amdhsa_float_round_mode_32 0
		.amdhsa_float_round_mode_16_64 0
		.amdhsa_float_denorm_mode_32 3
		.amdhsa_float_denorm_mode_16_64 3
		.amdhsa_dx10_clamp 1
		.amdhsa_ieee_mode 1
		.amdhsa_fp16_overflow 0
		.amdhsa_exception_fp_ieee_invalid_op 0
		.amdhsa_exception_fp_denorm_src 0
		.amdhsa_exception_fp_ieee_div_zero 0
		.amdhsa_exception_fp_ieee_overflow 0
		.amdhsa_exception_fp_ieee_underflow 0
		.amdhsa_exception_fp_ieee_inexact 0
		.amdhsa_exception_int_div_zero 0
	.end_amdhsa_kernel
	.section	.text._ZN7rocprim17ROCPRIM_400000_NS6detail17trampoline_kernelINS0_14default_configENS1_25partition_config_selectorILNS1_17partition_subalgoE8EjNS0_10empty_typeEbEEZZNS1_14partition_implILS5_8ELb0ES3_jN6thrust23THRUST_200600_302600_NS6detail15normal_iteratorINSA_10device_ptrIjEEEEPS6_PKS6_NS0_5tupleIJNSA_16discard_iteratorINSA_11use_defaultEEES6_EEENSJ_IJSG_SG_EEENS0_18inequality_wrapperINSA_8equal_toIjEEEEPmJS6_EEE10hipError_tPvRmT3_T4_T5_T6_T7_T9_mT8_P12ihipStream_tbDpT10_ENKUlT_T0_E_clISt17integral_constantIbLb1EES1C_IbLb0EEEEDaS18_S19_EUlS18_E_NS1_11comp_targetILNS1_3genE8ELNS1_11target_archE1030ELNS1_3gpuE2ELNS1_3repE0EEENS1_30default_config_static_selectorELNS0_4arch9wavefront6targetE1EEEvT1_,"axG",@progbits,_ZN7rocprim17ROCPRIM_400000_NS6detail17trampoline_kernelINS0_14default_configENS1_25partition_config_selectorILNS1_17partition_subalgoE8EjNS0_10empty_typeEbEEZZNS1_14partition_implILS5_8ELb0ES3_jN6thrust23THRUST_200600_302600_NS6detail15normal_iteratorINSA_10device_ptrIjEEEEPS6_PKS6_NS0_5tupleIJNSA_16discard_iteratorINSA_11use_defaultEEES6_EEENSJ_IJSG_SG_EEENS0_18inequality_wrapperINSA_8equal_toIjEEEEPmJS6_EEE10hipError_tPvRmT3_T4_T5_T6_T7_T9_mT8_P12ihipStream_tbDpT10_ENKUlT_T0_E_clISt17integral_constantIbLb1EES1C_IbLb0EEEEDaS18_S19_EUlS18_E_NS1_11comp_targetILNS1_3genE8ELNS1_11target_archE1030ELNS1_3gpuE2ELNS1_3repE0EEENS1_30default_config_static_selectorELNS0_4arch9wavefront6targetE1EEEvT1_,comdat
.Lfunc_end588:
	.size	_ZN7rocprim17ROCPRIM_400000_NS6detail17trampoline_kernelINS0_14default_configENS1_25partition_config_selectorILNS1_17partition_subalgoE8EjNS0_10empty_typeEbEEZZNS1_14partition_implILS5_8ELb0ES3_jN6thrust23THRUST_200600_302600_NS6detail15normal_iteratorINSA_10device_ptrIjEEEEPS6_PKS6_NS0_5tupleIJNSA_16discard_iteratorINSA_11use_defaultEEES6_EEENSJ_IJSG_SG_EEENS0_18inequality_wrapperINSA_8equal_toIjEEEEPmJS6_EEE10hipError_tPvRmT3_T4_T5_T6_T7_T9_mT8_P12ihipStream_tbDpT10_ENKUlT_T0_E_clISt17integral_constantIbLb1EES1C_IbLb0EEEEDaS18_S19_EUlS18_E_NS1_11comp_targetILNS1_3genE8ELNS1_11target_archE1030ELNS1_3gpuE2ELNS1_3repE0EEENS1_30default_config_static_selectorELNS0_4arch9wavefront6targetE1EEEvT1_, .Lfunc_end588-_ZN7rocprim17ROCPRIM_400000_NS6detail17trampoline_kernelINS0_14default_configENS1_25partition_config_selectorILNS1_17partition_subalgoE8EjNS0_10empty_typeEbEEZZNS1_14partition_implILS5_8ELb0ES3_jN6thrust23THRUST_200600_302600_NS6detail15normal_iteratorINSA_10device_ptrIjEEEEPS6_PKS6_NS0_5tupleIJNSA_16discard_iteratorINSA_11use_defaultEEES6_EEENSJ_IJSG_SG_EEENS0_18inequality_wrapperINSA_8equal_toIjEEEEPmJS6_EEE10hipError_tPvRmT3_T4_T5_T6_T7_T9_mT8_P12ihipStream_tbDpT10_ENKUlT_T0_E_clISt17integral_constantIbLb1EES1C_IbLb0EEEEDaS18_S19_EUlS18_E_NS1_11comp_targetILNS1_3genE8ELNS1_11target_archE1030ELNS1_3gpuE2ELNS1_3repE0EEENS1_30default_config_static_selectorELNS0_4arch9wavefront6targetE1EEEvT1_
                                        ; -- End function
	.set _ZN7rocprim17ROCPRIM_400000_NS6detail17trampoline_kernelINS0_14default_configENS1_25partition_config_selectorILNS1_17partition_subalgoE8EjNS0_10empty_typeEbEEZZNS1_14partition_implILS5_8ELb0ES3_jN6thrust23THRUST_200600_302600_NS6detail15normal_iteratorINSA_10device_ptrIjEEEEPS6_PKS6_NS0_5tupleIJNSA_16discard_iteratorINSA_11use_defaultEEES6_EEENSJ_IJSG_SG_EEENS0_18inequality_wrapperINSA_8equal_toIjEEEEPmJS6_EEE10hipError_tPvRmT3_T4_T5_T6_T7_T9_mT8_P12ihipStream_tbDpT10_ENKUlT_T0_E_clISt17integral_constantIbLb1EES1C_IbLb0EEEEDaS18_S19_EUlS18_E_NS1_11comp_targetILNS1_3genE8ELNS1_11target_archE1030ELNS1_3gpuE2ELNS1_3repE0EEENS1_30default_config_static_selectorELNS0_4arch9wavefront6targetE1EEEvT1_.num_vgpr, 0
	.set _ZN7rocprim17ROCPRIM_400000_NS6detail17trampoline_kernelINS0_14default_configENS1_25partition_config_selectorILNS1_17partition_subalgoE8EjNS0_10empty_typeEbEEZZNS1_14partition_implILS5_8ELb0ES3_jN6thrust23THRUST_200600_302600_NS6detail15normal_iteratorINSA_10device_ptrIjEEEEPS6_PKS6_NS0_5tupleIJNSA_16discard_iteratorINSA_11use_defaultEEES6_EEENSJ_IJSG_SG_EEENS0_18inequality_wrapperINSA_8equal_toIjEEEEPmJS6_EEE10hipError_tPvRmT3_T4_T5_T6_T7_T9_mT8_P12ihipStream_tbDpT10_ENKUlT_T0_E_clISt17integral_constantIbLb1EES1C_IbLb0EEEEDaS18_S19_EUlS18_E_NS1_11comp_targetILNS1_3genE8ELNS1_11target_archE1030ELNS1_3gpuE2ELNS1_3repE0EEENS1_30default_config_static_selectorELNS0_4arch9wavefront6targetE1EEEvT1_.num_agpr, 0
	.set _ZN7rocprim17ROCPRIM_400000_NS6detail17trampoline_kernelINS0_14default_configENS1_25partition_config_selectorILNS1_17partition_subalgoE8EjNS0_10empty_typeEbEEZZNS1_14partition_implILS5_8ELb0ES3_jN6thrust23THRUST_200600_302600_NS6detail15normal_iteratorINSA_10device_ptrIjEEEEPS6_PKS6_NS0_5tupleIJNSA_16discard_iteratorINSA_11use_defaultEEES6_EEENSJ_IJSG_SG_EEENS0_18inequality_wrapperINSA_8equal_toIjEEEEPmJS6_EEE10hipError_tPvRmT3_T4_T5_T6_T7_T9_mT8_P12ihipStream_tbDpT10_ENKUlT_T0_E_clISt17integral_constantIbLb1EES1C_IbLb0EEEEDaS18_S19_EUlS18_E_NS1_11comp_targetILNS1_3genE8ELNS1_11target_archE1030ELNS1_3gpuE2ELNS1_3repE0EEENS1_30default_config_static_selectorELNS0_4arch9wavefront6targetE1EEEvT1_.numbered_sgpr, 0
	.set _ZN7rocprim17ROCPRIM_400000_NS6detail17trampoline_kernelINS0_14default_configENS1_25partition_config_selectorILNS1_17partition_subalgoE8EjNS0_10empty_typeEbEEZZNS1_14partition_implILS5_8ELb0ES3_jN6thrust23THRUST_200600_302600_NS6detail15normal_iteratorINSA_10device_ptrIjEEEEPS6_PKS6_NS0_5tupleIJNSA_16discard_iteratorINSA_11use_defaultEEES6_EEENSJ_IJSG_SG_EEENS0_18inequality_wrapperINSA_8equal_toIjEEEEPmJS6_EEE10hipError_tPvRmT3_T4_T5_T6_T7_T9_mT8_P12ihipStream_tbDpT10_ENKUlT_T0_E_clISt17integral_constantIbLb1EES1C_IbLb0EEEEDaS18_S19_EUlS18_E_NS1_11comp_targetILNS1_3genE8ELNS1_11target_archE1030ELNS1_3gpuE2ELNS1_3repE0EEENS1_30default_config_static_selectorELNS0_4arch9wavefront6targetE1EEEvT1_.num_named_barrier, 0
	.set _ZN7rocprim17ROCPRIM_400000_NS6detail17trampoline_kernelINS0_14default_configENS1_25partition_config_selectorILNS1_17partition_subalgoE8EjNS0_10empty_typeEbEEZZNS1_14partition_implILS5_8ELb0ES3_jN6thrust23THRUST_200600_302600_NS6detail15normal_iteratorINSA_10device_ptrIjEEEEPS6_PKS6_NS0_5tupleIJNSA_16discard_iteratorINSA_11use_defaultEEES6_EEENSJ_IJSG_SG_EEENS0_18inequality_wrapperINSA_8equal_toIjEEEEPmJS6_EEE10hipError_tPvRmT3_T4_T5_T6_T7_T9_mT8_P12ihipStream_tbDpT10_ENKUlT_T0_E_clISt17integral_constantIbLb1EES1C_IbLb0EEEEDaS18_S19_EUlS18_E_NS1_11comp_targetILNS1_3genE8ELNS1_11target_archE1030ELNS1_3gpuE2ELNS1_3repE0EEENS1_30default_config_static_selectorELNS0_4arch9wavefront6targetE1EEEvT1_.private_seg_size, 0
	.set _ZN7rocprim17ROCPRIM_400000_NS6detail17trampoline_kernelINS0_14default_configENS1_25partition_config_selectorILNS1_17partition_subalgoE8EjNS0_10empty_typeEbEEZZNS1_14partition_implILS5_8ELb0ES3_jN6thrust23THRUST_200600_302600_NS6detail15normal_iteratorINSA_10device_ptrIjEEEEPS6_PKS6_NS0_5tupleIJNSA_16discard_iteratorINSA_11use_defaultEEES6_EEENSJ_IJSG_SG_EEENS0_18inequality_wrapperINSA_8equal_toIjEEEEPmJS6_EEE10hipError_tPvRmT3_T4_T5_T6_T7_T9_mT8_P12ihipStream_tbDpT10_ENKUlT_T0_E_clISt17integral_constantIbLb1EES1C_IbLb0EEEEDaS18_S19_EUlS18_E_NS1_11comp_targetILNS1_3genE8ELNS1_11target_archE1030ELNS1_3gpuE2ELNS1_3repE0EEENS1_30default_config_static_selectorELNS0_4arch9wavefront6targetE1EEEvT1_.uses_vcc, 0
	.set _ZN7rocprim17ROCPRIM_400000_NS6detail17trampoline_kernelINS0_14default_configENS1_25partition_config_selectorILNS1_17partition_subalgoE8EjNS0_10empty_typeEbEEZZNS1_14partition_implILS5_8ELb0ES3_jN6thrust23THRUST_200600_302600_NS6detail15normal_iteratorINSA_10device_ptrIjEEEEPS6_PKS6_NS0_5tupleIJNSA_16discard_iteratorINSA_11use_defaultEEES6_EEENSJ_IJSG_SG_EEENS0_18inequality_wrapperINSA_8equal_toIjEEEEPmJS6_EEE10hipError_tPvRmT3_T4_T5_T6_T7_T9_mT8_P12ihipStream_tbDpT10_ENKUlT_T0_E_clISt17integral_constantIbLb1EES1C_IbLb0EEEEDaS18_S19_EUlS18_E_NS1_11comp_targetILNS1_3genE8ELNS1_11target_archE1030ELNS1_3gpuE2ELNS1_3repE0EEENS1_30default_config_static_selectorELNS0_4arch9wavefront6targetE1EEEvT1_.uses_flat_scratch, 0
	.set _ZN7rocprim17ROCPRIM_400000_NS6detail17trampoline_kernelINS0_14default_configENS1_25partition_config_selectorILNS1_17partition_subalgoE8EjNS0_10empty_typeEbEEZZNS1_14partition_implILS5_8ELb0ES3_jN6thrust23THRUST_200600_302600_NS6detail15normal_iteratorINSA_10device_ptrIjEEEEPS6_PKS6_NS0_5tupleIJNSA_16discard_iteratorINSA_11use_defaultEEES6_EEENSJ_IJSG_SG_EEENS0_18inequality_wrapperINSA_8equal_toIjEEEEPmJS6_EEE10hipError_tPvRmT3_T4_T5_T6_T7_T9_mT8_P12ihipStream_tbDpT10_ENKUlT_T0_E_clISt17integral_constantIbLb1EES1C_IbLb0EEEEDaS18_S19_EUlS18_E_NS1_11comp_targetILNS1_3genE8ELNS1_11target_archE1030ELNS1_3gpuE2ELNS1_3repE0EEENS1_30default_config_static_selectorELNS0_4arch9wavefront6targetE1EEEvT1_.has_dyn_sized_stack, 0
	.set _ZN7rocprim17ROCPRIM_400000_NS6detail17trampoline_kernelINS0_14default_configENS1_25partition_config_selectorILNS1_17partition_subalgoE8EjNS0_10empty_typeEbEEZZNS1_14partition_implILS5_8ELb0ES3_jN6thrust23THRUST_200600_302600_NS6detail15normal_iteratorINSA_10device_ptrIjEEEEPS6_PKS6_NS0_5tupleIJNSA_16discard_iteratorINSA_11use_defaultEEES6_EEENSJ_IJSG_SG_EEENS0_18inequality_wrapperINSA_8equal_toIjEEEEPmJS6_EEE10hipError_tPvRmT3_T4_T5_T6_T7_T9_mT8_P12ihipStream_tbDpT10_ENKUlT_T0_E_clISt17integral_constantIbLb1EES1C_IbLb0EEEEDaS18_S19_EUlS18_E_NS1_11comp_targetILNS1_3genE8ELNS1_11target_archE1030ELNS1_3gpuE2ELNS1_3repE0EEENS1_30default_config_static_selectorELNS0_4arch9wavefront6targetE1EEEvT1_.has_recursion, 0
	.set _ZN7rocprim17ROCPRIM_400000_NS6detail17trampoline_kernelINS0_14default_configENS1_25partition_config_selectorILNS1_17partition_subalgoE8EjNS0_10empty_typeEbEEZZNS1_14partition_implILS5_8ELb0ES3_jN6thrust23THRUST_200600_302600_NS6detail15normal_iteratorINSA_10device_ptrIjEEEEPS6_PKS6_NS0_5tupleIJNSA_16discard_iteratorINSA_11use_defaultEEES6_EEENSJ_IJSG_SG_EEENS0_18inequality_wrapperINSA_8equal_toIjEEEEPmJS6_EEE10hipError_tPvRmT3_T4_T5_T6_T7_T9_mT8_P12ihipStream_tbDpT10_ENKUlT_T0_E_clISt17integral_constantIbLb1EES1C_IbLb0EEEEDaS18_S19_EUlS18_E_NS1_11comp_targetILNS1_3genE8ELNS1_11target_archE1030ELNS1_3gpuE2ELNS1_3repE0EEENS1_30default_config_static_selectorELNS0_4arch9wavefront6targetE1EEEvT1_.has_indirect_call, 0
	.section	.AMDGPU.csdata,"",@progbits
; Kernel info:
; codeLenInByte = 0
; TotalNumSgprs: 4
; NumVgprs: 0
; ScratchSize: 0
; MemoryBound: 0
; FloatMode: 240
; IeeeMode: 1
; LDSByteSize: 0 bytes/workgroup (compile time only)
; SGPRBlocks: 0
; VGPRBlocks: 0
; NumSGPRsForWavesPerEU: 4
; NumVGPRsForWavesPerEU: 1
; Occupancy: 10
; WaveLimiterHint : 0
; COMPUTE_PGM_RSRC2:SCRATCH_EN: 0
; COMPUTE_PGM_RSRC2:USER_SGPR: 6
; COMPUTE_PGM_RSRC2:TRAP_HANDLER: 0
; COMPUTE_PGM_RSRC2:TGID_X_EN: 1
; COMPUTE_PGM_RSRC2:TGID_Y_EN: 0
; COMPUTE_PGM_RSRC2:TGID_Z_EN: 0
; COMPUTE_PGM_RSRC2:TIDIG_COMP_CNT: 0
	.section	.text._ZN7rocprim17ROCPRIM_400000_NS6detail17trampoline_kernelINS0_14default_configENS1_25partition_config_selectorILNS1_17partition_subalgoE8EjNS0_10empty_typeEbEEZZNS1_14partition_implILS5_8ELb0ES3_jN6thrust23THRUST_200600_302600_NS6detail15normal_iteratorINSA_10device_ptrIjEEEEPS6_PKS6_NS0_5tupleIJNSA_16discard_iteratorINSA_11use_defaultEEES6_EEENSJ_IJSG_SG_EEENS0_18inequality_wrapperINSA_8equal_toIjEEEEPmJS6_EEE10hipError_tPvRmT3_T4_T5_T6_T7_T9_mT8_P12ihipStream_tbDpT10_ENKUlT_T0_E_clISt17integral_constantIbLb0EES1C_IbLb1EEEEDaS18_S19_EUlS18_E_NS1_11comp_targetILNS1_3genE0ELNS1_11target_archE4294967295ELNS1_3gpuE0ELNS1_3repE0EEENS1_30default_config_static_selectorELNS0_4arch9wavefront6targetE1EEEvT1_,"axG",@progbits,_ZN7rocprim17ROCPRIM_400000_NS6detail17trampoline_kernelINS0_14default_configENS1_25partition_config_selectorILNS1_17partition_subalgoE8EjNS0_10empty_typeEbEEZZNS1_14partition_implILS5_8ELb0ES3_jN6thrust23THRUST_200600_302600_NS6detail15normal_iteratorINSA_10device_ptrIjEEEEPS6_PKS6_NS0_5tupleIJNSA_16discard_iteratorINSA_11use_defaultEEES6_EEENSJ_IJSG_SG_EEENS0_18inequality_wrapperINSA_8equal_toIjEEEEPmJS6_EEE10hipError_tPvRmT3_T4_T5_T6_T7_T9_mT8_P12ihipStream_tbDpT10_ENKUlT_T0_E_clISt17integral_constantIbLb0EES1C_IbLb1EEEEDaS18_S19_EUlS18_E_NS1_11comp_targetILNS1_3genE0ELNS1_11target_archE4294967295ELNS1_3gpuE0ELNS1_3repE0EEENS1_30default_config_static_selectorELNS0_4arch9wavefront6targetE1EEEvT1_,comdat
	.protected	_ZN7rocprim17ROCPRIM_400000_NS6detail17trampoline_kernelINS0_14default_configENS1_25partition_config_selectorILNS1_17partition_subalgoE8EjNS0_10empty_typeEbEEZZNS1_14partition_implILS5_8ELb0ES3_jN6thrust23THRUST_200600_302600_NS6detail15normal_iteratorINSA_10device_ptrIjEEEEPS6_PKS6_NS0_5tupleIJNSA_16discard_iteratorINSA_11use_defaultEEES6_EEENSJ_IJSG_SG_EEENS0_18inequality_wrapperINSA_8equal_toIjEEEEPmJS6_EEE10hipError_tPvRmT3_T4_T5_T6_T7_T9_mT8_P12ihipStream_tbDpT10_ENKUlT_T0_E_clISt17integral_constantIbLb0EES1C_IbLb1EEEEDaS18_S19_EUlS18_E_NS1_11comp_targetILNS1_3genE0ELNS1_11target_archE4294967295ELNS1_3gpuE0ELNS1_3repE0EEENS1_30default_config_static_selectorELNS0_4arch9wavefront6targetE1EEEvT1_ ; -- Begin function _ZN7rocprim17ROCPRIM_400000_NS6detail17trampoline_kernelINS0_14default_configENS1_25partition_config_selectorILNS1_17partition_subalgoE8EjNS0_10empty_typeEbEEZZNS1_14partition_implILS5_8ELb0ES3_jN6thrust23THRUST_200600_302600_NS6detail15normal_iteratorINSA_10device_ptrIjEEEEPS6_PKS6_NS0_5tupleIJNSA_16discard_iteratorINSA_11use_defaultEEES6_EEENSJ_IJSG_SG_EEENS0_18inequality_wrapperINSA_8equal_toIjEEEEPmJS6_EEE10hipError_tPvRmT3_T4_T5_T6_T7_T9_mT8_P12ihipStream_tbDpT10_ENKUlT_T0_E_clISt17integral_constantIbLb0EES1C_IbLb1EEEEDaS18_S19_EUlS18_E_NS1_11comp_targetILNS1_3genE0ELNS1_11target_archE4294967295ELNS1_3gpuE0ELNS1_3repE0EEENS1_30default_config_static_selectorELNS0_4arch9wavefront6targetE1EEEvT1_
	.globl	_ZN7rocprim17ROCPRIM_400000_NS6detail17trampoline_kernelINS0_14default_configENS1_25partition_config_selectorILNS1_17partition_subalgoE8EjNS0_10empty_typeEbEEZZNS1_14partition_implILS5_8ELb0ES3_jN6thrust23THRUST_200600_302600_NS6detail15normal_iteratorINSA_10device_ptrIjEEEEPS6_PKS6_NS0_5tupleIJNSA_16discard_iteratorINSA_11use_defaultEEES6_EEENSJ_IJSG_SG_EEENS0_18inequality_wrapperINSA_8equal_toIjEEEEPmJS6_EEE10hipError_tPvRmT3_T4_T5_T6_T7_T9_mT8_P12ihipStream_tbDpT10_ENKUlT_T0_E_clISt17integral_constantIbLb0EES1C_IbLb1EEEEDaS18_S19_EUlS18_E_NS1_11comp_targetILNS1_3genE0ELNS1_11target_archE4294967295ELNS1_3gpuE0ELNS1_3repE0EEENS1_30default_config_static_selectorELNS0_4arch9wavefront6targetE1EEEvT1_
	.p2align	8
	.type	_ZN7rocprim17ROCPRIM_400000_NS6detail17trampoline_kernelINS0_14default_configENS1_25partition_config_selectorILNS1_17partition_subalgoE8EjNS0_10empty_typeEbEEZZNS1_14partition_implILS5_8ELb0ES3_jN6thrust23THRUST_200600_302600_NS6detail15normal_iteratorINSA_10device_ptrIjEEEEPS6_PKS6_NS0_5tupleIJNSA_16discard_iteratorINSA_11use_defaultEEES6_EEENSJ_IJSG_SG_EEENS0_18inequality_wrapperINSA_8equal_toIjEEEEPmJS6_EEE10hipError_tPvRmT3_T4_T5_T6_T7_T9_mT8_P12ihipStream_tbDpT10_ENKUlT_T0_E_clISt17integral_constantIbLb0EES1C_IbLb1EEEEDaS18_S19_EUlS18_E_NS1_11comp_targetILNS1_3genE0ELNS1_11target_archE4294967295ELNS1_3gpuE0ELNS1_3repE0EEENS1_30default_config_static_selectorELNS0_4arch9wavefront6targetE1EEEvT1_,@function
_ZN7rocprim17ROCPRIM_400000_NS6detail17trampoline_kernelINS0_14default_configENS1_25partition_config_selectorILNS1_17partition_subalgoE8EjNS0_10empty_typeEbEEZZNS1_14partition_implILS5_8ELb0ES3_jN6thrust23THRUST_200600_302600_NS6detail15normal_iteratorINSA_10device_ptrIjEEEEPS6_PKS6_NS0_5tupleIJNSA_16discard_iteratorINSA_11use_defaultEEES6_EEENSJ_IJSG_SG_EEENS0_18inequality_wrapperINSA_8equal_toIjEEEEPmJS6_EEE10hipError_tPvRmT3_T4_T5_T6_T7_T9_mT8_P12ihipStream_tbDpT10_ENKUlT_T0_E_clISt17integral_constantIbLb0EES1C_IbLb1EEEEDaS18_S19_EUlS18_E_NS1_11comp_targetILNS1_3genE0ELNS1_11target_archE4294967295ELNS1_3gpuE0ELNS1_3repE0EEENS1_30default_config_static_selectorELNS0_4arch9wavefront6targetE1EEEvT1_: ; @_ZN7rocprim17ROCPRIM_400000_NS6detail17trampoline_kernelINS0_14default_configENS1_25partition_config_selectorILNS1_17partition_subalgoE8EjNS0_10empty_typeEbEEZZNS1_14partition_implILS5_8ELb0ES3_jN6thrust23THRUST_200600_302600_NS6detail15normal_iteratorINSA_10device_ptrIjEEEEPS6_PKS6_NS0_5tupleIJNSA_16discard_iteratorINSA_11use_defaultEEES6_EEENSJ_IJSG_SG_EEENS0_18inequality_wrapperINSA_8equal_toIjEEEEPmJS6_EEE10hipError_tPvRmT3_T4_T5_T6_T7_T9_mT8_P12ihipStream_tbDpT10_ENKUlT_T0_E_clISt17integral_constantIbLb0EES1C_IbLb1EEEEDaS18_S19_EUlS18_E_NS1_11comp_targetILNS1_3genE0ELNS1_11target_archE4294967295ELNS1_3gpuE0ELNS1_3repE0EEENS1_30default_config_static_selectorELNS0_4arch9wavefront6targetE1EEEvT1_
; %bb.0:
	.section	.rodata,"a",@progbits
	.p2align	6, 0x0
	.amdhsa_kernel _ZN7rocprim17ROCPRIM_400000_NS6detail17trampoline_kernelINS0_14default_configENS1_25partition_config_selectorILNS1_17partition_subalgoE8EjNS0_10empty_typeEbEEZZNS1_14partition_implILS5_8ELb0ES3_jN6thrust23THRUST_200600_302600_NS6detail15normal_iteratorINSA_10device_ptrIjEEEEPS6_PKS6_NS0_5tupleIJNSA_16discard_iteratorINSA_11use_defaultEEES6_EEENSJ_IJSG_SG_EEENS0_18inequality_wrapperINSA_8equal_toIjEEEEPmJS6_EEE10hipError_tPvRmT3_T4_T5_T6_T7_T9_mT8_P12ihipStream_tbDpT10_ENKUlT_T0_E_clISt17integral_constantIbLb0EES1C_IbLb1EEEEDaS18_S19_EUlS18_E_NS1_11comp_targetILNS1_3genE0ELNS1_11target_archE4294967295ELNS1_3gpuE0ELNS1_3repE0EEENS1_30default_config_static_selectorELNS0_4arch9wavefront6targetE1EEEvT1_
		.amdhsa_group_segment_fixed_size 0
		.amdhsa_private_segment_fixed_size 0
		.amdhsa_kernarg_size 136
		.amdhsa_user_sgpr_count 6
		.amdhsa_user_sgpr_private_segment_buffer 1
		.amdhsa_user_sgpr_dispatch_ptr 0
		.amdhsa_user_sgpr_queue_ptr 0
		.amdhsa_user_sgpr_kernarg_segment_ptr 1
		.amdhsa_user_sgpr_dispatch_id 0
		.amdhsa_user_sgpr_flat_scratch_init 0
		.amdhsa_user_sgpr_private_segment_size 0
		.amdhsa_uses_dynamic_stack 0
		.amdhsa_system_sgpr_private_segment_wavefront_offset 0
		.amdhsa_system_sgpr_workgroup_id_x 1
		.amdhsa_system_sgpr_workgroup_id_y 0
		.amdhsa_system_sgpr_workgroup_id_z 0
		.amdhsa_system_sgpr_workgroup_info 0
		.amdhsa_system_vgpr_workitem_id 0
		.amdhsa_next_free_vgpr 1
		.amdhsa_next_free_sgpr 0
		.amdhsa_reserve_vcc 0
		.amdhsa_reserve_flat_scratch 0
		.amdhsa_float_round_mode_32 0
		.amdhsa_float_round_mode_16_64 0
		.amdhsa_float_denorm_mode_32 3
		.amdhsa_float_denorm_mode_16_64 3
		.amdhsa_dx10_clamp 1
		.amdhsa_ieee_mode 1
		.amdhsa_fp16_overflow 0
		.amdhsa_exception_fp_ieee_invalid_op 0
		.amdhsa_exception_fp_denorm_src 0
		.amdhsa_exception_fp_ieee_div_zero 0
		.amdhsa_exception_fp_ieee_overflow 0
		.amdhsa_exception_fp_ieee_underflow 0
		.amdhsa_exception_fp_ieee_inexact 0
		.amdhsa_exception_int_div_zero 0
	.end_amdhsa_kernel
	.section	.text._ZN7rocprim17ROCPRIM_400000_NS6detail17trampoline_kernelINS0_14default_configENS1_25partition_config_selectorILNS1_17partition_subalgoE8EjNS0_10empty_typeEbEEZZNS1_14partition_implILS5_8ELb0ES3_jN6thrust23THRUST_200600_302600_NS6detail15normal_iteratorINSA_10device_ptrIjEEEEPS6_PKS6_NS0_5tupleIJNSA_16discard_iteratorINSA_11use_defaultEEES6_EEENSJ_IJSG_SG_EEENS0_18inequality_wrapperINSA_8equal_toIjEEEEPmJS6_EEE10hipError_tPvRmT3_T4_T5_T6_T7_T9_mT8_P12ihipStream_tbDpT10_ENKUlT_T0_E_clISt17integral_constantIbLb0EES1C_IbLb1EEEEDaS18_S19_EUlS18_E_NS1_11comp_targetILNS1_3genE0ELNS1_11target_archE4294967295ELNS1_3gpuE0ELNS1_3repE0EEENS1_30default_config_static_selectorELNS0_4arch9wavefront6targetE1EEEvT1_,"axG",@progbits,_ZN7rocprim17ROCPRIM_400000_NS6detail17trampoline_kernelINS0_14default_configENS1_25partition_config_selectorILNS1_17partition_subalgoE8EjNS0_10empty_typeEbEEZZNS1_14partition_implILS5_8ELb0ES3_jN6thrust23THRUST_200600_302600_NS6detail15normal_iteratorINSA_10device_ptrIjEEEEPS6_PKS6_NS0_5tupleIJNSA_16discard_iteratorINSA_11use_defaultEEES6_EEENSJ_IJSG_SG_EEENS0_18inequality_wrapperINSA_8equal_toIjEEEEPmJS6_EEE10hipError_tPvRmT3_T4_T5_T6_T7_T9_mT8_P12ihipStream_tbDpT10_ENKUlT_T0_E_clISt17integral_constantIbLb0EES1C_IbLb1EEEEDaS18_S19_EUlS18_E_NS1_11comp_targetILNS1_3genE0ELNS1_11target_archE4294967295ELNS1_3gpuE0ELNS1_3repE0EEENS1_30default_config_static_selectorELNS0_4arch9wavefront6targetE1EEEvT1_,comdat
.Lfunc_end589:
	.size	_ZN7rocprim17ROCPRIM_400000_NS6detail17trampoline_kernelINS0_14default_configENS1_25partition_config_selectorILNS1_17partition_subalgoE8EjNS0_10empty_typeEbEEZZNS1_14partition_implILS5_8ELb0ES3_jN6thrust23THRUST_200600_302600_NS6detail15normal_iteratorINSA_10device_ptrIjEEEEPS6_PKS6_NS0_5tupleIJNSA_16discard_iteratorINSA_11use_defaultEEES6_EEENSJ_IJSG_SG_EEENS0_18inequality_wrapperINSA_8equal_toIjEEEEPmJS6_EEE10hipError_tPvRmT3_T4_T5_T6_T7_T9_mT8_P12ihipStream_tbDpT10_ENKUlT_T0_E_clISt17integral_constantIbLb0EES1C_IbLb1EEEEDaS18_S19_EUlS18_E_NS1_11comp_targetILNS1_3genE0ELNS1_11target_archE4294967295ELNS1_3gpuE0ELNS1_3repE0EEENS1_30default_config_static_selectorELNS0_4arch9wavefront6targetE1EEEvT1_, .Lfunc_end589-_ZN7rocprim17ROCPRIM_400000_NS6detail17trampoline_kernelINS0_14default_configENS1_25partition_config_selectorILNS1_17partition_subalgoE8EjNS0_10empty_typeEbEEZZNS1_14partition_implILS5_8ELb0ES3_jN6thrust23THRUST_200600_302600_NS6detail15normal_iteratorINSA_10device_ptrIjEEEEPS6_PKS6_NS0_5tupleIJNSA_16discard_iteratorINSA_11use_defaultEEES6_EEENSJ_IJSG_SG_EEENS0_18inequality_wrapperINSA_8equal_toIjEEEEPmJS6_EEE10hipError_tPvRmT3_T4_T5_T6_T7_T9_mT8_P12ihipStream_tbDpT10_ENKUlT_T0_E_clISt17integral_constantIbLb0EES1C_IbLb1EEEEDaS18_S19_EUlS18_E_NS1_11comp_targetILNS1_3genE0ELNS1_11target_archE4294967295ELNS1_3gpuE0ELNS1_3repE0EEENS1_30default_config_static_selectorELNS0_4arch9wavefront6targetE1EEEvT1_
                                        ; -- End function
	.set _ZN7rocprim17ROCPRIM_400000_NS6detail17trampoline_kernelINS0_14default_configENS1_25partition_config_selectorILNS1_17partition_subalgoE8EjNS0_10empty_typeEbEEZZNS1_14partition_implILS5_8ELb0ES3_jN6thrust23THRUST_200600_302600_NS6detail15normal_iteratorINSA_10device_ptrIjEEEEPS6_PKS6_NS0_5tupleIJNSA_16discard_iteratorINSA_11use_defaultEEES6_EEENSJ_IJSG_SG_EEENS0_18inequality_wrapperINSA_8equal_toIjEEEEPmJS6_EEE10hipError_tPvRmT3_T4_T5_T6_T7_T9_mT8_P12ihipStream_tbDpT10_ENKUlT_T0_E_clISt17integral_constantIbLb0EES1C_IbLb1EEEEDaS18_S19_EUlS18_E_NS1_11comp_targetILNS1_3genE0ELNS1_11target_archE4294967295ELNS1_3gpuE0ELNS1_3repE0EEENS1_30default_config_static_selectorELNS0_4arch9wavefront6targetE1EEEvT1_.num_vgpr, 0
	.set _ZN7rocprim17ROCPRIM_400000_NS6detail17trampoline_kernelINS0_14default_configENS1_25partition_config_selectorILNS1_17partition_subalgoE8EjNS0_10empty_typeEbEEZZNS1_14partition_implILS5_8ELb0ES3_jN6thrust23THRUST_200600_302600_NS6detail15normal_iteratorINSA_10device_ptrIjEEEEPS6_PKS6_NS0_5tupleIJNSA_16discard_iteratorINSA_11use_defaultEEES6_EEENSJ_IJSG_SG_EEENS0_18inequality_wrapperINSA_8equal_toIjEEEEPmJS6_EEE10hipError_tPvRmT3_T4_T5_T6_T7_T9_mT8_P12ihipStream_tbDpT10_ENKUlT_T0_E_clISt17integral_constantIbLb0EES1C_IbLb1EEEEDaS18_S19_EUlS18_E_NS1_11comp_targetILNS1_3genE0ELNS1_11target_archE4294967295ELNS1_3gpuE0ELNS1_3repE0EEENS1_30default_config_static_selectorELNS0_4arch9wavefront6targetE1EEEvT1_.num_agpr, 0
	.set _ZN7rocprim17ROCPRIM_400000_NS6detail17trampoline_kernelINS0_14default_configENS1_25partition_config_selectorILNS1_17partition_subalgoE8EjNS0_10empty_typeEbEEZZNS1_14partition_implILS5_8ELb0ES3_jN6thrust23THRUST_200600_302600_NS6detail15normal_iteratorINSA_10device_ptrIjEEEEPS6_PKS6_NS0_5tupleIJNSA_16discard_iteratorINSA_11use_defaultEEES6_EEENSJ_IJSG_SG_EEENS0_18inequality_wrapperINSA_8equal_toIjEEEEPmJS6_EEE10hipError_tPvRmT3_T4_T5_T6_T7_T9_mT8_P12ihipStream_tbDpT10_ENKUlT_T0_E_clISt17integral_constantIbLb0EES1C_IbLb1EEEEDaS18_S19_EUlS18_E_NS1_11comp_targetILNS1_3genE0ELNS1_11target_archE4294967295ELNS1_3gpuE0ELNS1_3repE0EEENS1_30default_config_static_selectorELNS0_4arch9wavefront6targetE1EEEvT1_.numbered_sgpr, 0
	.set _ZN7rocprim17ROCPRIM_400000_NS6detail17trampoline_kernelINS0_14default_configENS1_25partition_config_selectorILNS1_17partition_subalgoE8EjNS0_10empty_typeEbEEZZNS1_14partition_implILS5_8ELb0ES3_jN6thrust23THRUST_200600_302600_NS6detail15normal_iteratorINSA_10device_ptrIjEEEEPS6_PKS6_NS0_5tupleIJNSA_16discard_iteratorINSA_11use_defaultEEES6_EEENSJ_IJSG_SG_EEENS0_18inequality_wrapperINSA_8equal_toIjEEEEPmJS6_EEE10hipError_tPvRmT3_T4_T5_T6_T7_T9_mT8_P12ihipStream_tbDpT10_ENKUlT_T0_E_clISt17integral_constantIbLb0EES1C_IbLb1EEEEDaS18_S19_EUlS18_E_NS1_11comp_targetILNS1_3genE0ELNS1_11target_archE4294967295ELNS1_3gpuE0ELNS1_3repE0EEENS1_30default_config_static_selectorELNS0_4arch9wavefront6targetE1EEEvT1_.num_named_barrier, 0
	.set _ZN7rocprim17ROCPRIM_400000_NS6detail17trampoline_kernelINS0_14default_configENS1_25partition_config_selectorILNS1_17partition_subalgoE8EjNS0_10empty_typeEbEEZZNS1_14partition_implILS5_8ELb0ES3_jN6thrust23THRUST_200600_302600_NS6detail15normal_iteratorINSA_10device_ptrIjEEEEPS6_PKS6_NS0_5tupleIJNSA_16discard_iteratorINSA_11use_defaultEEES6_EEENSJ_IJSG_SG_EEENS0_18inequality_wrapperINSA_8equal_toIjEEEEPmJS6_EEE10hipError_tPvRmT3_T4_T5_T6_T7_T9_mT8_P12ihipStream_tbDpT10_ENKUlT_T0_E_clISt17integral_constantIbLb0EES1C_IbLb1EEEEDaS18_S19_EUlS18_E_NS1_11comp_targetILNS1_3genE0ELNS1_11target_archE4294967295ELNS1_3gpuE0ELNS1_3repE0EEENS1_30default_config_static_selectorELNS0_4arch9wavefront6targetE1EEEvT1_.private_seg_size, 0
	.set _ZN7rocprim17ROCPRIM_400000_NS6detail17trampoline_kernelINS0_14default_configENS1_25partition_config_selectorILNS1_17partition_subalgoE8EjNS0_10empty_typeEbEEZZNS1_14partition_implILS5_8ELb0ES3_jN6thrust23THRUST_200600_302600_NS6detail15normal_iteratorINSA_10device_ptrIjEEEEPS6_PKS6_NS0_5tupleIJNSA_16discard_iteratorINSA_11use_defaultEEES6_EEENSJ_IJSG_SG_EEENS0_18inequality_wrapperINSA_8equal_toIjEEEEPmJS6_EEE10hipError_tPvRmT3_T4_T5_T6_T7_T9_mT8_P12ihipStream_tbDpT10_ENKUlT_T0_E_clISt17integral_constantIbLb0EES1C_IbLb1EEEEDaS18_S19_EUlS18_E_NS1_11comp_targetILNS1_3genE0ELNS1_11target_archE4294967295ELNS1_3gpuE0ELNS1_3repE0EEENS1_30default_config_static_selectorELNS0_4arch9wavefront6targetE1EEEvT1_.uses_vcc, 0
	.set _ZN7rocprim17ROCPRIM_400000_NS6detail17trampoline_kernelINS0_14default_configENS1_25partition_config_selectorILNS1_17partition_subalgoE8EjNS0_10empty_typeEbEEZZNS1_14partition_implILS5_8ELb0ES3_jN6thrust23THRUST_200600_302600_NS6detail15normal_iteratorINSA_10device_ptrIjEEEEPS6_PKS6_NS0_5tupleIJNSA_16discard_iteratorINSA_11use_defaultEEES6_EEENSJ_IJSG_SG_EEENS0_18inequality_wrapperINSA_8equal_toIjEEEEPmJS6_EEE10hipError_tPvRmT3_T4_T5_T6_T7_T9_mT8_P12ihipStream_tbDpT10_ENKUlT_T0_E_clISt17integral_constantIbLb0EES1C_IbLb1EEEEDaS18_S19_EUlS18_E_NS1_11comp_targetILNS1_3genE0ELNS1_11target_archE4294967295ELNS1_3gpuE0ELNS1_3repE0EEENS1_30default_config_static_selectorELNS0_4arch9wavefront6targetE1EEEvT1_.uses_flat_scratch, 0
	.set _ZN7rocprim17ROCPRIM_400000_NS6detail17trampoline_kernelINS0_14default_configENS1_25partition_config_selectorILNS1_17partition_subalgoE8EjNS0_10empty_typeEbEEZZNS1_14partition_implILS5_8ELb0ES3_jN6thrust23THRUST_200600_302600_NS6detail15normal_iteratorINSA_10device_ptrIjEEEEPS6_PKS6_NS0_5tupleIJNSA_16discard_iteratorINSA_11use_defaultEEES6_EEENSJ_IJSG_SG_EEENS0_18inequality_wrapperINSA_8equal_toIjEEEEPmJS6_EEE10hipError_tPvRmT3_T4_T5_T6_T7_T9_mT8_P12ihipStream_tbDpT10_ENKUlT_T0_E_clISt17integral_constantIbLb0EES1C_IbLb1EEEEDaS18_S19_EUlS18_E_NS1_11comp_targetILNS1_3genE0ELNS1_11target_archE4294967295ELNS1_3gpuE0ELNS1_3repE0EEENS1_30default_config_static_selectorELNS0_4arch9wavefront6targetE1EEEvT1_.has_dyn_sized_stack, 0
	.set _ZN7rocprim17ROCPRIM_400000_NS6detail17trampoline_kernelINS0_14default_configENS1_25partition_config_selectorILNS1_17partition_subalgoE8EjNS0_10empty_typeEbEEZZNS1_14partition_implILS5_8ELb0ES3_jN6thrust23THRUST_200600_302600_NS6detail15normal_iteratorINSA_10device_ptrIjEEEEPS6_PKS6_NS0_5tupleIJNSA_16discard_iteratorINSA_11use_defaultEEES6_EEENSJ_IJSG_SG_EEENS0_18inequality_wrapperINSA_8equal_toIjEEEEPmJS6_EEE10hipError_tPvRmT3_T4_T5_T6_T7_T9_mT8_P12ihipStream_tbDpT10_ENKUlT_T0_E_clISt17integral_constantIbLb0EES1C_IbLb1EEEEDaS18_S19_EUlS18_E_NS1_11comp_targetILNS1_3genE0ELNS1_11target_archE4294967295ELNS1_3gpuE0ELNS1_3repE0EEENS1_30default_config_static_selectorELNS0_4arch9wavefront6targetE1EEEvT1_.has_recursion, 0
	.set _ZN7rocprim17ROCPRIM_400000_NS6detail17trampoline_kernelINS0_14default_configENS1_25partition_config_selectorILNS1_17partition_subalgoE8EjNS0_10empty_typeEbEEZZNS1_14partition_implILS5_8ELb0ES3_jN6thrust23THRUST_200600_302600_NS6detail15normal_iteratorINSA_10device_ptrIjEEEEPS6_PKS6_NS0_5tupleIJNSA_16discard_iteratorINSA_11use_defaultEEES6_EEENSJ_IJSG_SG_EEENS0_18inequality_wrapperINSA_8equal_toIjEEEEPmJS6_EEE10hipError_tPvRmT3_T4_T5_T6_T7_T9_mT8_P12ihipStream_tbDpT10_ENKUlT_T0_E_clISt17integral_constantIbLb0EES1C_IbLb1EEEEDaS18_S19_EUlS18_E_NS1_11comp_targetILNS1_3genE0ELNS1_11target_archE4294967295ELNS1_3gpuE0ELNS1_3repE0EEENS1_30default_config_static_selectorELNS0_4arch9wavefront6targetE1EEEvT1_.has_indirect_call, 0
	.section	.AMDGPU.csdata,"",@progbits
; Kernel info:
; codeLenInByte = 0
; TotalNumSgprs: 4
; NumVgprs: 0
; ScratchSize: 0
; MemoryBound: 0
; FloatMode: 240
; IeeeMode: 1
; LDSByteSize: 0 bytes/workgroup (compile time only)
; SGPRBlocks: 0
; VGPRBlocks: 0
; NumSGPRsForWavesPerEU: 4
; NumVGPRsForWavesPerEU: 1
; Occupancy: 10
; WaveLimiterHint : 0
; COMPUTE_PGM_RSRC2:SCRATCH_EN: 0
; COMPUTE_PGM_RSRC2:USER_SGPR: 6
; COMPUTE_PGM_RSRC2:TRAP_HANDLER: 0
; COMPUTE_PGM_RSRC2:TGID_X_EN: 1
; COMPUTE_PGM_RSRC2:TGID_Y_EN: 0
; COMPUTE_PGM_RSRC2:TGID_Z_EN: 0
; COMPUTE_PGM_RSRC2:TIDIG_COMP_CNT: 0
	.section	.text._ZN7rocprim17ROCPRIM_400000_NS6detail17trampoline_kernelINS0_14default_configENS1_25partition_config_selectorILNS1_17partition_subalgoE8EjNS0_10empty_typeEbEEZZNS1_14partition_implILS5_8ELb0ES3_jN6thrust23THRUST_200600_302600_NS6detail15normal_iteratorINSA_10device_ptrIjEEEEPS6_PKS6_NS0_5tupleIJNSA_16discard_iteratorINSA_11use_defaultEEES6_EEENSJ_IJSG_SG_EEENS0_18inequality_wrapperINSA_8equal_toIjEEEEPmJS6_EEE10hipError_tPvRmT3_T4_T5_T6_T7_T9_mT8_P12ihipStream_tbDpT10_ENKUlT_T0_E_clISt17integral_constantIbLb0EES1C_IbLb1EEEEDaS18_S19_EUlS18_E_NS1_11comp_targetILNS1_3genE5ELNS1_11target_archE942ELNS1_3gpuE9ELNS1_3repE0EEENS1_30default_config_static_selectorELNS0_4arch9wavefront6targetE1EEEvT1_,"axG",@progbits,_ZN7rocprim17ROCPRIM_400000_NS6detail17trampoline_kernelINS0_14default_configENS1_25partition_config_selectorILNS1_17partition_subalgoE8EjNS0_10empty_typeEbEEZZNS1_14partition_implILS5_8ELb0ES3_jN6thrust23THRUST_200600_302600_NS6detail15normal_iteratorINSA_10device_ptrIjEEEEPS6_PKS6_NS0_5tupleIJNSA_16discard_iteratorINSA_11use_defaultEEES6_EEENSJ_IJSG_SG_EEENS0_18inequality_wrapperINSA_8equal_toIjEEEEPmJS6_EEE10hipError_tPvRmT3_T4_T5_T6_T7_T9_mT8_P12ihipStream_tbDpT10_ENKUlT_T0_E_clISt17integral_constantIbLb0EES1C_IbLb1EEEEDaS18_S19_EUlS18_E_NS1_11comp_targetILNS1_3genE5ELNS1_11target_archE942ELNS1_3gpuE9ELNS1_3repE0EEENS1_30default_config_static_selectorELNS0_4arch9wavefront6targetE1EEEvT1_,comdat
	.protected	_ZN7rocprim17ROCPRIM_400000_NS6detail17trampoline_kernelINS0_14default_configENS1_25partition_config_selectorILNS1_17partition_subalgoE8EjNS0_10empty_typeEbEEZZNS1_14partition_implILS5_8ELb0ES3_jN6thrust23THRUST_200600_302600_NS6detail15normal_iteratorINSA_10device_ptrIjEEEEPS6_PKS6_NS0_5tupleIJNSA_16discard_iteratorINSA_11use_defaultEEES6_EEENSJ_IJSG_SG_EEENS0_18inequality_wrapperINSA_8equal_toIjEEEEPmJS6_EEE10hipError_tPvRmT3_T4_T5_T6_T7_T9_mT8_P12ihipStream_tbDpT10_ENKUlT_T0_E_clISt17integral_constantIbLb0EES1C_IbLb1EEEEDaS18_S19_EUlS18_E_NS1_11comp_targetILNS1_3genE5ELNS1_11target_archE942ELNS1_3gpuE9ELNS1_3repE0EEENS1_30default_config_static_selectorELNS0_4arch9wavefront6targetE1EEEvT1_ ; -- Begin function _ZN7rocprim17ROCPRIM_400000_NS6detail17trampoline_kernelINS0_14default_configENS1_25partition_config_selectorILNS1_17partition_subalgoE8EjNS0_10empty_typeEbEEZZNS1_14partition_implILS5_8ELb0ES3_jN6thrust23THRUST_200600_302600_NS6detail15normal_iteratorINSA_10device_ptrIjEEEEPS6_PKS6_NS0_5tupleIJNSA_16discard_iteratorINSA_11use_defaultEEES6_EEENSJ_IJSG_SG_EEENS0_18inequality_wrapperINSA_8equal_toIjEEEEPmJS6_EEE10hipError_tPvRmT3_T4_T5_T6_T7_T9_mT8_P12ihipStream_tbDpT10_ENKUlT_T0_E_clISt17integral_constantIbLb0EES1C_IbLb1EEEEDaS18_S19_EUlS18_E_NS1_11comp_targetILNS1_3genE5ELNS1_11target_archE942ELNS1_3gpuE9ELNS1_3repE0EEENS1_30default_config_static_selectorELNS0_4arch9wavefront6targetE1EEEvT1_
	.globl	_ZN7rocprim17ROCPRIM_400000_NS6detail17trampoline_kernelINS0_14default_configENS1_25partition_config_selectorILNS1_17partition_subalgoE8EjNS0_10empty_typeEbEEZZNS1_14partition_implILS5_8ELb0ES3_jN6thrust23THRUST_200600_302600_NS6detail15normal_iteratorINSA_10device_ptrIjEEEEPS6_PKS6_NS0_5tupleIJNSA_16discard_iteratorINSA_11use_defaultEEES6_EEENSJ_IJSG_SG_EEENS0_18inequality_wrapperINSA_8equal_toIjEEEEPmJS6_EEE10hipError_tPvRmT3_T4_T5_T6_T7_T9_mT8_P12ihipStream_tbDpT10_ENKUlT_T0_E_clISt17integral_constantIbLb0EES1C_IbLb1EEEEDaS18_S19_EUlS18_E_NS1_11comp_targetILNS1_3genE5ELNS1_11target_archE942ELNS1_3gpuE9ELNS1_3repE0EEENS1_30default_config_static_selectorELNS0_4arch9wavefront6targetE1EEEvT1_
	.p2align	8
	.type	_ZN7rocprim17ROCPRIM_400000_NS6detail17trampoline_kernelINS0_14default_configENS1_25partition_config_selectorILNS1_17partition_subalgoE8EjNS0_10empty_typeEbEEZZNS1_14partition_implILS5_8ELb0ES3_jN6thrust23THRUST_200600_302600_NS6detail15normal_iteratorINSA_10device_ptrIjEEEEPS6_PKS6_NS0_5tupleIJNSA_16discard_iteratorINSA_11use_defaultEEES6_EEENSJ_IJSG_SG_EEENS0_18inequality_wrapperINSA_8equal_toIjEEEEPmJS6_EEE10hipError_tPvRmT3_T4_T5_T6_T7_T9_mT8_P12ihipStream_tbDpT10_ENKUlT_T0_E_clISt17integral_constantIbLb0EES1C_IbLb1EEEEDaS18_S19_EUlS18_E_NS1_11comp_targetILNS1_3genE5ELNS1_11target_archE942ELNS1_3gpuE9ELNS1_3repE0EEENS1_30default_config_static_selectorELNS0_4arch9wavefront6targetE1EEEvT1_,@function
_ZN7rocprim17ROCPRIM_400000_NS6detail17trampoline_kernelINS0_14default_configENS1_25partition_config_selectorILNS1_17partition_subalgoE8EjNS0_10empty_typeEbEEZZNS1_14partition_implILS5_8ELb0ES3_jN6thrust23THRUST_200600_302600_NS6detail15normal_iteratorINSA_10device_ptrIjEEEEPS6_PKS6_NS0_5tupleIJNSA_16discard_iteratorINSA_11use_defaultEEES6_EEENSJ_IJSG_SG_EEENS0_18inequality_wrapperINSA_8equal_toIjEEEEPmJS6_EEE10hipError_tPvRmT3_T4_T5_T6_T7_T9_mT8_P12ihipStream_tbDpT10_ENKUlT_T0_E_clISt17integral_constantIbLb0EES1C_IbLb1EEEEDaS18_S19_EUlS18_E_NS1_11comp_targetILNS1_3genE5ELNS1_11target_archE942ELNS1_3gpuE9ELNS1_3repE0EEENS1_30default_config_static_selectorELNS0_4arch9wavefront6targetE1EEEvT1_: ; @_ZN7rocprim17ROCPRIM_400000_NS6detail17trampoline_kernelINS0_14default_configENS1_25partition_config_selectorILNS1_17partition_subalgoE8EjNS0_10empty_typeEbEEZZNS1_14partition_implILS5_8ELb0ES3_jN6thrust23THRUST_200600_302600_NS6detail15normal_iteratorINSA_10device_ptrIjEEEEPS6_PKS6_NS0_5tupleIJNSA_16discard_iteratorINSA_11use_defaultEEES6_EEENSJ_IJSG_SG_EEENS0_18inequality_wrapperINSA_8equal_toIjEEEEPmJS6_EEE10hipError_tPvRmT3_T4_T5_T6_T7_T9_mT8_P12ihipStream_tbDpT10_ENKUlT_T0_E_clISt17integral_constantIbLb0EES1C_IbLb1EEEEDaS18_S19_EUlS18_E_NS1_11comp_targetILNS1_3genE5ELNS1_11target_archE942ELNS1_3gpuE9ELNS1_3repE0EEENS1_30default_config_static_selectorELNS0_4arch9wavefront6targetE1EEEvT1_
; %bb.0:
	.section	.rodata,"a",@progbits
	.p2align	6, 0x0
	.amdhsa_kernel _ZN7rocprim17ROCPRIM_400000_NS6detail17trampoline_kernelINS0_14default_configENS1_25partition_config_selectorILNS1_17partition_subalgoE8EjNS0_10empty_typeEbEEZZNS1_14partition_implILS5_8ELb0ES3_jN6thrust23THRUST_200600_302600_NS6detail15normal_iteratorINSA_10device_ptrIjEEEEPS6_PKS6_NS0_5tupleIJNSA_16discard_iteratorINSA_11use_defaultEEES6_EEENSJ_IJSG_SG_EEENS0_18inequality_wrapperINSA_8equal_toIjEEEEPmJS6_EEE10hipError_tPvRmT3_T4_T5_T6_T7_T9_mT8_P12ihipStream_tbDpT10_ENKUlT_T0_E_clISt17integral_constantIbLb0EES1C_IbLb1EEEEDaS18_S19_EUlS18_E_NS1_11comp_targetILNS1_3genE5ELNS1_11target_archE942ELNS1_3gpuE9ELNS1_3repE0EEENS1_30default_config_static_selectorELNS0_4arch9wavefront6targetE1EEEvT1_
		.amdhsa_group_segment_fixed_size 0
		.amdhsa_private_segment_fixed_size 0
		.amdhsa_kernarg_size 136
		.amdhsa_user_sgpr_count 6
		.amdhsa_user_sgpr_private_segment_buffer 1
		.amdhsa_user_sgpr_dispatch_ptr 0
		.amdhsa_user_sgpr_queue_ptr 0
		.amdhsa_user_sgpr_kernarg_segment_ptr 1
		.amdhsa_user_sgpr_dispatch_id 0
		.amdhsa_user_sgpr_flat_scratch_init 0
		.amdhsa_user_sgpr_private_segment_size 0
		.amdhsa_uses_dynamic_stack 0
		.amdhsa_system_sgpr_private_segment_wavefront_offset 0
		.amdhsa_system_sgpr_workgroup_id_x 1
		.amdhsa_system_sgpr_workgroup_id_y 0
		.amdhsa_system_sgpr_workgroup_id_z 0
		.amdhsa_system_sgpr_workgroup_info 0
		.amdhsa_system_vgpr_workitem_id 0
		.amdhsa_next_free_vgpr 1
		.amdhsa_next_free_sgpr 0
		.amdhsa_reserve_vcc 0
		.amdhsa_reserve_flat_scratch 0
		.amdhsa_float_round_mode_32 0
		.amdhsa_float_round_mode_16_64 0
		.amdhsa_float_denorm_mode_32 3
		.amdhsa_float_denorm_mode_16_64 3
		.amdhsa_dx10_clamp 1
		.amdhsa_ieee_mode 1
		.amdhsa_fp16_overflow 0
		.amdhsa_exception_fp_ieee_invalid_op 0
		.amdhsa_exception_fp_denorm_src 0
		.amdhsa_exception_fp_ieee_div_zero 0
		.amdhsa_exception_fp_ieee_overflow 0
		.amdhsa_exception_fp_ieee_underflow 0
		.amdhsa_exception_fp_ieee_inexact 0
		.amdhsa_exception_int_div_zero 0
	.end_amdhsa_kernel
	.section	.text._ZN7rocprim17ROCPRIM_400000_NS6detail17trampoline_kernelINS0_14default_configENS1_25partition_config_selectorILNS1_17partition_subalgoE8EjNS0_10empty_typeEbEEZZNS1_14partition_implILS5_8ELb0ES3_jN6thrust23THRUST_200600_302600_NS6detail15normal_iteratorINSA_10device_ptrIjEEEEPS6_PKS6_NS0_5tupleIJNSA_16discard_iteratorINSA_11use_defaultEEES6_EEENSJ_IJSG_SG_EEENS0_18inequality_wrapperINSA_8equal_toIjEEEEPmJS6_EEE10hipError_tPvRmT3_T4_T5_T6_T7_T9_mT8_P12ihipStream_tbDpT10_ENKUlT_T0_E_clISt17integral_constantIbLb0EES1C_IbLb1EEEEDaS18_S19_EUlS18_E_NS1_11comp_targetILNS1_3genE5ELNS1_11target_archE942ELNS1_3gpuE9ELNS1_3repE0EEENS1_30default_config_static_selectorELNS0_4arch9wavefront6targetE1EEEvT1_,"axG",@progbits,_ZN7rocprim17ROCPRIM_400000_NS6detail17trampoline_kernelINS0_14default_configENS1_25partition_config_selectorILNS1_17partition_subalgoE8EjNS0_10empty_typeEbEEZZNS1_14partition_implILS5_8ELb0ES3_jN6thrust23THRUST_200600_302600_NS6detail15normal_iteratorINSA_10device_ptrIjEEEEPS6_PKS6_NS0_5tupleIJNSA_16discard_iteratorINSA_11use_defaultEEES6_EEENSJ_IJSG_SG_EEENS0_18inequality_wrapperINSA_8equal_toIjEEEEPmJS6_EEE10hipError_tPvRmT3_T4_T5_T6_T7_T9_mT8_P12ihipStream_tbDpT10_ENKUlT_T0_E_clISt17integral_constantIbLb0EES1C_IbLb1EEEEDaS18_S19_EUlS18_E_NS1_11comp_targetILNS1_3genE5ELNS1_11target_archE942ELNS1_3gpuE9ELNS1_3repE0EEENS1_30default_config_static_selectorELNS0_4arch9wavefront6targetE1EEEvT1_,comdat
.Lfunc_end590:
	.size	_ZN7rocprim17ROCPRIM_400000_NS6detail17trampoline_kernelINS0_14default_configENS1_25partition_config_selectorILNS1_17partition_subalgoE8EjNS0_10empty_typeEbEEZZNS1_14partition_implILS5_8ELb0ES3_jN6thrust23THRUST_200600_302600_NS6detail15normal_iteratorINSA_10device_ptrIjEEEEPS6_PKS6_NS0_5tupleIJNSA_16discard_iteratorINSA_11use_defaultEEES6_EEENSJ_IJSG_SG_EEENS0_18inequality_wrapperINSA_8equal_toIjEEEEPmJS6_EEE10hipError_tPvRmT3_T4_T5_T6_T7_T9_mT8_P12ihipStream_tbDpT10_ENKUlT_T0_E_clISt17integral_constantIbLb0EES1C_IbLb1EEEEDaS18_S19_EUlS18_E_NS1_11comp_targetILNS1_3genE5ELNS1_11target_archE942ELNS1_3gpuE9ELNS1_3repE0EEENS1_30default_config_static_selectorELNS0_4arch9wavefront6targetE1EEEvT1_, .Lfunc_end590-_ZN7rocprim17ROCPRIM_400000_NS6detail17trampoline_kernelINS0_14default_configENS1_25partition_config_selectorILNS1_17partition_subalgoE8EjNS0_10empty_typeEbEEZZNS1_14partition_implILS5_8ELb0ES3_jN6thrust23THRUST_200600_302600_NS6detail15normal_iteratorINSA_10device_ptrIjEEEEPS6_PKS6_NS0_5tupleIJNSA_16discard_iteratorINSA_11use_defaultEEES6_EEENSJ_IJSG_SG_EEENS0_18inequality_wrapperINSA_8equal_toIjEEEEPmJS6_EEE10hipError_tPvRmT3_T4_T5_T6_T7_T9_mT8_P12ihipStream_tbDpT10_ENKUlT_T0_E_clISt17integral_constantIbLb0EES1C_IbLb1EEEEDaS18_S19_EUlS18_E_NS1_11comp_targetILNS1_3genE5ELNS1_11target_archE942ELNS1_3gpuE9ELNS1_3repE0EEENS1_30default_config_static_selectorELNS0_4arch9wavefront6targetE1EEEvT1_
                                        ; -- End function
	.set _ZN7rocprim17ROCPRIM_400000_NS6detail17trampoline_kernelINS0_14default_configENS1_25partition_config_selectorILNS1_17partition_subalgoE8EjNS0_10empty_typeEbEEZZNS1_14partition_implILS5_8ELb0ES3_jN6thrust23THRUST_200600_302600_NS6detail15normal_iteratorINSA_10device_ptrIjEEEEPS6_PKS6_NS0_5tupleIJNSA_16discard_iteratorINSA_11use_defaultEEES6_EEENSJ_IJSG_SG_EEENS0_18inequality_wrapperINSA_8equal_toIjEEEEPmJS6_EEE10hipError_tPvRmT3_T4_T5_T6_T7_T9_mT8_P12ihipStream_tbDpT10_ENKUlT_T0_E_clISt17integral_constantIbLb0EES1C_IbLb1EEEEDaS18_S19_EUlS18_E_NS1_11comp_targetILNS1_3genE5ELNS1_11target_archE942ELNS1_3gpuE9ELNS1_3repE0EEENS1_30default_config_static_selectorELNS0_4arch9wavefront6targetE1EEEvT1_.num_vgpr, 0
	.set _ZN7rocprim17ROCPRIM_400000_NS6detail17trampoline_kernelINS0_14default_configENS1_25partition_config_selectorILNS1_17partition_subalgoE8EjNS0_10empty_typeEbEEZZNS1_14partition_implILS5_8ELb0ES3_jN6thrust23THRUST_200600_302600_NS6detail15normal_iteratorINSA_10device_ptrIjEEEEPS6_PKS6_NS0_5tupleIJNSA_16discard_iteratorINSA_11use_defaultEEES6_EEENSJ_IJSG_SG_EEENS0_18inequality_wrapperINSA_8equal_toIjEEEEPmJS6_EEE10hipError_tPvRmT3_T4_T5_T6_T7_T9_mT8_P12ihipStream_tbDpT10_ENKUlT_T0_E_clISt17integral_constantIbLb0EES1C_IbLb1EEEEDaS18_S19_EUlS18_E_NS1_11comp_targetILNS1_3genE5ELNS1_11target_archE942ELNS1_3gpuE9ELNS1_3repE0EEENS1_30default_config_static_selectorELNS0_4arch9wavefront6targetE1EEEvT1_.num_agpr, 0
	.set _ZN7rocprim17ROCPRIM_400000_NS6detail17trampoline_kernelINS0_14default_configENS1_25partition_config_selectorILNS1_17partition_subalgoE8EjNS0_10empty_typeEbEEZZNS1_14partition_implILS5_8ELb0ES3_jN6thrust23THRUST_200600_302600_NS6detail15normal_iteratorINSA_10device_ptrIjEEEEPS6_PKS6_NS0_5tupleIJNSA_16discard_iteratorINSA_11use_defaultEEES6_EEENSJ_IJSG_SG_EEENS0_18inequality_wrapperINSA_8equal_toIjEEEEPmJS6_EEE10hipError_tPvRmT3_T4_T5_T6_T7_T9_mT8_P12ihipStream_tbDpT10_ENKUlT_T0_E_clISt17integral_constantIbLb0EES1C_IbLb1EEEEDaS18_S19_EUlS18_E_NS1_11comp_targetILNS1_3genE5ELNS1_11target_archE942ELNS1_3gpuE9ELNS1_3repE0EEENS1_30default_config_static_selectorELNS0_4arch9wavefront6targetE1EEEvT1_.numbered_sgpr, 0
	.set _ZN7rocprim17ROCPRIM_400000_NS6detail17trampoline_kernelINS0_14default_configENS1_25partition_config_selectorILNS1_17partition_subalgoE8EjNS0_10empty_typeEbEEZZNS1_14partition_implILS5_8ELb0ES3_jN6thrust23THRUST_200600_302600_NS6detail15normal_iteratorINSA_10device_ptrIjEEEEPS6_PKS6_NS0_5tupleIJNSA_16discard_iteratorINSA_11use_defaultEEES6_EEENSJ_IJSG_SG_EEENS0_18inequality_wrapperINSA_8equal_toIjEEEEPmJS6_EEE10hipError_tPvRmT3_T4_T5_T6_T7_T9_mT8_P12ihipStream_tbDpT10_ENKUlT_T0_E_clISt17integral_constantIbLb0EES1C_IbLb1EEEEDaS18_S19_EUlS18_E_NS1_11comp_targetILNS1_3genE5ELNS1_11target_archE942ELNS1_3gpuE9ELNS1_3repE0EEENS1_30default_config_static_selectorELNS0_4arch9wavefront6targetE1EEEvT1_.num_named_barrier, 0
	.set _ZN7rocprim17ROCPRIM_400000_NS6detail17trampoline_kernelINS0_14default_configENS1_25partition_config_selectorILNS1_17partition_subalgoE8EjNS0_10empty_typeEbEEZZNS1_14partition_implILS5_8ELb0ES3_jN6thrust23THRUST_200600_302600_NS6detail15normal_iteratorINSA_10device_ptrIjEEEEPS6_PKS6_NS0_5tupleIJNSA_16discard_iteratorINSA_11use_defaultEEES6_EEENSJ_IJSG_SG_EEENS0_18inequality_wrapperINSA_8equal_toIjEEEEPmJS6_EEE10hipError_tPvRmT3_T4_T5_T6_T7_T9_mT8_P12ihipStream_tbDpT10_ENKUlT_T0_E_clISt17integral_constantIbLb0EES1C_IbLb1EEEEDaS18_S19_EUlS18_E_NS1_11comp_targetILNS1_3genE5ELNS1_11target_archE942ELNS1_3gpuE9ELNS1_3repE0EEENS1_30default_config_static_selectorELNS0_4arch9wavefront6targetE1EEEvT1_.private_seg_size, 0
	.set _ZN7rocprim17ROCPRIM_400000_NS6detail17trampoline_kernelINS0_14default_configENS1_25partition_config_selectorILNS1_17partition_subalgoE8EjNS0_10empty_typeEbEEZZNS1_14partition_implILS5_8ELb0ES3_jN6thrust23THRUST_200600_302600_NS6detail15normal_iteratorINSA_10device_ptrIjEEEEPS6_PKS6_NS0_5tupleIJNSA_16discard_iteratorINSA_11use_defaultEEES6_EEENSJ_IJSG_SG_EEENS0_18inequality_wrapperINSA_8equal_toIjEEEEPmJS6_EEE10hipError_tPvRmT3_T4_T5_T6_T7_T9_mT8_P12ihipStream_tbDpT10_ENKUlT_T0_E_clISt17integral_constantIbLb0EES1C_IbLb1EEEEDaS18_S19_EUlS18_E_NS1_11comp_targetILNS1_3genE5ELNS1_11target_archE942ELNS1_3gpuE9ELNS1_3repE0EEENS1_30default_config_static_selectorELNS0_4arch9wavefront6targetE1EEEvT1_.uses_vcc, 0
	.set _ZN7rocprim17ROCPRIM_400000_NS6detail17trampoline_kernelINS0_14default_configENS1_25partition_config_selectorILNS1_17partition_subalgoE8EjNS0_10empty_typeEbEEZZNS1_14partition_implILS5_8ELb0ES3_jN6thrust23THRUST_200600_302600_NS6detail15normal_iteratorINSA_10device_ptrIjEEEEPS6_PKS6_NS0_5tupleIJNSA_16discard_iteratorINSA_11use_defaultEEES6_EEENSJ_IJSG_SG_EEENS0_18inequality_wrapperINSA_8equal_toIjEEEEPmJS6_EEE10hipError_tPvRmT3_T4_T5_T6_T7_T9_mT8_P12ihipStream_tbDpT10_ENKUlT_T0_E_clISt17integral_constantIbLb0EES1C_IbLb1EEEEDaS18_S19_EUlS18_E_NS1_11comp_targetILNS1_3genE5ELNS1_11target_archE942ELNS1_3gpuE9ELNS1_3repE0EEENS1_30default_config_static_selectorELNS0_4arch9wavefront6targetE1EEEvT1_.uses_flat_scratch, 0
	.set _ZN7rocprim17ROCPRIM_400000_NS6detail17trampoline_kernelINS0_14default_configENS1_25partition_config_selectorILNS1_17partition_subalgoE8EjNS0_10empty_typeEbEEZZNS1_14partition_implILS5_8ELb0ES3_jN6thrust23THRUST_200600_302600_NS6detail15normal_iteratorINSA_10device_ptrIjEEEEPS6_PKS6_NS0_5tupleIJNSA_16discard_iteratorINSA_11use_defaultEEES6_EEENSJ_IJSG_SG_EEENS0_18inequality_wrapperINSA_8equal_toIjEEEEPmJS6_EEE10hipError_tPvRmT3_T4_T5_T6_T7_T9_mT8_P12ihipStream_tbDpT10_ENKUlT_T0_E_clISt17integral_constantIbLb0EES1C_IbLb1EEEEDaS18_S19_EUlS18_E_NS1_11comp_targetILNS1_3genE5ELNS1_11target_archE942ELNS1_3gpuE9ELNS1_3repE0EEENS1_30default_config_static_selectorELNS0_4arch9wavefront6targetE1EEEvT1_.has_dyn_sized_stack, 0
	.set _ZN7rocprim17ROCPRIM_400000_NS6detail17trampoline_kernelINS0_14default_configENS1_25partition_config_selectorILNS1_17partition_subalgoE8EjNS0_10empty_typeEbEEZZNS1_14partition_implILS5_8ELb0ES3_jN6thrust23THRUST_200600_302600_NS6detail15normal_iteratorINSA_10device_ptrIjEEEEPS6_PKS6_NS0_5tupleIJNSA_16discard_iteratorINSA_11use_defaultEEES6_EEENSJ_IJSG_SG_EEENS0_18inequality_wrapperINSA_8equal_toIjEEEEPmJS6_EEE10hipError_tPvRmT3_T4_T5_T6_T7_T9_mT8_P12ihipStream_tbDpT10_ENKUlT_T0_E_clISt17integral_constantIbLb0EES1C_IbLb1EEEEDaS18_S19_EUlS18_E_NS1_11comp_targetILNS1_3genE5ELNS1_11target_archE942ELNS1_3gpuE9ELNS1_3repE0EEENS1_30default_config_static_selectorELNS0_4arch9wavefront6targetE1EEEvT1_.has_recursion, 0
	.set _ZN7rocprim17ROCPRIM_400000_NS6detail17trampoline_kernelINS0_14default_configENS1_25partition_config_selectorILNS1_17partition_subalgoE8EjNS0_10empty_typeEbEEZZNS1_14partition_implILS5_8ELb0ES3_jN6thrust23THRUST_200600_302600_NS6detail15normal_iteratorINSA_10device_ptrIjEEEEPS6_PKS6_NS0_5tupleIJNSA_16discard_iteratorINSA_11use_defaultEEES6_EEENSJ_IJSG_SG_EEENS0_18inequality_wrapperINSA_8equal_toIjEEEEPmJS6_EEE10hipError_tPvRmT3_T4_T5_T6_T7_T9_mT8_P12ihipStream_tbDpT10_ENKUlT_T0_E_clISt17integral_constantIbLb0EES1C_IbLb1EEEEDaS18_S19_EUlS18_E_NS1_11comp_targetILNS1_3genE5ELNS1_11target_archE942ELNS1_3gpuE9ELNS1_3repE0EEENS1_30default_config_static_selectorELNS0_4arch9wavefront6targetE1EEEvT1_.has_indirect_call, 0
	.section	.AMDGPU.csdata,"",@progbits
; Kernel info:
; codeLenInByte = 0
; TotalNumSgprs: 4
; NumVgprs: 0
; ScratchSize: 0
; MemoryBound: 0
; FloatMode: 240
; IeeeMode: 1
; LDSByteSize: 0 bytes/workgroup (compile time only)
; SGPRBlocks: 0
; VGPRBlocks: 0
; NumSGPRsForWavesPerEU: 4
; NumVGPRsForWavesPerEU: 1
; Occupancy: 10
; WaveLimiterHint : 0
; COMPUTE_PGM_RSRC2:SCRATCH_EN: 0
; COMPUTE_PGM_RSRC2:USER_SGPR: 6
; COMPUTE_PGM_RSRC2:TRAP_HANDLER: 0
; COMPUTE_PGM_RSRC2:TGID_X_EN: 1
; COMPUTE_PGM_RSRC2:TGID_Y_EN: 0
; COMPUTE_PGM_RSRC2:TGID_Z_EN: 0
; COMPUTE_PGM_RSRC2:TIDIG_COMP_CNT: 0
	.section	.text._ZN7rocprim17ROCPRIM_400000_NS6detail17trampoline_kernelINS0_14default_configENS1_25partition_config_selectorILNS1_17partition_subalgoE8EjNS0_10empty_typeEbEEZZNS1_14partition_implILS5_8ELb0ES3_jN6thrust23THRUST_200600_302600_NS6detail15normal_iteratorINSA_10device_ptrIjEEEEPS6_PKS6_NS0_5tupleIJNSA_16discard_iteratorINSA_11use_defaultEEES6_EEENSJ_IJSG_SG_EEENS0_18inequality_wrapperINSA_8equal_toIjEEEEPmJS6_EEE10hipError_tPvRmT3_T4_T5_T6_T7_T9_mT8_P12ihipStream_tbDpT10_ENKUlT_T0_E_clISt17integral_constantIbLb0EES1C_IbLb1EEEEDaS18_S19_EUlS18_E_NS1_11comp_targetILNS1_3genE4ELNS1_11target_archE910ELNS1_3gpuE8ELNS1_3repE0EEENS1_30default_config_static_selectorELNS0_4arch9wavefront6targetE1EEEvT1_,"axG",@progbits,_ZN7rocprim17ROCPRIM_400000_NS6detail17trampoline_kernelINS0_14default_configENS1_25partition_config_selectorILNS1_17partition_subalgoE8EjNS0_10empty_typeEbEEZZNS1_14partition_implILS5_8ELb0ES3_jN6thrust23THRUST_200600_302600_NS6detail15normal_iteratorINSA_10device_ptrIjEEEEPS6_PKS6_NS0_5tupleIJNSA_16discard_iteratorINSA_11use_defaultEEES6_EEENSJ_IJSG_SG_EEENS0_18inequality_wrapperINSA_8equal_toIjEEEEPmJS6_EEE10hipError_tPvRmT3_T4_T5_T6_T7_T9_mT8_P12ihipStream_tbDpT10_ENKUlT_T0_E_clISt17integral_constantIbLb0EES1C_IbLb1EEEEDaS18_S19_EUlS18_E_NS1_11comp_targetILNS1_3genE4ELNS1_11target_archE910ELNS1_3gpuE8ELNS1_3repE0EEENS1_30default_config_static_selectorELNS0_4arch9wavefront6targetE1EEEvT1_,comdat
	.protected	_ZN7rocprim17ROCPRIM_400000_NS6detail17trampoline_kernelINS0_14default_configENS1_25partition_config_selectorILNS1_17partition_subalgoE8EjNS0_10empty_typeEbEEZZNS1_14partition_implILS5_8ELb0ES3_jN6thrust23THRUST_200600_302600_NS6detail15normal_iteratorINSA_10device_ptrIjEEEEPS6_PKS6_NS0_5tupleIJNSA_16discard_iteratorINSA_11use_defaultEEES6_EEENSJ_IJSG_SG_EEENS0_18inequality_wrapperINSA_8equal_toIjEEEEPmJS6_EEE10hipError_tPvRmT3_T4_T5_T6_T7_T9_mT8_P12ihipStream_tbDpT10_ENKUlT_T0_E_clISt17integral_constantIbLb0EES1C_IbLb1EEEEDaS18_S19_EUlS18_E_NS1_11comp_targetILNS1_3genE4ELNS1_11target_archE910ELNS1_3gpuE8ELNS1_3repE0EEENS1_30default_config_static_selectorELNS0_4arch9wavefront6targetE1EEEvT1_ ; -- Begin function _ZN7rocprim17ROCPRIM_400000_NS6detail17trampoline_kernelINS0_14default_configENS1_25partition_config_selectorILNS1_17partition_subalgoE8EjNS0_10empty_typeEbEEZZNS1_14partition_implILS5_8ELb0ES3_jN6thrust23THRUST_200600_302600_NS6detail15normal_iteratorINSA_10device_ptrIjEEEEPS6_PKS6_NS0_5tupleIJNSA_16discard_iteratorINSA_11use_defaultEEES6_EEENSJ_IJSG_SG_EEENS0_18inequality_wrapperINSA_8equal_toIjEEEEPmJS6_EEE10hipError_tPvRmT3_T4_T5_T6_T7_T9_mT8_P12ihipStream_tbDpT10_ENKUlT_T0_E_clISt17integral_constantIbLb0EES1C_IbLb1EEEEDaS18_S19_EUlS18_E_NS1_11comp_targetILNS1_3genE4ELNS1_11target_archE910ELNS1_3gpuE8ELNS1_3repE0EEENS1_30default_config_static_selectorELNS0_4arch9wavefront6targetE1EEEvT1_
	.globl	_ZN7rocprim17ROCPRIM_400000_NS6detail17trampoline_kernelINS0_14default_configENS1_25partition_config_selectorILNS1_17partition_subalgoE8EjNS0_10empty_typeEbEEZZNS1_14partition_implILS5_8ELb0ES3_jN6thrust23THRUST_200600_302600_NS6detail15normal_iteratorINSA_10device_ptrIjEEEEPS6_PKS6_NS0_5tupleIJNSA_16discard_iteratorINSA_11use_defaultEEES6_EEENSJ_IJSG_SG_EEENS0_18inequality_wrapperINSA_8equal_toIjEEEEPmJS6_EEE10hipError_tPvRmT3_T4_T5_T6_T7_T9_mT8_P12ihipStream_tbDpT10_ENKUlT_T0_E_clISt17integral_constantIbLb0EES1C_IbLb1EEEEDaS18_S19_EUlS18_E_NS1_11comp_targetILNS1_3genE4ELNS1_11target_archE910ELNS1_3gpuE8ELNS1_3repE0EEENS1_30default_config_static_selectorELNS0_4arch9wavefront6targetE1EEEvT1_
	.p2align	8
	.type	_ZN7rocprim17ROCPRIM_400000_NS6detail17trampoline_kernelINS0_14default_configENS1_25partition_config_selectorILNS1_17partition_subalgoE8EjNS0_10empty_typeEbEEZZNS1_14partition_implILS5_8ELb0ES3_jN6thrust23THRUST_200600_302600_NS6detail15normal_iteratorINSA_10device_ptrIjEEEEPS6_PKS6_NS0_5tupleIJNSA_16discard_iteratorINSA_11use_defaultEEES6_EEENSJ_IJSG_SG_EEENS0_18inequality_wrapperINSA_8equal_toIjEEEEPmJS6_EEE10hipError_tPvRmT3_T4_T5_T6_T7_T9_mT8_P12ihipStream_tbDpT10_ENKUlT_T0_E_clISt17integral_constantIbLb0EES1C_IbLb1EEEEDaS18_S19_EUlS18_E_NS1_11comp_targetILNS1_3genE4ELNS1_11target_archE910ELNS1_3gpuE8ELNS1_3repE0EEENS1_30default_config_static_selectorELNS0_4arch9wavefront6targetE1EEEvT1_,@function
_ZN7rocprim17ROCPRIM_400000_NS6detail17trampoline_kernelINS0_14default_configENS1_25partition_config_selectorILNS1_17partition_subalgoE8EjNS0_10empty_typeEbEEZZNS1_14partition_implILS5_8ELb0ES3_jN6thrust23THRUST_200600_302600_NS6detail15normal_iteratorINSA_10device_ptrIjEEEEPS6_PKS6_NS0_5tupleIJNSA_16discard_iteratorINSA_11use_defaultEEES6_EEENSJ_IJSG_SG_EEENS0_18inequality_wrapperINSA_8equal_toIjEEEEPmJS6_EEE10hipError_tPvRmT3_T4_T5_T6_T7_T9_mT8_P12ihipStream_tbDpT10_ENKUlT_T0_E_clISt17integral_constantIbLb0EES1C_IbLb1EEEEDaS18_S19_EUlS18_E_NS1_11comp_targetILNS1_3genE4ELNS1_11target_archE910ELNS1_3gpuE8ELNS1_3repE0EEENS1_30default_config_static_selectorELNS0_4arch9wavefront6targetE1EEEvT1_: ; @_ZN7rocprim17ROCPRIM_400000_NS6detail17trampoline_kernelINS0_14default_configENS1_25partition_config_selectorILNS1_17partition_subalgoE8EjNS0_10empty_typeEbEEZZNS1_14partition_implILS5_8ELb0ES3_jN6thrust23THRUST_200600_302600_NS6detail15normal_iteratorINSA_10device_ptrIjEEEEPS6_PKS6_NS0_5tupleIJNSA_16discard_iteratorINSA_11use_defaultEEES6_EEENSJ_IJSG_SG_EEENS0_18inequality_wrapperINSA_8equal_toIjEEEEPmJS6_EEE10hipError_tPvRmT3_T4_T5_T6_T7_T9_mT8_P12ihipStream_tbDpT10_ENKUlT_T0_E_clISt17integral_constantIbLb0EES1C_IbLb1EEEEDaS18_S19_EUlS18_E_NS1_11comp_targetILNS1_3genE4ELNS1_11target_archE910ELNS1_3gpuE8ELNS1_3repE0EEENS1_30default_config_static_selectorELNS0_4arch9wavefront6targetE1EEEvT1_
; %bb.0:
	.section	.rodata,"a",@progbits
	.p2align	6, 0x0
	.amdhsa_kernel _ZN7rocprim17ROCPRIM_400000_NS6detail17trampoline_kernelINS0_14default_configENS1_25partition_config_selectorILNS1_17partition_subalgoE8EjNS0_10empty_typeEbEEZZNS1_14partition_implILS5_8ELb0ES3_jN6thrust23THRUST_200600_302600_NS6detail15normal_iteratorINSA_10device_ptrIjEEEEPS6_PKS6_NS0_5tupleIJNSA_16discard_iteratorINSA_11use_defaultEEES6_EEENSJ_IJSG_SG_EEENS0_18inequality_wrapperINSA_8equal_toIjEEEEPmJS6_EEE10hipError_tPvRmT3_T4_T5_T6_T7_T9_mT8_P12ihipStream_tbDpT10_ENKUlT_T0_E_clISt17integral_constantIbLb0EES1C_IbLb1EEEEDaS18_S19_EUlS18_E_NS1_11comp_targetILNS1_3genE4ELNS1_11target_archE910ELNS1_3gpuE8ELNS1_3repE0EEENS1_30default_config_static_selectorELNS0_4arch9wavefront6targetE1EEEvT1_
		.amdhsa_group_segment_fixed_size 0
		.amdhsa_private_segment_fixed_size 0
		.amdhsa_kernarg_size 136
		.amdhsa_user_sgpr_count 6
		.amdhsa_user_sgpr_private_segment_buffer 1
		.amdhsa_user_sgpr_dispatch_ptr 0
		.amdhsa_user_sgpr_queue_ptr 0
		.amdhsa_user_sgpr_kernarg_segment_ptr 1
		.amdhsa_user_sgpr_dispatch_id 0
		.amdhsa_user_sgpr_flat_scratch_init 0
		.amdhsa_user_sgpr_private_segment_size 0
		.amdhsa_uses_dynamic_stack 0
		.amdhsa_system_sgpr_private_segment_wavefront_offset 0
		.amdhsa_system_sgpr_workgroup_id_x 1
		.amdhsa_system_sgpr_workgroup_id_y 0
		.amdhsa_system_sgpr_workgroup_id_z 0
		.amdhsa_system_sgpr_workgroup_info 0
		.amdhsa_system_vgpr_workitem_id 0
		.amdhsa_next_free_vgpr 1
		.amdhsa_next_free_sgpr 0
		.amdhsa_reserve_vcc 0
		.amdhsa_reserve_flat_scratch 0
		.amdhsa_float_round_mode_32 0
		.amdhsa_float_round_mode_16_64 0
		.amdhsa_float_denorm_mode_32 3
		.amdhsa_float_denorm_mode_16_64 3
		.amdhsa_dx10_clamp 1
		.amdhsa_ieee_mode 1
		.amdhsa_fp16_overflow 0
		.amdhsa_exception_fp_ieee_invalid_op 0
		.amdhsa_exception_fp_denorm_src 0
		.amdhsa_exception_fp_ieee_div_zero 0
		.amdhsa_exception_fp_ieee_overflow 0
		.amdhsa_exception_fp_ieee_underflow 0
		.amdhsa_exception_fp_ieee_inexact 0
		.amdhsa_exception_int_div_zero 0
	.end_amdhsa_kernel
	.section	.text._ZN7rocprim17ROCPRIM_400000_NS6detail17trampoline_kernelINS0_14default_configENS1_25partition_config_selectorILNS1_17partition_subalgoE8EjNS0_10empty_typeEbEEZZNS1_14partition_implILS5_8ELb0ES3_jN6thrust23THRUST_200600_302600_NS6detail15normal_iteratorINSA_10device_ptrIjEEEEPS6_PKS6_NS0_5tupleIJNSA_16discard_iteratorINSA_11use_defaultEEES6_EEENSJ_IJSG_SG_EEENS0_18inequality_wrapperINSA_8equal_toIjEEEEPmJS6_EEE10hipError_tPvRmT3_T4_T5_T6_T7_T9_mT8_P12ihipStream_tbDpT10_ENKUlT_T0_E_clISt17integral_constantIbLb0EES1C_IbLb1EEEEDaS18_S19_EUlS18_E_NS1_11comp_targetILNS1_3genE4ELNS1_11target_archE910ELNS1_3gpuE8ELNS1_3repE0EEENS1_30default_config_static_selectorELNS0_4arch9wavefront6targetE1EEEvT1_,"axG",@progbits,_ZN7rocprim17ROCPRIM_400000_NS6detail17trampoline_kernelINS0_14default_configENS1_25partition_config_selectorILNS1_17partition_subalgoE8EjNS0_10empty_typeEbEEZZNS1_14partition_implILS5_8ELb0ES3_jN6thrust23THRUST_200600_302600_NS6detail15normal_iteratorINSA_10device_ptrIjEEEEPS6_PKS6_NS0_5tupleIJNSA_16discard_iteratorINSA_11use_defaultEEES6_EEENSJ_IJSG_SG_EEENS0_18inequality_wrapperINSA_8equal_toIjEEEEPmJS6_EEE10hipError_tPvRmT3_T4_T5_T6_T7_T9_mT8_P12ihipStream_tbDpT10_ENKUlT_T0_E_clISt17integral_constantIbLb0EES1C_IbLb1EEEEDaS18_S19_EUlS18_E_NS1_11comp_targetILNS1_3genE4ELNS1_11target_archE910ELNS1_3gpuE8ELNS1_3repE0EEENS1_30default_config_static_selectorELNS0_4arch9wavefront6targetE1EEEvT1_,comdat
.Lfunc_end591:
	.size	_ZN7rocprim17ROCPRIM_400000_NS6detail17trampoline_kernelINS0_14default_configENS1_25partition_config_selectorILNS1_17partition_subalgoE8EjNS0_10empty_typeEbEEZZNS1_14partition_implILS5_8ELb0ES3_jN6thrust23THRUST_200600_302600_NS6detail15normal_iteratorINSA_10device_ptrIjEEEEPS6_PKS6_NS0_5tupleIJNSA_16discard_iteratorINSA_11use_defaultEEES6_EEENSJ_IJSG_SG_EEENS0_18inequality_wrapperINSA_8equal_toIjEEEEPmJS6_EEE10hipError_tPvRmT3_T4_T5_T6_T7_T9_mT8_P12ihipStream_tbDpT10_ENKUlT_T0_E_clISt17integral_constantIbLb0EES1C_IbLb1EEEEDaS18_S19_EUlS18_E_NS1_11comp_targetILNS1_3genE4ELNS1_11target_archE910ELNS1_3gpuE8ELNS1_3repE0EEENS1_30default_config_static_selectorELNS0_4arch9wavefront6targetE1EEEvT1_, .Lfunc_end591-_ZN7rocprim17ROCPRIM_400000_NS6detail17trampoline_kernelINS0_14default_configENS1_25partition_config_selectorILNS1_17partition_subalgoE8EjNS0_10empty_typeEbEEZZNS1_14partition_implILS5_8ELb0ES3_jN6thrust23THRUST_200600_302600_NS6detail15normal_iteratorINSA_10device_ptrIjEEEEPS6_PKS6_NS0_5tupleIJNSA_16discard_iteratorINSA_11use_defaultEEES6_EEENSJ_IJSG_SG_EEENS0_18inequality_wrapperINSA_8equal_toIjEEEEPmJS6_EEE10hipError_tPvRmT3_T4_T5_T6_T7_T9_mT8_P12ihipStream_tbDpT10_ENKUlT_T0_E_clISt17integral_constantIbLb0EES1C_IbLb1EEEEDaS18_S19_EUlS18_E_NS1_11comp_targetILNS1_3genE4ELNS1_11target_archE910ELNS1_3gpuE8ELNS1_3repE0EEENS1_30default_config_static_selectorELNS0_4arch9wavefront6targetE1EEEvT1_
                                        ; -- End function
	.set _ZN7rocprim17ROCPRIM_400000_NS6detail17trampoline_kernelINS0_14default_configENS1_25partition_config_selectorILNS1_17partition_subalgoE8EjNS0_10empty_typeEbEEZZNS1_14partition_implILS5_8ELb0ES3_jN6thrust23THRUST_200600_302600_NS6detail15normal_iteratorINSA_10device_ptrIjEEEEPS6_PKS6_NS0_5tupleIJNSA_16discard_iteratorINSA_11use_defaultEEES6_EEENSJ_IJSG_SG_EEENS0_18inequality_wrapperINSA_8equal_toIjEEEEPmJS6_EEE10hipError_tPvRmT3_T4_T5_T6_T7_T9_mT8_P12ihipStream_tbDpT10_ENKUlT_T0_E_clISt17integral_constantIbLb0EES1C_IbLb1EEEEDaS18_S19_EUlS18_E_NS1_11comp_targetILNS1_3genE4ELNS1_11target_archE910ELNS1_3gpuE8ELNS1_3repE0EEENS1_30default_config_static_selectorELNS0_4arch9wavefront6targetE1EEEvT1_.num_vgpr, 0
	.set _ZN7rocprim17ROCPRIM_400000_NS6detail17trampoline_kernelINS0_14default_configENS1_25partition_config_selectorILNS1_17partition_subalgoE8EjNS0_10empty_typeEbEEZZNS1_14partition_implILS5_8ELb0ES3_jN6thrust23THRUST_200600_302600_NS6detail15normal_iteratorINSA_10device_ptrIjEEEEPS6_PKS6_NS0_5tupleIJNSA_16discard_iteratorINSA_11use_defaultEEES6_EEENSJ_IJSG_SG_EEENS0_18inequality_wrapperINSA_8equal_toIjEEEEPmJS6_EEE10hipError_tPvRmT3_T4_T5_T6_T7_T9_mT8_P12ihipStream_tbDpT10_ENKUlT_T0_E_clISt17integral_constantIbLb0EES1C_IbLb1EEEEDaS18_S19_EUlS18_E_NS1_11comp_targetILNS1_3genE4ELNS1_11target_archE910ELNS1_3gpuE8ELNS1_3repE0EEENS1_30default_config_static_selectorELNS0_4arch9wavefront6targetE1EEEvT1_.num_agpr, 0
	.set _ZN7rocprim17ROCPRIM_400000_NS6detail17trampoline_kernelINS0_14default_configENS1_25partition_config_selectorILNS1_17partition_subalgoE8EjNS0_10empty_typeEbEEZZNS1_14partition_implILS5_8ELb0ES3_jN6thrust23THRUST_200600_302600_NS6detail15normal_iteratorINSA_10device_ptrIjEEEEPS6_PKS6_NS0_5tupleIJNSA_16discard_iteratorINSA_11use_defaultEEES6_EEENSJ_IJSG_SG_EEENS0_18inequality_wrapperINSA_8equal_toIjEEEEPmJS6_EEE10hipError_tPvRmT3_T4_T5_T6_T7_T9_mT8_P12ihipStream_tbDpT10_ENKUlT_T0_E_clISt17integral_constantIbLb0EES1C_IbLb1EEEEDaS18_S19_EUlS18_E_NS1_11comp_targetILNS1_3genE4ELNS1_11target_archE910ELNS1_3gpuE8ELNS1_3repE0EEENS1_30default_config_static_selectorELNS0_4arch9wavefront6targetE1EEEvT1_.numbered_sgpr, 0
	.set _ZN7rocprim17ROCPRIM_400000_NS6detail17trampoline_kernelINS0_14default_configENS1_25partition_config_selectorILNS1_17partition_subalgoE8EjNS0_10empty_typeEbEEZZNS1_14partition_implILS5_8ELb0ES3_jN6thrust23THRUST_200600_302600_NS6detail15normal_iteratorINSA_10device_ptrIjEEEEPS6_PKS6_NS0_5tupleIJNSA_16discard_iteratorINSA_11use_defaultEEES6_EEENSJ_IJSG_SG_EEENS0_18inequality_wrapperINSA_8equal_toIjEEEEPmJS6_EEE10hipError_tPvRmT3_T4_T5_T6_T7_T9_mT8_P12ihipStream_tbDpT10_ENKUlT_T0_E_clISt17integral_constantIbLb0EES1C_IbLb1EEEEDaS18_S19_EUlS18_E_NS1_11comp_targetILNS1_3genE4ELNS1_11target_archE910ELNS1_3gpuE8ELNS1_3repE0EEENS1_30default_config_static_selectorELNS0_4arch9wavefront6targetE1EEEvT1_.num_named_barrier, 0
	.set _ZN7rocprim17ROCPRIM_400000_NS6detail17trampoline_kernelINS0_14default_configENS1_25partition_config_selectorILNS1_17partition_subalgoE8EjNS0_10empty_typeEbEEZZNS1_14partition_implILS5_8ELb0ES3_jN6thrust23THRUST_200600_302600_NS6detail15normal_iteratorINSA_10device_ptrIjEEEEPS6_PKS6_NS0_5tupleIJNSA_16discard_iteratorINSA_11use_defaultEEES6_EEENSJ_IJSG_SG_EEENS0_18inequality_wrapperINSA_8equal_toIjEEEEPmJS6_EEE10hipError_tPvRmT3_T4_T5_T6_T7_T9_mT8_P12ihipStream_tbDpT10_ENKUlT_T0_E_clISt17integral_constantIbLb0EES1C_IbLb1EEEEDaS18_S19_EUlS18_E_NS1_11comp_targetILNS1_3genE4ELNS1_11target_archE910ELNS1_3gpuE8ELNS1_3repE0EEENS1_30default_config_static_selectorELNS0_4arch9wavefront6targetE1EEEvT1_.private_seg_size, 0
	.set _ZN7rocprim17ROCPRIM_400000_NS6detail17trampoline_kernelINS0_14default_configENS1_25partition_config_selectorILNS1_17partition_subalgoE8EjNS0_10empty_typeEbEEZZNS1_14partition_implILS5_8ELb0ES3_jN6thrust23THRUST_200600_302600_NS6detail15normal_iteratorINSA_10device_ptrIjEEEEPS6_PKS6_NS0_5tupleIJNSA_16discard_iteratorINSA_11use_defaultEEES6_EEENSJ_IJSG_SG_EEENS0_18inequality_wrapperINSA_8equal_toIjEEEEPmJS6_EEE10hipError_tPvRmT3_T4_T5_T6_T7_T9_mT8_P12ihipStream_tbDpT10_ENKUlT_T0_E_clISt17integral_constantIbLb0EES1C_IbLb1EEEEDaS18_S19_EUlS18_E_NS1_11comp_targetILNS1_3genE4ELNS1_11target_archE910ELNS1_3gpuE8ELNS1_3repE0EEENS1_30default_config_static_selectorELNS0_4arch9wavefront6targetE1EEEvT1_.uses_vcc, 0
	.set _ZN7rocprim17ROCPRIM_400000_NS6detail17trampoline_kernelINS0_14default_configENS1_25partition_config_selectorILNS1_17partition_subalgoE8EjNS0_10empty_typeEbEEZZNS1_14partition_implILS5_8ELb0ES3_jN6thrust23THRUST_200600_302600_NS6detail15normal_iteratorINSA_10device_ptrIjEEEEPS6_PKS6_NS0_5tupleIJNSA_16discard_iteratorINSA_11use_defaultEEES6_EEENSJ_IJSG_SG_EEENS0_18inequality_wrapperINSA_8equal_toIjEEEEPmJS6_EEE10hipError_tPvRmT3_T4_T5_T6_T7_T9_mT8_P12ihipStream_tbDpT10_ENKUlT_T0_E_clISt17integral_constantIbLb0EES1C_IbLb1EEEEDaS18_S19_EUlS18_E_NS1_11comp_targetILNS1_3genE4ELNS1_11target_archE910ELNS1_3gpuE8ELNS1_3repE0EEENS1_30default_config_static_selectorELNS0_4arch9wavefront6targetE1EEEvT1_.uses_flat_scratch, 0
	.set _ZN7rocprim17ROCPRIM_400000_NS6detail17trampoline_kernelINS0_14default_configENS1_25partition_config_selectorILNS1_17partition_subalgoE8EjNS0_10empty_typeEbEEZZNS1_14partition_implILS5_8ELb0ES3_jN6thrust23THRUST_200600_302600_NS6detail15normal_iteratorINSA_10device_ptrIjEEEEPS6_PKS6_NS0_5tupleIJNSA_16discard_iteratorINSA_11use_defaultEEES6_EEENSJ_IJSG_SG_EEENS0_18inequality_wrapperINSA_8equal_toIjEEEEPmJS6_EEE10hipError_tPvRmT3_T4_T5_T6_T7_T9_mT8_P12ihipStream_tbDpT10_ENKUlT_T0_E_clISt17integral_constantIbLb0EES1C_IbLb1EEEEDaS18_S19_EUlS18_E_NS1_11comp_targetILNS1_3genE4ELNS1_11target_archE910ELNS1_3gpuE8ELNS1_3repE0EEENS1_30default_config_static_selectorELNS0_4arch9wavefront6targetE1EEEvT1_.has_dyn_sized_stack, 0
	.set _ZN7rocprim17ROCPRIM_400000_NS6detail17trampoline_kernelINS0_14default_configENS1_25partition_config_selectorILNS1_17partition_subalgoE8EjNS0_10empty_typeEbEEZZNS1_14partition_implILS5_8ELb0ES3_jN6thrust23THRUST_200600_302600_NS6detail15normal_iteratorINSA_10device_ptrIjEEEEPS6_PKS6_NS0_5tupleIJNSA_16discard_iteratorINSA_11use_defaultEEES6_EEENSJ_IJSG_SG_EEENS0_18inequality_wrapperINSA_8equal_toIjEEEEPmJS6_EEE10hipError_tPvRmT3_T4_T5_T6_T7_T9_mT8_P12ihipStream_tbDpT10_ENKUlT_T0_E_clISt17integral_constantIbLb0EES1C_IbLb1EEEEDaS18_S19_EUlS18_E_NS1_11comp_targetILNS1_3genE4ELNS1_11target_archE910ELNS1_3gpuE8ELNS1_3repE0EEENS1_30default_config_static_selectorELNS0_4arch9wavefront6targetE1EEEvT1_.has_recursion, 0
	.set _ZN7rocprim17ROCPRIM_400000_NS6detail17trampoline_kernelINS0_14default_configENS1_25partition_config_selectorILNS1_17partition_subalgoE8EjNS0_10empty_typeEbEEZZNS1_14partition_implILS5_8ELb0ES3_jN6thrust23THRUST_200600_302600_NS6detail15normal_iteratorINSA_10device_ptrIjEEEEPS6_PKS6_NS0_5tupleIJNSA_16discard_iteratorINSA_11use_defaultEEES6_EEENSJ_IJSG_SG_EEENS0_18inequality_wrapperINSA_8equal_toIjEEEEPmJS6_EEE10hipError_tPvRmT3_T4_T5_T6_T7_T9_mT8_P12ihipStream_tbDpT10_ENKUlT_T0_E_clISt17integral_constantIbLb0EES1C_IbLb1EEEEDaS18_S19_EUlS18_E_NS1_11comp_targetILNS1_3genE4ELNS1_11target_archE910ELNS1_3gpuE8ELNS1_3repE0EEENS1_30default_config_static_selectorELNS0_4arch9wavefront6targetE1EEEvT1_.has_indirect_call, 0
	.section	.AMDGPU.csdata,"",@progbits
; Kernel info:
; codeLenInByte = 0
; TotalNumSgprs: 4
; NumVgprs: 0
; ScratchSize: 0
; MemoryBound: 0
; FloatMode: 240
; IeeeMode: 1
; LDSByteSize: 0 bytes/workgroup (compile time only)
; SGPRBlocks: 0
; VGPRBlocks: 0
; NumSGPRsForWavesPerEU: 4
; NumVGPRsForWavesPerEU: 1
; Occupancy: 10
; WaveLimiterHint : 0
; COMPUTE_PGM_RSRC2:SCRATCH_EN: 0
; COMPUTE_PGM_RSRC2:USER_SGPR: 6
; COMPUTE_PGM_RSRC2:TRAP_HANDLER: 0
; COMPUTE_PGM_RSRC2:TGID_X_EN: 1
; COMPUTE_PGM_RSRC2:TGID_Y_EN: 0
; COMPUTE_PGM_RSRC2:TGID_Z_EN: 0
; COMPUTE_PGM_RSRC2:TIDIG_COMP_CNT: 0
	.section	.text._ZN7rocprim17ROCPRIM_400000_NS6detail17trampoline_kernelINS0_14default_configENS1_25partition_config_selectorILNS1_17partition_subalgoE8EjNS0_10empty_typeEbEEZZNS1_14partition_implILS5_8ELb0ES3_jN6thrust23THRUST_200600_302600_NS6detail15normal_iteratorINSA_10device_ptrIjEEEEPS6_PKS6_NS0_5tupleIJNSA_16discard_iteratorINSA_11use_defaultEEES6_EEENSJ_IJSG_SG_EEENS0_18inequality_wrapperINSA_8equal_toIjEEEEPmJS6_EEE10hipError_tPvRmT3_T4_T5_T6_T7_T9_mT8_P12ihipStream_tbDpT10_ENKUlT_T0_E_clISt17integral_constantIbLb0EES1C_IbLb1EEEEDaS18_S19_EUlS18_E_NS1_11comp_targetILNS1_3genE3ELNS1_11target_archE908ELNS1_3gpuE7ELNS1_3repE0EEENS1_30default_config_static_selectorELNS0_4arch9wavefront6targetE1EEEvT1_,"axG",@progbits,_ZN7rocprim17ROCPRIM_400000_NS6detail17trampoline_kernelINS0_14default_configENS1_25partition_config_selectorILNS1_17partition_subalgoE8EjNS0_10empty_typeEbEEZZNS1_14partition_implILS5_8ELb0ES3_jN6thrust23THRUST_200600_302600_NS6detail15normal_iteratorINSA_10device_ptrIjEEEEPS6_PKS6_NS0_5tupleIJNSA_16discard_iteratorINSA_11use_defaultEEES6_EEENSJ_IJSG_SG_EEENS0_18inequality_wrapperINSA_8equal_toIjEEEEPmJS6_EEE10hipError_tPvRmT3_T4_T5_T6_T7_T9_mT8_P12ihipStream_tbDpT10_ENKUlT_T0_E_clISt17integral_constantIbLb0EES1C_IbLb1EEEEDaS18_S19_EUlS18_E_NS1_11comp_targetILNS1_3genE3ELNS1_11target_archE908ELNS1_3gpuE7ELNS1_3repE0EEENS1_30default_config_static_selectorELNS0_4arch9wavefront6targetE1EEEvT1_,comdat
	.protected	_ZN7rocprim17ROCPRIM_400000_NS6detail17trampoline_kernelINS0_14default_configENS1_25partition_config_selectorILNS1_17partition_subalgoE8EjNS0_10empty_typeEbEEZZNS1_14partition_implILS5_8ELb0ES3_jN6thrust23THRUST_200600_302600_NS6detail15normal_iteratorINSA_10device_ptrIjEEEEPS6_PKS6_NS0_5tupleIJNSA_16discard_iteratorINSA_11use_defaultEEES6_EEENSJ_IJSG_SG_EEENS0_18inequality_wrapperINSA_8equal_toIjEEEEPmJS6_EEE10hipError_tPvRmT3_T4_T5_T6_T7_T9_mT8_P12ihipStream_tbDpT10_ENKUlT_T0_E_clISt17integral_constantIbLb0EES1C_IbLb1EEEEDaS18_S19_EUlS18_E_NS1_11comp_targetILNS1_3genE3ELNS1_11target_archE908ELNS1_3gpuE7ELNS1_3repE0EEENS1_30default_config_static_selectorELNS0_4arch9wavefront6targetE1EEEvT1_ ; -- Begin function _ZN7rocprim17ROCPRIM_400000_NS6detail17trampoline_kernelINS0_14default_configENS1_25partition_config_selectorILNS1_17partition_subalgoE8EjNS0_10empty_typeEbEEZZNS1_14partition_implILS5_8ELb0ES3_jN6thrust23THRUST_200600_302600_NS6detail15normal_iteratorINSA_10device_ptrIjEEEEPS6_PKS6_NS0_5tupleIJNSA_16discard_iteratorINSA_11use_defaultEEES6_EEENSJ_IJSG_SG_EEENS0_18inequality_wrapperINSA_8equal_toIjEEEEPmJS6_EEE10hipError_tPvRmT3_T4_T5_T6_T7_T9_mT8_P12ihipStream_tbDpT10_ENKUlT_T0_E_clISt17integral_constantIbLb0EES1C_IbLb1EEEEDaS18_S19_EUlS18_E_NS1_11comp_targetILNS1_3genE3ELNS1_11target_archE908ELNS1_3gpuE7ELNS1_3repE0EEENS1_30default_config_static_selectorELNS0_4arch9wavefront6targetE1EEEvT1_
	.globl	_ZN7rocprim17ROCPRIM_400000_NS6detail17trampoline_kernelINS0_14default_configENS1_25partition_config_selectorILNS1_17partition_subalgoE8EjNS0_10empty_typeEbEEZZNS1_14partition_implILS5_8ELb0ES3_jN6thrust23THRUST_200600_302600_NS6detail15normal_iteratorINSA_10device_ptrIjEEEEPS6_PKS6_NS0_5tupleIJNSA_16discard_iteratorINSA_11use_defaultEEES6_EEENSJ_IJSG_SG_EEENS0_18inequality_wrapperINSA_8equal_toIjEEEEPmJS6_EEE10hipError_tPvRmT3_T4_T5_T6_T7_T9_mT8_P12ihipStream_tbDpT10_ENKUlT_T0_E_clISt17integral_constantIbLb0EES1C_IbLb1EEEEDaS18_S19_EUlS18_E_NS1_11comp_targetILNS1_3genE3ELNS1_11target_archE908ELNS1_3gpuE7ELNS1_3repE0EEENS1_30default_config_static_selectorELNS0_4arch9wavefront6targetE1EEEvT1_
	.p2align	8
	.type	_ZN7rocprim17ROCPRIM_400000_NS6detail17trampoline_kernelINS0_14default_configENS1_25partition_config_selectorILNS1_17partition_subalgoE8EjNS0_10empty_typeEbEEZZNS1_14partition_implILS5_8ELb0ES3_jN6thrust23THRUST_200600_302600_NS6detail15normal_iteratorINSA_10device_ptrIjEEEEPS6_PKS6_NS0_5tupleIJNSA_16discard_iteratorINSA_11use_defaultEEES6_EEENSJ_IJSG_SG_EEENS0_18inequality_wrapperINSA_8equal_toIjEEEEPmJS6_EEE10hipError_tPvRmT3_T4_T5_T6_T7_T9_mT8_P12ihipStream_tbDpT10_ENKUlT_T0_E_clISt17integral_constantIbLb0EES1C_IbLb1EEEEDaS18_S19_EUlS18_E_NS1_11comp_targetILNS1_3genE3ELNS1_11target_archE908ELNS1_3gpuE7ELNS1_3repE0EEENS1_30default_config_static_selectorELNS0_4arch9wavefront6targetE1EEEvT1_,@function
_ZN7rocprim17ROCPRIM_400000_NS6detail17trampoline_kernelINS0_14default_configENS1_25partition_config_selectorILNS1_17partition_subalgoE8EjNS0_10empty_typeEbEEZZNS1_14partition_implILS5_8ELb0ES3_jN6thrust23THRUST_200600_302600_NS6detail15normal_iteratorINSA_10device_ptrIjEEEEPS6_PKS6_NS0_5tupleIJNSA_16discard_iteratorINSA_11use_defaultEEES6_EEENSJ_IJSG_SG_EEENS0_18inequality_wrapperINSA_8equal_toIjEEEEPmJS6_EEE10hipError_tPvRmT3_T4_T5_T6_T7_T9_mT8_P12ihipStream_tbDpT10_ENKUlT_T0_E_clISt17integral_constantIbLb0EES1C_IbLb1EEEEDaS18_S19_EUlS18_E_NS1_11comp_targetILNS1_3genE3ELNS1_11target_archE908ELNS1_3gpuE7ELNS1_3repE0EEENS1_30default_config_static_selectorELNS0_4arch9wavefront6targetE1EEEvT1_: ; @_ZN7rocprim17ROCPRIM_400000_NS6detail17trampoline_kernelINS0_14default_configENS1_25partition_config_selectorILNS1_17partition_subalgoE8EjNS0_10empty_typeEbEEZZNS1_14partition_implILS5_8ELb0ES3_jN6thrust23THRUST_200600_302600_NS6detail15normal_iteratorINSA_10device_ptrIjEEEEPS6_PKS6_NS0_5tupleIJNSA_16discard_iteratorINSA_11use_defaultEEES6_EEENSJ_IJSG_SG_EEENS0_18inequality_wrapperINSA_8equal_toIjEEEEPmJS6_EEE10hipError_tPvRmT3_T4_T5_T6_T7_T9_mT8_P12ihipStream_tbDpT10_ENKUlT_T0_E_clISt17integral_constantIbLb0EES1C_IbLb1EEEEDaS18_S19_EUlS18_E_NS1_11comp_targetILNS1_3genE3ELNS1_11target_archE908ELNS1_3gpuE7ELNS1_3repE0EEENS1_30default_config_static_selectorELNS0_4arch9wavefront6targetE1EEEvT1_
; %bb.0:
	.section	.rodata,"a",@progbits
	.p2align	6, 0x0
	.amdhsa_kernel _ZN7rocprim17ROCPRIM_400000_NS6detail17trampoline_kernelINS0_14default_configENS1_25partition_config_selectorILNS1_17partition_subalgoE8EjNS0_10empty_typeEbEEZZNS1_14partition_implILS5_8ELb0ES3_jN6thrust23THRUST_200600_302600_NS6detail15normal_iteratorINSA_10device_ptrIjEEEEPS6_PKS6_NS0_5tupleIJNSA_16discard_iteratorINSA_11use_defaultEEES6_EEENSJ_IJSG_SG_EEENS0_18inequality_wrapperINSA_8equal_toIjEEEEPmJS6_EEE10hipError_tPvRmT3_T4_T5_T6_T7_T9_mT8_P12ihipStream_tbDpT10_ENKUlT_T0_E_clISt17integral_constantIbLb0EES1C_IbLb1EEEEDaS18_S19_EUlS18_E_NS1_11comp_targetILNS1_3genE3ELNS1_11target_archE908ELNS1_3gpuE7ELNS1_3repE0EEENS1_30default_config_static_selectorELNS0_4arch9wavefront6targetE1EEEvT1_
		.amdhsa_group_segment_fixed_size 0
		.amdhsa_private_segment_fixed_size 0
		.amdhsa_kernarg_size 136
		.amdhsa_user_sgpr_count 6
		.amdhsa_user_sgpr_private_segment_buffer 1
		.amdhsa_user_sgpr_dispatch_ptr 0
		.amdhsa_user_sgpr_queue_ptr 0
		.amdhsa_user_sgpr_kernarg_segment_ptr 1
		.amdhsa_user_sgpr_dispatch_id 0
		.amdhsa_user_sgpr_flat_scratch_init 0
		.amdhsa_user_sgpr_private_segment_size 0
		.amdhsa_uses_dynamic_stack 0
		.amdhsa_system_sgpr_private_segment_wavefront_offset 0
		.amdhsa_system_sgpr_workgroup_id_x 1
		.amdhsa_system_sgpr_workgroup_id_y 0
		.amdhsa_system_sgpr_workgroup_id_z 0
		.amdhsa_system_sgpr_workgroup_info 0
		.amdhsa_system_vgpr_workitem_id 0
		.amdhsa_next_free_vgpr 1
		.amdhsa_next_free_sgpr 0
		.amdhsa_reserve_vcc 0
		.amdhsa_reserve_flat_scratch 0
		.amdhsa_float_round_mode_32 0
		.amdhsa_float_round_mode_16_64 0
		.amdhsa_float_denorm_mode_32 3
		.amdhsa_float_denorm_mode_16_64 3
		.amdhsa_dx10_clamp 1
		.amdhsa_ieee_mode 1
		.amdhsa_fp16_overflow 0
		.amdhsa_exception_fp_ieee_invalid_op 0
		.amdhsa_exception_fp_denorm_src 0
		.amdhsa_exception_fp_ieee_div_zero 0
		.amdhsa_exception_fp_ieee_overflow 0
		.amdhsa_exception_fp_ieee_underflow 0
		.amdhsa_exception_fp_ieee_inexact 0
		.amdhsa_exception_int_div_zero 0
	.end_amdhsa_kernel
	.section	.text._ZN7rocprim17ROCPRIM_400000_NS6detail17trampoline_kernelINS0_14default_configENS1_25partition_config_selectorILNS1_17partition_subalgoE8EjNS0_10empty_typeEbEEZZNS1_14partition_implILS5_8ELb0ES3_jN6thrust23THRUST_200600_302600_NS6detail15normal_iteratorINSA_10device_ptrIjEEEEPS6_PKS6_NS0_5tupleIJNSA_16discard_iteratorINSA_11use_defaultEEES6_EEENSJ_IJSG_SG_EEENS0_18inequality_wrapperINSA_8equal_toIjEEEEPmJS6_EEE10hipError_tPvRmT3_T4_T5_T6_T7_T9_mT8_P12ihipStream_tbDpT10_ENKUlT_T0_E_clISt17integral_constantIbLb0EES1C_IbLb1EEEEDaS18_S19_EUlS18_E_NS1_11comp_targetILNS1_3genE3ELNS1_11target_archE908ELNS1_3gpuE7ELNS1_3repE0EEENS1_30default_config_static_selectorELNS0_4arch9wavefront6targetE1EEEvT1_,"axG",@progbits,_ZN7rocprim17ROCPRIM_400000_NS6detail17trampoline_kernelINS0_14default_configENS1_25partition_config_selectorILNS1_17partition_subalgoE8EjNS0_10empty_typeEbEEZZNS1_14partition_implILS5_8ELb0ES3_jN6thrust23THRUST_200600_302600_NS6detail15normal_iteratorINSA_10device_ptrIjEEEEPS6_PKS6_NS0_5tupleIJNSA_16discard_iteratorINSA_11use_defaultEEES6_EEENSJ_IJSG_SG_EEENS0_18inequality_wrapperINSA_8equal_toIjEEEEPmJS6_EEE10hipError_tPvRmT3_T4_T5_T6_T7_T9_mT8_P12ihipStream_tbDpT10_ENKUlT_T0_E_clISt17integral_constantIbLb0EES1C_IbLb1EEEEDaS18_S19_EUlS18_E_NS1_11comp_targetILNS1_3genE3ELNS1_11target_archE908ELNS1_3gpuE7ELNS1_3repE0EEENS1_30default_config_static_selectorELNS0_4arch9wavefront6targetE1EEEvT1_,comdat
.Lfunc_end592:
	.size	_ZN7rocprim17ROCPRIM_400000_NS6detail17trampoline_kernelINS0_14default_configENS1_25partition_config_selectorILNS1_17partition_subalgoE8EjNS0_10empty_typeEbEEZZNS1_14partition_implILS5_8ELb0ES3_jN6thrust23THRUST_200600_302600_NS6detail15normal_iteratorINSA_10device_ptrIjEEEEPS6_PKS6_NS0_5tupleIJNSA_16discard_iteratorINSA_11use_defaultEEES6_EEENSJ_IJSG_SG_EEENS0_18inequality_wrapperINSA_8equal_toIjEEEEPmJS6_EEE10hipError_tPvRmT3_T4_T5_T6_T7_T9_mT8_P12ihipStream_tbDpT10_ENKUlT_T0_E_clISt17integral_constantIbLb0EES1C_IbLb1EEEEDaS18_S19_EUlS18_E_NS1_11comp_targetILNS1_3genE3ELNS1_11target_archE908ELNS1_3gpuE7ELNS1_3repE0EEENS1_30default_config_static_selectorELNS0_4arch9wavefront6targetE1EEEvT1_, .Lfunc_end592-_ZN7rocprim17ROCPRIM_400000_NS6detail17trampoline_kernelINS0_14default_configENS1_25partition_config_selectorILNS1_17partition_subalgoE8EjNS0_10empty_typeEbEEZZNS1_14partition_implILS5_8ELb0ES3_jN6thrust23THRUST_200600_302600_NS6detail15normal_iteratorINSA_10device_ptrIjEEEEPS6_PKS6_NS0_5tupleIJNSA_16discard_iteratorINSA_11use_defaultEEES6_EEENSJ_IJSG_SG_EEENS0_18inequality_wrapperINSA_8equal_toIjEEEEPmJS6_EEE10hipError_tPvRmT3_T4_T5_T6_T7_T9_mT8_P12ihipStream_tbDpT10_ENKUlT_T0_E_clISt17integral_constantIbLb0EES1C_IbLb1EEEEDaS18_S19_EUlS18_E_NS1_11comp_targetILNS1_3genE3ELNS1_11target_archE908ELNS1_3gpuE7ELNS1_3repE0EEENS1_30default_config_static_selectorELNS0_4arch9wavefront6targetE1EEEvT1_
                                        ; -- End function
	.set _ZN7rocprim17ROCPRIM_400000_NS6detail17trampoline_kernelINS0_14default_configENS1_25partition_config_selectorILNS1_17partition_subalgoE8EjNS0_10empty_typeEbEEZZNS1_14partition_implILS5_8ELb0ES3_jN6thrust23THRUST_200600_302600_NS6detail15normal_iteratorINSA_10device_ptrIjEEEEPS6_PKS6_NS0_5tupleIJNSA_16discard_iteratorINSA_11use_defaultEEES6_EEENSJ_IJSG_SG_EEENS0_18inequality_wrapperINSA_8equal_toIjEEEEPmJS6_EEE10hipError_tPvRmT3_T4_T5_T6_T7_T9_mT8_P12ihipStream_tbDpT10_ENKUlT_T0_E_clISt17integral_constantIbLb0EES1C_IbLb1EEEEDaS18_S19_EUlS18_E_NS1_11comp_targetILNS1_3genE3ELNS1_11target_archE908ELNS1_3gpuE7ELNS1_3repE0EEENS1_30default_config_static_selectorELNS0_4arch9wavefront6targetE1EEEvT1_.num_vgpr, 0
	.set _ZN7rocprim17ROCPRIM_400000_NS6detail17trampoline_kernelINS0_14default_configENS1_25partition_config_selectorILNS1_17partition_subalgoE8EjNS0_10empty_typeEbEEZZNS1_14partition_implILS5_8ELb0ES3_jN6thrust23THRUST_200600_302600_NS6detail15normal_iteratorINSA_10device_ptrIjEEEEPS6_PKS6_NS0_5tupleIJNSA_16discard_iteratorINSA_11use_defaultEEES6_EEENSJ_IJSG_SG_EEENS0_18inequality_wrapperINSA_8equal_toIjEEEEPmJS6_EEE10hipError_tPvRmT3_T4_T5_T6_T7_T9_mT8_P12ihipStream_tbDpT10_ENKUlT_T0_E_clISt17integral_constantIbLb0EES1C_IbLb1EEEEDaS18_S19_EUlS18_E_NS1_11comp_targetILNS1_3genE3ELNS1_11target_archE908ELNS1_3gpuE7ELNS1_3repE0EEENS1_30default_config_static_selectorELNS0_4arch9wavefront6targetE1EEEvT1_.num_agpr, 0
	.set _ZN7rocprim17ROCPRIM_400000_NS6detail17trampoline_kernelINS0_14default_configENS1_25partition_config_selectorILNS1_17partition_subalgoE8EjNS0_10empty_typeEbEEZZNS1_14partition_implILS5_8ELb0ES3_jN6thrust23THRUST_200600_302600_NS6detail15normal_iteratorINSA_10device_ptrIjEEEEPS6_PKS6_NS0_5tupleIJNSA_16discard_iteratorINSA_11use_defaultEEES6_EEENSJ_IJSG_SG_EEENS0_18inequality_wrapperINSA_8equal_toIjEEEEPmJS6_EEE10hipError_tPvRmT3_T4_T5_T6_T7_T9_mT8_P12ihipStream_tbDpT10_ENKUlT_T0_E_clISt17integral_constantIbLb0EES1C_IbLb1EEEEDaS18_S19_EUlS18_E_NS1_11comp_targetILNS1_3genE3ELNS1_11target_archE908ELNS1_3gpuE7ELNS1_3repE0EEENS1_30default_config_static_selectorELNS0_4arch9wavefront6targetE1EEEvT1_.numbered_sgpr, 0
	.set _ZN7rocprim17ROCPRIM_400000_NS6detail17trampoline_kernelINS0_14default_configENS1_25partition_config_selectorILNS1_17partition_subalgoE8EjNS0_10empty_typeEbEEZZNS1_14partition_implILS5_8ELb0ES3_jN6thrust23THRUST_200600_302600_NS6detail15normal_iteratorINSA_10device_ptrIjEEEEPS6_PKS6_NS0_5tupleIJNSA_16discard_iteratorINSA_11use_defaultEEES6_EEENSJ_IJSG_SG_EEENS0_18inequality_wrapperINSA_8equal_toIjEEEEPmJS6_EEE10hipError_tPvRmT3_T4_T5_T6_T7_T9_mT8_P12ihipStream_tbDpT10_ENKUlT_T0_E_clISt17integral_constantIbLb0EES1C_IbLb1EEEEDaS18_S19_EUlS18_E_NS1_11comp_targetILNS1_3genE3ELNS1_11target_archE908ELNS1_3gpuE7ELNS1_3repE0EEENS1_30default_config_static_selectorELNS0_4arch9wavefront6targetE1EEEvT1_.num_named_barrier, 0
	.set _ZN7rocprim17ROCPRIM_400000_NS6detail17trampoline_kernelINS0_14default_configENS1_25partition_config_selectorILNS1_17partition_subalgoE8EjNS0_10empty_typeEbEEZZNS1_14partition_implILS5_8ELb0ES3_jN6thrust23THRUST_200600_302600_NS6detail15normal_iteratorINSA_10device_ptrIjEEEEPS6_PKS6_NS0_5tupleIJNSA_16discard_iteratorINSA_11use_defaultEEES6_EEENSJ_IJSG_SG_EEENS0_18inequality_wrapperINSA_8equal_toIjEEEEPmJS6_EEE10hipError_tPvRmT3_T4_T5_T6_T7_T9_mT8_P12ihipStream_tbDpT10_ENKUlT_T0_E_clISt17integral_constantIbLb0EES1C_IbLb1EEEEDaS18_S19_EUlS18_E_NS1_11comp_targetILNS1_3genE3ELNS1_11target_archE908ELNS1_3gpuE7ELNS1_3repE0EEENS1_30default_config_static_selectorELNS0_4arch9wavefront6targetE1EEEvT1_.private_seg_size, 0
	.set _ZN7rocprim17ROCPRIM_400000_NS6detail17trampoline_kernelINS0_14default_configENS1_25partition_config_selectorILNS1_17partition_subalgoE8EjNS0_10empty_typeEbEEZZNS1_14partition_implILS5_8ELb0ES3_jN6thrust23THRUST_200600_302600_NS6detail15normal_iteratorINSA_10device_ptrIjEEEEPS6_PKS6_NS0_5tupleIJNSA_16discard_iteratorINSA_11use_defaultEEES6_EEENSJ_IJSG_SG_EEENS0_18inequality_wrapperINSA_8equal_toIjEEEEPmJS6_EEE10hipError_tPvRmT3_T4_T5_T6_T7_T9_mT8_P12ihipStream_tbDpT10_ENKUlT_T0_E_clISt17integral_constantIbLb0EES1C_IbLb1EEEEDaS18_S19_EUlS18_E_NS1_11comp_targetILNS1_3genE3ELNS1_11target_archE908ELNS1_3gpuE7ELNS1_3repE0EEENS1_30default_config_static_selectorELNS0_4arch9wavefront6targetE1EEEvT1_.uses_vcc, 0
	.set _ZN7rocprim17ROCPRIM_400000_NS6detail17trampoline_kernelINS0_14default_configENS1_25partition_config_selectorILNS1_17partition_subalgoE8EjNS0_10empty_typeEbEEZZNS1_14partition_implILS5_8ELb0ES3_jN6thrust23THRUST_200600_302600_NS6detail15normal_iteratorINSA_10device_ptrIjEEEEPS6_PKS6_NS0_5tupleIJNSA_16discard_iteratorINSA_11use_defaultEEES6_EEENSJ_IJSG_SG_EEENS0_18inequality_wrapperINSA_8equal_toIjEEEEPmJS6_EEE10hipError_tPvRmT3_T4_T5_T6_T7_T9_mT8_P12ihipStream_tbDpT10_ENKUlT_T0_E_clISt17integral_constantIbLb0EES1C_IbLb1EEEEDaS18_S19_EUlS18_E_NS1_11comp_targetILNS1_3genE3ELNS1_11target_archE908ELNS1_3gpuE7ELNS1_3repE0EEENS1_30default_config_static_selectorELNS0_4arch9wavefront6targetE1EEEvT1_.uses_flat_scratch, 0
	.set _ZN7rocprim17ROCPRIM_400000_NS6detail17trampoline_kernelINS0_14default_configENS1_25partition_config_selectorILNS1_17partition_subalgoE8EjNS0_10empty_typeEbEEZZNS1_14partition_implILS5_8ELb0ES3_jN6thrust23THRUST_200600_302600_NS6detail15normal_iteratorINSA_10device_ptrIjEEEEPS6_PKS6_NS0_5tupleIJNSA_16discard_iteratorINSA_11use_defaultEEES6_EEENSJ_IJSG_SG_EEENS0_18inequality_wrapperINSA_8equal_toIjEEEEPmJS6_EEE10hipError_tPvRmT3_T4_T5_T6_T7_T9_mT8_P12ihipStream_tbDpT10_ENKUlT_T0_E_clISt17integral_constantIbLb0EES1C_IbLb1EEEEDaS18_S19_EUlS18_E_NS1_11comp_targetILNS1_3genE3ELNS1_11target_archE908ELNS1_3gpuE7ELNS1_3repE0EEENS1_30default_config_static_selectorELNS0_4arch9wavefront6targetE1EEEvT1_.has_dyn_sized_stack, 0
	.set _ZN7rocprim17ROCPRIM_400000_NS6detail17trampoline_kernelINS0_14default_configENS1_25partition_config_selectorILNS1_17partition_subalgoE8EjNS0_10empty_typeEbEEZZNS1_14partition_implILS5_8ELb0ES3_jN6thrust23THRUST_200600_302600_NS6detail15normal_iteratorINSA_10device_ptrIjEEEEPS6_PKS6_NS0_5tupleIJNSA_16discard_iteratorINSA_11use_defaultEEES6_EEENSJ_IJSG_SG_EEENS0_18inequality_wrapperINSA_8equal_toIjEEEEPmJS6_EEE10hipError_tPvRmT3_T4_T5_T6_T7_T9_mT8_P12ihipStream_tbDpT10_ENKUlT_T0_E_clISt17integral_constantIbLb0EES1C_IbLb1EEEEDaS18_S19_EUlS18_E_NS1_11comp_targetILNS1_3genE3ELNS1_11target_archE908ELNS1_3gpuE7ELNS1_3repE0EEENS1_30default_config_static_selectorELNS0_4arch9wavefront6targetE1EEEvT1_.has_recursion, 0
	.set _ZN7rocprim17ROCPRIM_400000_NS6detail17trampoline_kernelINS0_14default_configENS1_25partition_config_selectorILNS1_17partition_subalgoE8EjNS0_10empty_typeEbEEZZNS1_14partition_implILS5_8ELb0ES3_jN6thrust23THRUST_200600_302600_NS6detail15normal_iteratorINSA_10device_ptrIjEEEEPS6_PKS6_NS0_5tupleIJNSA_16discard_iteratorINSA_11use_defaultEEES6_EEENSJ_IJSG_SG_EEENS0_18inequality_wrapperINSA_8equal_toIjEEEEPmJS6_EEE10hipError_tPvRmT3_T4_T5_T6_T7_T9_mT8_P12ihipStream_tbDpT10_ENKUlT_T0_E_clISt17integral_constantIbLb0EES1C_IbLb1EEEEDaS18_S19_EUlS18_E_NS1_11comp_targetILNS1_3genE3ELNS1_11target_archE908ELNS1_3gpuE7ELNS1_3repE0EEENS1_30default_config_static_selectorELNS0_4arch9wavefront6targetE1EEEvT1_.has_indirect_call, 0
	.section	.AMDGPU.csdata,"",@progbits
; Kernel info:
; codeLenInByte = 0
; TotalNumSgprs: 4
; NumVgprs: 0
; ScratchSize: 0
; MemoryBound: 0
; FloatMode: 240
; IeeeMode: 1
; LDSByteSize: 0 bytes/workgroup (compile time only)
; SGPRBlocks: 0
; VGPRBlocks: 0
; NumSGPRsForWavesPerEU: 4
; NumVGPRsForWavesPerEU: 1
; Occupancy: 10
; WaveLimiterHint : 0
; COMPUTE_PGM_RSRC2:SCRATCH_EN: 0
; COMPUTE_PGM_RSRC2:USER_SGPR: 6
; COMPUTE_PGM_RSRC2:TRAP_HANDLER: 0
; COMPUTE_PGM_RSRC2:TGID_X_EN: 1
; COMPUTE_PGM_RSRC2:TGID_Y_EN: 0
; COMPUTE_PGM_RSRC2:TGID_Z_EN: 0
; COMPUTE_PGM_RSRC2:TIDIG_COMP_CNT: 0
	.section	.text._ZN7rocprim17ROCPRIM_400000_NS6detail17trampoline_kernelINS0_14default_configENS1_25partition_config_selectorILNS1_17partition_subalgoE8EjNS0_10empty_typeEbEEZZNS1_14partition_implILS5_8ELb0ES3_jN6thrust23THRUST_200600_302600_NS6detail15normal_iteratorINSA_10device_ptrIjEEEEPS6_PKS6_NS0_5tupleIJNSA_16discard_iteratorINSA_11use_defaultEEES6_EEENSJ_IJSG_SG_EEENS0_18inequality_wrapperINSA_8equal_toIjEEEEPmJS6_EEE10hipError_tPvRmT3_T4_T5_T6_T7_T9_mT8_P12ihipStream_tbDpT10_ENKUlT_T0_E_clISt17integral_constantIbLb0EES1C_IbLb1EEEEDaS18_S19_EUlS18_E_NS1_11comp_targetILNS1_3genE2ELNS1_11target_archE906ELNS1_3gpuE6ELNS1_3repE0EEENS1_30default_config_static_selectorELNS0_4arch9wavefront6targetE1EEEvT1_,"axG",@progbits,_ZN7rocprim17ROCPRIM_400000_NS6detail17trampoline_kernelINS0_14default_configENS1_25partition_config_selectorILNS1_17partition_subalgoE8EjNS0_10empty_typeEbEEZZNS1_14partition_implILS5_8ELb0ES3_jN6thrust23THRUST_200600_302600_NS6detail15normal_iteratorINSA_10device_ptrIjEEEEPS6_PKS6_NS0_5tupleIJNSA_16discard_iteratorINSA_11use_defaultEEES6_EEENSJ_IJSG_SG_EEENS0_18inequality_wrapperINSA_8equal_toIjEEEEPmJS6_EEE10hipError_tPvRmT3_T4_T5_T6_T7_T9_mT8_P12ihipStream_tbDpT10_ENKUlT_T0_E_clISt17integral_constantIbLb0EES1C_IbLb1EEEEDaS18_S19_EUlS18_E_NS1_11comp_targetILNS1_3genE2ELNS1_11target_archE906ELNS1_3gpuE6ELNS1_3repE0EEENS1_30default_config_static_selectorELNS0_4arch9wavefront6targetE1EEEvT1_,comdat
	.protected	_ZN7rocprim17ROCPRIM_400000_NS6detail17trampoline_kernelINS0_14default_configENS1_25partition_config_selectorILNS1_17partition_subalgoE8EjNS0_10empty_typeEbEEZZNS1_14partition_implILS5_8ELb0ES3_jN6thrust23THRUST_200600_302600_NS6detail15normal_iteratorINSA_10device_ptrIjEEEEPS6_PKS6_NS0_5tupleIJNSA_16discard_iteratorINSA_11use_defaultEEES6_EEENSJ_IJSG_SG_EEENS0_18inequality_wrapperINSA_8equal_toIjEEEEPmJS6_EEE10hipError_tPvRmT3_T4_T5_T6_T7_T9_mT8_P12ihipStream_tbDpT10_ENKUlT_T0_E_clISt17integral_constantIbLb0EES1C_IbLb1EEEEDaS18_S19_EUlS18_E_NS1_11comp_targetILNS1_3genE2ELNS1_11target_archE906ELNS1_3gpuE6ELNS1_3repE0EEENS1_30default_config_static_selectorELNS0_4arch9wavefront6targetE1EEEvT1_ ; -- Begin function _ZN7rocprim17ROCPRIM_400000_NS6detail17trampoline_kernelINS0_14default_configENS1_25partition_config_selectorILNS1_17partition_subalgoE8EjNS0_10empty_typeEbEEZZNS1_14partition_implILS5_8ELb0ES3_jN6thrust23THRUST_200600_302600_NS6detail15normal_iteratorINSA_10device_ptrIjEEEEPS6_PKS6_NS0_5tupleIJNSA_16discard_iteratorINSA_11use_defaultEEES6_EEENSJ_IJSG_SG_EEENS0_18inequality_wrapperINSA_8equal_toIjEEEEPmJS6_EEE10hipError_tPvRmT3_T4_T5_T6_T7_T9_mT8_P12ihipStream_tbDpT10_ENKUlT_T0_E_clISt17integral_constantIbLb0EES1C_IbLb1EEEEDaS18_S19_EUlS18_E_NS1_11comp_targetILNS1_3genE2ELNS1_11target_archE906ELNS1_3gpuE6ELNS1_3repE0EEENS1_30default_config_static_selectorELNS0_4arch9wavefront6targetE1EEEvT1_
	.globl	_ZN7rocprim17ROCPRIM_400000_NS6detail17trampoline_kernelINS0_14default_configENS1_25partition_config_selectorILNS1_17partition_subalgoE8EjNS0_10empty_typeEbEEZZNS1_14partition_implILS5_8ELb0ES3_jN6thrust23THRUST_200600_302600_NS6detail15normal_iteratorINSA_10device_ptrIjEEEEPS6_PKS6_NS0_5tupleIJNSA_16discard_iteratorINSA_11use_defaultEEES6_EEENSJ_IJSG_SG_EEENS0_18inequality_wrapperINSA_8equal_toIjEEEEPmJS6_EEE10hipError_tPvRmT3_T4_T5_T6_T7_T9_mT8_P12ihipStream_tbDpT10_ENKUlT_T0_E_clISt17integral_constantIbLb0EES1C_IbLb1EEEEDaS18_S19_EUlS18_E_NS1_11comp_targetILNS1_3genE2ELNS1_11target_archE906ELNS1_3gpuE6ELNS1_3repE0EEENS1_30default_config_static_selectorELNS0_4arch9wavefront6targetE1EEEvT1_
	.p2align	8
	.type	_ZN7rocprim17ROCPRIM_400000_NS6detail17trampoline_kernelINS0_14default_configENS1_25partition_config_selectorILNS1_17partition_subalgoE8EjNS0_10empty_typeEbEEZZNS1_14partition_implILS5_8ELb0ES3_jN6thrust23THRUST_200600_302600_NS6detail15normal_iteratorINSA_10device_ptrIjEEEEPS6_PKS6_NS0_5tupleIJNSA_16discard_iteratorINSA_11use_defaultEEES6_EEENSJ_IJSG_SG_EEENS0_18inequality_wrapperINSA_8equal_toIjEEEEPmJS6_EEE10hipError_tPvRmT3_T4_T5_T6_T7_T9_mT8_P12ihipStream_tbDpT10_ENKUlT_T0_E_clISt17integral_constantIbLb0EES1C_IbLb1EEEEDaS18_S19_EUlS18_E_NS1_11comp_targetILNS1_3genE2ELNS1_11target_archE906ELNS1_3gpuE6ELNS1_3repE0EEENS1_30default_config_static_selectorELNS0_4arch9wavefront6targetE1EEEvT1_,@function
_ZN7rocprim17ROCPRIM_400000_NS6detail17trampoline_kernelINS0_14default_configENS1_25partition_config_selectorILNS1_17partition_subalgoE8EjNS0_10empty_typeEbEEZZNS1_14partition_implILS5_8ELb0ES3_jN6thrust23THRUST_200600_302600_NS6detail15normal_iteratorINSA_10device_ptrIjEEEEPS6_PKS6_NS0_5tupleIJNSA_16discard_iteratorINSA_11use_defaultEEES6_EEENSJ_IJSG_SG_EEENS0_18inequality_wrapperINSA_8equal_toIjEEEEPmJS6_EEE10hipError_tPvRmT3_T4_T5_T6_T7_T9_mT8_P12ihipStream_tbDpT10_ENKUlT_T0_E_clISt17integral_constantIbLb0EES1C_IbLb1EEEEDaS18_S19_EUlS18_E_NS1_11comp_targetILNS1_3genE2ELNS1_11target_archE906ELNS1_3gpuE6ELNS1_3repE0EEENS1_30default_config_static_selectorELNS0_4arch9wavefront6targetE1EEEvT1_: ; @_ZN7rocprim17ROCPRIM_400000_NS6detail17trampoline_kernelINS0_14default_configENS1_25partition_config_selectorILNS1_17partition_subalgoE8EjNS0_10empty_typeEbEEZZNS1_14partition_implILS5_8ELb0ES3_jN6thrust23THRUST_200600_302600_NS6detail15normal_iteratorINSA_10device_ptrIjEEEEPS6_PKS6_NS0_5tupleIJNSA_16discard_iteratorINSA_11use_defaultEEES6_EEENSJ_IJSG_SG_EEENS0_18inequality_wrapperINSA_8equal_toIjEEEEPmJS6_EEE10hipError_tPvRmT3_T4_T5_T6_T7_T9_mT8_P12ihipStream_tbDpT10_ENKUlT_T0_E_clISt17integral_constantIbLb0EES1C_IbLb1EEEEDaS18_S19_EUlS18_E_NS1_11comp_targetILNS1_3genE2ELNS1_11target_archE906ELNS1_3gpuE6ELNS1_3repE0EEENS1_30default_config_static_selectorELNS0_4arch9wavefront6targetE1EEEvT1_
; %bb.0:
	s_load_dwordx2 s[12:13], s[4:5], 0x58
	s_load_dwordx4 s[36:39], s[4:5], 0x48
	s_load_dwordx2 s[40:41], s[4:5], 0x68
	v_cmp_ne_u32_e64 s[2:3], 0, v0
	v_cmp_eq_u32_e64 s[0:1], 0, v0
	s_and_saveexec_b64 s[6:7], s[0:1]
	s_cbranch_execz .LBB593_4
; %bb.1:
	s_mov_b64 s[10:11], exec
	v_mbcnt_lo_u32_b32 v1, s10, 0
	v_mbcnt_hi_u32_b32 v1, s11, v1
	v_cmp_eq_u32_e32 vcc, 0, v1
                                        ; implicit-def: $vgpr2
	s_and_saveexec_b64 s[8:9], vcc
	s_cbranch_execz .LBB593_3
; %bb.2:
	s_load_dwordx2 s[14:15], s[4:5], 0x78
	s_bcnt1_i32_b64 s10, s[10:11]
	v_mov_b32_e32 v2, 0
	v_mov_b32_e32 v3, s10
	s_waitcnt lgkmcnt(0)
	global_atomic_add v2, v2, v3, s[14:15] glc
.LBB593_3:
	s_or_b64 exec, exec, s[8:9]
	s_waitcnt vmcnt(0)
	v_readfirstlane_b32 s8, v2
	v_add_u32_e32 v1, s8, v1
	v_mov_b32_e32 v2, 0
	ds_write_b32 v2, v1
.LBB593_4:
	s_or_b64 exec, exec, s[6:7]
	v_mov_b32_e32 v2, 0
	s_load_dwordx4 s[8:11], s[4:5], 0x8
	s_load_dword s6, s[4:5], 0x70
	s_waitcnt lgkmcnt(0)
	s_barrier
	ds_read_b32 v1, v2
	s_waitcnt lgkmcnt(0)
	s_barrier
	global_load_dwordx2 v[18:19], v2, s[38:39]
	s_lshl_b64 s[4:5], s[10:11], 2
	s_add_u32 s14, s8, s4
	s_addc_u32 s9, s9, s5
	s_add_i32 s7, s6, -1
	s_lshl_b32 s4, s7, 12
	s_add_i32 s8, s10, s4
	s_lshl_b32 s4, s6, 12
	s_add_u32 s4, s10, s4
	s_addc_u32 s5, s11, 0
	v_mov_b32_e32 v3, s4
	v_readfirstlane_b32 s33, v1
	v_lshlrev_b32_e32 v1, 12, v1
	v_mov_b32_e32 v4, s5
	v_cmp_le_u64_e32 vcc, s[12:13], v[3:4]
	s_cmp_eq_u32 s33, s7
	v_lshlrev_b64 v[1:2], 2, v[1:2]
	s_cselect_b64 s[38:39], -1, 0
	s_and_b64 s[42:43], vcc, s[38:39]
	v_mov_b32_e32 v3, s9
	v_add_co_u32_e32 v21, vcc, s14, v1
	s_xor_b64 s[6:7], s[42:43], -1
	v_addc_co_u32_e32 v22, vcc, v3, v2, vcc
	s_mov_b64 s[4:5], -1
	s_and_b64 vcc, exec, s[6:7]
	v_lshrrev_b32_e32 v20, 3, v0
	s_cbranch_vccz .LBB593_6
; %bb.5:
	v_lshlrev_b32_e32 v5, 2, v0
	v_add_co_u32_e32 v1, vcc, v21, v5
	v_addc_co_u32_e32 v2, vcc, 0, v22, vcc
	v_add_co_u32_e32 v3, vcc, 0x1000, v1
	v_addc_co_u32_e32 v4, vcc, 0, v2, vcc
	flat_load_dword v6, v[1:2]
	flat_load_dword v7, v[1:2] offset:1024
	flat_load_dword v8, v[1:2] offset:2048
	;; [unrolled: 1-line block ×3, first 2 shown]
	flat_load_dword v10, v[3:4]
	flat_load_dword v11, v[3:4] offset:1024
	flat_load_dword v12, v[3:4] offset:2048
	;; [unrolled: 1-line block ×3, first 2 shown]
	v_add_co_u32_e32 v3, vcc, 0x2000, v1
	v_addc_co_u32_e32 v4, vcc, 0, v2, vcc
	flat_load_dword v14, v[3:4]
	flat_load_dword v15, v[3:4] offset:1024
	flat_load_dword v16, v[3:4] offset:2048
	;; [unrolled: 1-line block ×3, first 2 shown]
	v_add_co_u32_e32 v1, vcc, 0x3000, v1
	v_addc_co_u32_e32 v2, vcc, 0, v2, vcc
	flat_load_dword v3, v[1:2]
	flat_load_dword v4, v[1:2] offset:1024
	flat_load_dword v23, v[1:2] offset:2048
	;; [unrolled: 1-line block ×3, first 2 shown]
	v_or_b32_e32 v2, 0x100, v0
	v_or_b32_e32 v25, 0x200, v0
	;; [unrolled: 1-line block ×9, first 2 shown]
	v_and_b32_e32 v1, 28, v20
	v_or_b32_e32 v33, 0xa00, v0
	v_lshrrev_b32_e32 v2, 3, v2
	v_lshrrev_b32_e32 v25, 3, v25
	v_lshrrev_b32_e32 v26, 3, v26
	v_lshrrev_b32_e32 v27, 3, v27
	v_lshrrev_b32_e32 v28, 3, v28
	v_lshrrev_b32_e32 v29, 3, v29
	v_lshrrev_b32_e32 v30, 3, v30
	v_lshrrev_b32_e32 v31, 3, v31
	v_lshrrev_b32_e32 v32, 3, v32
	v_add_u32_e32 v1, v1, v5
	v_lshrrev_b32_e32 v33, 3, v33
	v_and_b32_e32 v2, 60, v2
	v_and_b32_e32 v25, 0x5c, v25
	;; [unrolled: 1-line block ×9, first 2 shown]
	v_add_u32_e32 v2, v2, v5
	v_add_u32_e32 v25, v25, v5
	;; [unrolled: 1-line block ×9, first 2 shown]
	s_mov_b64 s[4:5], 0
	s_waitcnt vmcnt(0) lgkmcnt(0)
	ds_write_b32 v1, v6
	ds_write_b32 v2, v7 offset:1024
	ds_write_b32 v25, v8 offset:2048
	;; [unrolled: 1-line block ×9, first 2 shown]
	v_and_b32_e32 v1, 0x15c, v33
	v_add_u32_e32 v1, v1, v5
	ds_write_b32 v1, v16 offset:10240
	v_or_b32_e32 v1, 0xb00, v0
	v_lshrrev_b32_e32 v1, 3, v1
	v_and_b32_e32 v1, 0x17c, v1
	v_add_u32_e32 v1, v1, v5
	ds_write_b32 v1, v17 offset:11264
	v_or_b32_e32 v1, 0xc00, v0
	v_lshrrev_b32_e32 v1, 3, v1
	;; [unrolled: 5-line block ×5, first 2 shown]
	v_and_b32_e32 v1, 0x1fc, v1
	v_add_u32_e32 v1, v1, v5
	ds_write_b32 v1, v24 offset:15360
	s_waitcnt lgkmcnt(0)
	s_barrier
.LBB593_6:
	s_andn2_b64 vcc, exec, s[4:5]
	s_sub_i32 s52, s12, s8
	s_cbranch_vccnz .LBB593_40
; %bb.7:
	v_mov_b32_e32 v1, 0
	v_cmp_gt_u32_e32 vcc, s52, v0
	v_mov_b32_e32 v2, v1
	v_mov_b32_e32 v3, v1
	v_mov_b32_e32 v4, v1
	v_mov_b32_e32 v5, v1
	v_mov_b32_e32 v6, v1
	v_mov_b32_e32 v7, v1
	v_mov_b32_e32 v8, v1
	v_mov_b32_e32 v9, v1
	v_mov_b32_e32 v10, v1
	v_mov_b32_e32 v11, v1
	v_mov_b32_e32 v12, v1
	v_mov_b32_e32 v13, v1
	v_mov_b32_e32 v14, v1
	v_mov_b32_e32 v15, v1
	v_mov_b32_e32 v16, v1
	s_and_saveexec_b64 s[4:5], vcc
	s_cbranch_execz .LBB593_9
; %bb.8:
	v_lshlrev_b32_e32 v2, 2, v0
	v_add_co_u32_e32 v2, vcc, v21, v2
	v_addc_co_u32_e32 v3, vcc, 0, v22, vcc
	flat_load_dword v2, v[2:3]
	v_mov_b32_e32 v3, v1
	v_mov_b32_e32 v4, v1
	;; [unrolled: 1-line block ×15, first 2 shown]
	s_waitcnt vmcnt(0) lgkmcnt(0)
	v_mov_b32_e32 v1, v2
	v_mov_b32_e32 v2, v3
	;; [unrolled: 1-line block ×16, first 2 shown]
.LBB593_9:
	s_or_b64 exec, exec, s[4:5]
	v_or_b32_e32 v17, 0x100, v0
	v_cmp_gt_u32_e32 vcc, s52, v17
	s_and_saveexec_b64 s[4:5], vcc
	s_cbranch_execz .LBB593_11
; %bb.10:
	v_lshlrev_b32_e32 v2, 2, v0
	v_add_co_u32_e32 v23, vcc, v21, v2
	v_addc_co_u32_e32 v24, vcc, 0, v22, vcc
	flat_load_dword v2, v[23:24] offset:1024
.LBB593_11:
	s_or_b64 exec, exec, s[4:5]
	v_or_b32_e32 v23, 0x200, v0
	v_cmp_gt_u32_e32 vcc, s52, v23
	s_and_saveexec_b64 s[4:5], vcc
	s_cbranch_execz .LBB593_13
; %bb.12:
	v_lshlrev_b32_e32 v3, 2, v0
	v_add_co_u32_e32 v24, vcc, v21, v3
	v_addc_co_u32_e32 v25, vcc, 0, v22, vcc
	flat_load_dword v3, v[24:25] offset:2048
.LBB593_13:
	;; [unrolled: 11-line block ×3, first 2 shown]
	s_or_b64 exec, exec, s[4:5]
	v_or_b32_e32 v25, 0x400, v0
	v_cmp_gt_u32_e32 vcc, s52, v25
	s_and_saveexec_b64 s[4:5], vcc
	s_cbranch_execz .LBB593_17
; %bb.16:
	v_lshlrev_b32_e32 v5, 2, v25
	v_add_co_u32_e32 v26, vcc, v21, v5
	v_addc_co_u32_e32 v27, vcc, 0, v22, vcc
	flat_load_dword v5, v[26:27]
.LBB593_17:
	s_or_b64 exec, exec, s[4:5]
	v_or_b32_e32 v26, 0x500, v0
	v_cmp_gt_u32_e32 vcc, s52, v26
	s_and_saveexec_b64 s[4:5], vcc
	s_cbranch_execz .LBB593_19
; %bb.18:
	v_lshlrev_b32_e32 v6, 2, v26
	v_add_co_u32_e32 v27, vcc, v21, v6
	v_addc_co_u32_e32 v28, vcc, 0, v22, vcc
	flat_load_dword v6, v[27:28]
.LBB593_19:
	;; [unrolled: 11-line block ×12, first 2 shown]
	s_or_b64 exec, exec, s[4:5]
	v_and_b32_e32 v20, 28, v20
	v_lshlrev_b32_e32 v37, 2, v0
	v_add_u32_e32 v20, v20, v37
	ds_write_b32 v20, v1
	v_lshrrev_b32_e32 v1, 3, v17
	v_and_b32_e32 v1, 60, v1
	v_add_u32_e32 v1, v1, v37
	s_waitcnt vmcnt(0) lgkmcnt(0)
	ds_write_b32 v1, v2 offset:1024
	v_lshrrev_b32_e32 v1, 3, v23
	v_and_b32_e32 v1, 0x7c, v1
	v_add_u32_e32 v1, v1, v37
	ds_write_b32 v1, v3 offset:2048
	v_lshrrev_b32_e32 v1, 3, v24
	v_and_b32_e32 v1, 0x7c, v1
	v_add_u32_e32 v1, v1, v37
	;; [unrolled: 4-line block ×14, first 2 shown]
	ds_write_b32 v1, v16 offset:15360
	s_waitcnt lgkmcnt(0)
	s_barrier
.LBB593_40:
	v_lshlrev_b32_e32 v1, 1, v0
	v_and_b32_e32 v1, 0x1fc, v1
	v_lshl_add_u32 v1, v0, 6, v1
	ds_read2_b32 v[15:16], v1 offset1:1
	ds_read2_b32 v[13:14], v1 offset0:2 offset1:3
	ds_read2_b32 v[11:12], v1 offset0:4 offset1:5
	;; [unrolled: 1-line block ×7, first 2 shown]
	s_cmp_lg_u32 s33, 0
	s_cselect_b64 s[44:45], -1, 0
	s_cmp_lg_u64 s[10:11], 0
	s_cselect_b64 s[4:5], -1, 0
	s_or_b64 s[4:5], s[4:5], s[44:45]
	v_lshlrev_b32_e32 v20, 4, v0
	s_mov_b64 s[48:49], 0
	s_and_b64 vcc, exec, s[4:5]
	s_waitcnt vmcnt(0) lgkmcnt(0)
	s_barrier
	s_cbranch_vccz .LBB593_45
; %bb.41:
	v_add_co_u32_e32 v21, vcc, -4, v21
	v_addc_co_u32_e32 v22, vcc, -1, v22, vcc
	flat_load_dword v21, v[21:22]
	v_lshlrev_b32_e32 v22, 2, v0
	s_and_b64 vcc, exec, s[6:7]
	ds_write_b32 v22, v2
	s_cbranch_vccz .LBB593_46
; %bb.42:
	s_waitcnt vmcnt(0) lgkmcnt(0)
	v_mov_b32_e32 v23, v21
	s_barrier
	s_and_saveexec_b64 s[4:5], s[2:3]
; %bb.43:
	v_add_u32_e32 v17, -4, v22
	ds_read_b32 v23, v17
; %bb.44:
	s_or_b64 exec, exec, s[4:5]
	v_cmp_ne_u32_e32 vcc, v1, v2
	v_cndmask_b32_e64 v17, 0, 1, vcc
	v_cmp_ne_u32_e32 vcc, v4, v1
	v_cndmask_b32_e64 v30, 0, 1, vcc
	;; [unrolled: 2-line block ×15, first 2 shown]
	s_waitcnt lgkmcnt(0)
	v_cmp_ne_u32_e64 s[46:47], v23, v15
	s_branch .LBB593_50
.LBB593_45:
                                        ; implicit-def: $sgpr46_sgpr47
                                        ; implicit-def: $vgpr17
                                        ; implicit-def: $vgpr30
                                        ; implicit-def: $vgpr31
                                        ; implicit-def: $vgpr32
                                        ; implicit-def: $vgpr33
                                        ; implicit-def: $vgpr34
                                        ; implicit-def: $vgpr35
                                        ; implicit-def: $vgpr36
                                        ; implicit-def: $vgpr37
                                        ; implicit-def: $vgpr43
                                        ; implicit-def: $vgpr42
                                        ; implicit-def: $vgpr41
                                        ; implicit-def: $vgpr40
                                        ; implicit-def: $vgpr39
                                        ; implicit-def: $vgpr38
	s_branch .LBB593_51
.LBB593_46:
                                        ; implicit-def: $sgpr46_sgpr47
                                        ; implicit-def: $vgpr17
                                        ; implicit-def: $vgpr30
                                        ; implicit-def: $vgpr31
                                        ; implicit-def: $vgpr32
                                        ; implicit-def: $vgpr33
                                        ; implicit-def: $vgpr34
                                        ; implicit-def: $vgpr35
                                        ; implicit-def: $vgpr36
                                        ; implicit-def: $vgpr37
                                        ; implicit-def: $vgpr43
                                        ; implicit-def: $vgpr42
                                        ; implicit-def: $vgpr41
                                        ; implicit-def: $vgpr40
                                        ; implicit-def: $vgpr39
                                        ; implicit-def: $vgpr38
	s_cbranch_execz .LBB593_50
; %bb.47:
	s_waitcnt vmcnt(0) lgkmcnt(0)
	s_barrier
	s_and_saveexec_b64 s[4:5], s[2:3]
; %bb.48:
	v_add_u32_e32 v17, -4, v22
	ds_read_b32 v21, v17
; %bb.49:
	s_or_b64 exec, exec, s[4:5]
	v_or_b32_e32 v17, 15, v20
	v_cmp_gt_u32_e32 vcc, s52, v17
	v_cmp_ne_u32_e64 s[4:5], v1, v2
	s_and_b64 s[4:5], vcc, s[4:5]
	v_or_b32_e32 v22, 14, v20
	v_cndmask_b32_e64 v17, 0, 1, s[4:5]
	v_cmp_gt_u32_e32 vcc, s52, v22
	v_cmp_ne_u32_e64 s[4:5], v4, v1
	s_and_b64 s[4:5], vcc, s[4:5]
	v_or_b32_e32 v22, 13, v20
	v_cndmask_b32_e64 v30, 0, 1, s[4:5]
	;; [unrolled: 5-line block ×14, first 2 shown]
	v_cmp_gt_u32_e32 vcc, s52, v22
	v_cmp_ne_u32_e64 s[4:5], v15, v16
	s_and_b64 s[4:5], vcc, s[4:5]
	v_cndmask_b32_e64 v43, 0, 1, s[4:5]
	v_cmp_gt_u32_e32 vcc, s52, v20
	s_waitcnt lgkmcnt(0)
	v_cmp_ne_u32_e64 s[4:5], v21, v15
	s_and_b64 s[46:47], vcc, s[4:5]
.LBB593_50:
	s_mov_b64 s[48:49], -1
	s_cbranch_execnz .LBB593_59
.LBB593_51:
	s_waitcnt vmcnt(0) lgkmcnt(0)
	v_lshlrev_b32_e32 v21, 2, v0
	s_and_b64 vcc, exec, s[6:7]
	v_cmp_ne_u32_e64 s[4:5], v1, v2
	v_cmp_ne_u32_e64 s[6:7], v4, v1
	;; [unrolled: 1-line block ×15, first 2 shown]
	ds_write_b32 v21, v2
	s_cbranch_vccz .LBB593_55
; %bb.52:
	s_waitcnt lgkmcnt(0)
	s_barrier
                                        ; implicit-def: $sgpr46_sgpr47
	s_and_saveexec_b64 s[50:51], s[2:3]
	s_xor_b64 s[50:51], exec, s[50:51]
	s_cbranch_execz .LBB593_54
; %bb.53:
	v_add_u32_e32 v17, -4, v21
	ds_read_b32 v17, v17
	s_or_b64 s[48:49], s[48:49], exec
	s_waitcnt lgkmcnt(0)
	v_cmp_ne_u32_e64 s[46:47], v17, v15
.LBB593_54:
	s_or_b64 exec, exec, s[50:51]
	v_cndmask_b32_e64 v17, 0, 1, s[4:5]
	v_cndmask_b32_e64 v30, 0, 1, s[6:7]
	;; [unrolled: 1-line block ×15, first 2 shown]
	s_branch .LBB593_59
.LBB593_55:
                                        ; implicit-def: $sgpr46_sgpr47
                                        ; implicit-def: $vgpr17
                                        ; implicit-def: $vgpr30
                                        ; implicit-def: $vgpr31
                                        ; implicit-def: $vgpr32
                                        ; implicit-def: $vgpr33
                                        ; implicit-def: $vgpr34
                                        ; implicit-def: $vgpr35
                                        ; implicit-def: $vgpr36
                                        ; implicit-def: $vgpr37
                                        ; implicit-def: $vgpr43
                                        ; implicit-def: $vgpr42
                                        ; implicit-def: $vgpr41
                                        ; implicit-def: $vgpr40
                                        ; implicit-def: $vgpr39
                                        ; implicit-def: $vgpr38
	s_cbranch_execz .LBB593_59
; %bb.56:
	v_or_b32_e32 v17, 15, v20
	v_cmp_gt_u32_e32 vcc, s52, v17
	v_cmp_ne_u32_e64 s[4:5], v1, v2
	v_or_b32_e32 v17, 14, v20
	s_and_b64 s[6:7], vcc, s[4:5]
	v_cmp_gt_u32_e32 vcc, s52, v17
	v_cmp_ne_u32_e64 s[4:5], v4, v1
	v_or_b32_e32 v17, 13, v20
	s_and_b64 s[8:9], vcc, s[4:5]
	;; [unrolled: 4-line block ×14, first 2 shown]
	v_cmp_gt_u32_e32 vcc, s52, v17
	v_cmp_ne_u32_e64 s[4:5], v15, v16
	s_and_b64 s[4:5], vcc, s[4:5]
	s_waitcnt lgkmcnt(0)
	s_barrier
                                        ; implicit-def: $sgpr46_sgpr47
	s_and_saveexec_b64 s[50:51], s[2:3]
	s_cbranch_execz .LBB593_58
; %bb.57:
	v_add_u32_e32 v17, -4, v21
	ds_read_b32 v17, v17
	v_cmp_gt_u32_e32 vcc, s52, v20
	s_or_b64 s[48:49], s[48:49], exec
	s_waitcnt lgkmcnt(0)
	v_cmp_ne_u32_e64 s[2:3], v17, v15
	s_and_b64 s[46:47], vcc, s[2:3]
.LBB593_58:
	s_or_b64 exec, exec, s[50:51]
	v_cndmask_b32_e64 v17, 0, 1, s[6:7]
	v_cndmask_b32_e64 v30, 0, 1, s[8:9]
	;; [unrolled: 1-line block ×15, first 2 shown]
.LBB593_59:
	v_mov_b32_e32 v47, 1
	s_and_saveexec_b64 s[2:3], s[48:49]
; %bb.60:
	v_cndmask_b32_e64 v47, 0, 1, s[46:47]
; %bb.61:
	s_or_b64 exec, exec, s[2:3]
	s_andn2_b64 vcc, exec, s[42:43]
	s_cbranch_vccnz .LBB593_63
; %bb.62:
	v_cmp_gt_u32_e32 vcc, s52, v20
	s_waitcnt vmcnt(0) lgkmcnt(0)
	v_or_b32_e32 v21, 1, v20
	v_cndmask_b32_e32 v47, 0, v47, vcc
	v_cmp_gt_u32_e32 vcc, s52, v21
	v_or_b32_e32 v21, 2, v20
	v_cndmask_b32_e32 v43, 0, v43, vcc
	v_cmp_gt_u32_e32 vcc, s52, v21
	;; [unrolled: 3-line block ×15, first 2 shown]
	v_cndmask_b32_e32 v17, 0, v17, vcc
.LBB593_63:
	v_and_b32_e32 v54, 0xff, v41
	v_and_b32_e32 v53, 0xff, v40
	s_waitcnt vmcnt(0) lgkmcnt(0)
	v_add_u32_sdwa v21, v39, v38 dst_sel:DWORD dst_unused:UNUSED_PAD src0_sel:BYTE_0 src1_sel:BYTE_0
	v_and_b32_e32 v56, 0xff, v43
	v_and_b32_e32 v55, 0xff, v42
	v_add3_u32 v21, v21, v53, v54
	v_and_b32_e32 v57, 0xffff, v47
	v_and_b32_e32 v52, 0xff, v37
	v_add3_u32 v21, v21, v55, v56
	;; [unrolled: 3-line block ×6, first 2 shown]
	v_add3_u32 v60, v21, v44, v20
	v_mbcnt_lo_u32_b32 v20, -1, 0
	v_mbcnt_hi_u32_b32 v58, -1, v20
	v_and_b32_e32 v20, 15, v58
	v_cmp_eq_u32_e64 s[14:15], 0, v20
	v_cmp_lt_u32_e64 s[12:13], 1, v20
	v_cmp_lt_u32_e64 s[10:11], 3, v20
	v_cmp_lt_u32_e64 s[8:9], 7, v20
	v_and_b32_e32 v20, 16, v58
	v_cmp_eq_u32_e64 s[6:7], 0, v20
	v_or_b32_e32 v20, 63, v0
	v_cmp_lt_u32_e64 s[2:3], 31, v58
	v_lshrrev_b32_e32 v59, 6, v0
	v_cmp_eq_u32_e64 s[4:5], v0, v20
	s_and_b64 vcc, exec, s[44:45]
	s_barrier
	s_cbranch_vccz .LBB593_85
; %bb.64:
	v_mov_b32_dpp v20, v60 row_shr:1 row_mask:0xf bank_mask:0xf
	v_cndmask_b32_e64 v20, v20, 0, s[14:15]
	v_add_u32_e32 v20, v20, v60
	s_nop 1
	v_mov_b32_dpp v21, v20 row_shr:2 row_mask:0xf bank_mask:0xf
	v_cndmask_b32_e64 v21, 0, v21, s[12:13]
	v_add_u32_e32 v20, v20, v21
	s_nop 1
	;; [unrolled: 4-line block ×4, first 2 shown]
	v_mov_b32_dpp v21, v20 row_bcast:15 row_mask:0xf bank_mask:0xf
	v_cndmask_b32_e64 v21, v21, 0, s[6:7]
	v_add_u32_e32 v20, v20, v21
	s_nop 1
	v_mov_b32_dpp v21, v20 row_bcast:31 row_mask:0xf bank_mask:0xf
	v_cndmask_b32_e64 v21, 0, v21, s[2:3]
	v_add_u32_e32 v20, v20, v21
	s_and_saveexec_b64 s[16:17], s[4:5]
; %bb.65:
	v_lshlrev_b32_e32 v21, 2, v59
	ds_write_b32 v21, v20
; %bb.66:
	s_or_b64 exec, exec, s[16:17]
	v_cmp_gt_u32_e32 vcc, 4, v0
	s_waitcnt lgkmcnt(0)
	s_barrier
	s_and_saveexec_b64 s[16:17], vcc
	s_cbranch_execz .LBB593_68
; %bb.67:
	v_lshlrev_b32_e32 v21, 2, v0
	ds_read_b32 v22, v21
	v_and_b32_e32 v23, 3, v58
	v_cmp_ne_u32_e32 vcc, 0, v23
	s_waitcnt lgkmcnt(0)
	v_mov_b32_dpp v24, v22 row_shr:1 row_mask:0xf bank_mask:0xf
	v_cndmask_b32_e32 v24, 0, v24, vcc
	v_add_u32_e32 v22, v24, v22
	v_cmp_lt_u32_e32 vcc, 1, v23
	s_nop 0
	v_mov_b32_dpp v24, v22 row_shr:2 row_mask:0xf bank_mask:0xf
	v_cndmask_b32_e32 v23, 0, v24, vcc
	v_add_u32_e32 v22, v22, v23
	ds_write_b32 v21, v22
.LBB593_68:
	s_or_b64 exec, exec, s[16:17]
	v_cmp_gt_u32_e32 vcc, 64, v0
	v_cmp_lt_u32_e64 s[16:17], 63, v0
	s_waitcnt lgkmcnt(0)
	s_barrier
                                        ; implicit-def: $vgpr61
	s_and_saveexec_b64 s[18:19], s[16:17]
	s_cbranch_execz .LBB593_70
; %bb.69:
	v_lshl_add_u32 v21, v59, 2, -4
	ds_read_b32 v61, v21
	s_waitcnt lgkmcnt(0)
	v_add_u32_e32 v20, v61, v20
.LBB593_70:
	s_or_b64 exec, exec, s[18:19]
	v_subrev_co_u32_e64 v21, s[16:17], 1, v58
	v_and_b32_e32 v22, 64, v58
	v_cmp_lt_i32_e64 s[18:19], v21, v22
	v_cndmask_b32_e64 v21, v21, v58, s[18:19]
	v_lshlrev_b32_e32 v21, 2, v21
	ds_bpermute_b32 v62, v21, v20
	s_and_saveexec_b64 s[18:19], vcc
	s_cbranch_execz .LBB593_90
; %bb.71:
	v_mov_b32_e32 v26, 0
	ds_read_b32 v20, v26 offset:12
	s_and_saveexec_b64 s[20:21], s[16:17]
	s_cbranch_execz .LBB593_73
; %bb.72:
	s_add_i32 s22, s33, 64
	s_mov_b32 s23, 0
	s_lshl_b64 s[22:23], s[22:23], 3
	s_add_u32 s22, s40, s22
	v_mov_b32_e32 v21, 1
	s_addc_u32 s23, s41, s23
	s_waitcnt lgkmcnt(0)
	global_store_dwordx2 v26, v[20:21], s[22:23]
.LBB593_73:
	s_or_b64 exec, exec, s[20:21]
	v_xad_u32 v22, v58, -1, s33
	v_add_u32_e32 v25, 64, v22
	v_lshlrev_b64 v[23:24], 3, v[25:26]
	v_mov_b32_e32 v21, s41
	v_add_co_u32_e32 v27, vcc, s40, v23
	v_addc_co_u32_e32 v28, vcc, v21, v24, vcc
	global_load_dwordx2 v[24:25], v[27:28], off glc
	s_waitcnt vmcnt(0)
	v_cmp_eq_u16_sdwa s[22:23], v25, v26 src0_sel:BYTE_0 src1_sel:DWORD
	s_and_saveexec_b64 s[20:21], s[22:23]
	s_cbranch_execz .LBB593_77
; %bb.74:
	s_mov_b64 s[22:23], 0
	v_mov_b32_e32 v21, 0
.LBB593_75:                             ; =>This Inner Loop Header: Depth=1
	global_load_dwordx2 v[24:25], v[27:28], off glc
	s_waitcnt vmcnt(0)
	v_cmp_ne_u16_sdwa s[24:25], v25, v21 src0_sel:BYTE_0 src1_sel:DWORD
	s_or_b64 s[22:23], s[24:25], s[22:23]
	s_andn2_b64 exec, exec, s[22:23]
	s_cbranch_execnz .LBB593_75
; %bb.76:
	s_or_b64 exec, exec, s[22:23]
.LBB593_77:
	s_or_b64 exec, exec, s[20:21]
	v_and_b32_e32 v64, 63, v58
	v_mov_b32_e32 v63, 2
	v_lshlrev_b64 v[26:27], v58, -1
	v_cmp_ne_u32_e32 vcc, 63, v64
	v_cmp_eq_u16_sdwa s[20:21], v25, v63 src0_sel:BYTE_0 src1_sel:DWORD
	v_addc_co_u32_e32 v28, vcc, 0, v58, vcc
	v_and_b32_e32 v21, s21, v27
	v_lshlrev_b32_e32 v65, 2, v28
	v_or_b32_e32 v21, 0x80000000, v21
	ds_bpermute_b32 v28, v65, v24
	v_and_b32_e32 v23, s20, v26
	v_ffbl_b32_e32 v21, v21
	v_add_u32_e32 v21, 32, v21
	v_ffbl_b32_e32 v23, v23
	v_min_u32_e32 v21, v23, v21
	v_cmp_lt_u32_e32 vcc, v64, v21
	s_waitcnt lgkmcnt(0)
	v_cndmask_b32_e32 v23, 0, v28, vcc
	v_cmp_gt_u32_e32 vcc, 62, v64
	v_add_u32_e32 v23, v23, v24
	v_cndmask_b32_e64 v24, 0, 2, vcc
	v_add_lshl_u32 v66, v24, v58, 2
	ds_bpermute_b32 v24, v66, v23
	v_add_u32_e32 v67, 2, v64
	v_cmp_le_u32_e32 vcc, v67, v21
	v_add_u32_e32 v69, 4, v64
	v_add_u32_e32 v71, 8, v64
	s_waitcnt lgkmcnt(0)
	v_cndmask_b32_e32 v24, 0, v24, vcc
	v_cmp_gt_u32_e32 vcc, 60, v64
	v_add_u32_e32 v23, v23, v24
	v_cndmask_b32_e64 v24, 0, 4, vcc
	v_add_lshl_u32 v68, v24, v58, 2
	ds_bpermute_b32 v24, v68, v23
	v_cmp_le_u32_e32 vcc, v69, v21
	v_add_u32_e32 v73, 16, v64
	v_add_u32_e32 v75, 32, v64
	s_waitcnt lgkmcnt(0)
	v_cndmask_b32_e32 v24, 0, v24, vcc
	v_cmp_gt_u32_e32 vcc, 56, v64
	v_add_u32_e32 v23, v23, v24
	v_cndmask_b32_e64 v24, 0, 8, vcc
	v_add_lshl_u32 v70, v24, v58, 2
	ds_bpermute_b32 v24, v70, v23
	v_cmp_le_u32_e32 vcc, v71, v21
	s_waitcnt lgkmcnt(0)
	v_cndmask_b32_e32 v24, 0, v24, vcc
	v_cmp_gt_u32_e32 vcc, 48, v64
	v_add_u32_e32 v23, v23, v24
	v_cndmask_b32_e64 v24, 0, 16, vcc
	v_add_lshl_u32 v72, v24, v58, 2
	ds_bpermute_b32 v24, v72, v23
	v_cmp_le_u32_e32 vcc, v73, v21
	s_waitcnt lgkmcnt(0)
	v_cndmask_b32_e32 v24, 0, v24, vcc
	v_add_u32_e32 v23, v23, v24
	v_mov_b32_e32 v24, 0x80
	v_lshl_or_b32 v74, v58, 2, v24
	ds_bpermute_b32 v24, v74, v23
	v_cmp_le_u32_e32 vcc, v75, v21
	s_waitcnt lgkmcnt(0)
	v_cndmask_b32_e32 v21, 0, v24, vcc
	v_add_u32_e32 v24, v23, v21
	v_mov_b32_e32 v23, 0
	s_branch .LBB593_80
.LBB593_78:                             ;   in Loop: Header=BB593_80 Depth=1
	s_or_b64 exec, exec, s[20:21]
	v_cmp_eq_u16_sdwa s[20:21], v25, v63 src0_sel:BYTE_0 src1_sel:DWORD
	v_and_b32_e32 v28, s21, v27
	v_or_b32_e32 v28, 0x80000000, v28
	ds_bpermute_b32 v76, v65, v24
	v_and_b32_e32 v29, s20, v26
	v_ffbl_b32_e32 v28, v28
	v_add_u32_e32 v28, 32, v28
	v_ffbl_b32_e32 v29, v29
	v_min_u32_e32 v28, v29, v28
	v_cmp_lt_u32_e32 vcc, v64, v28
	s_waitcnt lgkmcnt(0)
	v_cndmask_b32_e32 v29, 0, v76, vcc
	v_add_u32_e32 v24, v29, v24
	ds_bpermute_b32 v29, v66, v24
	v_cmp_le_u32_e32 vcc, v67, v28
	v_subrev_u32_e32 v22, 64, v22
	s_mov_b64 s[20:21], 0
	s_waitcnt lgkmcnt(0)
	v_cndmask_b32_e32 v29, 0, v29, vcc
	v_add_u32_e32 v24, v24, v29
	ds_bpermute_b32 v29, v68, v24
	v_cmp_le_u32_e32 vcc, v69, v28
	s_waitcnt lgkmcnt(0)
	v_cndmask_b32_e32 v29, 0, v29, vcc
	v_add_u32_e32 v24, v24, v29
	ds_bpermute_b32 v29, v70, v24
	v_cmp_le_u32_e32 vcc, v71, v28
	;; [unrolled: 5-line block ×4, first 2 shown]
	s_waitcnt lgkmcnt(0)
	v_cndmask_b32_e32 v28, 0, v29, vcc
	v_add3_u32 v24, v28, v21, v24
.LBB593_79:                             ;   in Loop: Header=BB593_80 Depth=1
	s_and_b64 vcc, exec, s[20:21]
	s_cbranch_vccnz .LBB593_86
.LBB593_80:                             ; =>This Loop Header: Depth=1
                                        ;     Child Loop BB593_83 Depth 2
	v_cmp_ne_u16_sdwa s[20:21], v25, v63 src0_sel:BYTE_0 src1_sel:DWORD
	v_mov_b32_e32 v21, v24
	s_cmp_lg_u64 s[20:21], exec
	s_mov_b64 s[20:21], -1
                                        ; implicit-def: $vgpr24
                                        ; implicit-def: $vgpr25
	s_cbranch_scc1 .LBB593_79
; %bb.81:                               ;   in Loop: Header=BB593_80 Depth=1
	v_lshlrev_b64 v[24:25], 3, v[22:23]
	v_mov_b32_e32 v29, s41
	v_add_co_u32_e32 v28, vcc, s40, v24
	v_addc_co_u32_e32 v29, vcc, v29, v25, vcc
	global_load_dwordx2 v[24:25], v[28:29], off glc
	s_waitcnt vmcnt(0)
	v_cmp_eq_u16_sdwa s[22:23], v25, v23 src0_sel:BYTE_0 src1_sel:DWORD
	s_and_saveexec_b64 s[20:21], s[22:23]
	s_cbranch_execz .LBB593_78
; %bb.82:                               ;   in Loop: Header=BB593_80 Depth=1
	s_mov_b64 s[22:23], 0
.LBB593_83:                             ;   Parent Loop BB593_80 Depth=1
                                        ; =>  This Inner Loop Header: Depth=2
	global_load_dwordx2 v[24:25], v[28:29], off glc
	s_waitcnt vmcnt(0)
	v_cmp_ne_u16_sdwa s[24:25], v25, v23 src0_sel:BYTE_0 src1_sel:DWORD
	s_or_b64 s[22:23], s[24:25], s[22:23]
	s_andn2_b64 exec, exec, s[22:23]
	s_cbranch_execnz .LBB593_83
; %bb.84:                               ;   in Loop: Header=BB593_80 Depth=1
	s_or_b64 exec, exec, s[22:23]
	s_branch .LBB593_78
.LBB593_85:
                                        ; implicit-def: $vgpr21
                                        ; implicit-def: $vgpr22
	s_cbranch_execnz .LBB593_91
	s_branch .LBB593_100
.LBB593_86:
	s_and_saveexec_b64 s[20:21], s[16:17]
	s_cbranch_execz .LBB593_88
; %bb.87:
	s_add_i32 s22, s33, 64
	s_mov_b32 s23, 0
	s_lshl_b64 s[22:23], s[22:23], 3
	s_add_u32 s22, s40, s22
	v_add_u32_e32 v22, v21, v20
	v_mov_b32_e32 v23, 2
	s_addc_u32 s23, s41, s23
	v_mov_b32_e32 v24, 0
	global_store_dwordx2 v24, v[22:23], s[22:23]
	ds_write_b64 v24, v[20:21] offset:16896
.LBB593_88:
	s_or_b64 exec, exec, s[20:21]
	s_and_b64 exec, exec, s[0:1]
; %bb.89:
	v_mov_b32_e32 v20, 0
	ds_write_b32 v20, v21 offset:12
.LBB593_90:
	s_or_b64 exec, exec, s[18:19]
	v_mov_b32_e32 v20, 0
	s_waitcnt vmcnt(0) lgkmcnt(0)
	s_barrier
	ds_read_b32 v22, v20 offset:12
	s_waitcnt lgkmcnt(0)
	s_barrier
	ds_read_b64 v[20:21], v20 offset:16896
	v_cndmask_b32_e64 v23, v62, v61, s[16:17]
	v_cndmask_b32_e64 v23, v23, 0, s[0:1]
	v_add_u32_e32 v22, v22, v23
	s_branch .LBB593_100
.LBB593_91:
	s_waitcnt lgkmcnt(0)
	v_mov_b32_dpp v20, v60 row_shr:1 row_mask:0xf bank_mask:0xf
	v_cndmask_b32_e64 v20, v20, 0, s[14:15]
	v_add_u32_e32 v20, v20, v60
	s_nop 1
	v_mov_b32_dpp v21, v20 row_shr:2 row_mask:0xf bank_mask:0xf
	v_cndmask_b32_e64 v21, 0, v21, s[12:13]
	v_add_u32_e32 v20, v20, v21
	s_nop 1
	;; [unrolled: 4-line block ×4, first 2 shown]
	v_mov_b32_dpp v21, v20 row_bcast:15 row_mask:0xf bank_mask:0xf
	v_cndmask_b32_e64 v21, v21, 0, s[6:7]
	v_add_u32_e32 v20, v20, v21
	s_nop 1
	v_mov_b32_dpp v21, v20 row_bcast:31 row_mask:0xf bank_mask:0xf
	v_cndmask_b32_e64 v21, 0, v21, s[2:3]
	v_add_u32_e32 v20, v20, v21
	s_and_saveexec_b64 s[2:3], s[4:5]
; %bb.92:
	v_lshlrev_b32_e32 v21, 2, v59
	ds_write_b32 v21, v20
; %bb.93:
	s_or_b64 exec, exec, s[2:3]
	v_cmp_gt_u32_e32 vcc, 4, v0
	s_waitcnt lgkmcnt(0)
	s_barrier
	s_and_saveexec_b64 s[2:3], vcc
	s_cbranch_execz .LBB593_95
; %bb.94:
	v_lshlrev_b32_e32 v21, 2, v0
	ds_read_b32 v22, v21
	v_and_b32_e32 v23, 3, v58
	v_cmp_ne_u32_e32 vcc, 0, v23
	s_waitcnt lgkmcnt(0)
	v_mov_b32_dpp v24, v22 row_shr:1 row_mask:0xf bank_mask:0xf
	v_cndmask_b32_e32 v24, 0, v24, vcc
	v_add_u32_e32 v22, v24, v22
	v_cmp_lt_u32_e32 vcc, 1, v23
	s_nop 0
	v_mov_b32_dpp v24, v22 row_shr:2 row_mask:0xf bank_mask:0xf
	v_cndmask_b32_e32 v23, 0, v24, vcc
	v_add_u32_e32 v22, v22, v23
	ds_write_b32 v21, v22
.LBB593_95:
	s_or_b64 exec, exec, s[2:3]
	v_cmp_lt_u32_e32 vcc, 63, v0
	v_mov_b32_e32 v21, 0
	v_mov_b32_e32 v0, 0
	s_waitcnt lgkmcnt(0)
	s_barrier
	s_and_saveexec_b64 s[2:3], vcc
; %bb.96:
	v_lshl_add_u32 v0, v59, 2, -4
	ds_read_b32 v0, v0
; %bb.97:
	s_or_b64 exec, exec, s[2:3]
	v_subrev_co_u32_e32 v22, vcc, 1, v58
	v_and_b32_e32 v23, 64, v58
	v_cmp_lt_i32_e64 s[2:3], v22, v23
	v_cndmask_b32_e64 v22, v22, v58, s[2:3]
	s_waitcnt lgkmcnt(0)
	v_add_u32_e32 v20, v0, v20
	v_lshlrev_b32_e32 v22, 2, v22
	ds_bpermute_b32 v22, v22, v20
	ds_read_b32 v20, v21 offset:12
	s_and_saveexec_b64 s[2:3], s[0:1]
	s_cbranch_execz .LBB593_99
; %bb.98:
	v_mov_b32_e32 v23, 0
	v_mov_b32_e32 v21, 2
	s_waitcnt lgkmcnt(0)
	global_store_dwordx2 v23, v[20:21], s[40:41] offset:512
.LBB593_99:
	s_or_b64 exec, exec, s[2:3]
	s_waitcnt lgkmcnt(1)
	v_cndmask_b32_e32 v0, v22, v0, vcc
	v_cndmask_b32_e64 v22, v0, 0, s[0:1]
	s_waitcnt vmcnt(0) lgkmcnt(0)
	s_barrier
	v_mov_b32_e32 v21, 0
.LBB593_100:
	s_movk_i32 s2, 0x101
	s_waitcnt lgkmcnt(0)
	v_cmp_gt_u32_e32 vcc, s2, v20
	s_cbranch_vccz .LBB593_103
; %bb.101:
	s_and_b64 s[0:1], s[0:1], s[38:39]
	s_and_saveexec_b64 s[2:3], s[0:1]
	s_cbranch_execnz .LBB593_136
.LBB593_102:
	s_endpgm
.LBB593_103:
	v_and_b32_e32 v0, 1, v47
	v_cmp_eq_u32_e32 vcc, 1, v0
	s_and_saveexec_b64 s[2:3], vcc
; %bb.104:
	v_sub_u32_e32 v0, v22, v21
	v_lshlrev_b32_e32 v0, 2, v0
	ds_write_b32 v0, v15
; %bb.105:
	s_or_b64 exec, exec, s[2:3]
	v_and_b32_e32 v15, 1, v43
	v_add_u32_e32 v0, v22, v57
	v_cmp_eq_u32_e32 vcc, 1, v15
	s_and_saveexec_b64 s[2:3], vcc
; %bb.106:
	v_sub_u32_e32 v15, v0, v21
	v_lshlrev_b32_e32 v15, 2, v15
	ds_write_b32 v15, v16
; %bb.107:
	s_or_b64 exec, exec, s[2:3]
	v_and_b32_e32 v15, 1, v42
	v_add_u32_e32 v0, v0, v56
	;; [unrolled: 10-line block ×5, first 2 shown]
	v_cmp_eq_u32_e32 vcc, 1, v11
	s_and_saveexec_b64 s[2:3], vcc
; %bb.114:
	v_sub_u32_e32 v11, v0, v21
	v_lshlrev_b32_e32 v11, 2, v11
	ds_write_b32 v11, v12
; %bb.115:
	s_or_b64 exec, exec, s[2:3]
	v_and_b32_e32 v11, 1, v38
	v_add_u32_sdwa v0, v0, v39 dst_sel:DWORD dst_unused:UNUSED_PAD src0_sel:DWORD src1_sel:BYTE_0
	v_cmp_eq_u32_e32 vcc, 1, v11
	s_and_saveexec_b64 s[2:3], vcc
; %bb.116:
	v_sub_u32_e32 v11, v0, v21
	v_lshlrev_b32_e32 v11, 2, v11
	ds_write_b32 v11, v9
; %bb.117:
	s_or_b64 exec, exec, s[2:3]
	v_and_b32_e32 v9, 1, v37
	v_add_u32_sdwa v0, v0, v38 dst_sel:DWORD dst_unused:UNUSED_PAD src0_sel:DWORD src1_sel:BYTE_0
	v_cmp_eq_u32_e32 vcc, 1, v9
	s_and_saveexec_b64 s[2:3], vcc
; %bb.118:
	v_sub_u32_e32 v9, v0, v21
	v_lshlrev_b32_e32 v9, 2, v9
	ds_write_b32 v9, v10
; %bb.119:
	s_or_b64 exec, exec, s[2:3]
	v_and_b32_e32 v9, 1, v36
	v_add_u32_e32 v0, v0, v52
	v_cmp_eq_u32_e32 vcc, 1, v9
	s_and_saveexec_b64 s[2:3], vcc
; %bb.120:
	v_sub_u32_e32 v9, v0, v21
	v_lshlrev_b32_e32 v9, 2, v9
	ds_write_b32 v9, v7
; %bb.121:
	s_or_b64 exec, exec, s[2:3]
	v_and_b32_e32 v7, 1, v35
	v_add_u32_e32 v0, v0, v51
	;; [unrolled: 10-line block ×7, first 2 shown]
	v_cmp_eq_u32_e32 vcc, 1, v3
	s_and_saveexec_b64 s[2:3], vcc
; %bb.132:
	v_sub_u32_e32 v3, v0, v21
	v_lshlrev_b32_e32 v3, 2, v3
	ds_write_b32 v3, v1
; %bb.133:
	s_or_b64 exec, exec, s[2:3]
	v_and_b32_e32 v1, 1, v17
	v_cmp_eq_u32_e32 vcc, 1, v1
	s_and_saveexec_b64 s[2:3], vcc
; %bb.134:
	v_sub_u32_e32 v1, v44, v21
	v_lshlrev_b32_e32 v0, 2, v0
	v_lshl_add_u32 v0, v1, 2, v0
	ds_write_b32 v0, v2
; %bb.135:
	s_or_b64 exec, exec, s[2:3]
	s_waitcnt lgkmcnt(0)
	s_barrier
	s_and_b64 s[0:1], s[0:1], s[38:39]
	s_and_saveexec_b64 s[2:3], s[0:1]
	s_cbranch_execz .LBB593_102
.LBB593_136:
	v_add_co_u32_e32 v0, vcc, v18, v20
	v_addc_co_u32_e32 v1, vcc, 0, v19, vcc
	v_add_co_u32_e32 v0, vcc, v0, v21
	v_mov_b32_e32 v2, 0
	v_addc_co_u32_e32 v1, vcc, 0, v1, vcc
	global_store_dwordx2 v2, v[0:1], s[36:37]
	s_endpgm
	.section	.rodata,"a",@progbits
	.p2align	6, 0x0
	.amdhsa_kernel _ZN7rocprim17ROCPRIM_400000_NS6detail17trampoline_kernelINS0_14default_configENS1_25partition_config_selectorILNS1_17partition_subalgoE8EjNS0_10empty_typeEbEEZZNS1_14partition_implILS5_8ELb0ES3_jN6thrust23THRUST_200600_302600_NS6detail15normal_iteratorINSA_10device_ptrIjEEEEPS6_PKS6_NS0_5tupleIJNSA_16discard_iteratorINSA_11use_defaultEEES6_EEENSJ_IJSG_SG_EEENS0_18inequality_wrapperINSA_8equal_toIjEEEEPmJS6_EEE10hipError_tPvRmT3_T4_T5_T6_T7_T9_mT8_P12ihipStream_tbDpT10_ENKUlT_T0_E_clISt17integral_constantIbLb0EES1C_IbLb1EEEEDaS18_S19_EUlS18_E_NS1_11comp_targetILNS1_3genE2ELNS1_11target_archE906ELNS1_3gpuE6ELNS1_3repE0EEENS1_30default_config_static_selectorELNS0_4arch9wavefront6targetE1EEEvT1_
		.amdhsa_group_segment_fixed_size 16904
		.amdhsa_private_segment_fixed_size 0
		.amdhsa_kernarg_size 136
		.amdhsa_user_sgpr_count 6
		.amdhsa_user_sgpr_private_segment_buffer 1
		.amdhsa_user_sgpr_dispatch_ptr 0
		.amdhsa_user_sgpr_queue_ptr 0
		.amdhsa_user_sgpr_kernarg_segment_ptr 1
		.amdhsa_user_sgpr_dispatch_id 0
		.amdhsa_user_sgpr_flat_scratch_init 0
		.amdhsa_user_sgpr_private_segment_size 0
		.amdhsa_uses_dynamic_stack 0
		.amdhsa_system_sgpr_private_segment_wavefront_offset 0
		.amdhsa_system_sgpr_workgroup_id_x 1
		.amdhsa_system_sgpr_workgroup_id_y 0
		.amdhsa_system_sgpr_workgroup_id_z 0
		.amdhsa_system_sgpr_workgroup_info 0
		.amdhsa_system_vgpr_workitem_id 0
		.amdhsa_next_free_vgpr 77
		.amdhsa_next_free_sgpr 98
		.amdhsa_reserve_vcc 1
		.amdhsa_reserve_flat_scratch 0
		.amdhsa_float_round_mode_32 0
		.amdhsa_float_round_mode_16_64 0
		.amdhsa_float_denorm_mode_32 3
		.amdhsa_float_denorm_mode_16_64 3
		.amdhsa_dx10_clamp 1
		.amdhsa_ieee_mode 1
		.amdhsa_fp16_overflow 0
		.amdhsa_exception_fp_ieee_invalid_op 0
		.amdhsa_exception_fp_denorm_src 0
		.amdhsa_exception_fp_ieee_div_zero 0
		.amdhsa_exception_fp_ieee_overflow 0
		.amdhsa_exception_fp_ieee_underflow 0
		.amdhsa_exception_fp_ieee_inexact 0
		.amdhsa_exception_int_div_zero 0
	.end_amdhsa_kernel
	.section	.text._ZN7rocprim17ROCPRIM_400000_NS6detail17trampoline_kernelINS0_14default_configENS1_25partition_config_selectorILNS1_17partition_subalgoE8EjNS0_10empty_typeEbEEZZNS1_14partition_implILS5_8ELb0ES3_jN6thrust23THRUST_200600_302600_NS6detail15normal_iteratorINSA_10device_ptrIjEEEEPS6_PKS6_NS0_5tupleIJNSA_16discard_iteratorINSA_11use_defaultEEES6_EEENSJ_IJSG_SG_EEENS0_18inequality_wrapperINSA_8equal_toIjEEEEPmJS6_EEE10hipError_tPvRmT3_T4_T5_T6_T7_T9_mT8_P12ihipStream_tbDpT10_ENKUlT_T0_E_clISt17integral_constantIbLb0EES1C_IbLb1EEEEDaS18_S19_EUlS18_E_NS1_11comp_targetILNS1_3genE2ELNS1_11target_archE906ELNS1_3gpuE6ELNS1_3repE0EEENS1_30default_config_static_selectorELNS0_4arch9wavefront6targetE1EEEvT1_,"axG",@progbits,_ZN7rocprim17ROCPRIM_400000_NS6detail17trampoline_kernelINS0_14default_configENS1_25partition_config_selectorILNS1_17partition_subalgoE8EjNS0_10empty_typeEbEEZZNS1_14partition_implILS5_8ELb0ES3_jN6thrust23THRUST_200600_302600_NS6detail15normal_iteratorINSA_10device_ptrIjEEEEPS6_PKS6_NS0_5tupleIJNSA_16discard_iteratorINSA_11use_defaultEEES6_EEENSJ_IJSG_SG_EEENS0_18inequality_wrapperINSA_8equal_toIjEEEEPmJS6_EEE10hipError_tPvRmT3_T4_T5_T6_T7_T9_mT8_P12ihipStream_tbDpT10_ENKUlT_T0_E_clISt17integral_constantIbLb0EES1C_IbLb1EEEEDaS18_S19_EUlS18_E_NS1_11comp_targetILNS1_3genE2ELNS1_11target_archE906ELNS1_3gpuE6ELNS1_3repE0EEENS1_30default_config_static_selectorELNS0_4arch9wavefront6targetE1EEEvT1_,comdat
.Lfunc_end593:
	.size	_ZN7rocprim17ROCPRIM_400000_NS6detail17trampoline_kernelINS0_14default_configENS1_25partition_config_selectorILNS1_17partition_subalgoE8EjNS0_10empty_typeEbEEZZNS1_14partition_implILS5_8ELb0ES3_jN6thrust23THRUST_200600_302600_NS6detail15normal_iteratorINSA_10device_ptrIjEEEEPS6_PKS6_NS0_5tupleIJNSA_16discard_iteratorINSA_11use_defaultEEES6_EEENSJ_IJSG_SG_EEENS0_18inequality_wrapperINSA_8equal_toIjEEEEPmJS6_EEE10hipError_tPvRmT3_T4_T5_T6_T7_T9_mT8_P12ihipStream_tbDpT10_ENKUlT_T0_E_clISt17integral_constantIbLb0EES1C_IbLb1EEEEDaS18_S19_EUlS18_E_NS1_11comp_targetILNS1_3genE2ELNS1_11target_archE906ELNS1_3gpuE6ELNS1_3repE0EEENS1_30default_config_static_selectorELNS0_4arch9wavefront6targetE1EEEvT1_, .Lfunc_end593-_ZN7rocprim17ROCPRIM_400000_NS6detail17trampoline_kernelINS0_14default_configENS1_25partition_config_selectorILNS1_17partition_subalgoE8EjNS0_10empty_typeEbEEZZNS1_14partition_implILS5_8ELb0ES3_jN6thrust23THRUST_200600_302600_NS6detail15normal_iteratorINSA_10device_ptrIjEEEEPS6_PKS6_NS0_5tupleIJNSA_16discard_iteratorINSA_11use_defaultEEES6_EEENSJ_IJSG_SG_EEENS0_18inequality_wrapperINSA_8equal_toIjEEEEPmJS6_EEE10hipError_tPvRmT3_T4_T5_T6_T7_T9_mT8_P12ihipStream_tbDpT10_ENKUlT_T0_E_clISt17integral_constantIbLb0EES1C_IbLb1EEEEDaS18_S19_EUlS18_E_NS1_11comp_targetILNS1_3genE2ELNS1_11target_archE906ELNS1_3gpuE6ELNS1_3repE0EEENS1_30default_config_static_selectorELNS0_4arch9wavefront6targetE1EEEvT1_
                                        ; -- End function
	.set _ZN7rocprim17ROCPRIM_400000_NS6detail17trampoline_kernelINS0_14default_configENS1_25partition_config_selectorILNS1_17partition_subalgoE8EjNS0_10empty_typeEbEEZZNS1_14partition_implILS5_8ELb0ES3_jN6thrust23THRUST_200600_302600_NS6detail15normal_iteratorINSA_10device_ptrIjEEEEPS6_PKS6_NS0_5tupleIJNSA_16discard_iteratorINSA_11use_defaultEEES6_EEENSJ_IJSG_SG_EEENS0_18inequality_wrapperINSA_8equal_toIjEEEEPmJS6_EEE10hipError_tPvRmT3_T4_T5_T6_T7_T9_mT8_P12ihipStream_tbDpT10_ENKUlT_T0_E_clISt17integral_constantIbLb0EES1C_IbLb1EEEEDaS18_S19_EUlS18_E_NS1_11comp_targetILNS1_3genE2ELNS1_11target_archE906ELNS1_3gpuE6ELNS1_3repE0EEENS1_30default_config_static_selectorELNS0_4arch9wavefront6targetE1EEEvT1_.num_vgpr, 77
	.set _ZN7rocprim17ROCPRIM_400000_NS6detail17trampoline_kernelINS0_14default_configENS1_25partition_config_selectorILNS1_17partition_subalgoE8EjNS0_10empty_typeEbEEZZNS1_14partition_implILS5_8ELb0ES3_jN6thrust23THRUST_200600_302600_NS6detail15normal_iteratorINSA_10device_ptrIjEEEEPS6_PKS6_NS0_5tupleIJNSA_16discard_iteratorINSA_11use_defaultEEES6_EEENSJ_IJSG_SG_EEENS0_18inequality_wrapperINSA_8equal_toIjEEEEPmJS6_EEE10hipError_tPvRmT3_T4_T5_T6_T7_T9_mT8_P12ihipStream_tbDpT10_ENKUlT_T0_E_clISt17integral_constantIbLb0EES1C_IbLb1EEEEDaS18_S19_EUlS18_E_NS1_11comp_targetILNS1_3genE2ELNS1_11target_archE906ELNS1_3gpuE6ELNS1_3repE0EEENS1_30default_config_static_selectorELNS0_4arch9wavefront6targetE1EEEvT1_.num_agpr, 0
	.set _ZN7rocprim17ROCPRIM_400000_NS6detail17trampoline_kernelINS0_14default_configENS1_25partition_config_selectorILNS1_17partition_subalgoE8EjNS0_10empty_typeEbEEZZNS1_14partition_implILS5_8ELb0ES3_jN6thrust23THRUST_200600_302600_NS6detail15normal_iteratorINSA_10device_ptrIjEEEEPS6_PKS6_NS0_5tupleIJNSA_16discard_iteratorINSA_11use_defaultEEES6_EEENSJ_IJSG_SG_EEENS0_18inequality_wrapperINSA_8equal_toIjEEEEPmJS6_EEE10hipError_tPvRmT3_T4_T5_T6_T7_T9_mT8_P12ihipStream_tbDpT10_ENKUlT_T0_E_clISt17integral_constantIbLb0EES1C_IbLb1EEEEDaS18_S19_EUlS18_E_NS1_11comp_targetILNS1_3genE2ELNS1_11target_archE906ELNS1_3gpuE6ELNS1_3repE0EEENS1_30default_config_static_selectorELNS0_4arch9wavefront6targetE1EEEvT1_.numbered_sgpr, 53
	.set _ZN7rocprim17ROCPRIM_400000_NS6detail17trampoline_kernelINS0_14default_configENS1_25partition_config_selectorILNS1_17partition_subalgoE8EjNS0_10empty_typeEbEEZZNS1_14partition_implILS5_8ELb0ES3_jN6thrust23THRUST_200600_302600_NS6detail15normal_iteratorINSA_10device_ptrIjEEEEPS6_PKS6_NS0_5tupleIJNSA_16discard_iteratorINSA_11use_defaultEEES6_EEENSJ_IJSG_SG_EEENS0_18inequality_wrapperINSA_8equal_toIjEEEEPmJS6_EEE10hipError_tPvRmT3_T4_T5_T6_T7_T9_mT8_P12ihipStream_tbDpT10_ENKUlT_T0_E_clISt17integral_constantIbLb0EES1C_IbLb1EEEEDaS18_S19_EUlS18_E_NS1_11comp_targetILNS1_3genE2ELNS1_11target_archE906ELNS1_3gpuE6ELNS1_3repE0EEENS1_30default_config_static_selectorELNS0_4arch9wavefront6targetE1EEEvT1_.num_named_barrier, 0
	.set _ZN7rocprim17ROCPRIM_400000_NS6detail17trampoline_kernelINS0_14default_configENS1_25partition_config_selectorILNS1_17partition_subalgoE8EjNS0_10empty_typeEbEEZZNS1_14partition_implILS5_8ELb0ES3_jN6thrust23THRUST_200600_302600_NS6detail15normal_iteratorINSA_10device_ptrIjEEEEPS6_PKS6_NS0_5tupleIJNSA_16discard_iteratorINSA_11use_defaultEEES6_EEENSJ_IJSG_SG_EEENS0_18inequality_wrapperINSA_8equal_toIjEEEEPmJS6_EEE10hipError_tPvRmT3_T4_T5_T6_T7_T9_mT8_P12ihipStream_tbDpT10_ENKUlT_T0_E_clISt17integral_constantIbLb0EES1C_IbLb1EEEEDaS18_S19_EUlS18_E_NS1_11comp_targetILNS1_3genE2ELNS1_11target_archE906ELNS1_3gpuE6ELNS1_3repE0EEENS1_30default_config_static_selectorELNS0_4arch9wavefront6targetE1EEEvT1_.private_seg_size, 0
	.set _ZN7rocprim17ROCPRIM_400000_NS6detail17trampoline_kernelINS0_14default_configENS1_25partition_config_selectorILNS1_17partition_subalgoE8EjNS0_10empty_typeEbEEZZNS1_14partition_implILS5_8ELb0ES3_jN6thrust23THRUST_200600_302600_NS6detail15normal_iteratorINSA_10device_ptrIjEEEEPS6_PKS6_NS0_5tupleIJNSA_16discard_iteratorINSA_11use_defaultEEES6_EEENSJ_IJSG_SG_EEENS0_18inequality_wrapperINSA_8equal_toIjEEEEPmJS6_EEE10hipError_tPvRmT3_T4_T5_T6_T7_T9_mT8_P12ihipStream_tbDpT10_ENKUlT_T0_E_clISt17integral_constantIbLb0EES1C_IbLb1EEEEDaS18_S19_EUlS18_E_NS1_11comp_targetILNS1_3genE2ELNS1_11target_archE906ELNS1_3gpuE6ELNS1_3repE0EEENS1_30default_config_static_selectorELNS0_4arch9wavefront6targetE1EEEvT1_.uses_vcc, 1
	.set _ZN7rocprim17ROCPRIM_400000_NS6detail17trampoline_kernelINS0_14default_configENS1_25partition_config_selectorILNS1_17partition_subalgoE8EjNS0_10empty_typeEbEEZZNS1_14partition_implILS5_8ELb0ES3_jN6thrust23THRUST_200600_302600_NS6detail15normal_iteratorINSA_10device_ptrIjEEEEPS6_PKS6_NS0_5tupleIJNSA_16discard_iteratorINSA_11use_defaultEEES6_EEENSJ_IJSG_SG_EEENS0_18inequality_wrapperINSA_8equal_toIjEEEEPmJS6_EEE10hipError_tPvRmT3_T4_T5_T6_T7_T9_mT8_P12ihipStream_tbDpT10_ENKUlT_T0_E_clISt17integral_constantIbLb0EES1C_IbLb1EEEEDaS18_S19_EUlS18_E_NS1_11comp_targetILNS1_3genE2ELNS1_11target_archE906ELNS1_3gpuE6ELNS1_3repE0EEENS1_30default_config_static_selectorELNS0_4arch9wavefront6targetE1EEEvT1_.uses_flat_scratch, 0
	.set _ZN7rocprim17ROCPRIM_400000_NS6detail17trampoline_kernelINS0_14default_configENS1_25partition_config_selectorILNS1_17partition_subalgoE8EjNS0_10empty_typeEbEEZZNS1_14partition_implILS5_8ELb0ES3_jN6thrust23THRUST_200600_302600_NS6detail15normal_iteratorINSA_10device_ptrIjEEEEPS6_PKS6_NS0_5tupleIJNSA_16discard_iteratorINSA_11use_defaultEEES6_EEENSJ_IJSG_SG_EEENS0_18inequality_wrapperINSA_8equal_toIjEEEEPmJS6_EEE10hipError_tPvRmT3_T4_T5_T6_T7_T9_mT8_P12ihipStream_tbDpT10_ENKUlT_T0_E_clISt17integral_constantIbLb0EES1C_IbLb1EEEEDaS18_S19_EUlS18_E_NS1_11comp_targetILNS1_3genE2ELNS1_11target_archE906ELNS1_3gpuE6ELNS1_3repE0EEENS1_30default_config_static_selectorELNS0_4arch9wavefront6targetE1EEEvT1_.has_dyn_sized_stack, 0
	.set _ZN7rocprim17ROCPRIM_400000_NS6detail17trampoline_kernelINS0_14default_configENS1_25partition_config_selectorILNS1_17partition_subalgoE8EjNS0_10empty_typeEbEEZZNS1_14partition_implILS5_8ELb0ES3_jN6thrust23THRUST_200600_302600_NS6detail15normal_iteratorINSA_10device_ptrIjEEEEPS6_PKS6_NS0_5tupleIJNSA_16discard_iteratorINSA_11use_defaultEEES6_EEENSJ_IJSG_SG_EEENS0_18inequality_wrapperINSA_8equal_toIjEEEEPmJS6_EEE10hipError_tPvRmT3_T4_T5_T6_T7_T9_mT8_P12ihipStream_tbDpT10_ENKUlT_T0_E_clISt17integral_constantIbLb0EES1C_IbLb1EEEEDaS18_S19_EUlS18_E_NS1_11comp_targetILNS1_3genE2ELNS1_11target_archE906ELNS1_3gpuE6ELNS1_3repE0EEENS1_30default_config_static_selectorELNS0_4arch9wavefront6targetE1EEEvT1_.has_recursion, 0
	.set _ZN7rocprim17ROCPRIM_400000_NS6detail17trampoline_kernelINS0_14default_configENS1_25partition_config_selectorILNS1_17partition_subalgoE8EjNS0_10empty_typeEbEEZZNS1_14partition_implILS5_8ELb0ES3_jN6thrust23THRUST_200600_302600_NS6detail15normal_iteratorINSA_10device_ptrIjEEEEPS6_PKS6_NS0_5tupleIJNSA_16discard_iteratorINSA_11use_defaultEEES6_EEENSJ_IJSG_SG_EEENS0_18inequality_wrapperINSA_8equal_toIjEEEEPmJS6_EEE10hipError_tPvRmT3_T4_T5_T6_T7_T9_mT8_P12ihipStream_tbDpT10_ENKUlT_T0_E_clISt17integral_constantIbLb0EES1C_IbLb1EEEEDaS18_S19_EUlS18_E_NS1_11comp_targetILNS1_3genE2ELNS1_11target_archE906ELNS1_3gpuE6ELNS1_3repE0EEENS1_30default_config_static_selectorELNS0_4arch9wavefront6targetE1EEEvT1_.has_indirect_call, 0
	.section	.AMDGPU.csdata,"",@progbits
; Kernel info:
; codeLenInByte = 6872
; TotalNumSgprs: 57
; NumVgprs: 77
; ScratchSize: 0
; MemoryBound: 0
; FloatMode: 240
; IeeeMode: 1
; LDSByteSize: 16904 bytes/workgroup (compile time only)
; SGPRBlocks: 12
; VGPRBlocks: 19
; NumSGPRsForWavesPerEU: 102
; NumVGPRsForWavesPerEU: 77
; Occupancy: 3
; WaveLimiterHint : 1
; COMPUTE_PGM_RSRC2:SCRATCH_EN: 0
; COMPUTE_PGM_RSRC2:USER_SGPR: 6
; COMPUTE_PGM_RSRC2:TRAP_HANDLER: 0
; COMPUTE_PGM_RSRC2:TGID_X_EN: 1
; COMPUTE_PGM_RSRC2:TGID_Y_EN: 0
; COMPUTE_PGM_RSRC2:TGID_Z_EN: 0
; COMPUTE_PGM_RSRC2:TIDIG_COMP_CNT: 0
	.section	.text._ZN7rocprim17ROCPRIM_400000_NS6detail17trampoline_kernelINS0_14default_configENS1_25partition_config_selectorILNS1_17partition_subalgoE8EjNS0_10empty_typeEbEEZZNS1_14partition_implILS5_8ELb0ES3_jN6thrust23THRUST_200600_302600_NS6detail15normal_iteratorINSA_10device_ptrIjEEEEPS6_PKS6_NS0_5tupleIJNSA_16discard_iteratorINSA_11use_defaultEEES6_EEENSJ_IJSG_SG_EEENS0_18inequality_wrapperINSA_8equal_toIjEEEEPmJS6_EEE10hipError_tPvRmT3_T4_T5_T6_T7_T9_mT8_P12ihipStream_tbDpT10_ENKUlT_T0_E_clISt17integral_constantIbLb0EES1C_IbLb1EEEEDaS18_S19_EUlS18_E_NS1_11comp_targetILNS1_3genE10ELNS1_11target_archE1200ELNS1_3gpuE4ELNS1_3repE0EEENS1_30default_config_static_selectorELNS0_4arch9wavefront6targetE1EEEvT1_,"axG",@progbits,_ZN7rocprim17ROCPRIM_400000_NS6detail17trampoline_kernelINS0_14default_configENS1_25partition_config_selectorILNS1_17partition_subalgoE8EjNS0_10empty_typeEbEEZZNS1_14partition_implILS5_8ELb0ES3_jN6thrust23THRUST_200600_302600_NS6detail15normal_iteratorINSA_10device_ptrIjEEEEPS6_PKS6_NS0_5tupleIJNSA_16discard_iteratorINSA_11use_defaultEEES6_EEENSJ_IJSG_SG_EEENS0_18inequality_wrapperINSA_8equal_toIjEEEEPmJS6_EEE10hipError_tPvRmT3_T4_T5_T6_T7_T9_mT8_P12ihipStream_tbDpT10_ENKUlT_T0_E_clISt17integral_constantIbLb0EES1C_IbLb1EEEEDaS18_S19_EUlS18_E_NS1_11comp_targetILNS1_3genE10ELNS1_11target_archE1200ELNS1_3gpuE4ELNS1_3repE0EEENS1_30default_config_static_selectorELNS0_4arch9wavefront6targetE1EEEvT1_,comdat
	.protected	_ZN7rocprim17ROCPRIM_400000_NS6detail17trampoline_kernelINS0_14default_configENS1_25partition_config_selectorILNS1_17partition_subalgoE8EjNS0_10empty_typeEbEEZZNS1_14partition_implILS5_8ELb0ES3_jN6thrust23THRUST_200600_302600_NS6detail15normal_iteratorINSA_10device_ptrIjEEEEPS6_PKS6_NS0_5tupleIJNSA_16discard_iteratorINSA_11use_defaultEEES6_EEENSJ_IJSG_SG_EEENS0_18inequality_wrapperINSA_8equal_toIjEEEEPmJS6_EEE10hipError_tPvRmT3_T4_T5_T6_T7_T9_mT8_P12ihipStream_tbDpT10_ENKUlT_T0_E_clISt17integral_constantIbLb0EES1C_IbLb1EEEEDaS18_S19_EUlS18_E_NS1_11comp_targetILNS1_3genE10ELNS1_11target_archE1200ELNS1_3gpuE4ELNS1_3repE0EEENS1_30default_config_static_selectorELNS0_4arch9wavefront6targetE1EEEvT1_ ; -- Begin function _ZN7rocprim17ROCPRIM_400000_NS6detail17trampoline_kernelINS0_14default_configENS1_25partition_config_selectorILNS1_17partition_subalgoE8EjNS0_10empty_typeEbEEZZNS1_14partition_implILS5_8ELb0ES3_jN6thrust23THRUST_200600_302600_NS6detail15normal_iteratorINSA_10device_ptrIjEEEEPS6_PKS6_NS0_5tupleIJNSA_16discard_iteratorINSA_11use_defaultEEES6_EEENSJ_IJSG_SG_EEENS0_18inequality_wrapperINSA_8equal_toIjEEEEPmJS6_EEE10hipError_tPvRmT3_T4_T5_T6_T7_T9_mT8_P12ihipStream_tbDpT10_ENKUlT_T0_E_clISt17integral_constantIbLb0EES1C_IbLb1EEEEDaS18_S19_EUlS18_E_NS1_11comp_targetILNS1_3genE10ELNS1_11target_archE1200ELNS1_3gpuE4ELNS1_3repE0EEENS1_30default_config_static_selectorELNS0_4arch9wavefront6targetE1EEEvT1_
	.globl	_ZN7rocprim17ROCPRIM_400000_NS6detail17trampoline_kernelINS0_14default_configENS1_25partition_config_selectorILNS1_17partition_subalgoE8EjNS0_10empty_typeEbEEZZNS1_14partition_implILS5_8ELb0ES3_jN6thrust23THRUST_200600_302600_NS6detail15normal_iteratorINSA_10device_ptrIjEEEEPS6_PKS6_NS0_5tupleIJNSA_16discard_iteratorINSA_11use_defaultEEES6_EEENSJ_IJSG_SG_EEENS0_18inequality_wrapperINSA_8equal_toIjEEEEPmJS6_EEE10hipError_tPvRmT3_T4_T5_T6_T7_T9_mT8_P12ihipStream_tbDpT10_ENKUlT_T0_E_clISt17integral_constantIbLb0EES1C_IbLb1EEEEDaS18_S19_EUlS18_E_NS1_11comp_targetILNS1_3genE10ELNS1_11target_archE1200ELNS1_3gpuE4ELNS1_3repE0EEENS1_30default_config_static_selectorELNS0_4arch9wavefront6targetE1EEEvT1_
	.p2align	8
	.type	_ZN7rocprim17ROCPRIM_400000_NS6detail17trampoline_kernelINS0_14default_configENS1_25partition_config_selectorILNS1_17partition_subalgoE8EjNS0_10empty_typeEbEEZZNS1_14partition_implILS5_8ELb0ES3_jN6thrust23THRUST_200600_302600_NS6detail15normal_iteratorINSA_10device_ptrIjEEEEPS6_PKS6_NS0_5tupleIJNSA_16discard_iteratorINSA_11use_defaultEEES6_EEENSJ_IJSG_SG_EEENS0_18inequality_wrapperINSA_8equal_toIjEEEEPmJS6_EEE10hipError_tPvRmT3_T4_T5_T6_T7_T9_mT8_P12ihipStream_tbDpT10_ENKUlT_T0_E_clISt17integral_constantIbLb0EES1C_IbLb1EEEEDaS18_S19_EUlS18_E_NS1_11comp_targetILNS1_3genE10ELNS1_11target_archE1200ELNS1_3gpuE4ELNS1_3repE0EEENS1_30default_config_static_selectorELNS0_4arch9wavefront6targetE1EEEvT1_,@function
_ZN7rocprim17ROCPRIM_400000_NS6detail17trampoline_kernelINS0_14default_configENS1_25partition_config_selectorILNS1_17partition_subalgoE8EjNS0_10empty_typeEbEEZZNS1_14partition_implILS5_8ELb0ES3_jN6thrust23THRUST_200600_302600_NS6detail15normal_iteratorINSA_10device_ptrIjEEEEPS6_PKS6_NS0_5tupleIJNSA_16discard_iteratorINSA_11use_defaultEEES6_EEENSJ_IJSG_SG_EEENS0_18inequality_wrapperINSA_8equal_toIjEEEEPmJS6_EEE10hipError_tPvRmT3_T4_T5_T6_T7_T9_mT8_P12ihipStream_tbDpT10_ENKUlT_T0_E_clISt17integral_constantIbLb0EES1C_IbLb1EEEEDaS18_S19_EUlS18_E_NS1_11comp_targetILNS1_3genE10ELNS1_11target_archE1200ELNS1_3gpuE4ELNS1_3repE0EEENS1_30default_config_static_selectorELNS0_4arch9wavefront6targetE1EEEvT1_: ; @_ZN7rocprim17ROCPRIM_400000_NS6detail17trampoline_kernelINS0_14default_configENS1_25partition_config_selectorILNS1_17partition_subalgoE8EjNS0_10empty_typeEbEEZZNS1_14partition_implILS5_8ELb0ES3_jN6thrust23THRUST_200600_302600_NS6detail15normal_iteratorINSA_10device_ptrIjEEEEPS6_PKS6_NS0_5tupleIJNSA_16discard_iteratorINSA_11use_defaultEEES6_EEENSJ_IJSG_SG_EEENS0_18inequality_wrapperINSA_8equal_toIjEEEEPmJS6_EEE10hipError_tPvRmT3_T4_T5_T6_T7_T9_mT8_P12ihipStream_tbDpT10_ENKUlT_T0_E_clISt17integral_constantIbLb0EES1C_IbLb1EEEEDaS18_S19_EUlS18_E_NS1_11comp_targetILNS1_3genE10ELNS1_11target_archE1200ELNS1_3gpuE4ELNS1_3repE0EEENS1_30default_config_static_selectorELNS0_4arch9wavefront6targetE1EEEvT1_
; %bb.0:
	.section	.rodata,"a",@progbits
	.p2align	6, 0x0
	.amdhsa_kernel _ZN7rocprim17ROCPRIM_400000_NS6detail17trampoline_kernelINS0_14default_configENS1_25partition_config_selectorILNS1_17partition_subalgoE8EjNS0_10empty_typeEbEEZZNS1_14partition_implILS5_8ELb0ES3_jN6thrust23THRUST_200600_302600_NS6detail15normal_iteratorINSA_10device_ptrIjEEEEPS6_PKS6_NS0_5tupleIJNSA_16discard_iteratorINSA_11use_defaultEEES6_EEENSJ_IJSG_SG_EEENS0_18inequality_wrapperINSA_8equal_toIjEEEEPmJS6_EEE10hipError_tPvRmT3_T4_T5_T6_T7_T9_mT8_P12ihipStream_tbDpT10_ENKUlT_T0_E_clISt17integral_constantIbLb0EES1C_IbLb1EEEEDaS18_S19_EUlS18_E_NS1_11comp_targetILNS1_3genE10ELNS1_11target_archE1200ELNS1_3gpuE4ELNS1_3repE0EEENS1_30default_config_static_selectorELNS0_4arch9wavefront6targetE1EEEvT1_
		.amdhsa_group_segment_fixed_size 0
		.amdhsa_private_segment_fixed_size 0
		.amdhsa_kernarg_size 136
		.amdhsa_user_sgpr_count 6
		.amdhsa_user_sgpr_private_segment_buffer 1
		.amdhsa_user_sgpr_dispatch_ptr 0
		.amdhsa_user_sgpr_queue_ptr 0
		.amdhsa_user_sgpr_kernarg_segment_ptr 1
		.amdhsa_user_sgpr_dispatch_id 0
		.amdhsa_user_sgpr_flat_scratch_init 0
		.amdhsa_user_sgpr_private_segment_size 0
		.amdhsa_uses_dynamic_stack 0
		.amdhsa_system_sgpr_private_segment_wavefront_offset 0
		.amdhsa_system_sgpr_workgroup_id_x 1
		.amdhsa_system_sgpr_workgroup_id_y 0
		.amdhsa_system_sgpr_workgroup_id_z 0
		.amdhsa_system_sgpr_workgroup_info 0
		.amdhsa_system_vgpr_workitem_id 0
		.amdhsa_next_free_vgpr 1
		.amdhsa_next_free_sgpr 0
		.amdhsa_reserve_vcc 0
		.amdhsa_reserve_flat_scratch 0
		.amdhsa_float_round_mode_32 0
		.amdhsa_float_round_mode_16_64 0
		.amdhsa_float_denorm_mode_32 3
		.amdhsa_float_denorm_mode_16_64 3
		.amdhsa_dx10_clamp 1
		.amdhsa_ieee_mode 1
		.amdhsa_fp16_overflow 0
		.amdhsa_exception_fp_ieee_invalid_op 0
		.amdhsa_exception_fp_denorm_src 0
		.amdhsa_exception_fp_ieee_div_zero 0
		.amdhsa_exception_fp_ieee_overflow 0
		.amdhsa_exception_fp_ieee_underflow 0
		.amdhsa_exception_fp_ieee_inexact 0
		.amdhsa_exception_int_div_zero 0
	.end_amdhsa_kernel
	.section	.text._ZN7rocprim17ROCPRIM_400000_NS6detail17trampoline_kernelINS0_14default_configENS1_25partition_config_selectorILNS1_17partition_subalgoE8EjNS0_10empty_typeEbEEZZNS1_14partition_implILS5_8ELb0ES3_jN6thrust23THRUST_200600_302600_NS6detail15normal_iteratorINSA_10device_ptrIjEEEEPS6_PKS6_NS0_5tupleIJNSA_16discard_iteratorINSA_11use_defaultEEES6_EEENSJ_IJSG_SG_EEENS0_18inequality_wrapperINSA_8equal_toIjEEEEPmJS6_EEE10hipError_tPvRmT3_T4_T5_T6_T7_T9_mT8_P12ihipStream_tbDpT10_ENKUlT_T0_E_clISt17integral_constantIbLb0EES1C_IbLb1EEEEDaS18_S19_EUlS18_E_NS1_11comp_targetILNS1_3genE10ELNS1_11target_archE1200ELNS1_3gpuE4ELNS1_3repE0EEENS1_30default_config_static_selectorELNS0_4arch9wavefront6targetE1EEEvT1_,"axG",@progbits,_ZN7rocprim17ROCPRIM_400000_NS6detail17trampoline_kernelINS0_14default_configENS1_25partition_config_selectorILNS1_17partition_subalgoE8EjNS0_10empty_typeEbEEZZNS1_14partition_implILS5_8ELb0ES3_jN6thrust23THRUST_200600_302600_NS6detail15normal_iteratorINSA_10device_ptrIjEEEEPS6_PKS6_NS0_5tupleIJNSA_16discard_iteratorINSA_11use_defaultEEES6_EEENSJ_IJSG_SG_EEENS0_18inequality_wrapperINSA_8equal_toIjEEEEPmJS6_EEE10hipError_tPvRmT3_T4_T5_T6_T7_T9_mT8_P12ihipStream_tbDpT10_ENKUlT_T0_E_clISt17integral_constantIbLb0EES1C_IbLb1EEEEDaS18_S19_EUlS18_E_NS1_11comp_targetILNS1_3genE10ELNS1_11target_archE1200ELNS1_3gpuE4ELNS1_3repE0EEENS1_30default_config_static_selectorELNS0_4arch9wavefront6targetE1EEEvT1_,comdat
.Lfunc_end594:
	.size	_ZN7rocprim17ROCPRIM_400000_NS6detail17trampoline_kernelINS0_14default_configENS1_25partition_config_selectorILNS1_17partition_subalgoE8EjNS0_10empty_typeEbEEZZNS1_14partition_implILS5_8ELb0ES3_jN6thrust23THRUST_200600_302600_NS6detail15normal_iteratorINSA_10device_ptrIjEEEEPS6_PKS6_NS0_5tupleIJNSA_16discard_iteratorINSA_11use_defaultEEES6_EEENSJ_IJSG_SG_EEENS0_18inequality_wrapperINSA_8equal_toIjEEEEPmJS6_EEE10hipError_tPvRmT3_T4_T5_T6_T7_T9_mT8_P12ihipStream_tbDpT10_ENKUlT_T0_E_clISt17integral_constantIbLb0EES1C_IbLb1EEEEDaS18_S19_EUlS18_E_NS1_11comp_targetILNS1_3genE10ELNS1_11target_archE1200ELNS1_3gpuE4ELNS1_3repE0EEENS1_30default_config_static_selectorELNS0_4arch9wavefront6targetE1EEEvT1_, .Lfunc_end594-_ZN7rocprim17ROCPRIM_400000_NS6detail17trampoline_kernelINS0_14default_configENS1_25partition_config_selectorILNS1_17partition_subalgoE8EjNS0_10empty_typeEbEEZZNS1_14partition_implILS5_8ELb0ES3_jN6thrust23THRUST_200600_302600_NS6detail15normal_iteratorINSA_10device_ptrIjEEEEPS6_PKS6_NS0_5tupleIJNSA_16discard_iteratorINSA_11use_defaultEEES6_EEENSJ_IJSG_SG_EEENS0_18inequality_wrapperINSA_8equal_toIjEEEEPmJS6_EEE10hipError_tPvRmT3_T4_T5_T6_T7_T9_mT8_P12ihipStream_tbDpT10_ENKUlT_T0_E_clISt17integral_constantIbLb0EES1C_IbLb1EEEEDaS18_S19_EUlS18_E_NS1_11comp_targetILNS1_3genE10ELNS1_11target_archE1200ELNS1_3gpuE4ELNS1_3repE0EEENS1_30default_config_static_selectorELNS0_4arch9wavefront6targetE1EEEvT1_
                                        ; -- End function
	.set _ZN7rocprim17ROCPRIM_400000_NS6detail17trampoline_kernelINS0_14default_configENS1_25partition_config_selectorILNS1_17partition_subalgoE8EjNS0_10empty_typeEbEEZZNS1_14partition_implILS5_8ELb0ES3_jN6thrust23THRUST_200600_302600_NS6detail15normal_iteratorINSA_10device_ptrIjEEEEPS6_PKS6_NS0_5tupleIJNSA_16discard_iteratorINSA_11use_defaultEEES6_EEENSJ_IJSG_SG_EEENS0_18inequality_wrapperINSA_8equal_toIjEEEEPmJS6_EEE10hipError_tPvRmT3_T4_T5_T6_T7_T9_mT8_P12ihipStream_tbDpT10_ENKUlT_T0_E_clISt17integral_constantIbLb0EES1C_IbLb1EEEEDaS18_S19_EUlS18_E_NS1_11comp_targetILNS1_3genE10ELNS1_11target_archE1200ELNS1_3gpuE4ELNS1_3repE0EEENS1_30default_config_static_selectorELNS0_4arch9wavefront6targetE1EEEvT1_.num_vgpr, 0
	.set _ZN7rocprim17ROCPRIM_400000_NS6detail17trampoline_kernelINS0_14default_configENS1_25partition_config_selectorILNS1_17partition_subalgoE8EjNS0_10empty_typeEbEEZZNS1_14partition_implILS5_8ELb0ES3_jN6thrust23THRUST_200600_302600_NS6detail15normal_iteratorINSA_10device_ptrIjEEEEPS6_PKS6_NS0_5tupleIJNSA_16discard_iteratorINSA_11use_defaultEEES6_EEENSJ_IJSG_SG_EEENS0_18inequality_wrapperINSA_8equal_toIjEEEEPmJS6_EEE10hipError_tPvRmT3_T4_T5_T6_T7_T9_mT8_P12ihipStream_tbDpT10_ENKUlT_T0_E_clISt17integral_constantIbLb0EES1C_IbLb1EEEEDaS18_S19_EUlS18_E_NS1_11comp_targetILNS1_3genE10ELNS1_11target_archE1200ELNS1_3gpuE4ELNS1_3repE0EEENS1_30default_config_static_selectorELNS0_4arch9wavefront6targetE1EEEvT1_.num_agpr, 0
	.set _ZN7rocprim17ROCPRIM_400000_NS6detail17trampoline_kernelINS0_14default_configENS1_25partition_config_selectorILNS1_17partition_subalgoE8EjNS0_10empty_typeEbEEZZNS1_14partition_implILS5_8ELb0ES3_jN6thrust23THRUST_200600_302600_NS6detail15normal_iteratorINSA_10device_ptrIjEEEEPS6_PKS6_NS0_5tupleIJNSA_16discard_iteratorINSA_11use_defaultEEES6_EEENSJ_IJSG_SG_EEENS0_18inequality_wrapperINSA_8equal_toIjEEEEPmJS6_EEE10hipError_tPvRmT3_T4_T5_T6_T7_T9_mT8_P12ihipStream_tbDpT10_ENKUlT_T0_E_clISt17integral_constantIbLb0EES1C_IbLb1EEEEDaS18_S19_EUlS18_E_NS1_11comp_targetILNS1_3genE10ELNS1_11target_archE1200ELNS1_3gpuE4ELNS1_3repE0EEENS1_30default_config_static_selectorELNS0_4arch9wavefront6targetE1EEEvT1_.numbered_sgpr, 0
	.set _ZN7rocprim17ROCPRIM_400000_NS6detail17trampoline_kernelINS0_14default_configENS1_25partition_config_selectorILNS1_17partition_subalgoE8EjNS0_10empty_typeEbEEZZNS1_14partition_implILS5_8ELb0ES3_jN6thrust23THRUST_200600_302600_NS6detail15normal_iteratorINSA_10device_ptrIjEEEEPS6_PKS6_NS0_5tupleIJNSA_16discard_iteratorINSA_11use_defaultEEES6_EEENSJ_IJSG_SG_EEENS0_18inequality_wrapperINSA_8equal_toIjEEEEPmJS6_EEE10hipError_tPvRmT3_T4_T5_T6_T7_T9_mT8_P12ihipStream_tbDpT10_ENKUlT_T0_E_clISt17integral_constantIbLb0EES1C_IbLb1EEEEDaS18_S19_EUlS18_E_NS1_11comp_targetILNS1_3genE10ELNS1_11target_archE1200ELNS1_3gpuE4ELNS1_3repE0EEENS1_30default_config_static_selectorELNS0_4arch9wavefront6targetE1EEEvT1_.num_named_barrier, 0
	.set _ZN7rocprim17ROCPRIM_400000_NS6detail17trampoline_kernelINS0_14default_configENS1_25partition_config_selectorILNS1_17partition_subalgoE8EjNS0_10empty_typeEbEEZZNS1_14partition_implILS5_8ELb0ES3_jN6thrust23THRUST_200600_302600_NS6detail15normal_iteratorINSA_10device_ptrIjEEEEPS6_PKS6_NS0_5tupleIJNSA_16discard_iteratorINSA_11use_defaultEEES6_EEENSJ_IJSG_SG_EEENS0_18inequality_wrapperINSA_8equal_toIjEEEEPmJS6_EEE10hipError_tPvRmT3_T4_T5_T6_T7_T9_mT8_P12ihipStream_tbDpT10_ENKUlT_T0_E_clISt17integral_constantIbLb0EES1C_IbLb1EEEEDaS18_S19_EUlS18_E_NS1_11comp_targetILNS1_3genE10ELNS1_11target_archE1200ELNS1_3gpuE4ELNS1_3repE0EEENS1_30default_config_static_selectorELNS0_4arch9wavefront6targetE1EEEvT1_.private_seg_size, 0
	.set _ZN7rocprim17ROCPRIM_400000_NS6detail17trampoline_kernelINS0_14default_configENS1_25partition_config_selectorILNS1_17partition_subalgoE8EjNS0_10empty_typeEbEEZZNS1_14partition_implILS5_8ELb0ES3_jN6thrust23THRUST_200600_302600_NS6detail15normal_iteratorINSA_10device_ptrIjEEEEPS6_PKS6_NS0_5tupleIJNSA_16discard_iteratorINSA_11use_defaultEEES6_EEENSJ_IJSG_SG_EEENS0_18inequality_wrapperINSA_8equal_toIjEEEEPmJS6_EEE10hipError_tPvRmT3_T4_T5_T6_T7_T9_mT8_P12ihipStream_tbDpT10_ENKUlT_T0_E_clISt17integral_constantIbLb0EES1C_IbLb1EEEEDaS18_S19_EUlS18_E_NS1_11comp_targetILNS1_3genE10ELNS1_11target_archE1200ELNS1_3gpuE4ELNS1_3repE0EEENS1_30default_config_static_selectorELNS0_4arch9wavefront6targetE1EEEvT1_.uses_vcc, 0
	.set _ZN7rocprim17ROCPRIM_400000_NS6detail17trampoline_kernelINS0_14default_configENS1_25partition_config_selectorILNS1_17partition_subalgoE8EjNS0_10empty_typeEbEEZZNS1_14partition_implILS5_8ELb0ES3_jN6thrust23THRUST_200600_302600_NS6detail15normal_iteratorINSA_10device_ptrIjEEEEPS6_PKS6_NS0_5tupleIJNSA_16discard_iteratorINSA_11use_defaultEEES6_EEENSJ_IJSG_SG_EEENS0_18inequality_wrapperINSA_8equal_toIjEEEEPmJS6_EEE10hipError_tPvRmT3_T4_T5_T6_T7_T9_mT8_P12ihipStream_tbDpT10_ENKUlT_T0_E_clISt17integral_constantIbLb0EES1C_IbLb1EEEEDaS18_S19_EUlS18_E_NS1_11comp_targetILNS1_3genE10ELNS1_11target_archE1200ELNS1_3gpuE4ELNS1_3repE0EEENS1_30default_config_static_selectorELNS0_4arch9wavefront6targetE1EEEvT1_.uses_flat_scratch, 0
	.set _ZN7rocprim17ROCPRIM_400000_NS6detail17trampoline_kernelINS0_14default_configENS1_25partition_config_selectorILNS1_17partition_subalgoE8EjNS0_10empty_typeEbEEZZNS1_14partition_implILS5_8ELb0ES3_jN6thrust23THRUST_200600_302600_NS6detail15normal_iteratorINSA_10device_ptrIjEEEEPS6_PKS6_NS0_5tupleIJNSA_16discard_iteratorINSA_11use_defaultEEES6_EEENSJ_IJSG_SG_EEENS0_18inequality_wrapperINSA_8equal_toIjEEEEPmJS6_EEE10hipError_tPvRmT3_T4_T5_T6_T7_T9_mT8_P12ihipStream_tbDpT10_ENKUlT_T0_E_clISt17integral_constantIbLb0EES1C_IbLb1EEEEDaS18_S19_EUlS18_E_NS1_11comp_targetILNS1_3genE10ELNS1_11target_archE1200ELNS1_3gpuE4ELNS1_3repE0EEENS1_30default_config_static_selectorELNS0_4arch9wavefront6targetE1EEEvT1_.has_dyn_sized_stack, 0
	.set _ZN7rocprim17ROCPRIM_400000_NS6detail17trampoline_kernelINS0_14default_configENS1_25partition_config_selectorILNS1_17partition_subalgoE8EjNS0_10empty_typeEbEEZZNS1_14partition_implILS5_8ELb0ES3_jN6thrust23THRUST_200600_302600_NS6detail15normal_iteratorINSA_10device_ptrIjEEEEPS6_PKS6_NS0_5tupleIJNSA_16discard_iteratorINSA_11use_defaultEEES6_EEENSJ_IJSG_SG_EEENS0_18inequality_wrapperINSA_8equal_toIjEEEEPmJS6_EEE10hipError_tPvRmT3_T4_T5_T6_T7_T9_mT8_P12ihipStream_tbDpT10_ENKUlT_T0_E_clISt17integral_constantIbLb0EES1C_IbLb1EEEEDaS18_S19_EUlS18_E_NS1_11comp_targetILNS1_3genE10ELNS1_11target_archE1200ELNS1_3gpuE4ELNS1_3repE0EEENS1_30default_config_static_selectorELNS0_4arch9wavefront6targetE1EEEvT1_.has_recursion, 0
	.set _ZN7rocprim17ROCPRIM_400000_NS6detail17trampoline_kernelINS0_14default_configENS1_25partition_config_selectorILNS1_17partition_subalgoE8EjNS0_10empty_typeEbEEZZNS1_14partition_implILS5_8ELb0ES3_jN6thrust23THRUST_200600_302600_NS6detail15normal_iteratorINSA_10device_ptrIjEEEEPS6_PKS6_NS0_5tupleIJNSA_16discard_iteratorINSA_11use_defaultEEES6_EEENSJ_IJSG_SG_EEENS0_18inequality_wrapperINSA_8equal_toIjEEEEPmJS6_EEE10hipError_tPvRmT3_T4_T5_T6_T7_T9_mT8_P12ihipStream_tbDpT10_ENKUlT_T0_E_clISt17integral_constantIbLb0EES1C_IbLb1EEEEDaS18_S19_EUlS18_E_NS1_11comp_targetILNS1_3genE10ELNS1_11target_archE1200ELNS1_3gpuE4ELNS1_3repE0EEENS1_30default_config_static_selectorELNS0_4arch9wavefront6targetE1EEEvT1_.has_indirect_call, 0
	.section	.AMDGPU.csdata,"",@progbits
; Kernel info:
; codeLenInByte = 0
; TotalNumSgprs: 4
; NumVgprs: 0
; ScratchSize: 0
; MemoryBound: 0
; FloatMode: 240
; IeeeMode: 1
; LDSByteSize: 0 bytes/workgroup (compile time only)
; SGPRBlocks: 0
; VGPRBlocks: 0
; NumSGPRsForWavesPerEU: 4
; NumVGPRsForWavesPerEU: 1
; Occupancy: 10
; WaveLimiterHint : 0
; COMPUTE_PGM_RSRC2:SCRATCH_EN: 0
; COMPUTE_PGM_RSRC2:USER_SGPR: 6
; COMPUTE_PGM_RSRC2:TRAP_HANDLER: 0
; COMPUTE_PGM_RSRC2:TGID_X_EN: 1
; COMPUTE_PGM_RSRC2:TGID_Y_EN: 0
; COMPUTE_PGM_RSRC2:TGID_Z_EN: 0
; COMPUTE_PGM_RSRC2:TIDIG_COMP_CNT: 0
	.section	.text._ZN7rocprim17ROCPRIM_400000_NS6detail17trampoline_kernelINS0_14default_configENS1_25partition_config_selectorILNS1_17partition_subalgoE8EjNS0_10empty_typeEbEEZZNS1_14partition_implILS5_8ELb0ES3_jN6thrust23THRUST_200600_302600_NS6detail15normal_iteratorINSA_10device_ptrIjEEEEPS6_PKS6_NS0_5tupleIJNSA_16discard_iteratorINSA_11use_defaultEEES6_EEENSJ_IJSG_SG_EEENS0_18inequality_wrapperINSA_8equal_toIjEEEEPmJS6_EEE10hipError_tPvRmT3_T4_T5_T6_T7_T9_mT8_P12ihipStream_tbDpT10_ENKUlT_T0_E_clISt17integral_constantIbLb0EES1C_IbLb1EEEEDaS18_S19_EUlS18_E_NS1_11comp_targetILNS1_3genE9ELNS1_11target_archE1100ELNS1_3gpuE3ELNS1_3repE0EEENS1_30default_config_static_selectorELNS0_4arch9wavefront6targetE1EEEvT1_,"axG",@progbits,_ZN7rocprim17ROCPRIM_400000_NS6detail17trampoline_kernelINS0_14default_configENS1_25partition_config_selectorILNS1_17partition_subalgoE8EjNS0_10empty_typeEbEEZZNS1_14partition_implILS5_8ELb0ES3_jN6thrust23THRUST_200600_302600_NS6detail15normal_iteratorINSA_10device_ptrIjEEEEPS6_PKS6_NS0_5tupleIJNSA_16discard_iteratorINSA_11use_defaultEEES6_EEENSJ_IJSG_SG_EEENS0_18inequality_wrapperINSA_8equal_toIjEEEEPmJS6_EEE10hipError_tPvRmT3_T4_T5_T6_T7_T9_mT8_P12ihipStream_tbDpT10_ENKUlT_T0_E_clISt17integral_constantIbLb0EES1C_IbLb1EEEEDaS18_S19_EUlS18_E_NS1_11comp_targetILNS1_3genE9ELNS1_11target_archE1100ELNS1_3gpuE3ELNS1_3repE0EEENS1_30default_config_static_selectorELNS0_4arch9wavefront6targetE1EEEvT1_,comdat
	.protected	_ZN7rocprim17ROCPRIM_400000_NS6detail17trampoline_kernelINS0_14default_configENS1_25partition_config_selectorILNS1_17partition_subalgoE8EjNS0_10empty_typeEbEEZZNS1_14partition_implILS5_8ELb0ES3_jN6thrust23THRUST_200600_302600_NS6detail15normal_iteratorINSA_10device_ptrIjEEEEPS6_PKS6_NS0_5tupleIJNSA_16discard_iteratorINSA_11use_defaultEEES6_EEENSJ_IJSG_SG_EEENS0_18inequality_wrapperINSA_8equal_toIjEEEEPmJS6_EEE10hipError_tPvRmT3_T4_T5_T6_T7_T9_mT8_P12ihipStream_tbDpT10_ENKUlT_T0_E_clISt17integral_constantIbLb0EES1C_IbLb1EEEEDaS18_S19_EUlS18_E_NS1_11comp_targetILNS1_3genE9ELNS1_11target_archE1100ELNS1_3gpuE3ELNS1_3repE0EEENS1_30default_config_static_selectorELNS0_4arch9wavefront6targetE1EEEvT1_ ; -- Begin function _ZN7rocprim17ROCPRIM_400000_NS6detail17trampoline_kernelINS0_14default_configENS1_25partition_config_selectorILNS1_17partition_subalgoE8EjNS0_10empty_typeEbEEZZNS1_14partition_implILS5_8ELb0ES3_jN6thrust23THRUST_200600_302600_NS6detail15normal_iteratorINSA_10device_ptrIjEEEEPS6_PKS6_NS0_5tupleIJNSA_16discard_iteratorINSA_11use_defaultEEES6_EEENSJ_IJSG_SG_EEENS0_18inequality_wrapperINSA_8equal_toIjEEEEPmJS6_EEE10hipError_tPvRmT3_T4_T5_T6_T7_T9_mT8_P12ihipStream_tbDpT10_ENKUlT_T0_E_clISt17integral_constantIbLb0EES1C_IbLb1EEEEDaS18_S19_EUlS18_E_NS1_11comp_targetILNS1_3genE9ELNS1_11target_archE1100ELNS1_3gpuE3ELNS1_3repE0EEENS1_30default_config_static_selectorELNS0_4arch9wavefront6targetE1EEEvT1_
	.globl	_ZN7rocprim17ROCPRIM_400000_NS6detail17trampoline_kernelINS0_14default_configENS1_25partition_config_selectorILNS1_17partition_subalgoE8EjNS0_10empty_typeEbEEZZNS1_14partition_implILS5_8ELb0ES3_jN6thrust23THRUST_200600_302600_NS6detail15normal_iteratorINSA_10device_ptrIjEEEEPS6_PKS6_NS0_5tupleIJNSA_16discard_iteratorINSA_11use_defaultEEES6_EEENSJ_IJSG_SG_EEENS0_18inequality_wrapperINSA_8equal_toIjEEEEPmJS6_EEE10hipError_tPvRmT3_T4_T5_T6_T7_T9_mT8_P12ihipStream_tbDpT10_ENKUlT_T0_E_clISt17integral_constantIbLb0EES1C_IbLb1EEEEDaS18_S19_EUlS18_E_NS1_11comp_targetILNS1_3genE9ELNS1_11target_archE1100ELNS1_3gpuE3ELNS1_3repE0EEENS1_30default_config_static_selectorELNS0_4arch9wavefront6targetE1EEEvT1_
	.p2align	8
	.type	_ZN7rocprim17ROCPRIM_400000_NS6detail17trampoline_kernelINS0_14default_configENS1_25partition_config_selectorILNS1_17partition_subalgoE8EjNS0_10empty_typeEbEEZZNS1_14partition_implILS5_8ELb0ES3_jN6thrust23THRUST_200600_302600_NS6detail15normal_iteratorINSA_10device_ptrIjEEEEPS6_PKS6_NS0_5tupleIJNSA_16discard_iteratorINSA_11use_defaultEEES6_EEENSJ_IJSG_SG_EEENS0_18inequality_wrapperINSA_8equal_toIjEEEEPmJS6_EEE10hipError_tPvRmT3_T4_T5_T6_T7_T9_mT8_P12ihipStream_tbDpT10_ENKUlT_T0_E_clISt17integral_constantIbLb0EES1C_IbLb1EEEEDaS18_S19_EUlS18_E_NS1_11comp_targetILNS1_3genE9ELNS1_11target_archE1100ELNS1_3gpuE3ELNS1_3repE0EEENS1_30default_config_static_selectorELNS0_4arch9wavefront6targetE1EEEvT1_,@function
_ZN7rocprim17ROCPRIM_400000_NS6detail17trampoline_kernelINS0_14default_configENS1_25partition_config_selectorILNS1_17partition_subalgoE8EjNS0_10empty_typeEbEEZZNS1_14partition_implILS5_8ELb0ES3_jN6thrust23THRUST_200600_302600_NS6detail15normal_iteratorINSA_10device_ptrIjEEEEPS6_PKS6_NS0_5tupleIJNSA_16discard_iteratorINSA_11use_defaultEEES6_EEENSJ_IJSG_SG_EEENS0_18inequality_wrapperINSA_8equal_toIjEEEEPmJS6_EEE10hipError_tPvRmT3_T4_T5_T6_T7_T9_mT8_P12ihipStream_tbDpT10_ENKUlT_T0_E_clISt17integral_constantIbLb0EES1C_IbLb1EEEEDaS18_S19_EUlS18_E_NS1_11comp_targetILNS1_3genE9ELNS1_11target_archE1100ELNS1_3gpuE3ELNS1_3repE0EEENS1_30default_config_static_selectorELNS0_4arch9wavefront6targetE1EEEvT1_: ; @_ZN7rocprim17ROCPRIM_400000_NS6detail17trampoline_kernelINS0_14default_configENS1_25partition_config_selectorILNS1_17partition_subalgoE8EjNS0_10empty_typeEbEEZZNS1_14partition_implILS5_8ELb0ES3_jN6thrust23THRUST_200600_302600_NS6detail15normal_iteratorINSA_10device_ptrIjEEEEPS6_PKS6_NS0_5tupleIJNSA_16discard_iteratorINSA_11use_defaultEEES6_EEENSJ_IJSG_SG_EEENS0_18inequality_wrapperINSA_8equal_toIjEEEEPmJS6_EEE10hipError_tPvRmT3_T4_T5_T6_T7_T9_mT8_P12ihipStream_tbDpT10_ENKUlT_T0_E_clISt17integral_constantIbLb0EES1C_IbLb1EEEEDaS18_S19_EUlS18_E_NS1_11comp_targetILNS1_3genE9ELNS1_11target_archE1100ELNS1_3gpuE3ELNS1_3repE0EEENS1_30default_config_static_selectorELNS0_4arch9wavefront6targetE1EEEvT1_
; %bb.0:
	.section	.rodata,"a",@progbits
	.p2align	6, 0x0
	.amdhsa_kernel _ZN7rocprim17ROCPRIM_400000_NS6detail17trampoline_kernelINS0_14default_configENS1_25partition_config_selectorILNS1_17partition_subalgoE8EjNS0_10empty_typeEbEEZZNS1_14partition_implILS5_8ELb0ES3_jN6thrust23THRUST_200600_302600_NS6detail15normal_iteratorINSA_10device_ptrIjEEEEPS6_PKS6_NS0_5tupleIJNSA_16discard_iteratorINSA_11use_defaultEEES6_EEENSJ_IJSG_SG_EEENS0_18inequality_wrapperINSA_8equal_toIjEEEEPmJS6_EEE10hipError_tPvRmT3_T4_T5_T6_T7_T9_mT8_P12ihipStream_tbDpT10_ENKUlT_T0_E_clISt17integral_constantIbLb0EES1C_IbLb1EEEEDaS18_S19_EUlS18_E_NS1_11comp_targetILNS1_3genE9ELNS1_11target_archE1100ELNS1_3gpuE3ELNS1_3repE0EEENS1_30default_config_static_selectorELNS0_4arch9wavefront6targetE1EEEvT1_
		.amdhsa_group_segment_fixed_size 0
		.amdhsa_private_segment_fixed_size 0
		.amdhsa_kernarg_size 136
		.amdhsa_user_sgpr_count 6
		.amdhsa_user_sgpr_private_segment_buffer 1
		.amdhsa_user_sgpr_dispatch_ptr 0
		.amdhsa_user_sgpr_queue_ptr 0
		.amdhsa_user_sgpr_kernarg_segment_ptr 1
		.amdhsa_user_sgpr_dispatch_id 0
		.amdhsa_user_sgpr_flat_scratch_init 0
		.amdhsa_user_sgpr_private_segment_size 0
		.amdhsa_uses_dynamic_stack 0
		.amdhsa_system_sgpr_private_segment_wavefront_offset 0
		.amdhsa_system_sgpr_workgroup_id_x 1
		.amdhsa_system_sgpr_workgroup_id_y 0
		.amdhsa_system_sgpr_workgroup_id_z 0
		.amdhsa_system_sgpr_workgroup_info 0
		.amdhsa_system_vgpr_workitem_id 0
		.amdhsa_next_free_vgpr 1
		.amdhsa_next_free_sgpr 0
		.amdhsa_reserve_vcc 0
		.amdhsa_reserve_flat_scratch 0
		.amdhsa_float_round_mode_32 0
		.amdhsa_float_round_mode_16_64 0
		.amdhsa_float_denorm_mode_32 3
		.amdhsa_float_denorm_mode_16_64 3
		.amdhsa_dx10_clamp 1
		.amdhsa_ieee_mode 1
		.amdhsa_fp16_overflow 0
		.amdhsa_exception_fp_ieee_invalid_op 0
		.amdhsa_exception_fp_denorm_src 0
		.amdhsa_exception_fp_ieee_div_zero 0
		.amdhsa_exception_fp_ieee_overflow 0
		.amdhsa_exception_fp_ieee_underflow 0
		.amdhsa_exception_fp_ieee_inexact 0
		.amdhsa_exception_int_div_zero 0
	.end_amdhsa_kernel
	.section	.text._ZN7rocprim17ROCPRIM_400000_NS6detail17trampoline_kernelINS0_14default_configENS1_25partition_config_selectorILNS1_17partition_subalgoE8EjNS0_10empty_typeEbEEZZNS1_14partition_implILS5_8ELb0ES3_jN6thrust23THRUST_200600_302600_NS6detail15normal_iteratorINSA_10device_ptrIjEEEEPS6_PKS6_NS0_5tupleIJNSA_16discard_iteratorINSA_11use_defaultEEES6_EEENSJ_IJSG_SG_EEENS0_18inequality_wrapperINSA_8equal_toIjEEEEPmJS6_EEE10hipError_tPvRmT3_T4_T5_T6_T7_T9_mT8_P12ihipStream_tbDpT10_ENKUlT_T0_E_clISt17integral_constantIbLb0EES1C_IbLb1EEEEDaS18_S19_EUlS18_E_NS1_11comp_targetILNS1_3genE9ELNS1_11target_archE1100ELNS1_3gpuE3ELNS1_3repE0EEENS1_30default_config_static_selectorELNS0_4arch9wavefront6targetE1EEEvT1_,"axG",@progbits,_ZN7rocprim17ROCPRIM_400000_NS6detail17trampoline_kernelINS0_14default_configENS1_25partition_config_selectorILNS1_17partition_subalgoE8EjNS0_10empty_typeEbEEZZNS1_14partition_implILS5_8ELb0ES3_jN6thrust23THRUST_200600_302600_NS6detail15normal_iteratorINSA_10device_ptrIjEEEEPS6_PKS6_NS0_5tupleIJNSA_16discard_iteratorINSA_11use_defaultEEES6_EEENSJ_IJSG_SG_EEENS0_18inequality_wrapperINSA_8equal_toIjEEEEPmJS6_EEE10hipError_tPvRmT3_T4_T5_T6_T7_T9_mT8_P12ihipStream_tbDpT10_ENKUlT_T0_E_clISt17integral_constantIbLb0EES1C_IbLb1EEEEDaS18_S19_EUlS18_E_NS1_11comp_targetILNS1_3genE9ELNS1_11target_archE1100ELNS1_3gpuE3ELNS1_3repE0EEENS1_30default_config_static_selectorELNS0_4arch9wavefront6targetE1EEEvT1_,comdat
.Lfunc_end595:
	.size	_ZN7rocprim17ROCPRIM_400000_NS6detail17trampoline_kernelINS0_14default_configENS1_25partition_config_selectorILNS1_17partition_subalgoE8EjNS0_10empty_typeEbEEZZNS1_14partition_implILS5_8ELb0ES3_jN6thrust23THRUST_200600_302600_NS6detail15normal_iteratorINSA_10device_ptrIjEEEEPS6_PKS6_NS0_5tupleIJNSA_16discard_iteratorINSA_11use_defaultEEES6_EEENSJ_IJSG_SG_EEENS0_18inequality_wrapperINSA_8equal_toIjEEEEPmJS6_EEE10hipError_tPvRmT3_T4_T5_T6_T7_T9_mT8_P12ihipStream_tbDpT10_ENKUlT_T0_E_clISt17integral_constantIbLb0EES1C_IbLb1EEEEDaS18_S19_EUlS18_E_NS1_11comp_targetILNS1_3genE9ELNS1_11target_archE1100ELNS1_3gpuE3ELNS1_3repE0EEENS1_30default_config_static_selectorELNS0_4arch9wavefront6targetE1EEEvT1_, .Lfunc_end595-_ZN7rocprim17ROCPRIM_400000_NS6detail17trampoline_kernelINS0_14default_configENS1_25partition_config_selectorILNS1_17partition_subalgoE8EjNS0_10empty_typeEbEEZZNS1_14partition_implILS5_8ELb0ES3_jN6thrust23THRUST_200600_302600_NS6detail15normal_iteratorINSA_10device_ptrIjEEEEPS6_PKS6_NS0_5tupleIJNSA_16discard_iteratorINSA_11use_defaultEEES6_EEENSJ_IJSG_SG_EEENS0_18inequality_wrapperINSA_8equal_toIjEEEEPmJS6_EEE10hipError_tPvRmT3_T4_T5_T6_T7_T9_mT8_P12ihipStream_tbDpT10_ENKUlT_T0_E_clISt17integral_constantIbLb0EES1C_IbLb1EEEEDaS18_S19_EUlS18_E_NS1_11comp_targetILNS1_3genE9ELNS1_11target_archE1100ELNS1_3gpuE3ELNS1_3repE0EEENS1_30default_config_static_selectorELNS0_4arch9wavefront6targetE1EEEvT1_
                                        ; -- End function
	.set _ZN7rocprim17ROCPRIM_400000_NS6detail17trampoline_kernelINS0_14default_configENS1_25partition_config_selectorILNS1_17partition_subalgoE8EjNS0_10empty_typeEbEEZZNS1_14partition_implILS5_8ELb0ES3_jN6thrust23THRUST_200600_302600_NS6detail15normal_iteratorINSA_10device_ptrIjEEEEPS6_PKS6_NS0_5tupleIJNSA_16discard_iteratorINSA_11use_defaultEEES6_EEENSJ_IJSG_SG_EEENS0_18inequality_wrapperINSA_8equal_toIjEEEEPmJS6_EEE10hipError_tPvRmT3_T4_T5_T6_T7_T9_mT8_P12ihipStream_tbDpT10_ENKUlT_T0_E_clISt17integral_constantIbLb0EES1C_IbLb1EEEEDaS18_S19_EUlS18_E_NS1_11comp_targetILNS1_3genE9ELNS1_11target_archE1100ELNS1_3gpuE3ELNS1_3repE0EEENS1_30default_config_static_selectorELNS0_4arch9wavefront6targetE1EEEvT1_.num_vgpr, 0
	.set _ZN7rocprim17ROCPRIM_400000_NS6detail17trampoline_kernelINS0_14default_configENS1_25partition_config_selectorILNS1_17partition_subalgoE8EjNS0_10empty_typeEbEEZZNS1_14partition_implILS5_8ELb0ES3_jN6thrust23THRUST_200600_302600_NS6detail15normal_iteratorINSA_10device_ptrIjEEEEPS6_PKS6_NS0_5tupleIJNSA_16discard_iteratorINSA_11use_defaultEEES6_EEENSJ_IJSG_SG_EEENS0_18inequality_wrapperINSA_8equal_toIjEEEEPmJS6_EEE10hipError_tPvRmT3_T4_T5_T6_T7_T9_mT8_P12ihipStream_tbDpT10_ENKUlT_T0_E_clISt17integral_constantIbLb0EES1C_IbLb1EEEEDaS18_S19_EUlS18_E_NS1_11comp_targetILNS1_3genE9ELNS1_11target_archE1100ELNS1_3gpuE3ELNS1_3repE0EEENS1_30default_config_static_selectorELNS0_4arch9wavefront6targetE1EEEvT1_.num_agpr, 0
	.set _ZN7rocprim17ROCPRIM_400000_NS6detail17trampoline_kernelINS0_14default_configENS1_25partition_config_selectorILNS1_17partition_subalgoE8EjNS0_10empty_typeEbEEZZNS1_14partition_implILS5_8ELb0ES3_jN6thrust23THRUST_200600_302600_NS6detail15normal_iteratorINSA_10device_ptrIjEEEEPS6_PKS6_NS0_5tupleIJNSA_16discard_iteratorINSA_11use_defaultEEES6_EEENSJ_IJSG_SG_EEENS0_18inequality_wrapperINSA_8equal_toIjEEEEPmJS6_EEE10hipError_tPvRmT3_T4_T5_T6_T7_T9_mT8_P12ihipStream_tbDpT10_ENKUlT_T0_E_clISt17integral_constantIbLb0EES1C_IbLb1EEEEDaS18_S19_EUlS18_E_NS1_11comp_targetILNS1_3genE9ELNS1_11target_archE1100ELNS1_3gpuE3ELNS1_3repE0EEENS1_30default_config_static_selectorELNS0_4arch9wavefront6targetE1EEEvT1_.numbered_sgpr, 0
	.set _ZN7rocprim17ROCPRIM_400000_NS6detail17trampoline_kernelINS0_14default_configENS1_25partition_config_selectorILNS1_17partition_subalgoE8EjNS0_10empty_typeEbEEZZNS1_14partition_implILS5_8ELb0ES3_jN6thrust23THRUST_200600_302600_NS6detail15normal_iteratorINSA_10device_ptrIjEEEEPS6_PKS6_NS0_5tupleIJNSA_16discard_iteratorINSA_11use_defaultEEES6_EEENSJ_IJSG_SG_EEENS0_18inequality_wrapperINSA_8equal_toIjEEEEPmJS6_EEE10hipError_tPvRmT3_T4_T5_T6_T7_T9_mT8_P12ihipStream_tbDpT10_ENKUlT_T0_E_clISt17integral_constantIbLb0EES1C_IbLb1EEEEDaS18_S19_EUlS18_E_NS1_11comp_targetILNS1_3genE9ELNS1_11target_archE1100ELNS1_3gpuE3ELNS1_3repE0EEENS1_30default_config_static_selectorELNS0_4arch9wavefront6targetE1EEEvT1_.num_named_barrier, 0
	.set _ZN7rocprim17ROCPRIM_400000_NS6detail17trampoline_kernelINS0_14default_configENS1_25partition_config_selectorILNS1_17partition_subalgoE8EjNS0_10empty_typeEbEEZZNS1_14partition_implILS5_8ELb0ES3_jN6thrust23THRUST_200600_302600_NS6detail15normal_iteratorINSA_10device_ptrIjEEEEPS6_PKS6_NS0_5tupleIJNSA_16discard_iteratorINSA_11use_defaultEEES6_EEENSJ_IJSG_SG_EEENS0_18inequality_wrapperINSA_8equal_toIjEEEEPmJS6_EEE10hipError_tPvRmT3_T4_T5_T6_T7_T9_mT8_P12ihipStream_tbDpT10_ENKUlT_T0_E_clISt17integral_constantIbLb0EES1C_IbLb1EEEEDaS18_S19_EUlS18_E_NS1_11comp_targetILNS1_3genE9ELNS1_11target_archE1100ELNS1_3gpuE3ELNS1_3repE0EEENS1_30default_config_static_selectorELNS0_4arch9wavefront6targetE1EEEvT1_.private_seg_size, 0
	.set _ZN7rocprim17ROCPRIM_400000_NS6detail17trampoline_kernelINS0_14default_configENS1_25partition_config_selectorILNS1_17partition_subalgoE8EjNS0_10empty_typeEbEEZZNS1_14partition_implILS5_8ELb0ES3_jN6thrust23THRUST_200600_302600_NS6detail15normal_iteratorINSA_10device_ptrIjEEEEPS6_PKS6_NS0_5tupleIJNSA_16discard_iteratorINSA_11use_defaultEEES6_EEENSJ_IJSG_SG_EEENS0_18inequality_wrapperINSA_8equal_toIjEEEEPmJS6_EEE10hipError_tPvRmT3_T4_T5_T6_T7_T9_mT8_P12ihipStream_tbDpT10_ENKUlT_T0_E_clISt17integral_constantIbLb0EES1C_IbLb1EEEEDaS18_S19_EUlS18_E_NS1_11comp_targetILNS1_3genE9ELNS1_11target_archE1100ELNS1_3gpuE3ELNS1_3repE0EEENS1_30default_config_static_selectorELNS0_4arch9wavefront6targetE1EEEvT1_.uses_vcc, 0
	.set _ZN7rocprim17ROCPRIM_400000_NS6detail17trampoline_kernelINS0_14default_configENS1_25partition_config_selectorILNS1_17partition_subalgoE8EjNS0_10empty_typeEbEEZZNS1_14partition_implILS5_8ELb0ES3_jN6thrust23THRUST_200600_302600_NS6detail15normal_iteratorINSA_10device_ptrIjEEEEPS6_PKS6_NS0_5tupleIJNSA_16discard_iteratorINSA_11use_defaultEEES6_EEENSJ_IJSG_SG_EEENS0_18inequality_wrapperINSA_8equal_toIjEEEEPmJS6_EEE10hipError_tPvRmT3_T4_T5_T6_T7_T9_mT8_P12ihipStream_tbDpT10_ENKUlT_T0_E_clISt17integral_constantIbLb0EES1C_IbLb1EEEEDaS18_S19_EUlS18_E_NS1_11comp_targetILNS1_3genE9ELNS1_11target_archE1100ELNS1_3gpuE3ELNS1_3repE0EEENS1_30default_config_static_selectorELNS0_4arch9wavefront6targetE1EEEvT1_.uses_flat_scratch, 0
	.set _ZN7rocprim17ROCPRIM_400000_NS6detail17trampoline_kernelINS0_14default_configENS1_25partition_config_selectorILNS1_17partition_subalgoE8EjNS0_10empty_typeEbEEZZNS1_14partition_implILS5_8ELb0ES3_jN6thrust23THRUST_200600_302600_NS6detail15normal_iteratorINSA_10device_ptrIjEEEEPS6_PKS6_NS0_5tupleIJNSA_16discard_iteratorINSA_11use_defaultEEES6_EEENSJ_IJSG_SG_EEENS0_18inequality_wrapperINSA_8equal_toIjEEEEPmJS6_EEE10hipError_tPvRmT3_T4_T5_T6_T7_T9_mT8_P12ihipStream_tbDpT10_ENKUlT_T0_E_clISt17integral_constantIbLb0EES1C_IbLb1EEEEDaS18_S19_EUlS18_E_NS1_11comp_targetILNS1_3genE9ELNS1_11target_archE1100ELNS1_3gpuE3ELNS1_3repE0EEENS1_30default_config_static_selectorELNS0_4arch9wavefront6targetE1EEEvT1_.has_dyn_sized_stack, 0
	.set _ZN7rocprim17ROCPRIM_400000_NS6detail17trampoline_kernelINS0_14default_configENS1_25partition_config_selectorILNS1_17partition_subalgoE8EjNS0_10empty_typeEbEEZZNS1_14partition_implILS5_8ELb0ES3_jN6thrust23THRUST_200600_302600_NS6detail15normal_iteratorINSA_10device_ptrIjEEEEPS6_PKS6_NS0_5tupleIJNSA_16discard_iteratorINSA_11use_defaultEEES6_EEENSJ_IJSG_SG_EEENS0_18inequality_wrapperINSA_8equal_toIjEEEEPmJS6_EEE10hipError_tPvRmT3_T4_T5_T6_T7_T9_mT8_P12ihipStream_tbDpT10_ENKUlT_T0_E_clISt17integral_constantIbLb0EES1C_IbLb1EEEEDaS18_S19_EUlS18_E_NS1_11comp_targetILNS1_3genE9ELNS1_11target_archE1100ELNS1_3gpuE3ELNS1_3repE0EEENS1_30default_config_static_selectorELNS0_4arch9wavefront6targetE1EEEvT1_.has_recursion, 0
	.set _ZN7rocprim17ROCPRIM_400000_NS6detail17trampoline_kernelINS0_14default_configENS1_25partition_config_selectorILNS1_17partition_subalgoE8EjNS0_10empty_typeEbEEZZNS1_14partition_implILS5_8ELb0ES3_jN6thrust23THRUST_200600_302600_NS6detail15normal_iteratorINSA_10device_ptrIjEEEEPS6_PKS6_NS0_5tupleIJNSA_16discard_iteratorINSA_11use_defaultEEES6_EEENSJ_IJSG_SG_EEENS0_18inequality_wrapperINSA_8equal_toIjEEEEPmJS6_EEE10hipError_tPvRmT3_T4_T5_T6_T7_T9_mT8_P12ihipStream_tbDpT10_ENKUlT_T0_E_clISt17integral_constantIbLb0EES1C_IbLb1EEEEDaS18_S19_EUlS18_E_NS1_11comp_targetILNS1_3genE9ELNS1_11target_archE1100ELNS1_3gpuE3ELNS1_3repE0EEENS1_30default_config_static_selectorELNS0_4arch9wavefront6targetE1EEEvT1_.has_indirect_call, 0
	.section	.AMDGPU.csdata,"",@progbits
; Kernel info:
; codeLenInByte = 0
; TotalNumSgprs: 4
; NumVgprs: 0
; ScratchSize: 0
; MemoryBound: 0
; FloatMode: 240
; IeeeMode: 1
; LDSByteSize: 0 bytes/workgroup (compile time only)
; SGPRBlocks: 0
; VGPRBlocks: 0
; NumSGPRsForWavesPerEU: 4
; NumVGPRsForWavesPerEU: 1
; Occupancy: 10
; WaveLimiterHint : 0
; COMPUTE_PGM_RSRC2:SCRATCH_EN: 0
; COMPUTE_PGM_RSRC2:USER_SGPR: 6
; COMPUTE_PGM_RSRC2:TRAP_HANDLER: 0
; COMPUTE_PGM_RSRC2:TGID_X_EN: 1
; COMPUTE_PGM_RSRC2:TGID_Y_EN: 0
; COMPUTE_PGM_RSRC2:TGID_Z_EN: 0
; COMPUTE_PGM_RSRC2:TIDIG_COMP_CNT: 0
	.section	.text._ZN7rocprim17ROCPRIM_400000_NS6detail17trampoline_kernelINS0_14default_configENS1_25partition_config_selectorILNS1_17partition_subalgoE8EjNS0_10empty_typeEbEEZZNS1_14partition_implILS5_8ELb0ES3_jN6thrust23THRUST_200600_302600_NS6detail15normal_iteratorINSA_10device_ptrIjEEEEPS6_PKS6_NS0_5tupleIJNSA_16discard_iteratorINSA_11use_defaultEEES6_EEENSJ_IJSG_SG_EEENS0_18inequality_wrapperINSA_8equal_toIjEEEEPmJS6_EEE10hipError_tPvRmT3_T4_T5_T6_T7_T9_mT8_P12ihipStream_tbDpT10_ENKUlT_T0_E_clISt17integral_constantIbLb0EES1C_IbLb1EEEEDaS18_S19_EUlS18_E_NS1_11comp_targetILNS1_3genE8ELNS1_11target_archE1030ELNS1_3gpuE2ELNS1_3repE0EEENS1_30default_config_static_selectorELNS0_4arch9wavefront6targetE1EEEvT1_,"axG",@progbits,_ZN7rocprim17ROCPRIM_400000_NS6detail17trampoline_kernelINS0_14default_configENS1_25partition_config_selectorILNS1_17partition_subalgoE8EjNS0_10empty_typeEbEEZZNS1_14partition_implILS5_8ELb0ES3_jN6thrust23THRUST_200600_302600_NS6detail15normal_iteratorINSA_10device_ptrIjEEEEPS6_PKS6_NS0_5tupleIJNSA_16discard_iteratorINSA_11use_defaultEEES6_EEENSJ_IJSG_SG_EEENS0_18inequality_wrapperINSA_8equal_toIjEEEEPmJS6_EEE10hipError_tPvRmT3_T4_T5_T6_T7_T9_mT8_P12ihipStream_tbDpT10_ENKUlT_T0_E_clISt17integral_constantIbLb0EES1C_IbLb1EEEEDaS18_S19_EUlS18_E_NS1_11comp_targetILNS1_3genE8ELNS1_11target_archE1030ELNS1_3gpuE2ELNS1_3repE0EEENS1_30default_config_static_selectorELNS0_4arch9wavefront6targetE1EEEvT1_,comdat
	.protected	_ZN7rocprim17ROCPRIM_400000_NS6detail17trampoline_kernelINS0_14default_configENS1_25partition_config_selectorILNS1_17partition_subalgoE8EjNS0_10empty_typeEbEEZZNS1_14partition_implILS5_8ELb0ES3_jN6thrust23THRUST_200600_302600_NS6detail15normal_iteratorINSA_10device_ptrIjEEEEPS6_PKS6_NS0_5tupleIJNSA_16discard_iteratorINSA_11use_defaultEEES6_EEENSJ_IJSG_SG_EEENS0_18inequality_wrapperINSA_8equal_toIjEEEEPmJS6_EEE10hipError_tPvRmT3_T4_T5_T6_T7_T9_mT8_P12ihipStream_tbDpT10_ENKUlT_T0_E_clISt17integral_constantIbLb0EES1C_IbLb1EEEEDaS18_S19_EUlS18_E_NS1_11comp_targetILNS1_3genE8ELNS1_11target_archE1030ELNS1_3gpuE2ELNS1_3repE0EEENS1_30default_config_static_selectorELNS0_4arch9wavefront6targetE1EEEvT1_ ; -- Begin function _ZN7rocprim17ROCPRIM_400000_NS6detail17trampoline_kernelINS0_14default_configENS1_25partition_config_selectorILNS1_17partition_subalgoE8EjNS0_10empty_typeEbEEZZNS1_14partition_implILS5_8ELb0ES3_jN6thrust23THRUST_200600_302600_NS6detail15normal_iteratorINSA_10device_ptrIjEEEEPS6_PKS6_NS0_5tupleIJNSA_16discard_iteratorINSA_11use_defaultEEES6_EEENSJ_IJSG_SG_EEENS0_18inequality_wrapperINSA_8equal_toIjEEEEPmJS6_EEE10hipError_tPvRmT3_T4_T5_T6_T7_T9_mT8_P12ihipStream_tbDpT10_ENKUlT_T0_E_clISt17integral_constantIbLb0EES1C_IbLb1EEEEDaS18_S19_EUlS18_E_NS1_11comp_targetILNS1_3genE8ELNS1_11target_archE1030ELNS1_3gpuE2ELNS1_3repE0EEENS1_30default_config_static_selectorELNS0_4arch9wavefront6targetE1EEEvT1_
	.globl	_ZN7rocprim17ROCPRIM_400000_NS6detail17trampoline_kernelINS0_14default_configENS1_25partition_config_selectorILNS1_17partition_subalgoE8EjNS0_10empty_typeEbEEZZNS1_14partition_implILS5_8ELb0ES3_jN6thrust23THRUST_200600_302600_NS6detail15normal_iteratorINSA_10device_ptrIjEEEEPS6_PKS6_NS0_5tupleIJNSA_16discard_iteratorINSA_11use_defaultEEES6_EEENSJ_IJSG_SG_EEENS0_18inequality_wrapperINSA_8equal_toIjEEEEPmJS6_EEE10hipError_tPvRmT3_T4_T5_T6_T7_T9_mT8_P12ihipStream_tbDpT10_ENKUlT_T0_E_clISt17integral_constantIbLb0EES1C_IbLb1EEEEDaS18_S19_EUlS18_E_NS1_11comp_targetILNS1_3genE8ELNS1_11target_archE1030ELNS1_3gpuE2ELNS1_3repE0EEENS1_30default_config_static_selectorELNS0_4arch9wavefront6targetE1EEEvT1_
	.p2align	8
	.type	_ZN7rocprim17ROCPRIM_400000_NS6detail17trampoline_kernelINS0_14default_configENS1_25partition_config_selectorILNS1_17partition_subalgoE8EjNS0_10empty_typeEbEEZZNS1_14partition_implILS5_8ELb0ES3_jN6thrust23THRUST_200600_302600_NS6detail15normal_iteratorINSA_10device_ptrIjEEEEPS6_PKS6_NS0_5tupleIJNSA_16discard_iteratorINSA_11use_defaultEEES6_EEENSJ_IJSG_SG_EEENS0_18inequality_wrapperINSA_8equal_toIjEEEEPmJS6_EEE10hipError_tPvRmT3_T4_T5_T6_T7_T9_mT8_P12ihipStream_tbDpT10_ENKUlT_T0_E_clISt17integral_constantIbLb0EES1C_IbLb1EEEEDaS18_S19_EUlS18_E_NS1_11comp_targetILNS1_3genE8ELNS1_11target_archE1030ELNS1_3gpuE2ELNS1_3repE0EEENS1_30default_config_static_selectorELNS0_4arch9wavefront6targetE1EEEvT1_,@function
_ZN7rocprim17ROCPRIM_400000_NS6detail17trampoline_kernelINS0_14default_configENS1_25partition_config_selectorILNS1_17partition_subalgoE8EjNS0_10empty_typeEbEEZZNS1_14partition_implILS5_8ELb0ES3_jN6thrust23THRUST_200600_302600_NS6detail15normal_iteratorINSA_10device_ptrIjEEEEPS6_PKS6_NS0_5tupleIJNSA_16discard_iteratorINSA_11use_defaultEEES6_EEENSJ_IJSG_SG_EEENS0_18inequality_wrapperINSA_8equal_toIjEEEEPmJS6_EEE10hipError_tPvRmT3_T4_T5_T6_T7_T9_mT8_P12ihipStream_tbDpT10_ENKUlT_T0_E_clISt17integral_constantIbLb0EES1C_IbLb1EEEEDaS18_S19_EUlS18_E_NS1_11comp_targetILNS1_3genE8ELNS1_11target_archE1030ELNS1_3gpuE2ELNS1_3repE0EEENS1_30default_config_static_selectorELNS0_4arch9wavefront6targetE1EEEvT1_: ; @_ZN7rocprim17ROCPRIM_400000_NS6detail17trampoline_kernelINS0_14default_configENS1_25partition_config_selectorILNS1_17partition_subalgoE8EjNS0_10empty_typeEbEEZZNS1_14partition_implILS5_8ELb0ES3_jN6thrust23THRUST_200600_302600_NS6detail15normal_iteratorINSA_10device_ptrIjEEEEPS6_PKS6_NS0_5tupleIJNSA_16discard_iteratorINSA_11use_defaultEEES6_EEENSJ_IJSG_SG_EEENS0_18inequality_wrapperINSA_8equal_toIjEEEEPmJS6_EEE10hipError_tPvRmT3_T4_T5_T6_T7_T9_mT8_P12ihipStream_tbDpT10_ENKUlT_T0_E_clISt17integral_constantIbLb0EES1C_IbLb1EEEEDaS18_S19_EUlS18_E_NS1_11comp_targetILNS1_3genE8ELNS1_11target_archE1030ELNS1_3gpuE2ELNS1_3repE0EEENS1_30default_config_static_selectorELNS0_4arch9wavefront6targetE1EEEvT1_
; %bb.0:
	.section	.rodata,"a",@progbits
	.p2align	6, 0x0
	.amdhsa_kernel _ZN7rocprim17ROCPRIM_400000_NS6detail17trampoline_kernelINS0_14default_configENS1_25partition_config_selectorILNS1_17partition_subalgoE8EjNS0_10empty_typeEbEEZZNS1_14partition_implILS5_8ELb0ES3_jN6thrust23THRUST_200600_302600_NS6detail15normal_iteratorINSA_10device_ptrIjEEEEPS6_PKS6_NS0_5tupleIJNSA_16discard_iteratorINSA_11use_defaultEEES6_EEENSJ_IJSG_SG_EEENS0_18inequality_wrapperINSA_8equal_toIjEEEEPmJS6_EEE10hipError_tPvRmT3_T4_T5_T6_T7_T9_mT8_P12ihipStream_tbDpT10_ENKUlT_T0_E_clISt17integral_constantIbLb0EES1C_IbLb1EEEEDaS18_S19_EUlS18_E_NS1_11comp_targetILNS1_3genE8ELNS1_11target_archE1030ELNS1_3gpuE2ELNS1_3repE0EEENS1_30default_config_static_selectorELNS0_4arch9wavefront6targetE1EEEvT1_
		.amdhsa_group_segment_fixed_size 0
		.amdhsa_private_segment_fixed_size 0
		.amdhsa_kernarg_size 136
		.amdhsa_user_sgpr_count 6
		.amdhsa_user_sgpr_private_segment_buffer 1
		.amdhsa_user_sgpr_dispatch_ptr 0
		.amdhsa_user_sgpr_queue_ptr 0
		.amdhsa_user_sgpr_kernarg_segment_ptr 1
		.amdhsa_user_sgpr_dispatch_id 0
		.amdhsa_user_sgpr_flat_scratch_init 0
		.amdhsa_user_sgpr_private_segment_size 0
		.amdhsa_uses_dynamic_stack 0
		.amdhsa_system_sgpr_private_segment_wavefront_offset 0
		.amdhsa_system_sgpr_workgroup_id_x 1
		.amdhsa_system_sgpr_workgroup_id_y 0
		.amdhsa_system_sgpr_workgroup_id_z 0
		.amdhsa_system_sgpr_workgroup_info 0
		.amdhsa_system_vgpr_workitem_id 0
		.amdhsa_next_free_vgpr 1
		.amdhsa_next_free_sgpr 0
		.amdhsa_reserve_vcc 0
		.amdhsa_reserve_flat_scratch 0
		.amdhsa_float_round_mode_32 0
		.amdhsa_float_round_mode_16_64 0
		.amdhsa_float_denorm_mode_32 3
		.amdhsa_float_denorm_mode_16_64 3
		.amdhsa_dx10_clamp 1
		.amdhsa_ieee_mode 1
		.amdhsa_fp16_overflow 0
		.amdhsa_exception_fp_ieee_invalid_op 0
		.amdhsa_exception_fp_denorm_src 0
		.amdhsa_exception_fp_ieee_div_zero 0
		.amdhsa_exception_fp_ieee_overflow 0
		.amdhsa_exception_fp_ieee_underflow 0
		.amdhsa_exception_fp_ieee_inexact 0
		.amdhsa_exception_int_div_zero 0
	.end_amdhsa_kernel
	.section	.text._ZN7rocprim17ROCPRIM_400000_NS6detail17trampoline_kernelINS0_14default_configENS1_25partition_config_selectorILNS1_17partition_subalgoE8EjNS0_10empty_typeEbEEZZNS1_14partition_implILS5_8ELb0ES3_jN6thrust23THRUST_200600_302600_NS6detail15normal_iteratorINSA_10device_ptrIjEEEEPS6_PKS6_NS0_5tupleIJNSA_16discard_iteratorINSA_11use_defaultEEES6_EEENSJ_IJSG_SG_EEENS0_18inequality_wrapperINSA_8equal_toIjEEEEPmJS6_EEE10hipError_tPvRmT3_T4_T5_T6_T7_T9_mT8_P12ihipStream_tbDpT10_ENKUlT_T0_E_clISt17integral_constantIbLb0EES1C_IbLb1EEEEDaS18_S19_EUlS18_E_NS1_11comp_targetILNS1_3genE8ELNS1_11target_archE1030ELNS1_3gpuE2ELNS1_3repE0EEENS1_30default_config_static_selectorELNS0_4arch9wavefront6targetE1EEEvT1_,"axG",@progbits,_ZN7rocprim17ROCPRIM_400000_NS6detail17trampoline_kernelINS0_14default_configENS1_25partition_config_selectorILNS1_17partition_subalgoE8EjNS0_10empty_typeEbEEZZNS1_14partition_implILS5_8ELb0ES3_jN6thrust23THRUST_200600_302600_NS6detail15normal_iteratorINSA_10device_ptrIjEEEEPS6_PKS6_NS0_5tupleIJNSA_16discard_iteratorINSA_11use_defaultEEES6_EEENSJ_IJSG_SG_EEENS0_18inequality_wrapperINSA_8equal_toIjEEEEPmJS6_EEE10hipError_tPvRmT3_T4_T5_T6_T7_T9_mT8_P12ihipStream_tbDpT10_ENKUlT_T0_E_clISt17integral_constantIbLb0EES1C_IbLb1EEEEDaS18_S19_EUlS18_E_NS1_11comp_targetILNS1_3genE8ELNS1_11target_archE1030ELNS1_3gpuE2ELNS1_3repE0EEENS1_30default_config_static_selectorELNS0_4arch9wavefront6targetE1EEEvT1_,comdat
.Lfunc_end596:
	.size	_ZN7rocprim17ROCPRIM_400000_NS6detail17trampoline_kernelINS0_14default_configENS1_25partition_config_selectorILNS1_17partition_subalgoE8EjNS0_10empty_typeEbEEZZNS1_14partition_implILS5_8ELb0ES3_jN6thrust23THRUST_200600_302600_NS6detail15normal_iteratorINSA_10device_ptrIjEEEEPS6_PKS6_NS0_5tupleIJNSA_16discard_iteratorINSA_11use_defaultEEES6_EEENSJ_IJSG_SG_EEENS0_18inequality_wrapperINSA_8equal_toIjEEEEPmJS6_EEE10hipError_tPvRmT3_T4_T5_T6_T7_T9_mT8_P12ihipStream_tbDpT10_ENKUlT_T0_E_clISt17integral_constantIbLb0EES1C_IbLb1EEEEDaS18_S19_EUlS18_E_NS1_11comp_targetILNS1_3genE8ELNS1_11target_archE1030ELNS1_3gpuE2ELNS1_3repE0EEENS1_30default_config_static_selectorELNS0_4arch9wavefront6targetE1EEEvT1_, .Lfunc_end596-_ZN7rocprim17ROCPRIM_400000_NS6detail17trampoline_kernelINS0_14default_configENS1_25partition_config_selectorILNS1_17partition_subalgoE8EjNS0_10empty_typeEbEEZZNS1_14partition_implILS5_8ELb0ES3_jN6thrust23THRUST_200600_302600_NS6detail15normal_iteratorINSA_10device_ptrIjEEEEPS6_PKS6_NS0_5tupleIJNSA_16discard_iteratorINSA_11use_defaultEEES6_EEENSJ_IJSG_SG_EEENS0_18inequality_wrapperINSA_8equal_toIjEEEEPmJS6_EEE10hipError_tPvRmT3_T4_T5_T6_T7_T9_mT8_P12ihipStream_tbDpT10_ENKUlT_T0_E_clISt17integral_constantIbLb0EES1C_IbLb1EEEEDaS18_S19_EUlS18_E_NS1_11comp_targetILNS1_3genE8ELNS1_11target_archE1030ELNS1_3gpuE2ELNS1_3repE0EEENS1_30default_config_static_selectorELNS0_4arch9wavefront6targetE1EEEvT1_
                                        ; -- End function
	.set _ZN7rocprim17ROCPRIM_400000_NS6detail17trampoline_kernelINS0_14default_configENS1_25partition_config_selectorILNS1_17partition_subalgoE8EjNS0_10empty_typeEbEEZZNS1_14partition_implILS5_8ELb0ES3_jN6thrust23THRUST_200600_302600_NS6detail15normal_iteratorINSA_10device_ptrIjEEEEPS6_PKS6_NS0_5tupleIJNSA_16discard_iteratorINSA_11use_defaultEEES6_EEENSJ_IJSG_SG_EEENS0_18inequality_wrapperINSA_8equal_toIjEEEEPmJS6_EEE10hipError_tPvRmT3_T4_T5_T6_T7_T9_mT8_P12ihipStream_tbDpT10_ENKUlT_T0_E_clISt17integral_constantIbLb0EES1C_IbLb1EEEEDaS18_S19_EUlS18_E_NS1_11comp_targetILNS1_3genE8ELNS1_11target_archE1030ELNS1_3gpuE2ELNS1_3repE0EEENS1_30default_config_static_selectorELNS0_4arch9wavefront6targetE1EEEvT1_.num_vgpr, 0
	.set _ZN7rocprim17ROCPRIM_400000_NS6detail17trampoline_kernelINS0_14default_configENS1_25partition_config_selectorILNS1_17partition_subalgoE8EjNS0_10empty_typeEbEEZZNS1_14partition_implILS5_8ELb0ES3_jN6thrust23THRUST_200600_302600_NS6detail15normal_iteratorINSA_10device_ptrIjEEEEPS6_PKS6_NS0_5tupleIJNSA_16discard_iteratorINSA_11use_defaultEEES6_EEENSJ_IJSG_SG_EEENS0_18inequality_wrapperINSA_8equal_toIjEEEEPmJS6_EEE10hipError_tPvRmT3_T4_T5_T6_T7_T9_mT8_P12ihipStream_tbDpT10_ENKUlT_T0_E_clISt17integral_constantIbLb0EES1C_IbLb1EEEEDaS18_S19_EUlS18_E_NS1_11comp_targetILNS1_3genE8ELNS1_11target_archE1030ELNS1_3gpuE2ELNS1_3repE0EEENS1_30default_config_static_selectorELNS0_4arch9wavefront6targetE1EEEvT1_.num_agpr, 0
	.set _ZN7rocprim17ROCPRIM_400000_NS6detail17trampoline_kernelINS0_14default_configENS1_25partition_config_selectorILNS1_17partition_subalgoE8EjNS0_10empty_typeEbEEZZNS1_14partition_implILS5_8ELb0ES3_jN6thrust23THRUST_200600_302600_NS6detail15normal_iteratorINSA_10device_ptrIjEEEEPS6_PKS6_NS0_5tupleIJNSA_16discard_iteratorINSA_11use_defaultEEES6_EEENSJ_IJSG_SG_EEENS0_18inequality_wrapperINSA_8equal_toIjEEEEPmJS6_EEE10hipError_tPvRmT3_T4_T5_T6_T7_T9_mT8_P12ihipStream_tbDpT10_ENKUlT_T0_E_clISt17integral_constantIbLb0EES1C_IbLb1EEEEDaS18_S19_EUlS18_E_NS1_11comp_targetILNS1_3genE8ELNS1_11target_archE1030ELNS1_3gpuE2ELNS1_3repE0EEENS1_30default_config_static_selectorELNS0_4arch9wavefront6targetE1EEEvT1_.numbered_sgpr, 0
	.set _ZN7rocprim17ROCPRIM_400000_NS6detail17trampoline_kernelINS0_14default_configENS1_25partition_config_selectorILNS1_17partition_subalgoE8EjNS0_10empty_typeEbEEZZNS1_14partition_implILS5_8ELb0ES3_jN6thrust23THRUST_200600_302600_NS6detail15normal_iteratorINSA_10device_ptrIjEEEEPS6_PKS6_NS0_5tupleIJNSA_16discard_iteratorINSA_11use_defaultEEES6_EEENSJ_IJSG_SG_EEENS0_18inequality_wrapperINSA_8equal_toIjEEEEPmJS6_EEE10hipError_tPvRmT3_T4_T5_T6_T7_T9_mT8_P12ihipStream_tbDpT10_ENKUlT_T0_E_clISt17integral_constantIbLb0EES1C_IbLb1EEEEDaS18_S19_EUlS18_E_NS1_11comp_targetILNS1_3genE8ELNS1_11target_archE1030ELNS1_3gpuE2ELNS1_3repE0EEENS1_30default_config_static_selectorELNS0_4arch9wavefront6targetE1EEEvT1_.num_named_barrier, 0
	.set _ZN7rocprim17ROCPRIM_400000_NS6detail17trampoline_kernelINS0_14default_configENS1_25partition_config_selectorILNS1_17partition_subalgoE8EjNS0_10empty_typeEbEEZZNS1_14partition_implILS5_8ELb0ES3_jN6thrust23THRUST_200600_302600_NS6detail15normal_iteratorINSA_10device_ptrIjEEEEPS6_PKS6_NS0_5tupleIJNSA_16discard_iteratorINSA_11use_defaultEEES6_EEENSJ_IJSG_SG_EEENS0_18inequality_wrapperINSA_8equal_toIjEEEEPmJS6_EEE10hipError_tPvRmT3_T4_T5_T6_T7_T9_mT8_P12ihipStream_tbDpT10_ENKUlT_T0_E_clISt17integral_constantIbLb0EES1C_IbLb1EEEEDaS18_S19_EUlS18_E_NS1_11comp_targetILNS1_3genE8ELNS1_11target_archE1030ELNS1_3gpuE2ELNS1_3repE0EEENS1_30default_config_static_selectorELNS0_4arch9wavefront6targetE1EEEvT1_.private_seg_size, 0
	.set _ZN7rocprim17ROCPRIM_400000_NS6detail17trampoline_kernelINS0_14default_configENS1_25partition_config_selectorILNS1_17partition_subalgoE8EjNS0_10empty_typeEbEEZZNS1_14partition_implILS5_8ELb0ES3_jN6thrust23THRUST_200600_302600_NS6detail15normal_iteratorINSA_10device_ptrIjEEEEPS6_PKS6_NS0_5tupleIJNSA_16discard_iteratorINSA_11use_defaultEEES6_EEENSJ_IJSG_SG_EEENS0_18inequality_wrapperINSA_8equal_toIjEEEEPmJS6_EEE10hipError_tPvRmT3_T4_T5_T6_T7_T9_mT8_P12ihipStream_tbDpT10_ENKUlT_T0_E_clISt17integral_constantIbLb0EES1C_IbLb1EEEEDaS18_S19_EUlS18_E_NS1_11comp_targetILNS1_3genE8ELNS1_11target_archE1030ELNS1_3gpuE2ELNS1_3repE0EEENS1_30default_config_static_selectorELNS0_4arch9wavefront6targetE1EEEvT1_.uses_vcc, 0
	.set _ZN7rocprim17ROCPRIM_400000_NS6detail17trampoline_kernelINS0_14default_configENS1_25partition_config_selectorILNS1_17partition_subalgoE8EjNS0_10empty_typeEbEEZZNS1_14partition_implILS5_8ELb0ES3_jN6thrust23THRUST_200600_302600_NS6detail15normal_iteratorINSA_10device_ptrIjEEEEPS6_PKS6_NS0_5tupleIJNSA_16discard_iteratorINSA_11use_defaultEEES6_EEENSJ_IJSG_SG_EEENS0_18inequality_wrapperINSA_8equal_toIjEEEEPmJS6_EEE10hipError_tPvRmT3_T4_T5_T6_T7_T9_mT8_P12ihipStream_tbDpT10_ENKUlT_T0_E_clISt17integral_constantIbLb0EES1C_IbLb1EEEEDaS18_S19_EUlS18_E_NS1_11comp_targetILNS1_3genE8ELNS1_11target_archE1030ELNS1_3gpuE2ELNS1_3repE0EEENS1_30default_config_static_selectorELNS0_4arch9wavefront6targetE1EEEvT1_.uses_flat_scratch, 0
	.set _ZN7rocprim17ROCPRIM_400000_NS6detail17trampoline_kernelINS0_14default_configENS1_25partition_config_selectorILNS1_17partition_subalgoE8EjNS0_10empty_typeEbEEZZNS1_14partition_implILS5_8ELb0ES3_jN6thrust23THRUST_200600_302600_NS6detail15normal_iteratorINSA_10device_ptrIjEEEEPS6_PKS6_NS0_5tupleIJNSA_16discard_iteratorINSA_11use_defaultEEES6_EEENSJ_IJSG_SG_EEENS0_18inequality_wrapperINSA_8equal_toIjEEEEPmJS6_EEE10hipError_tPvRmT3_T4_T5_T6_T7_T9_mT8_P12ihipStream_tbDpT10_ENKUlT_T0_E_clISt17integral_constantIbLb0EES1C_IbLb1EEEEDaS18_S19_EUlS18_E_NS1_11comp_targetILNS1_3genE8ELNS1_11target_archE1030ELNS1_3gpuE2ELNS1_3repE0EEENS1_30default_config_static_selectorELNS0_4arch9wavefront6targetE1EEEvT1_.has_dyn_sized_stack, 0
	.set _ZN7rocprim17ROCPRIM_400000_NS6detail17trampoline_kernelINS0_14default_configENS1_25partition_config_selectorILNS1_17partition_subalgoE8EjNS0_10empty_typeEbEEZZNS1_14partition_implILS5_8ELb0ES3_jN6thrust23THRUST_200600_302600_NS6detail15normal_iteratorINSA_10device_ptrIjEEEEPS6_PKS6_NS0_5tupleIJNSA_16discard_iteratorINSA_11use_defaultEEES6_EEENSJ_IJSG_SG_EEENS0_18inequality_wrapperINSA_8equal_toIjEEEEPmJS6_EEE10hipError_tPvRmT3_T4_T5_T6_T7_T9_mT8_P12ihipStream_tbDpT10_ENKUlT_T0_E_clISt17integral_constantIbLb0EES1C_IbLb1EEEEDaS18_S19_EUlS18_E_NS1_11comp_targetILNS1_3genE8ELNS1_11target_archE1030ELNS1_3gpuE2ELNS1_3repE0EEENS1_30default_config_static_selectorELNS0_4arch9wavefront6targetE1EEEvT1_.has_recursion, 0
	.set _ZN7rocprim17ROCPRIM_400000_NS6detail17trampoline_kernelINS0_14default_configENS1_25partition_config_selectorILNS1_17partition_subalgoE8EjNS0_10empty_typeEbEEZZNS1_14partition_implILS5_8ELb0ES3_jN6thrust23THRUST_200600_302600_NS6detail15normal_iteratorINSA_10device_ptrIjEEEEPS6_PKS6_NS0_5tupleIJNSA_16discard_iteratorINSA_11use_defaultEEES6_EEENSJ_IJSG_SG_EEENS0_18inequality_wrapperINSA_8equal_toIjEEEEPmJS6_EEE10hipError_tPvRmT3_T4_T5_T6_T7_T9_mT8_P12ihipStream_tbDpT10_ENKUlT_T0_E_clISt17integral_constantIbLb0EES1C_IbLb1EEEEDaS18_S19_EUlS18_E_NS1_11comp_targetILNS1_3genE8ELNS1_11target_archE1030ELNS1_3gpuE2ELNS1_3repE0EEENS1_30default_config_static_selectorELNS0_4arch9wavefront6targetE1EEEvT1_.has_indirect_call, 0
	.section	.AMDGPU.csdata,"",@progbits
; Kernel info:
; codeLenInByte = 0
; TotalNumSgprs: 4
; NumVgprs: 0
; ScratchSize: 0
; MemoryBound: 0
; FloatMode: 240
; IeeeMode: 1
; LDSByteSize: 0 bytes/workgroup (compile time only)
; SGPRBlocks: 0
; VGPRBlocks: 0
; NumSGPRsForWavesPerEU: 4
; NumVGPRsForWavesPerEU: 1
; Occupancy: 10
; WaveLimiterHint : 0
; COMPUTE_PGM_RSRC2:SCRATCH_EN: 0
; COMPUTE_PGM_RSRC2:USER_SGPR: 6
; COMPUTE_PGM_RSRC2:TRAP_HANDLER: 0
; COMPUTE_PGM_RSRC2:TGID_X_EN: 1
; COMPUTE_PGM_RSRC2:TGID_Y_EN: 0
; COMPUTE_PGM_RSRC2:TGID_Z_EN: 0
; COMPUTE_PGM_RSRC2:TIDIG_COMP_CNT: 0
	.section	.text._ZN7rocprim17ROCPRIM_400000_NS6detail17trampoline_kernelINS0_14default_configENS1_25partition_config_selectorILNS1_17partition_subalgoE8EtNS0_10empty_typeEbEEZZNS1_14partition_implILS5_8ELb0ES3_jN6thrust23THRUST_200600_302600_NS6detail15normal_iteratorINSA_10device_ptrItEEEEPS6_PKS6_NS0_5tupleIJNSA_16discard_iteratorINSA_11use_defaultEEES6_EEENSJ_IJSG_SG_EEENS0_18inequality_wrapperINSA_8equal_toItEEEEPmJS6_EEE10hipError_tPvRmT3_T4_T5_T6_T7_T9_mT8_P12ihipStream_tbDpT10_ENKUlT_T0_E_clISt17integral_constantIbLb0EES1D_EEDaS18_S19_EUlS18_E_NS1_11comp_targetILNS1_3genE0ELNS1_11target_archE4294967295ELNS1_3gpuE0ELNS1_3repE0EEENS1_30default_config_static_selectorELNS0_4arch9wavefront6targetE1EEEvT1_,"axG",@progbits,_ZN7rocprim17ROCPRIM_400000_NS6detail17trampoline_kernelINS0_14default_configENS1_25partition_config_selectorILNS1_17partition_subalgoE8EtNS0_10empty_typeEbEEZZNS1_14partition_implILS5_8ELb0ES3_jN6thrust23THRUST_200600_302600_NS6detail15normal_iteratorINSA_10device_ptrItEEEEPS6_PKS6_NS0_5tupleIJNSA_16discard_iteratorINSA_11use_defaultEEES6_EEENSJ_IJSG_SG_EEENS0_18inequality_wrapperINSA_8equal_toItEEEEPmJS6_EEE10hipError_tPvRmT3_T4_T5_T6_T7_T9_mT8_P12ihipStream_tbDpT10_ENKUlT_T0_E_clISt17integral_constantIbLb0EES1D_EEDaS18_S19_EUlS18_E_NS1_11comp_targetILNS1_3genE0ELNS1_11target_archE4294967295ELNS1_3gpuE0ELNS1_3repE0EEENS1_30default_config_static_selectorELNS0_4arch9wavefront6targetE1EEEvT1_,comdat
	.protected	_ZN7rocprim17ROCPRIM_400000_NS6detail17trampoline_kernelINS0_14default_configENS1_25partition_config_selectorILNS1_17partition_subalgoE8EtNS0_10empty_typeEbEEZZNS1_14partition_implILS5_8ELb0ES3_jN6thrust23THRUST_200600_302600_NS6detail15normal_iteratorINSA_10device_ptrItEEEEPS6_PKS6_NS0_5tupleIJNSA_16discard_iteratorINSA_11use_defaultEEES6_EEENSJ_IJSG_SG_EEENS0_18inequality_wrapperINSA_8equal_toItEEEEPmJS6_EEE10hipError_tPvRmT3_T4_T5_T6_T7_T9_mT8_P12ihipStream_tbDpT10_ENKUlT_T0_E_clISt17integral_constantIbLb0EES1D_EEDaS18_S19_EUlS18_E_NS1_11comp_targetILNS1_3genE0ELNS1_11target_archE4294967295ELNS1_3gpuE0ELNS1_3repE0EEENS1_30default_config_static_selectorELNS0_4arch9wavefront6targetE1EEEvT1_ ; -- Begin function _ZN7rocprim17ROCPRIM_400000_NS6detail17trampoline_kernelINS0_14default_configENS1_25partition_config_selectorILNS1_17partition_subalgoE8EtNS0_10empty_typeEbEEZZNS1_14partition_implILS5_8ELb0ES3_jN6thrust23THRUST_200600_302600_NS6detail15normal_iteratorINSA_10device_ptrItEEEEPS6_PKS6_NS0_5tupleIJNSA_16discard_iteratorINSA_11use_defaultEEES6_EEENSJ_IJSG_SG_EEENS0_18inequality_wrapperINSA_8equal_toItEEEEPmJS6_EEE10hipError_tPvRmT3_T4_T5_T6_T7_T9_mT8_P12ihipStream_tbDpT10_ENKUlT_T0_E_clISt17integral_constantIbLb0EES1D_EEDaS18_S19_EUlS18_E_NS1_11comp_targetILNS1_3genE0ELNS1_11target_archE4294967295ELNS1_3gpuE0ELNS1_3repE0EEENS1_30default_config_static_selectorELNS0_4arch9wavefront6targetE1EEEvT1_
	.globl	_ZN7rocprim17ROCPRIM_400000_NS6detail17trampoline_kernelINS0_14default_configENS1_25partition_config_selectorILNS1_17partition_subalgoE8EtNS0_10empty_typeEbEEZZNS1_14partition_implILS5_8ELb0ES3_jN6thrust23THRUST_200600_302600_NS6detail15normal_iteratorINSA_10device_ptrItEEEEPS6_PKS6_NS0_5tupleIJNSA_16discard_iteratorINSA_11use_defaultEEES6_EEENSJ_IJSG_SG_EEENS0_18inequality_wrapperINSA_8equal_toItEEEEPmJS6_EEE10hipError_tPvRmT3_T4_T5_T6_T7_T9_mT8_P12ihipStream_tbDpT10_ENKUlT_T0_E_clISt17integral_constantIbLb0EES1D_EEDaS18_S19_EUlS18_E_NS1_11comp_targetILNS1_3genE0ELNS1_11target_archE4294967295ELNS1_3gpuE0ELNS1_3repE0EEENS1_30default_config_static_selectorELNS0_4arch9wavefront6targetE1EEEvT1_
	.p2align	8
	.type	_ZN7rocprim17ROCPRIM_400000_NS6detail17trampoline_kernelINS0_14default_configENS1_25partition_config_selectorILNS1_17partition_subalgoE8EtNS0_10empty_typeEbEEZZNS1_14partition_implILS5_8ELb0ES3_jN6thrust23THRUST_200600_302600_NS6detail15normal_iteratorINSA_10device_ptrItEEEEPS6_PKS6_NS0_5tupleIJNSA_16discard_iteratorINSA_11use_defaultEEES6_EEENSJ_IJSG_SG_EEENS0_18inequality_wrapperINSA_8equal_toItEEEEPmJS6_EEE10hipError_tPvRmT3_T4_T5_T6_T7_T9_mT8_P12ihipStream_tbDpT10_ENKUlT_T0_E_clISt17integral_constantIbLb0EES1D_EEDaS18_S19_EUlS18_E_NS1_11comp_targetILNS1_3genE0ELNS1_11target_archE4294967295ELNS1_3gpuE0ELNS1_3repE0EEENS1_30default_config_static_selectorELNS0_4arch9wavefront6targetE1EEEvT1_,@function
_ZN7rocprim17ROCPRIM_400000_NS6detail17trampoline_kernelINS0_14default_configENS1_25partition_config_selectorILNS1_17partition_subalgoE8EtNS0_10empty_typeEbEEZZNS1_14partition_implILS5_8ELb0ES3_jN6thrust23THRUST_200600_302600_NS6detail15normal_iteratorINSA_10device_ptrItEEEEPS6_PKS6_NS0_5tupleIJNSA_16discard_iteratorINSA_11use_defaultEEES6_EEENSJ_IJSG_SG_EEENS0_18inequality_wrapperINSA_8equal_toItEEEEPmJS6_EEE10hipError_tPvRmT3_T4_T5_T6_T7_T9_mT8_P12ihipStream_tbDpT10_ENKUlT_T0_E_clISt17integral_constantIbLb0EES1D_EEDaS18_S19_EUlS18_E_NS1_11comp_targetILNS1_3genE0ELNS1_11target_archE4294967295ELNS1_3gpuE0ELNS1_3repE0EEENS1_30default_config_static_selectorELNS0_4arch9wavefront6targetE1EEEvT1_: ; @_ZN7rocprim17ROCPRIM_400000_NS6detail17trampoline_kernelINS0_14default_configENS1_25partition_config_selectorILNS1_17partition_subalgoE8EtNS0_10empty_typeEbEEZZNS1_14partition_implILS5_8ELb0ES3_jN6thrust23THRUST_200600_302600_NS6detail15normal_iteratorINSA_10device_ptrItEEEEPS6_PKS6_NS0_5tupleIJNSA_16discard_iteratorINSA_11use_defaultEEES6_EEENSJ_IJSG_SG_EEENS0_18inequality_wrapperINSA_8equal_toItEEEEPmJS6_EEE10hipError_tPvRmT3_T4_T5_T6_T7_T9_mT8_P12ihipStream_tbDpT10_ENKUlT_T0_E_clISt17integral_constantIbLb0EES1D_EEDaS18_S19_EUlS18_E_NS1_11comp_targetILNS1_3genE0ELNS1_11target_archE4294967295ELNS1_3gpuE0ELNS1_3repE0EEENS1_30default_config_static_selectorELNS0_4arch9wavefront6targetE1EEEvT1_
; %bb.0:
	.section	.rodata,"a",@progbits
	.p2align	6, 0x0
	.amdhsa_kernel _ZN7rocprim17ROCPRIM_400000_NS6detail17trampoline_kernelINS0_14default_configENS1_25partition_config_selectorILNS1_17partition_subalgoE8EtNS0_10empty_typeEbEEZZNS1_14partition_implILS5_8ELb0ES3_jN6thrust23THRUST_200600_302600_NS6detail15normal_iteratorINSA_10device_ptrItEEEEPS6_PKS6_NS0_5tupleIJNSA_16discard_iteratorINSA_11use_defaultEEES6_EEENSJ_IJSG_SG_EEENS0_18inequality_wrapperINSA_8equal_toItEEEEPmJS6_EEE10hipError_tPvRmT3_T4_T5_T6_T7_T9_mT8_P12ihipStream_tbDpT10_ENKUlT_T0_E_clISt17integral_constantIbLb0EES1D_EEDaS18_S19_EUlS18_E_NS1_11comp_targetILNS1_3genE0ELNS1_11target_archE4294967295ELNS1_3gpuE0ELNS1_3repE0EEENS1_30default_config_static_selectorELNS0_4arch9wavefront6targetE1EEEvT1_
		.amdhsa_group_segment_fixed_size 0
		.amdhsa_private_segment_fixed_size 0
		.amdhsa_kernarg_size 120
		.amdhsa_user_sgpr_count 6
		.amdhsa_user_sgpr_private_segment_buffer 1
		.amdhsa_user_sgpr_dispatch_ptr 0
		.amdhsa_user_sgpr_queue_ptr 0
		.amdhsa_user_sgpr_kernarg_segment_ptr 1
		.amdhsa_user_sgpr_dispatch_id 0
		.amdhsa_user_sgpr_flat_scratch_init 0
		.amdhsa_user_sgpr_private_segment_size 0
		.amdhsa_uses_dynamic_stack 0
		.amdhsa_system_sgpr_private_segment_wavefront_offset 0
		.amdhsa_system_sgpr_workgroup_id_x 1
		.amdhsa_system_sgpr_workgroup_id_y 0
		.amdhsa_system_sgpr_workgroup_id_z 0
		.amdhsa_system_sgpr_workgroup_info 0
		.amdhsa_system_vgpr_workitem_id 0
		.amdhsa_next_free_vgpr 1
		.amdhsa_next_free_sgpr 0
		.amdhsa_reserve_vcc 0
		.amdhsa_reserve_flat_scratch 0
		.amdhsa_float_round_mode_32 0
		.amdhsa_float_round_mode_16_64 0
		.amdhsa_float_denorm_mode_32 3
		.amdhsa_float_denorm_mode_16_64 3
		.amdhsa_dx10_clamp 1
		.amdhsa_ieee_mode 1
		.amdhsa_fp16_overflow 0
		.amdhsa_exception_fp_ieee_invalid_op 0
		.amdhsa_exception_fp_denorm_src 0
		.amdhsa_exception_fp_ieee_div_zero 0
		.amdhsa_exception_fp_ieee_overflow 0
		.amdhsa_exception_fp_ieee_underflow 0
		.amdhsa_exception_fp_ieee_inexact 0
		.amdhsa_exception_int_div_zero 0
	.end_amdhsa_kernel
	.section	.text._ZN7rocprim17ROCPRIM_400000_NS6detail17trampoline_kernelINS0_14default_configENS1_25partition_config_selectorILNS1_17partition_subalgoE8EtNS0_10empty_typeEbEEZZNS1_14partition_implILS5_8ELb0ES3_jN6thrust23THRUST_200600_302600_NS6detail15normal_iteratorINSA_10device_ptrItEEEEPS6_PKS6_NS0_5tupleIJNSA_16discard_iteratorINSA_11use_defaultEEES6_EEENSJ_IJSG_SG_EEENS0_18inequality_wrapperINSA_8equal_toItEEEEPmJS6_EEE10hipError_tPvRmT3_T4_T5_T6_T7_T9_mT8_P12ihipStream_tbDpT10_ENKUlT_T0_E_clISt17integral_constantIbLb0EES1D_EEDaS18_S19_EUlS18_E_NS1_11comp_targetILNS1_3genE0ELNS1_11target_archE4294967295ELNS1_3gpuE0ELNS1_3repE0EEENS1_30default_config_static_selectorELNS0_4arch9wavefront6targetE1EEEvT1_,"axG",@progbits,_ZN7rocprim17ROCPRIM_400000_NS6detail17trampoline_kernelINS0_14default_configENS1_25partition_config_selectorILNS1_17partition_subalgoE8EtNS0_10empty_typeEbEEZZNS1_14partition_implILS5_8ELb0ES3_jN6thrust23THRUST_200600_302600_NS6detail15normal_iteratorINSA_10device_ptrItEEEEPS6_PKS6_NS0_5tupleIJNSA_16discard_iteratorINSA_11use_defaultEEES6_EEENSJ_IJSG_SG_EEENS0_18inequality_wrapperINSA_8equal_toItEEEEPmJS6_EEE10hipError_tPvRmT3_T4_T5_T6_T7_T9_mT8_P12ihipStream_tbDpT10_ENKUlT_T0_E_clISt17integral_constantIbLb0EES1D_EEDaS18_S19_EUlS18_E_NS1_11comp_targetILNS1_3genE0ELNS1_11target_archE4294967295ELNS1_3gpuE0ELNS1_3repE0EEENS1_30default_config_static_selectorELNS0_4arch9wavefront6targetE1EEEvT1_,comdat
.Lfunc_end597:
	.size	_ZN7rocprim17ROCPRIM_400000_NS6detail17trampoline_kernelINS0_14default_configENS1_25partition_config_selectorILNS1_17partition_subalgoE8EtNS0_10empty_typeEbEEZZNS1_14partition_implILS5_8ELb0ES3_jN6thrust23THRUST_200600_302600_NS6detail15normal_iteratorINSA_10device_ptrItEEEEPS6_PKS6_NS0_5tupleIJNSA_16discard_iteratorINSA_11use_defaultEEES6_EEENSJ_IJSG_SG_EEENS0_18inequality_wrapperINSA_8equal_toItEEEEPmJS6_EEE10hipError_tPvRmT3_T4_T5_T6_T7_T9_mT8_P12ihipStream_tbDpT10_ENKUlT_T0_E_clISt17integral_constantIbLb0EES1D_EEDaS18_S19_EUlS18_E_NS1_11comp_targetILNS1_3genE0ELNS1_11target_archE4294967295ELNS1_3gpuE0ELNS1_3repE0EEENS1_30default_config_static_selectorELNS0_4arch9wavefront6targetE1EEEvT1_, .Lfunc_end597-_ZN7rocprim17ROCPRIM_400000_NS6detail17trampoline_kernelINS0_14default_configENS1_25partition_config_selectorILNS1_17partition_subalgoE8EtNS0_10empty_typeEbEEZZNS1_14partition_implILS5_8ELb0ES3_jN6thrust23THRUST_200600_302600_NS6detail15normal_iteratorINSA_10device_ptrItEEEEPS6_PKS6_NS0_5tupleIJNSA_16discard_iteratorINSA_11use_defaultEEES6_EEENSJ_IJSG_SG_EEENS0_18inequality_wrapperINSA_8equal_toItEEEEPmJS6_EEE10hipError_tPvRmT3_T4_T5_T6_T7_T9_mT8_P12ihipStream_tbDpT10_ENKUlT_T0_E_clISt17integral_constantIbLb0EES1D_EEDaS18_S19_EUlS18_E_NS1_11comp_targetILNS1_3genE0ELNS1_11target_archE4294967295ELNS1_3gpuE0ELNS1_3repE0EEENS1_30default_config_static_selectorELNS0_4arch9wavefront6targetE1EEEvT1_
                                        ; -- End function
	.set _ZN7rocprim17ROCPRIM_400000_NS6detail17trampoline_kernelINS0_14default_configENS1_25partition_config_selectorILNS1_17partition_subalgoE8EtNS0_10empty_typeEbEEZZNS1_14partition_implILS5_8ELb0ES3_jN6thrust23THRUST_200600_302600_NS6detail15normal_iteratorINSA_10device_ptrItEEEEPS6_PKS6_NS0_5tupleIJNSA_16discard_iteratorINSA_11use_defaultEEES6_EEENSJ_IJSG_SG_EEENS0_18inequality_wrapperINSA_8equal_toItEEEEPmJS6_EEE10hipError_tPvRmT3_T4_T5_T6_T7_T9_mT8_P12ihipStream_tbDpT10_ENKUlT_T0_E_clISt17integral_constantIbLb0EES1D_EEDaS18_S19_EUlS18_E_NS1_11comp_targetILNS1_3genE0ELNS1_11target_archE4294967295ELNS1_3gpuE0ELNS1_3repE0EEENS1_30default_config_static_selectorELNS0_4arch9wavefront6targetE1EEEvT1_.num_vgpr, 0
	.set _ZN7rocprim17ROCPRIM_400000_NS6detail17trampoline_kernelINS0_14default_configENS1_25partition_config_selectorILNS1_17partition_subalgoE8EtNS0_10empty_typeEbEEZZNS1_14partition_implILS5_8ELb0ES3_jN6thrust23THRUST_200600_302600_NS6detail15normal_iteratorINSA_10device_ptrItEEEEPS6_PKS6_NS0_5tupleIJNSA_16discard_iteratorINSA_11use_defaultEEES6_EEENSJ_IJSG_SG_EEENS0_18inequality_wrapperINSA_8equal_toItEEEEPmJS6_EEE10hipError_tPvRmT3_T4_T5_T6_T7_T9_mT8_P12ihipStream_tbDpT10_ENKUlT_T0_E_clISt17integral_constantIbLb0EES1D_EEDaS18_S19_EUlS18_E_NS1_11comp_targetILNS1_3genE0ELNS1_11target_archE4294967295ELNS1_3gpuE0ELNS1_3repE0EEENS1_30default_config_static_selectorELNS0_4arch9wavefront6targetE1EEEvT1_.num_agpr, 0
	.set _ZN7rocprim17ROCPRIM_400000_NS6detail17trampoline_kernelINS0_14default_configENS1_25partition_config_selectorILNS1_17partition_subalgoE8EtNS0_10empty_typeEbEEZZNS1_14partition_implILS5_8ELb0ES3_jN6thrust23THRUST_200600_302600_NS6detail15normal_iteratorINSA_10device_ptrItEEEEPS6_PKS6_NS0_5tupleIJNSA_16discard_iteratorINSA_11use_defaultEEES6_EEENSJ_IJSG_SG_EEENS0_18inequality_wrapperINSA_8equal_toItEEEEPmJS6_EEE10hipError_tPvRmT3_T4_T5_T6_T7_T9_mT8_P12ihipStream_tbDpT10_ENKUlT_T0_E_clISt17integral_constantIbLb0EES1D_EEDaS18_S19_EUlS18_E_NS1_11comp_targetILNS1_3genE0ELNS1_11target_archE4294967295ELNS1_3gpuE0ELNS1_3repE0EEENS1_30default_config_static_selectorELNS0_4arch9wavefront6targetE1EEEvT1_.numbered_sgpr, 0
	.set _ZN7rocprim17ROCPRIM_400000_NS6detail17trampoline_kernelINS0_14default_configENS1_25partition_config_selectorILNS1_17partition_subalgoE8EtNS0_10empty_typeEbEEZZNS1_14partition_implILS5_8ELb0ES3_jN6thrust23THRUST_200600_302600_NS6detail15normal_iteratorINSA_10device_ptrItEEEEPS6_PKS6_NS0_5tupleIJNSA_16discard_iteratorINSA_11use_defaultEEES6_EEENSJ_IJSG_SG_EEENS0_18inequality_wrapperINSA_8equal_toItEEEEPmJS6_EEE10hipError_tPvRmT3_T4_T5_T6_T7_T9_mT8_P12ihipStream_tbDpT10_ENKUlT_T0_E_clISt17integral_constantIbLb0EES1D_EEDaS18_S19_EUlS18_E_NS1_11comp_targetILNS1_3genE0ELNS1_11target_archE4294967295ELNS1_3gpuE0ELNS1_3repE0EEENS1_30default_config_static_selectorELNS0_4arch9wavefront6targetE1EEEvT1_.num_named_barrier, 0
	.set _ZN7rocprim17ROCPRIM_400000_NS6detail17trampoline_kernelINS0_14default_configENS1_25partition_config_selectorILNS1_17partition_subalgoE8EtNS0_10empty_typeEbEEZZNS1_14partition_implILS5_8ELb0ES3_jN6thrust23THRUST_200600_302600_NS6detail15normal_iteratorINSA_10device_ptrItEEEEPS6_PKS6_NS0_5tupleIJNSA_16discard_iteratorINSA_11use_defaultEEES6_EEENSJ_IJSG_SG_EEENS0_18inequality_wrapperINSA_8equal_toItEEEEPmJS6_EEE10hipError_tPvRmT3_T4_T5_T6_T7_T9_mT8_P12ihipStream_tbDpT10_ENKUlT_T0_E_clISt17integral_constantIbLb0EES1D_EEDaS18_S19_EUlS18_E_NS1_11comp_targetILNS1_3genE0ELNS1_11target_archE4294967295ELNS1_3gpuE0ELNS1_3repE0EEENS1_30default_config_static_selectorELNS0_4arch9wavefront6targetE1EEEvT1_.private_seg_size, 0
	.set _ZN7rocprim17ROCPRIM_400000_NS6detail17trampoline_kernelINS0_14default_configENS1_25partition_config_selectorILNS1_17partition_subalgoE8EtNS0_10empty_typeEbEEZZNS1_14partition_implILS5_8ELb0ES3_jN6thrust23THRUST_200600_302600_NS6detail15normal_iteratorINSA_10device_ptrItEEEEPS6_PKS6_NS0_5tupleIJNSA_16discard_iteratorINSA_11use_defaultEEES6_EEENSJ_IJSG_SG_EEENS0_18inequality_wrapperINSA_8equal_toItEEEEPmJS6_EEE10hipError_tPvRmT3_T4_T5_T6_T7_T9_mT8_P12ihipStream_tbDpT10_ENKUlT_T0_E_clISt17integral_constantIbLb0EES1D_EEDaS18_S19_EUlS18_E_NS1_11comp_targetILNS1_3genE0ELNS1_11target_archE4294967295ELNS1_3gpuE0ELNS1_3repE0EEENS1_30default_config_static_selectorELNS0_4arch9wavefront6targetE1EEEvT1_.uses_vcc, 0
	.set _ZN7rocprim17ROCPRIM_400000_NS6detail17trampoline_kernelINS0_14default_configENS1_25partition_config_selectorILNS1_17partition_subalgoE8EtNS0_10empty_typeEbEEZZNS1_14partition_implILS5_8ELb0ES3_jN6thrust23THRUST_200600_302600_NS6detail15normal_iteratorINSA_10device_ptrItEEEEPS6_PKS6_NS0_5tupleIJNSA_16discard_iteratorINSA_11use_defaultEEES6_EEENSJ_IJSG_SG_EEENS0_18inequality_wrapperINSA_8equal_toItEEEEPmJS6_EEE10hipError_tPvRmT3_T4_T5_T6_T7_T9_mT8_P12ihipStream_tbDpT10_ENKUlT_T0_E_clISt17integral_constantIbLb0EES1D_EEDaS18_S19_EUlS18_E_NS1_11comp_targetILNS1_3genE0ELNS1_11target_archE4294967295ELNS1_3gpuE0ELNS1_3repE0EEENS1_30default_config_static_selectorELNS0_4arch9wavefront6targetE1EEEvT1_.uses_flat_scratch, 0
	.set _ZN7rocprim17ROCPRIM_400000_NS6detail17trampoline_kernelINS0_14default_configENS1_25partition_config_selectorILNS1_17partition_subalgoE8EtNS0_10empty_typeEbEEZZNS1_14partition_implILS5_8ELb0ES3_jN6thrust23THRUST_200600_302600_NS6detail15normal_iteratorINSA_10device_ptrItEEEEPS6_PKS6_NS0_5tupleIJNSA_16discard_iteratorINSA_11use_defaultEEES6_EEENSJ_IJSG_SG_EEENS0_18inequality_wrapperINSA_8equal_toItEEEEPmJS6_EEE10hipError_tPvRmT3_T4_T5_T6_T7_T9_mT8_P12ihipStream_tbDpT10_ENKUlT_T0_E_clISt17integral_constantIbLb0EES1D_EEDaS18_S19_EUlS18_E_NS1_11comp_targetILNS1_3genE0ELNS1_11target_archE4294967295ELNS1_3gpuE0ELNS1_3repE0EEENS1_30default_config_static_selectorELNS0_4arch9wavefront6targetE1EEEvT1_.has_dyn_sized_stack, 0
	.set _ZN7rocprim17ROCPRIM_400000_NS6detail17trampoline_kernelINS0_14default_configENS1_25partition_config_selectorILNS1_17partition_subalgoE8EtNS0_10empty_typeEbEEZZNS1_14partition_implILS5_8ELb0ES3_jN6thrust23THRUST_200600_302600_NS6detail15normal_iteratorINSA_10device_ptrItEEEEPS6_PKS6_NS0_5tupleIJNSA_16discard_iteratorINSA_11use_defaultEEES6_EEENSJ_IJSG_SG_EEENS0_18inequality_wrapperINSA_8equal_toItEEEEPmJS6_EEE10hipError_tPvRmT3_T4_T5_T6_T7_T9_mT8_P12ihipStream_tbDpT10_ENKUlT_T0_E_clISt17integral_constantIbLb0EES1D_EEDaS18_S19_EUlS18_E_NS1_11comp_targetILNS1_3genE0ELNS1_11target_archE4294967295ELNS1_3gpuE0ELNS1_3repE0EEENS1_30default_config_static_selectorELNS0_4arch9wavefront6targetE1EEEvT1_.has_recursion, 0
	.set _ZN7rocprim17ROCPRIM_400000_NS6detail17trampoline_kernelINS0_14default_configENS1_25partition_config_selectorILNS1_17partition_subalgoE8EtNS0_10empty_typeEbEEZZNS1_14partition_implILS5_8ELb0ES3_jN6thrust23THRUST_200600_302600_NS6detail15normal_iteratorINSA_10device_ptrItEEEEPS6_PKS6_NS0_5tupleIJNSA_16discard_iteratorINSA_11use_defaultEEES6_EEENSJ_IJSG_SG_EEENS0_18inequality_wrapperINSA_8equal_toItEEEEPmJS6_EEE10hipError_tPvRmT3_T4_T5_T6_T7_T9_mT8_P12ihipStream_tbDpT10_ENKUlT_T0_E_clISt17integral_constantIbLb0EES1D_EEDaS18_S19_EUlS18_E_NS1_11comp_targetILNS1_3genE0ELNS1_11target_archE4294967295ELNS1_3gpuE0ELNS1_3repE0EEENS1_30default_config_static_selectorELNS0_4arch9wavefront6targetE1EEEvT1_.has_indirect_call, 0
	.section	.AMDGPU.csdata,"",@progbits
; Kernel info:
; codeLenInByte = 0
; TotalNumSgprs: 4
; NumVgprs: 0
; ScratchSize: 0
; MemoryBound: 0
; FloatMode: 240
; IeeeMode: 1
; LDSByteSize: 0 bytes/workgroup (compile time only)
; SGPRBlocks: 0
; VGPRBlocks: 0
; NumSGPRsForWavesPerEU: 4
; NumVGPRsForWavesPerEU: 1
; Occupancy: 10
; WaveLimiterHint : 0
; COMPUTE_PGM_RSRC2:SCRATCH_EN: 0
; COMPUTE_PGM_RSRC2:USER_SGPR: 6
; COMPUTE_PGM_RSRC2:TRAP_HANDLER: 0
; COMPUTE_PGM_RSRC2:TGID_X_EN: 1
; COMPUTE_PGM_RSRC2:TGID_Y_EN: 0
; COMPUTE_PGM_RSRC2:TGID_Z_EN: 0
; COMPUTE_PGM_RSRC2:TIDIG_COMP_CNT: 0
	.section	.text._ZN7rocprim17ROCPRIM_400000_NS6detail17trampoline_kernelINS0_14default_configENS1_25partition_config_selectorILNS1_17partition_subalgoE8EtNS0_10empty_typeEbEEZZNS1_14partition_implILS5_8ELb0ES3_jN6thrust23THRUST_200600_302600_NS6detail15normal_iteratorINSA_10device_ptrItEEEEPS6_PKS6_NS0_5tupleIJNSA_16discard_iteratorINSA_11use_defaultEEES6_EEENSJ_IJSG_SG_EEENS0_18inequality_wrapperINSA_8equal_toItEEEEPmJS6_EEE10hipError_tPvRmT3_T4_T5_T6_T7_T9_mT8_P12ihipStream_tbDpT10_ENKUlT_T0_E_clISt17integral_constantIbLb0EES1D_EEDaS18_S19_EUlS18_E_NS1_11comp_targetILNS1_3genE5ELNS1_11target_archE942ELNS1_3gpuE9ELNS1_3repE0EEENS1_30default_config_static_selectorELNS0_4arch9wavefront6targetE1EEEvT1_,"axG",@progbits,_ZN7rocprim17ROCPRIM_400000_NS6detail17trampoline_kernelINS0_14default_configENS1_25partition_config_selectorILNS1_17partition_subalgoE8EtNS0_10empty_typeEbEEZZNS1_14partition_implILS5_8ELb0ES3_jN6thrust23THRUST_200600_302600_NS6detail15normal_iteratorINSA_10device_ptrItEEEEPS6_PKS6_NS0_5tupleIJNSA_16discard_iteratorINSA_11use_defaultEEES6_EEENSJ_IJSG_SG_EEENS0_18inequality_wrapperINSA_8equal_toItEEEEPmJS6_EEE10hipError_tPvRmT3_T4_T5_T6_T7_T9_mT8_P12ihipStream_tbDpT10_ENKUlT_T0_E_clISt17integral_constantIbLb0EES1D_EEDaS18_S19_EUlS18_E_NS1_11comp_targetILNS1_3genE5ELNS1_11target_archE942ELNS1_3gpuE9ELNS1_3repE0EEENS1_30default_config_static_selectorELNS0_4arch9wavefront6targetE1EEEvT1_,comdat
	.protected	_ZN7rocprim17ROCPRIM_400000_NS6detail17trampoline_kernelINS0_14default_configENS1_25partition_config_selectorILNS1_17partition_subalgoE8EtNS0_10empty_typeEbEEZZNS1_14partition_implILS5_8ELb0ES3_jN6thrust23THRUST_200600_302600_NS6detail15normal_iteratorINSA_10device_ptrItEEEEPS6_PKS6_NS0_5tupleIJNSA_16discard_iteratorINSA_11use_defaultEEES6_EEENSJ_IJSG_SG_EEENS0_18inequality_wrapperINSA_8equal_toItEEEEPmJS6_EEE10hipError_tPvRmT3_T4_T5_T6_T7_T9_mT8_P12ihipStream_tbDpT10_ENKUlT_T0_E_clISt17integral_constantIbLb0EES1D_EEDaS18_S19_EUlS18_E_NS1_11comp_targetILNS1_3genE5ELNS1_11target_archE942ELNS1_3gpuE9ELNS1_3repE0EEENS1_30default_config_static_selectorELNS0_4arch9wavefront6targetE1EEEvT1_ ; -- Begin function _ZN7rocprim17ROCPRIM_400000_NS6detail17trampoline_kernelINS0_14default_configENS1_25partition_config_selectorILNS1_17partition_subalgoE8EtNS0_10empty_typeEbEEZZNS1_14partition_implILS5_8ELb0ES3_jN6thrust23THRUST_200600_302600_NS6detail15normal_iteratorINSA_10device_ptrItEEEEPS6_PKS6_NS0_5tupleIJNSA_16discard_iteratorINSA_11use_defaultEEES6_EEENSJ_IJSG_SG_EEENS0_18inequality_wrapperINSA_8equal_toItEEEEPmJS6_EEE10hipError_tPvRmT3_T4_T5_T6_T7_T9_mT8_P12ihipStream_tbDpT10_ENKUlT_T0_E_clISt17integral_constantIbLb0EES1D_EEDaS18_S19_EUlS18_E_NS1_11comp_targetILNS1_3genE5ELNS1_11target_archE942ELNS1_3gpuE9ELNS1_3repE0EEENS1_30default_config_static_selectorELNS0_4arch9wavefront6targetE1EEEvT1_
	.globl	_ZN7rocprim17ROCPRIM_400000_NS6detail17trampoline_kernelINS0_14default_configENS1_25partition_config_selectorILNS1_17partition_subalgoE8EtNS0_10empty_typeEbEEZZNS1_14partition_implILS5_8ELb0ES3_jN6thrust23THRUST_200600_302600_NS6detail15normal_iteratorINSA_10device_ptrItEEEEPS6_PKS6_NS0_5tupleIJNSA_16discard_iteratorINSA_11use_defaultEEES6_EEENSJ_IJSG_SG_EEENS0_18inequality_wrapperINSA_8equal_toItEEEEPmJS6_EEE10hipError_tPvRmT3_T4_T5_T6_T7_T9_mT8_P12ihipStream_tbDpT10_ENKUlT_T0_E_clISt17integral_constantIbLb0EES1D_EEDaS18_S19_EUlS18_E_NS1_11comp_targetILNS1_3genE5ELNS1_11target_archE942ELNS1_3gpuE9ELNS1_3repE0EEENS1_30default_config_static_selectorELNS0_4arch9wavefront6targetE1EEEvT1_
	.p2align	8
	.type	_ZN7rocprim17ROCPRIM_400000_NS6detail17trampoline_kernelINS0_14default_configENS1_25partition_config_selectorILNS1_17partition_subalgoE8EtNS0_10empty_typeEbEEZZNS1_14partition_implILS5_8ELb0ES3_jN6thrust23THRUST_200600_302600_NS6detail15normal_iteratorINSA_10device_ptrItEEEEPS6_PKS6_NS0_5tupleIJNSA_16discard_iteratorINSA_11use_defaultEEES6_EEENSJ_IJSG_SG_EEENS0_18inequality_wrapperINSA_8equal_toItEEEEPmJS6_EEE10hipError_tPvRmT3_T4_T5_T6_T7_T9_mT8_P12ihipStream_tbDpT10_ENKUlT_T0_E_clISt17integral_constantIbLb0EES1D_EEDaS18_S19_EUlS18_E_NS1_11comp_targetILNS1_3genE5ELNS1_11target_archE942ELNS1_3gpuE9ELNS1_3repE0EEENS1_30default_config_static_selectorELNS0_4arch9wavefront6targetE1EEEvT1_,@function
_ZN7rocprim17ROCPRIM_400000_NS6detail17trampoline_kernelINS0_14default_configENS1_25partition_config_selectorILNS1_17partition_subalgoE8EtNS0_10empty_typeEbEEZZNS1_14partition_implILS5_8ELb0ES3_jN6thrust23THRUST_200600_302600_NS6detail15normal_iteratorINSA_10device_ptrItEEEEPS6_PKS6_NS0_5tupleIJNSA_16discard_iteratorINSA_11use_defaultEEES6_EEENSJ_IJSG_SG_EEENS0_18inequality_wrapperINSA_8equal_toItEEEEPmJS6_EEE10hipError_tPvRmT3_T4_T5_T6_T7_T9_mT8_P12ihipStream_tbDpT10_ENKUlT_T0_E_clISt17integral_constantIbLb0EES1D_EEDaS18_S19_EUlS18_E_NS1_11comp_targetILNS1_3genE5ELNS1_11target_archE942ELNS1_3gpuE9ELNS1_3repE0EEENS1_30default_config_static_selectorELNS0_4arch9wavefront6targetE1EEEvT1_: ; @_ZN7rocprim17ROCPRIM_400000_NS6detail17trampoline_kernelINS0_14default_configENS1_25partition_config_selectorILNS1_17partition_subalgoE8EtNS0_10empty_typeEbEEZZNS1_14partition_implILS5_8ELb0ES3_jN6thrust23THRUST_200600_302600_NS6detail15normal_iteratorINSA_10device_ptrItEEEEPS6_PKS6_NS0_5tupleIJNSA_16discard_iteratorINSA_11use_defaultEEES6_EEENSJ_IJSG_SG_EEENS0_18inequality_wrapperINSA_8equal_toItEEEEPmJS6_EEE10hipError_tPvRmT3_T4_T5_T6_T7_T9_mT8_P12ihipStream_tbDpT10_ENKUlT_T0_E_clISt17integral_constantIbLb0EES1D_EEDaS18_S19_EUlS18_E_NS1_11comp_targetILNS1_3genE5ELNS1_11target_archE942ELNS1_3gpuE9ELNS1_3repE0EEENS1_30default_config_static_selectorELNS0_4arch9wavefront6targetE1EEEvT1_
; %bb.0:
	.section	.rodata,"a",@progbits
	.p2align	6, 0x0
	.amdhsa_kernel _ZN7rocprim17ROCPRIM_400000_NS6detail17trampoline_kernelINS0_14default_configENS1_25partition_config_selectorILNS1_17partition_subalgoE8EtNS0_10empty_typeEbEEZZNS1_14partition_implILS5_8ELb0ES3_jN6thrust23THRUST_200600_302600_NS6detail15normal_iteratorINSA_10device_ptrItEEEEPS6_PKS6_NS0_5tupleIJNSA_16discard_iteratorINSA_11use_defaultEEES6_EEENSJ_IJSG_SG_EEENS0_18inequality_wrapperINSA_8equal_toItEEEEPmJS6_EEE10hipError_tPvRmT3_T4_T5_T6_T7_T9_mT8_P12ihipStream_tbDpT10_ENKUlT_T0_E_clISt17integral_constantIbLb0EES1D_EEDaS18_S19_EUlS18_E_NS1_11comp_targetILNS1_3genE5ELNS1_11target_archE942ELNS1_3gpuE9ELNS1_3repE0EEENS1_30default_config_static_selectorELNS0_4arch9wavefront6targetE1EEEvT1_
		.amdhsa_group_segment_fixed_size 0
		.amdhsa_private_segment_fixed_size 0
		.amdhsa_kernarg_size 120
		.amdhsa_user_sgpr_count 6
		.amdhsa_user_sgpr_private_segment_buffer 1
		.amdhsa_user_sgpr_dispatch_ptr 0
		.amdhsa_user_sgpr_queue_ptr 0
		.amdhsa_user_sgpr_kernarg_segment_ptr 1
		.amdhsa_user_sgpr_dispatch_id 0
		.amdhsa_user_sgpr_flat_scratch_init 0
		.amdhsa_user_sgpr_private_segment_size 0
		.amdhsa_uses_dynamic_stack 0
		.amdhsa_system_sgpr_private_segment_wavefront_offset 0
		.amdhsa_system_sgpr_workgroup_id_x 1
		.amdhsa_system_sgpr_workgroup_id_y 0
		.amdhsa_system_sgpr_workgroup_id_z 0
		.amdhsa_system_sgpr_workgroup_info 0
		.amdhsa_system_vgpr_workitem_id 0
		.amdhsa_next_free_vgpr 1
		.amdhsa_next_free_sgpr 0
		.amdhsa_reserve_vcc 0
		.amdhsa_reserve_flat_scratch 0
		.amdhsa_float_round_mode_32 0
		.amdhsa_float_round_mode_16_64 0
		.amdhsa_float_denorm_mode_32 3
		.amdhsa_float_denorm_mode_16_64 3
		.amdhsa_dx10_clamp 1
		.amdhsa_ieee_mode 1
		.amdhsa_fp16_overflow 0
		.amdhsa_exception_fp_ieee_invalid_op 0
		.amdhsa_exception_fp_denorm_src 0
		.amdhsa_exception_fp_ieee_div_zero 0
		.amdhsa_exception_fp_ieee_overflow 0
		.amdhsa_exception_fp_ieee_underflow 0
		.amdhsa_exception_fp_ieee_inexact 0
		.amdhsa_exception_int_div_zero 0
	.end_amdhsa_kernel
	.section	.text._ZN7rocprim17ROCPRIM_400000_NS6detail17trampoline_kernelINS0_14default_configENS1_25partition_config_selectorILNS1_17partition_subalgoE8EtNS0_10empty_typeEbEEZZNS1_14partition_implILS5_8ELb0ES3_jN6thrust23THRUST_200600_302600_NS6detail15normal_iteratorINSA_10device_ptrItEEEEPS6_PKS6_NS0_5tupleIJNSA_16discard_iteratorINSA_11use_defaultEEES6_EEENSJ_IJSG_SG_EEENS0_18inequality_wrapperINSA_8equal_toItEEEEPmJS6_EEE10hipError_tPvRmT3_T4_T5_T6_T7_T9_mT8_P12ihipStream_tbDpT10_ENKUlT_T0_E_clISt17integral_constantIbLb0EES1D_EEDaS18_S19_EUlS18_E_NS1_11comp_targetILNS1_3genE5ELNS1_11target_archE942ELNS1_3gpuE9ELNS1_3repE0EEENS1_30default_config_static_selectorELNS0_4arch9wavefront6targetE1EEEvT1_,"axG",@progbits,_ZN7rocprim17ROCPRIM_400000_NS6detail17trampoline_kernelINS0_14default_configENS1_25partition_config_selectorILNS1_17partition_subalgoE8EtNS0_10empty_typeEbEEZZNS1_14partition_implILS5_8ELb0ES3_jN6thrust23THRUST_200600_302600_NS6detail15normal_iteratorINSA_10device_ptrItEEEEPS6_PKS6_NS0_5tupleIJNSA_16discard_iteratorINSA_11use_defaultEEES6_EEENSJ_IJSG_SG_EEENS0_18inequality_wrapperINSA_8equal_toItEEEEPmJS6_EEE10hipError_tPvRmT3_T4_T5_T6_T7_T9_mT8_P12ihipStream_tbDpT10_ENKUlT_T0_E_clISt17integral_constantIbLb0EES1D_EEDaS18_S19_EUlS18_E_NS1_11comp_targetILNS1_3genE5ELNS1_11target_archE942ELNS1_3gpuE9ELNS1_3repE0EEENS1_30default_config_static_selectorELNS0_4arch9wavefront6targetE1EEEvT1_,comdat
.Lfunc_end598:
	.size	_ZN7rocprim17ROCPRIM_400000_NS6detail17trampoline_kernelINS0_14default_configENS1_25partition_config_selectorILNS1_17partition_subalgoE8EtNS0_10empty_typeEbEEZZNS1_14partition_implILS5_8ELb0ES3_jN6thrust23THRUST_200600_302600_NS6detail15normal_iteratorINSA_10device_ptrItEEEEPS6_PKS6_NS0_5tupleIJNSA_16discard_iteratorINSA_11use_defaultEEES6_EEENSJ_IJSG_SG_EEENS0_18inequality_wrapperINSA_8equal_toItEEEEPmJS6_EEE10hipError_tPvRmT3_T4_T5_T6_T7_T9_mT8_P12ihipStream_tbDpT10_ENKUlT_T0_E_clISt17integral_constantIbLb0EES1D_EEDaS18_S19_EUlS18_E_NS1_11comp_targetILNS1_3genE5ELNS1_11target_archE942ELNS1_3gpuE9ELNS1_3repE0EEENS1_30default_config_static_selectorELNS0_4arch9wavefront6targetE1EEEvT1_, .Lfunc_end598-_ZN7rocprim17ROCPRIM_400000_NS6detail17trampoline_kernelINS0_14default_configENS1_25partition_config_selectorILNS1_17partition_subalgoE8EtNS0_10empty_typeEbEEZZNS1_14partition_implILS5_8ELb0ES3_jN6thrust23THRUST_200600_302600_NS6detail15normal_iteratorINSA_10device_ptrItEEEEPS6_PKS6_NS0_5tupleIJNSA_16discard_iteratorINSA_11use_defaultEEES6_EEENSJ_IJSG_SG_EEENS0_18inequality_wrapperINSA_8equal_toItEEEEPmJS6_EEE10hipError_tPvRmT3_T4_T5_T6_T7_T9_mT8_P12ihipStream_tbDpT10_ENKUlT_T0_E_clISt17integral_constantIbLb0EES1D_EEDaS18_S19_EUlS18_E_NS1_11comp_targetILNS1_3genE5ELNS1_11target_archE942ELNS1_3gpuE9ELNS1_3repE0EEENS1_30default_config_static_selectorELNS0_4arch9wavefront6targetE1EEEvT1_
                                        ; -- End function
	.set _ZN7rocprim17ROCPRIM_400000_NS6detail17trampoline_kernelINS0_14default_configENS1_25partition_config_selectorILNS1_17partition_subalgoE8EtNS0_10empty_typeEbEEZZNS1_14partition_implILS5_8ELb0ES3_jN6thrust23THRUST_200600_302600_NS6detail15normal_iteratorINSA_10device_ptrItEEEEPS6_PKS6_NS0_5tupleIJNSA_16discard_iteratorINSA_11use_defaultEEES6_EEENSJ_IJSG_SG_EEENS0_18inequality_wrapperINSA_8equal_toItEEEEPmJS6_EEE10hipError_tPvRmT3_T4_T5_T6_T7_T9_mT8_P12ihipStream_tbDpT10_ENKUlT_T0_E_clISt17integral_constantIbLb0EES1D_EEDaS18_S19_EUlS18_E_NS1_11comp_targetILNS1_3genE5ELNS1_11target_archE942ELNS1_3gpuE9ELNS1_3repE0EEENS1_30default_config_static_selectorELNS0_4arch9wavefront6targetE1EEEvT1_.num_vgpr, 0
	.set _ZN7rocprim17ROCPRIM_400000_NS6detail17trampoline_kernelINS0_14default_configENS1_25partition_config_selectorILNS1_17partition_subalgoE8EtNS0_10empty_typeEbEEZZNS1_14partition_implILS5_8ELb0ES3_jN6thrust23THRUST_200600_302600_NS6detail15normal_iteratorINSA_10device_ptrItEEEEPS6_PKS6_NS0_5tupleIJNSA_16discard_iteratorINSA_11use_defaultEEES6_EEENSJ_IJSG_SG_EEENS0_18inequality_wrapperINSA_8equal_toItEEEEPmJS6_EEE10hipError_tPvRmT3_T4_T5_T6_T7_T9_mT8_P12ihipStream_tbDpT10_ENKUlT_T0_E_clISt17integral_constantIbLb0EES1D_EEDaS18_S19_EUlS18_E_NS1_11comp_targetILNS1_3genE5ELNS1_11target_archE942ELNS1_3gpuE9ELNS1_3repE0EEENS1_30default_config_static_selectorELNS0_4arch9wavefront6targetE1EEEvT1_.num_agpr, 0
	.set _ZN7rocprim17ROCPRIM_400000_NS6detail17trampoline_kernelINS0_14default_configENS1_25partition_config_selectorILNS1_17partition_subalgoE8EtNS0_10empty_typeEbEEZZNS1_14partition_implILS5_8ELb0ES3_jN6thrust23THRUST_200600_302600_NS6detail15normal_iteratorINSA_10device_ptrItEEEEPS6_PKS6_NS0_5tupleIJNSA_16discard_iteratorINSA_11use_defaultEEES6_EEENSJ_IJSG_SG_EEENS0_18inequality_wrapperINSA_8equal_toItEEEEPmJS6_EEE10hipError_tPvRmT3_T4_T5_T6_T7_T9_mT8_P12ihipStream_tbDpT10_ENKUlT_T0_E_clISt17integral_constantIbLb0EES1D_EEDaS18_S19_EUlS18_E_NS1_11comp_targetILNS1_3genE5ELNS1_11target_archE942ELNS1_3gpuE9ELNS1_3repE0EEENS1_30default_config_static_selectorELNS0_4arch9wavefront6targetE1EEEvT1_.numbered_sgpr, 0
	.set _ZN7rocprim17ROCPRIM_400000_NS6detail17trampoline_kernelINS0_14default_configENS1_25partition_config_selectorILNS1_17partition_subalgoE8EtNS0_10empty_typeEbEEZZNS1_14partition_implILS5_8ELb0ES3_jN6thrust23THRUST_200600_302600_NS6detail15normal_iteratorINSA_10device_ptrItEEEEPS6_PKS6_NS0_5tupleIJNSA_16discard_iteratorINSA_11use_defaultEEES6_EEENSJ_IJSG_SG_EEENS0_18inequality_wrapperINSA_8equal_toItEEEEPmJS6_EEE10hipError_tPvRmT3_T4_T5_T6_T7_T9_mT8_P12ihipStream_tbDpT10_ENKUlT_T0_E_clISt17integral_constantIbLb0EES1D_EEDaS18_S19_EUlS18_E_NS1_11comp_targetILNS1_3genE5ELNS1_11target_archE942ELNS1_3gpuE9ELNS1_3repE0EEENS1_30default_config_static_selectorELNS0_4arch9wavefront6targetE1EEEvT1_.num_named_barrier, 0
	.set _ZN7rocprim17ROCPRIM_400000_NS6detail17trampoline_kernelINS0_14default_configENS1_25partition_config_selectorILNS1_17partition_subalgoE8EtNS0_10empty_typeEbEEZZNS1_14partition_implILS5_8ELb0ES3_jN6thrust23THRUST_200600_302600_NS6detail15normal_iteratorINSA_10device_ptrItEEEEPS6_PKS6_NS0_5tupleIJNSA_16discard_iteratorINSA_11use_defaultEEES6_EEENSJ_IJSG_SG_EEENS0_18inequality_wrapperINSA_8equal_toItEEEEPmJS6_EEE10hipError_tPvRmT3_T4_T5_T6_T7_T9_mT8_P12ihipStream_tbDpT10_ENKUlT_T0_E_clISt17integral_constantIbLb0EES1D_EEDaS18_S19_EUlS18_E_NS1_11comp_targetILNS1_3genE5ELNS1_11target_archE942ELNS1_3gpuE9ELNS1_3repE0EEENS1_30default_config_static_selectorELNS0_4arch9wavefront6targetE1EEEvT1_.private_seg_size, 0
	.set _ZN7rocprim17ROCPRIM_400000_NS6detail17trampoline_kernelINS0_14default_configENS1_25partition_config_selectorILNS1_17partition_subalgoE8EtNS0_10empty_typeEbEEZZNS1_14partition_implILS5_8ELb0ES3_jN6thrust23THRUST_200600_302600_NS6detail15normal_iteratorINSA_10device_ptrItEEEEPS6_PKS6_NS0_5tupleIJNSA_16discard_iteratorINSA_11use_defaultEEES6_EEENSJ_IJSG_SG_EEENS0_18inequality_wrapperINSA_8equal_toItEEEEPmJS6_EEE10hipError_tPvRmT3_T4_T5_T6_T7_T9_mT8_P12ihipStream_tbDpT10_ENKUlT_T0_E_clISt17integral_constantIbLb0EES1D_EEDaS18_S19_EUlS18_E_NS1_11comp_targetILNS1_3genE5ELNS1_11target_archE942ELNS1_3gpuE9ELNS1_3repE0EEENS1_30default_config_static_selectorELNS0_4arch9wavefront6targetE1EEEvT1_.uses_vcc, 0
	.set _ZN7rocprim17ROCPRIM_400000_NS6detail17trampoline_kernelINS0_14default_configENS1_25partition_config_selectorILNS1_17partition_subalgoE8EtNS0_10empty_typeEbEEZZNS1_14partition_implILS5_8ELb0ES3_jN6thrust23THRUST_200600_302600_NS6detail15normal_iteratorINSA_10device_ptrItEEEEPS6_PKS6_NS0_5tupleIJNSA_16discard_iteratorINSA_11use_defaultEEES6_EEENSJ_IJSG_SG_EEENS0_18inequality_wrapperINSA_8equal_toItEEEEPmJS6_EEE10hipError_tPvRmT3_T4_T5_T6_T7_T9_mT8_P12ihipStream_tbDpT10_ENKUlT_T0_E_clISt17integral_constantIbLb0EES1D_EEDaS18_S19_EUlS18_E_NS1_11comp_targetILNS1_3genE5ELNS1_11target_archE942ELNS1_3gpuE9ELNS1_3repE0EEENS1_30default_config_static_selectorELNS0_4arch9wavefront6targetE1EEEvT1_.uses_flat_scratch, 0
	.set _ZN7rocprim17ROCPRIM_400000_NS6detail17trampoline_kernelINS0_14default_configENS1_25partition_config_selectorILNS1_17partition_subalgoE8EtNS0_10empty_typeEbEEZZNS1_14partition_implILS5_8ELb0ES3_jN6thrust23THRUST_200600_302600_NS6detail15normal_iteratorINSA_10device_ptrItEEEEPS6_PKS6_NS0_5tupleIJNSA_16discard_iteratorINSA_11use_defaultEEES6_EEENSJ_IJSG_SG_EEENS0_18inequality_wrapperINSA_8equal_toItEEEEPmJS6_EEE10hipError_tPvRmT3_T4_T5_T6_T7_T9_mT8_P12ihipStream_tbDpT10_ENKUlT_T0_E_clISt17integral_constantIbLb0EES1D_EEDaS18_S19_EUlS18_E_NS1_11comp_targetILNS1_3genE5ELNS1_11target_archE942ELNS1_3gpuE9ELNS1_3repE0EEENS1_30default_config_static_selectorELNS0_4arch9wavefront6targetE1EEEvT1_.has_dyn_sized_stack, 0
	.set _ZN7rocprim17ROCPRIM_400000_NS6detail17trampoline_kernelINS0_14default_configENS1_25partition_config_selectorILNS1_17partition_subalgoE8EtNS0_10empty_typeEbEEZZNS1_14partition_implILS5_8ELb0ES3_jN6thrust23THRUST_200600_302600_NS6detail15normal_iteratorINSA_10device_ptrItEEEEPS6_PKS6_NS0_5tupleIJNSA_16discard_iteratorINSA_11use_defaultEEES6_EEENSJ_IJSG_SG_EEENS0_18inequality_wrapperINSA_8equal_toItEEEEPmJS6_EEE10hipError_tPvRmT3_T4_T5_T6_T7_T9_mT8_P12ihipStream_tbDpT10_ENKUlT_T0_E_clISt17integral_constantIbLb0EES1D_EEDaS18_S19_EUlS18_E_NS1_11comp_targetILNS1_3genE5ELNS1_11target_archE942ELNS1_3gpuE9ELNS1_3repE0EEENS1_30default_config_static_selectorELNS0_4arch9wavefront6targetE1EEEvT1_.has_recursion, 0
	.set _ZN7rocprim17ROCPRIM_400000_NS6detail17trampoline_kernelINS0_14default_configENS1_25partition_config_selectorILNS1_17partition_subalgoE8EtNS0_10empty_typeEbEEZZNS1_14partition_implILS5_8ELb0ES3_jN6thrust23THRUST_200600_302600_NS6detail15normal_iteratorINSA_10device_ptrItEEEEPS6_PKS6_NS0_5tupleIJNSA_16discard_iteratorINSA_11use_defaultEEES6_EEENSJ_IJSG_SG_EEENS0_18inequality_wrapperINSA_8equal_toItEEEEPmJS6_EEE10hipError_tPvRmT3_T4_T5_T6_T7_T9_mT8_P12ihipStream_tbDpT10_ENKUlT_T0_E_clISt17integral_constantIbLb0EES1D_EEDaS18_S19_EUlS18_E_NS1_11comp_targetILNS1_3genE5ELNS1_11target_archE942ELNS1_3gpuE9ELNS1_3repE0EEENS1_30default_config_static_selectorELNS0_4arch9wavefront6targetE1EEEvT1_.has_indirect_call, 0
	.section	.AMDGPU.csdata,"",@progbits
; Kernel info:
; codeLenInByte = 0
; TotalNumSgprs: 4
; NumVgprs: 0
; ScratchSize: 0
; MemoryBound: 0
; FloatMode: 240
; IeeeMode: 1
; LDSByteSize: 0 bytes/workgroup (compile time only)
; SGPRBlocks: 0
; VGPRBlocks: 0
; NumSGPRsForWavesPerEU: 4
; NumVGPRsForWavesPerEU: 1
; Occupancy: 10
; WaveLimiterHint : 0
; COMPUTE_PGM_RSRC2:SCRATCH_EN: 0
; COMPUTE_PGM_RSRC2:USER_SGPR: 6
; COMPUTE_PGM_RSRC2:TRAP_HANDLER: 0
; COMPUTE_PGM_RSRC2:TGID_X_EN: 1
; COMPUTE_PGM_RSRC2:TGID_Y_EN: 0
; COMPUTE_PGM_RSRC2:TGID_Z_EN: 0
; COMPUTE_PGM_RSRC2:TIDIG_COMP_CNT: 0
	.section	.text._ZN7rocprim17ROCPRIM_400000_NS6detail17trampoline_kernelINS0_14default_configENS1_25partition_config_selectorILNS1_17partition_subalgoE8EtNS0_10empty_typeEbEEZZNS1_14partition_implILS5_8ELb0ES3_jN6thrust23THRUST_200600_302600_NS6detail15normal_iteratorINSA_10device_ptrItEEEEPS6_PKS6_NS0_5tupleIJNSA_16discard_iteratorINSA_11use_defaultEEES6_EEENSJ_IJSG_SG_EEENS0_18inequality_wrapperINSA_8equal_toItEEEEPmJS6_EEE10hipError_tPvRmT3_T4_T5_T6_T7_T9_mT8_P12ihipStream_tbDpT10_ENKUlT_T0_E_clISt17integral_constantIbLb0EES1D_EEDaS18_S19_EUlS18_E_NS1_11comp_targetILNS1_3genE4ELNS1_11target_archE910ELNS1_3gpuE8ELNS1_3repE0EEENS1_30default_config_static_selectorELNS0_4arch9wavefront6targetE1EEEvT1_,"axG",@progbits,_ZN7rocprim17ROCPRIM_400000_NS6detail17trampoline_kernelINS0_14default_configENS1_25partition_config_selectorILNS1_17partition_subalgoE8EtNS0_10empty_typeEbEEZZNS1_14partition_implILS5_8ELb0ES3_jN6thrust23THRUST_200600_302600_NS6detail15normal_iteratorINSA_10device_ptrItEEEEPS6_PKS6_NS0_5tupleIJNSA_16discard_iteratorINSA_11use_defaultEEES6_EEENSJ_IJSG_SG_EEENS0_18inequality_wrapperINSA_8equal_toItEEEEPmJS6_EEE10hipError_tPvRmT3_T4_T5_T6_T7_T9_mT8_P12ihipStream_tbDpT10_ENKUlT_T0_E_clISt17integral_constantIbLb0EES1D_EEDaS18_S19_EUlS18_E_NS1_11comp_targetILNS1_3genE4ELNS1_11target_archE910ELNS1_3gpuE8ELNS1_3repE0EEENS1_30default_config_static_selectorELNS0_4arch9wavefront6targetE1EEEvT1_,comdat
	.protected	_ZN7rocprim17ROCPRIM_400000_NS6detail17trampoline_kernelINS0_14default_configENS1_25partition_config_selectorILNS1_17partition_subalgoE8EtNS0_10empty_typeEbEEZZNS1_14partition_implILS5_8ELb0ES3_jN6thrust23THRUST_200600_302600_NS6detail15normal_iteratorINSA_10device_ptrItEEEEPS6_PKS6_NS0_5tupleIJNSA_16discard_iteratorINSA_11use_defaultEEES6_EEENSJ_IJSG_SG_EEENS0_18inequality_wrapperINSA_8equal_toItEEEEPmJS6_EEE10hipError_tPvRmT3_T4_T5_T6_T7_T9_mT8_P12ihipStream_tbDpT10_ENKUlT_T0_E_clISt17integral_constantIbLb0EES1D_EEDaS18_S19_EUlS18_E_NS1_11comp_targetILNS1_3genE4ELNS1_11target_archE910ELNS1_3gpuE8ELNS1_3repE0EEENS1_30default_config_static_selectorELNS0_4arch9wavefront6targetE1EEEvT1_ ; -- Begin function _ZN7rocprim17ROCPRIM_400000_NS6detail17trampoline_kernelINS0_14default_configENS1_25partition_config_selectorILNS1_17partition_subalgoE8EtNS0_10empty_typeEbEEZZNS1_14partition_implILS5_8ELb0ES3_jN6thrust23THRUST_200600_302600_NS6detail15normal_iteratorINSA_10device_ptrItEEEEPS6_PKS6_NS0_5tupleIJNSA_16discard_iteratorINSA_11use_defaultEEES6_EEENSJ_IJSG_SG_EEENS0_18inequality_wrapperINSA_8equal_toItEEEEPmJS6_EEE10hipError_tPvRmT3_T4_T5_T6_T7_T9_mT8_P12ihipStream_tbDpT10_ENKUlT_T0_E_clISt17integral_constantIbLb0EES1D_EEDaS18_S19_EUlS18_E_NS1_11comp_targetILNS1_3genE4ELNS1_11target_archE910ELNS1_3gpuE8ELNS1_3repE0EEENS1_30default_config_static_selectorELNS0_4arch9wavefront6targetE1EEEvT1_
	.globl	_ZN7rocprim17ROCPRIM_400000_NS6detail17trampoline_kernelINS0_14default_configENS1_25partition_config_selectorILNS1_17partition_subalgoE8EtNS0_10empty_typeEbEEZZNS1_14partition_implILS5_8ELb0ES3_jN6thrust23THRUST_200600_302600_NS6detail15normal_iteratorINSA_10device_ptrItEEEEPS6_PKS6_NS0_5tupleIJNSA_16discard_iteratorINSA_11use_defaultEEES6_EEENSJ_IJSG_SG_EEENS0_18inequality_wrapperINSA_8equal_toItEEEEPmJS6_EEE10hipError_tPvRmT3_T4_T5_T6_T7_T9_mT8_P12ihipStream_tbDpT10_ENKUlT_T0_E_clISt17integral_constantIbLb0EES1D_EEDaS18_S19_EUlS18_E_NS1_11comp_targetILNS1_3genE4ELNS1_11target_archE910ELNS1_3gpuE8ELNS1_3repE0EEENS1_30default_config_static_selectorELNS0_4arch9wavefront6targetE1EEEvT1_
	.p2align	8
	.type	_ZN7rocprim17ROCPRIM_400000_NS6detail17trampoline_kernelINS0_14default_configENS1_25partition_config_selectorILNS1_17partition_subalgoE8EtNS0_10empty_typeEbEEZZNS1_14partition_implILS5_8ELb0ES3_jN6thrust23THRUST_200600_302600_NS6detail15normal_iteratorINSA_10device_ptrItEEEEPS6_PKS6_NS0_5tupleIJNSA_16discard_iteratorINSA_11use_defaultEEES6_EEENSJ_IJSG_SG_EEENS0_18inequality_wrapperINSA_8equal_toItEEEEPmJS6_EEE10hipError_tPvRmT3_T4_T5_T6_T7_T9_mT8_P12ihipStream_tbDpT10_ENKUlT_T0_E_clISt17integral_constantIbLb0EES1D_EEDaS18_S19_EUlS18_E_NS1_11comp_targetILNS1_3genE4ELNS1_11target_archE910ELNS1_3gpuE8ELNS1_3repE0EEENS1_30default_config_static_selectorELNS0_4arch9wavefront6targetE1EEEvT1_,@function
_ZN7rocprim17ROCPRIM_400000_NS6detail17trampoline_kernelINS0_14default_configENS1_25partition_config_selectorILNS1_17partition_subalgoE8EtNS0_10empty_typeEbEEZZNS1_14partition_implILS5_8ELb0ES3_jN6thrust23THRUST_200600_302600_NS6detail15normal_iteratorINSA_10device_ptrItEEEEPS6_PKS6_NS0_5tupleIJNSA_16discard_iteratorINSA_11use_defaultEEES6_EEENSJ_IJSG_SG_EEENS0_18inequality_wrapperINSA_8equal_toItEEEEPmJS6_EEE10hipError_tPvRmT3_T4_T5_T6_T7_T9_mT8_P12ihipStream_tbDpT10_ENKUlT_T0_E_clISt17integral_constantIbLb0EES1D_EEDaS18_S19_EUlS18_E_NS1_11comp_targetILNS1_3genE4ELNS1_11target_archE910ELNS1_3gpuE8ELNS1_3repE0EEENS1_30default_config_static_selectorELNS0_4arch9wavefront6targetE1EEEvT1_: ; @_ZN7rocprim17ROCPRIM_400000_NS6detail17trampoline_kernelINS0_14default_configENS1_25partition_config_selectorILNS1_17partition_subalgoE8EtNS0_10empty_typeEbEEZZNS1_14partition_implILS5_8ELb0ES3_jN6thrust23THRUST_200600_302600_NS6detail15normal_iteratorINSA_10device_ptrItEEEEPS6_PKS6_NS0_5tupleIJNSA_16discard_iteratorINSA_11use_defaultEEES6_EEENSJ_IJSG_SG_EEENS0_18inequality_wrapperINSA_8equal_toItEEEEPmJS6_EEE10hipError_tPvRmT3_T4_T5_T6_T7_T9_mT8_P12ihipStream_tbDpT10_ENKUlT_T0_E_clISt17integral_constantIbLb0EES1D_EEDaS18_S19_EUlS18_E_NS1_11comp_targetILNS1_3genE4ELNS1_11target_archE910ELNS1_3gpuE8ELNS1_3repE0EEENS1_30default_config_static_selectorELNS0_4arch9wavefront6targetE1EEEvT1_
; %bb.0:
	.section	.rodata,"a",@progbits
	.p2align	6, 0x0
	.amdhsa_kernel _ZN7rocprim17ROCPRIM_400000_NS6detail17trampoline_kernelINS0_14default_configENS1_25partition_config_selectorILNS1_17partition_subalgoE8EtNS0_10empty_typeEbEEZZNS1_14partition_implILS5_8ELb0ES3_jN6thrust23THRUST_200600_302600_NS6detail15normal_iteratorINSA_10device_ptrItEEEEPS6_PKS6_NS0_5tupleIJNSA_16discard_iteratorINSA_11use_defaultEEES6_EEENSJ_IJSG_SG_EEENS0_18inequality_wrapperINSA_8equal_toItEEEEPmJS6_EEE10hipError_tPvRmT3_T4_T5_T6_T7_T9_mT8_P12ihipStream_tbDpT10_ENKUlT_T0_E_clISt17integral_constantIbLb0EES1D_EEDaS18_S19_EUlS18_E_NS1_11comp_targetILNS1_3genE4ELNS1_11target_archE910ELNS1_3gpuE8ELNS1_3repE0EEENS1_30default_config_static_selectorELNS0_4arch9wavefront6targetE1EEEvT1_
		.amdhsa_group_segment_fixed_size 0
		.amdhsa_private_segment_fixed_size 0
		.amdhsa_kernarg_size 120
		.amdhsa_user_sgpr_count 6
		.amdhsa_user_sgpr_private_segment_buffer 1
		.amdhsa_user_sgpr_dispatch_ptr 0
		.amdhsa_user_sgpr_queue_ptr 0
		.amdhsa_user_sgpr_kernarg_segment_ptr 1
		.amdhsa_user_sgpr_dispatch_id 0
		.amdhsa_user_sgpr_flat_scratch_init 0
		.amdhsa_user_sgpr_private_segment_size 0
		.amdhsa_uses_dynamic_stack 0
		.amdhsa_system_sgpr_private_segment_wavefront_offset 0
		.amdhsa_system_sgpr_workgroup_id_x 1
		.amdhsa_system_sgpr_workgroup_id_y 0
		.amdhsa_system_sgpr_workgroup_id_z 0
		.amdhsa_system_sgpr_workgroup_info 0
		.amdhsa_system_vgpr_workitem_id 0
		.amdhsa_next_free_vgpr 1
		.amdhsa_next_free_sgpr 0
		.amdhsa_reserve_vcc 0
		.amdhsa_reserve_flat_scratch 0
		.amdhsa_float_round_mode_32 0
		.amdhsa_float_round_mode_16_64 0
		.amdhsa_float_denorm_mode_32 3
		.amdhsa_float_denorm_mode_16_64 3
		.amdhsa_dx10_clamp 1
		.amdhsa_ieee_mode 1
		.amdhsa_fp16_overflow 0
		.amdhsa_exception_fp_ieee_invalid_op 0
		.amdhsa_exception_fp_denorm_src 0
		.amdhsa_exception_fp_ieee_div_zero 0
		.amdhsa_exception_fp_ieee_overflow 0
		.amdhsa_exception_fp_ieee_underflow 0
		.amdhsa_exception_fp_ieee_inexact 0
		.amdhsa_exception_int_div_zero 0
	.end_amdhsa_kernel
	.section	.text._ZN7rocprim17ROCPRIM_400000_NS6detail17trampoline_kernelINS0_14default_configENS1_25partition_config_selectorILNS1_17partition_subalgoE8EtNS0_10empty_typeEbEEZZNS1_14partition_implILS5_8ELb0ES3_jN6thrust23THRUST_200600_302600_NS6detail15normal_iteratorINSA_10device_ptrItEEEEPS6_PKS6_NS0_5tupleIJNSA_16discard_iteratorINSA_11use_defaultEEES6_EEENSJ_IJSG_SG_EEENS0_18inequality_wrapperINSA_8equal_toItEEEEPmJS6_EEE10hipError_tPvRmT3_T4_T5_T6_T7_T9_mT8_P12ihipStream_tbDpT10_ENKUlT_T0_E_clISt17integral_constantIbLb0EES1D_EEDaS18_S19_EUlS18_E_NS1_11comp_targetILNS1_3genE4ELNS1_11target_archE910ELNS1_3gpuE8ELNS1_3repE0EEENS1_30default_config_static_selectorELNS0_4arch9wavefront6targetE1EEEvT1_,"axG",@progbits,_ZN7rocprim17ROCPRIM_400000_NS6detail17trampoline_kernelINS0_14default_configENS1_25partition_config_selectorILNS1_17partition_subalgoE8EtNS0_10empty_typeEbEEZZNS1_14partition_implILS5_8ELb0ES3_jN6thrust23THRUST_200600_302600_NS6detail15normal_iteratorINSA_10device_ptrItEEEEPS6_PKS6_NS0_5tupleIJNSA_16discard_iteratorINSA_11use_defaultEEES6_EEENSJ_IJSG_SG_EEENS0_18inequality_wrapperINSA_8equal_toItEEEEPmJS6_EEE10hipError_tPvRmT3_T4_T5_T6_T7_T9_mT8_P12ihipStream_tbDpT10_ENKUlT_T0_E_clISt17integral_constantIbLb0EES1D_EEDaS18_S19_EUlS18_E_NS1_11comp_targetILNS1_3genE4ELNS1_11target_archE910ELNS1_3gpuE8ELNS1_3repE0EEENS1_30default_config_static_selectorELNS0_4arch9wavefront6targetE1EEEvT1_,comdat
.Lfunc_end599:
	.size	_ZN7rocprim17ROCPRIM_400000_NS6detail17trampoline_kernelINS0_14default_configENS1_25partition_config_selectorILNS1_17partition_subalgoE8EtNS0_10empty_typeEbEEZZNS1_14partition_implILS5_8ELb0ES3_jN6thrust23THRUST_200600_302600_NS6detail15normal_iteratorINSA_10device_ptrItEEEEPS6_PKS6_NS0_5tupleIJNSA_16discard_iteratorINSA_11use_defaultEEES6_EEENSJ_IJSG_SG_EEENS0_18inequality_wrapperINSA_8equal_toItEEEEPmJS6_EEE10hipError_tPvRmT3_T4_T5_T6_T7_T9_mT8_P12ihipStream_tbDpT10_ENKUlT_T0_E_clISt17integral_constantIbLb0EES1D_EEDaS18_S19_EUlS18_E_NS1_11comp_targetILNS1_3genE4ELNS1_11target_archE910ELNS1_3gpuE8ELNS1_3repE0EEENS1_30default_config_static_selectorELNS0_4arch9wavefront6targetE1EEEvT1_, .Lfunc_end599-_ZN7rocprim17ROCPRIM_400000_NS6detail17trampoline_kernelINS0_14default_configENS1_25partition_config_selectorILNS1_17partition_subalgoE8EtNS0_10empty_typeEbEEZZNS1_14partition_implILS5_8ELb0ES3_jN6thrust23THRUST_200600_302600_NS6detail15normal_iteratorINSA_10device_ptrItEEEEPS6_PKS6_NS0_5tupleIJNSA_16discard_iteratorINSA_11use_defaultEEES6_EEENSJ_IJSG_SG_EEENS0_18inequality_wrapperINSA_8equal_toItEEEEPmJS6_EEE10hipError_tPvRmT3_T4_T5_T6_T7_T9_mT8_P12ihipStream_tbDpT10_ENKUlT_T0_E_clISt17integral_constantIbLb0EES1D_EEDaS18_S19_EUlS18_E_NS1_11comp_targetILNS1_3genE4ELNS1_11target_archE910ELNS1_3gpuE8ELNS1_3repE0EEENS1_30default_config_static_selectorELNS0_4arch9wavefront6targetE1EEEvT1_
                                        ; -- End function
	.set _ZN7rocprim17ROCPRIM_400000_NS6detail17trampoline_kernelINS0_14default_configENS1_25partition_config_selectorILNS1_17partition_subalgoE8EtNS0_10empty_typeEbEEZZNS1_14partition_implILS5_8ELb0ES3_jN6thrust23THRUST_200600_302600_NS6detail15normal_iteratorINSA_10device_ptrItEEEEPS6_PKS6_NS0_5tupleIJNSA_16discard_iteratorINSA_11use_defaultEEES6_EEENSJ_IJSG_SG_EEENS0_18inequality_wrapperINSA_8equal_toItEEEEPmJS6_EEE10hipError_tPvRmT3_T4_T5_T6_T7_T9_mT8_P12ihipStream_tbDpT10_ENKUlT_T0_E_clISt17integral_constantIbLb0EES1D_EEDaS18_S19_EUlS18_E_NS1_11comp_targetILNS1_3genE4ELNS1_11target_archE910ELNS1_3gpuE8ELNS1_3repE0EEENS1_30default_config_static_selectorELNS0_4arch9wavefront6targetE1EEEvT1_.num_vgpr, 0
	.set _ZN7rocprim17ROCPRIM_400000_NS6detail17trampoline_kernelINS0_14default_configENS1_25partition_config_selectorILNS1_17partition_subalgoE8EtNS0_10empty_typeEbEEZZNS1_14partition_implILS5_8ELb0ES3_jN6thrust23THRUST_200600_302600_NS6detail15normal_iteratorINSA_10device_ptrItEEEEPS6_PKS6_NS0_5tupleIJNSA_16discard_iteratorINSA_11use_defaultEEES6_EEENSJ_IJSG_SG_EEENS0_18inequality_wrapperINSA_8equal_toItEEEEPmJS6_EEE10hipError_tPvRmT3_T4_T5_T6_T7_T9_mT8_P12ihipStream_tbDpT10_ENKUlT_T0_E_clISt17integral_constantIbLb0EES1D_EEDaS18_S19_EUlS18_E_NS1_11comp_targetILNS1_3genE4ELNS1_11target_archE910ELNS1_3gpuE8ELNS1_3repE0EEENS1_30default_config_static_selectorELNS0_4arch9wavefront6targetE1EEEvT1_.num_agpr, 0
	.set _ZN7rocprim17ROCPRIM_400000_NS6detail17trampoline_kernelINS0_14default_configENS1_25partition_config_selectorILNS1_17partition_subalgoE8EtNS0_10empty_typeEbEEZZNS1_14partition_implILS5_8ELb0ES3_jN6thrust23THRUST_200600_302600_NS6detail15normal_iteratorINSA_10device_ptrItEEEEPS6_PKS6_NS0_5tupleIJNSA_16discard_iteratorINSA_11use_defaultEEES6_EEENSJ_IJSG_SG_EEENS0_18inequality_wrapperINSA_8equal_toItEEEEPmJS6_EEE10hipError_tPvRmT3_T4_T5_T6_T7_T9_mT8_P12ihipStream_tbDpT10_ENKUlT_T0_E_clISt17integral_constantIbLb0EES1D_EEDaS18_S19_EUlS18_E_NS1_11comp_targetILNS1_3genE4ELNS1_11target_archE910ELNS1_3gpuE8ELNS1_3repE0EEENS1_30default_config_static_selectorELNS0_4arch9wavefront6targetE1EEEvT1_.numbered_sgpr, 0
	.set _ZN7rocprim17ROCPRIM_400000_NS6detail17trampoline_kernelINS0_14default_configENS1_25partition_config_selectorILNS1_17partition_subalgoE8EtNS0_10empty_typeEbEEZZNS1_14partition_implILS5_8ELb0ES3_jN6thrust23THRUST_200600_302600_NS6detail15normal_iteratorINSA_10device_ptrItEEEEPS6_PKS6_NS0_5tupleIJNSA_16discard_iteratorINSA_11use_defaultEEES6_EEENSJ_IJSG_SG_EEENS0_18inequality_wrapperINSA_8equal_toItEEEEPmJS6_EEE10hipError_tPvRmT3_T4_T5_T6_T7_T9_mT8_P12ihipStream_tbDpT10_ENKUlT_T0_E_clISt17integral_constantIbLb0EES1D_EEDaS18_S19_EUlS18_E_NS1_11comp_targetILNS1_3genE4ELNS1_11target_archE910ELNS1_3gpuE8ELNS1_3repE0EEENS1_30default_config_static_selectorELNS0_4arch9wavefront6targetE1EEEvT1_.num_named_barrier, 0
	.set _ZN7rocprim17ROCPRIM_400000_NS6detail17trampoline_kernelINS0_14default_configENS1_25partition_config_selectorILNS1_17partition_subalgoE8EtNS0_10empty_typeEbEEZZNS1_14partition_implILS5_8ELb0ES3_jN6thrust23THRUST_200600_302600_NS6detail15normal_iteratorINSA_10device_ptrItEEEEPS6_PKS6_NS0_5tupleIJNSA_16discard_iteratorINSA_11use_defaultEEES6_EEENSJ_IJSG_SG_EEENS0_18inequality_wrapperINSA_8equal_toItEEEEPmJS6_EEE10hipError_tPvRmT3_T4_T5_T6_T7_T9_mT8_P12ihipStream_tbDpT10_ENKUlT_T0_E_clISt17integral_constantIbLb0EES1D_EEDaS18_S19_EUlS18_E_NS1_11comp_targetILNS1_3genE4ELNS1_11target_archE910ELNS1_3gpuE8ELNS1_3repE0EEENS1_30default_config_static_selectorELNS0_4arch9wavefront6targetE1EEEvT1_.private_seg_size, 0
	.set _ZN7rocprim17ROCPRIM_400000_NS6detail17trampoline_kernelINS0_14default_configENS1_25partition_config_selectorILNS1_17partition_subalgoE8EtNS0_10empty_typeEbEEZZNS1_14partition_implILS5_8ELb0ES3_jN6thrust23THRUST_200600_302600_NS6detail15normal_iteratorINSA_10device_ptrItEEEEPS6_PKS6_NS0_5tupleIJNSA_16discard_iteratorINSA_11use_defaultEEES6_EEENSJ_IJSG_SG_EEENS0_18inequality_wrapperINSA_8equal_toItEEEEPmJS6_EEE10hipError_tPvRmT3_T4_T5_T6_T7_T9_mT8_P12ihipStream_tbDpT10_ENKUlT_T0_E_clISt17integral_constantIbLb0EES1D_EEDaS18_S19_EUlS18_E_NS1_11comp_targetILNS1_3genE4ELNS1_11target_archE910ELNS1_3gpuE8ELNS1_3repE0EEENS1_30default_config_static_selectorELNS0_4arch9wavefront6targetE1EEEvT1_.uses_vcc, 0
	.set _ZN7rocprim17ROCPRIM_400000_NS6detail17trampoline_kernelINS0_14default_configENS1_25partition_config_selectorILNS1_17partition_subalgoE8EtNS0_10empty_typeEbEEZZNS1_14partition_implILS5_8ELb0ES3_jN6thrust23THRUST_200600_302600_NS6detail15normal_iteratorINSA_10device_ptrItEEEEPS6_PKS6_NS0_5tupleIJNSA_16discard_iteratorINSA_11use_defaultEEES6_EEENSJ_IJSG_SG_EEENS0_18inequality_wrapperINSA_8equal_toItEEEEPmJS6_EEE10hipError_tPvRmT3_T4_T5_T6_T7_T9_mT8_P12ihipStream_tbDpT10_ENKUlT_T0_E_clISt17integral_constantIbLb0EES1D_EEDaS18_S19_EUlS18_E_NS1_11comp_targetILNS1_3genE4ELNS1_11target_archE910ELNS1_3gpuE8ELNS1_3repE0EEENS1_30default_config_static_selectorELNS0_4arch9wavefront6targetE1EEEvT1_.uses_flat_scratch, 0
	.set _ZN7rocprim17ROCPRIM_400000_NS6detail17trampoline_kernelINS0_14default_configENS1_25partition_config_selectorILNS1_17partition_subalgoE8EtNS0_10empty_typeEbEEZZNS1_14partition_implILS5_8ELb0ES3_jN6thrust23THRUST_200600_302600_NS6detail15normal_iteratorINSA_10device_ptrItEEEEPS6_PKS6_NS0_5tupleIJNSA_16discard_iteratorINSA_11use_defaultEEES6_EEENSJ_IJSG_SG_EEENS0_18inequality_wrapperINSA_8equal_toItEEEEPmJS6_EEE10hipError_tPvRmT3_T4_T5_T6_T7_T9_mT8_P12ihipStream_tbDpT10_ENKUlT_T0_E_clISt17integral_constantIbLb0EES1D_EEDaS18_S19_EUlS18_E_NS1_11comp_targetILNS1_3genE4ELNS1_11target_archE910ELNS1_3gpuE8ELNS1_3repE0EEENS1_30default_config_static_selectorELNS0_4arch9wavefront6targetE1EEEvT1_.has_dyn_sized_stack, 0
	.set _ZN7rocprim17ROCPRIM_400000_NS6detail17trampoline_kernelINS0_14default_configENS1_25partition_config_selectorILNS1_17partition_subalgoE8EtNS0_10empty_typeEbEEZZNS1_14partition_implILS5_8ELb0ES3_jN6thrust23THRUST_200600_302600_NS6detail15normal_iteratorINSA_10device_ptrItEEEEPS6_PKS6_NS0_5tupleIJNSA_16discard_iteratorINSA_11use_defaultEEES6_EEENSJ_IJSG_SG_EEENS0_18inequality_wrapperINSA_8equal_toItEEEEPmJS6_EEE10hipError_tPvRmT3_T4_T5_T6_T7_T9_mT8_P12ihipStream_tbDpT10_ENKUlT_T0_E_clISt17integral_constantIbLb0EES1D_EEDaS18_S19_EUlS18_E_NS1_11comp_targetILNS1_3genE4ELNS1_11target_archE910ELNS1_3gpuE8ELNS1_3repE0EEENS1_30default_config_static_selectorELNS0_4arch9wavefront6targetE1EEEvT1_.has_recursion, 0
	.set _ZN7rocprim17ROCPRIM_400000_NS6detail17trampoline_kernelINS0_14default_configENS1_25partition_config_selectorILNS1_17partition_subalgoE8EtNS0_10empty_typeEbEEZZNS1_14partition_implILS5_8ELb0ES3_jN6thrust23THRUST_200600_302600_NS6detail15normal_iteratorINSA_10device_ptrItEEEEPS6_PKS6_NS0_5tupleIJNSA_16discard_iteratorINSA_11use_defaultEEES6_EEENSJ_IJSG_SG_EEENS0_18inequality_wrapperINSA_8equal_toItEEEEPmJS6_EEE10hipError_tPvRmT3_T4_T5_T6_T7_T9_mT8_P12ihipStream_tbDpT10_ENKUlT_T0_E_clISt17integral_constantIbLb0EES1D_EEDaS18_S19_EUlS18_E_NS1_11comp_targetILNS1_3genE4ELNS1_11target_archE910ELNS1_3gpuE8ELNS1_3repE0EEENS1_30default_config_static_selectorELNS0_4arch9wavefront6targetE1EEEvT1_.has_indirect_call, 0
	.section	.AMDGPU.csdata,"",@progbits
; Kernel info:
; codeLenInByte = 0
; TotalNumSgprs: 4
; NumVgprs: 0
; ScratchSize: 0
; MemoryBound: 0
; FloatMode: 240
; IeeeMode: 1
; LDSByteSize: 0 bytes/workgroup (compile time only)
; SGPRBlocks: 0
; VGPRBlocks: 0
; NumSGPRsForWavesPerEU: 4
; NumVGPRsForWavesPerEU: 1
; Occupancy: 10
; WaveLimiterHint : 0
; COMPUTE_PGM_RSRC2:SCRATCH_EN: 0
; COMPUTE_PGM_RSRC2:USER_SGPR: 6
; COMPUTE_PGM_RSRC2:TRAP_HANDLER: 0
; COMPUTE_PGM_RSRC2:TGID_X_EN: 1
; COMPUTE_PGM_RSRC2:TGID_Y_EN: 0
; COMPUTE_PGM_RSRC2:TGID_Z_EN: 0
; COMPUTE_PGM_RSRC2:TIDIG_COMP_CNT: 0
	.section	.text._ZN7rocprim17ROCPRIM_400000_NS6detail17trampoline_kernelINS0_14default_configENS1_25partition_config_selectorILNS1_17partition_subalgoE8EtNS0_10empty_typeEbEEZZNS1_14partition_implILS5_8ELb0ES3_jN6thrust23THRUST_200600_302600_NS6detail15normal_iteratorINSA_10device_ptrItEEEEPS6_PKS6_NS0_5tupleIJNSA_16discard_iteratorINSA_11use_defaultEEES6_EEENSJ_IJSG_SG_EEENS0_18inequality_wrapperINSA_8equal_toItEEEEPmJS6_EEE10hipError_tPvRmT3_T4_T5_T6_T7_T9_mT8_P12ihipStream_tbDpT10_ENKUlT_T0_E_clISt17integral_constantIbLb0EES1D_EEDaS18_S19_EUlS18_E_NS1_11comp_targetILNS1_3genE3ELNS1_11target_archE908ELNS1_3gpuE7ELNS1_3repE0EEENS1_30default_config_static_selectorELNS0_4arch9wavefront6targetE1EEEvT1_,"axG",@progbits,_ZN7rocprim17ROCPRIM_400000_NS6detail17trampoline_kernelINS0_14default_configENS1_25partition_config_selectorILNS1_17partition_subalgoE8EtNS0_10empty_typeEbEEZZNS1_14partition_implILS5_8ELb0ES3_jN6thrust23THRUST_200600_302600_NS6detail15normal_iteratorINSA_10device_ptrItEEEEPS6_PKS6_NS0_5tupleIJNSA_16discard_iteratorINSA_11use_defaultEEES6_EEENSJ_IJSG_SG_EEENS0_18inequality_wrapperINSA_8equal_toItEEEEPmJS6_EEE10hipError_tPvRmT3_T4_T5_T6_T7_T9_mT8_P12ihipStream_tbDpT10_ENKUlT_T0_E_clISt17integral_constantIbLb0EES1D_EEDaS18_S19_EUlS18_E_NS1_11comp_targetILNS1_3genE3ELNS1_11target_archE908ELNS1_3gpuE7ELNS1_3repE0EEENS1_30default_config_static_selectorELNS0_4arch9wavefront6targetE1EEEvT1_,comdat
	.protected	_ZN7rocprim17ROCPRIM_400000_NS6detail17trampoline_kernelINS0_14default_configENS1_25partition_config_selectorILNS1_17partition_subalgoE8EtNS0_10empty_typeEbEEZZNS1_14partition_implILS5_8ELb0ES3_jN6thrust23THRUST_200600_302600_NS6detail15normal_iteratorINSA_10device_ptrItEEEEPS6_PKS6_NS0_5tupleIJNSA_16discard_iteratorINSA_11use_defaultEEES6_EEENSJ_IJSG_SG_EEENS0_18inequality_wrapperINSA_8equal_toItEEEEPmJS6_EEE10hipError_tPvRmT3_T4_T5_T6_T7_T9_mT8_P12ihipStream_tbDpT10_ENKUlT_T0_E_clISt17integral_constantIbLb0EES1D_EEDaS18_S19_EUlS18_E_NS1_11comp_targetILNS1_3genE3ELNS1_11target_archE908ELNS1_3gpuE7ELNS1_3repE0EEENS1_30default_config_static_selectorELNS0_4arch9wavefront6targetE1EEEvT1_ ; -- Begin function _ZN7rocprim17ROCPRIM_400000_NS6detail17trampoline_kernelINS0_14default_configENS1_25partition_config_selectorILNS1_17partition_subalgoE8EtNS0_10empty_typeEbEEZZNS1_14partition_implILS5_8ELb0ES3_jN6thrust23THRUST_200600_302600_NS6detail15normal_iteratorINSA_10device_ptrItEEEEPS6_PKS6_NS0_5tupleIJNSA_16discard_iteratorINSA_11use_defaultEEES6_EEENSJ_IJSG_SG_EEENS0_18inequality_wrapperINSA_8equal_toItEEEEPmJS6_EEE10hipError_tPvRmT3_T4_T5_T6_T7_T9_mT8_P12ihipStream_tbDpT10_ENKUlT_T0_E_clISt17integral_constantIbLb0EES1D_EEDaS18_S19_EUlS18_E_NS1_11comp_targetILNS1_3genE3ELNS1_11target_archE908ELNS1_3gpuE7ELNS1_3repE0EEENS1_30default_config_static_selectorELNS0_4arch9wavefront6targetE1EEEvT1_
	.globl	_ZN7rocprim17ROCPRIM_400000_NS6detail17trampoline_kernelINS0_14default_configENS1_25partition_config_selectorILNS1_17partition_subalgoE8EtNS0_10empty_typeEbEEZZNS1_14partition_implILS5_8ELb0ES3_jN6thrust23THRUST_200600_302600_NS6detail15normal_iteratorINSA_10device_ptrItEEEEPS6_PKS6_NS0_5tupleIJNSA_16discard_iteratorINSA_11use_defaultEEES6_EEENSJ_IJSG_SG_EEENS0_18inequality_wrapperINSA_8equal_toItEEEEPmJS6_EEE10hipError_tPvRmT3_T4_T5_T6_T7_T9_mT8_P12ihipStream_tbDpT10_ENKUlT_T0_E_clISt17integral_constantIbLb0EES1D_EEDaS18_S19_EUlS18_E_NS1_11comp_targetILNS1_3genE3ELNS1_11target_archE908ELNS1_3gpuE7ELNS1_3repE0EEENS1_30default_config_static_selectorELNS0_4arch9wavefront6targetE1EEEvT1_
	.p2align	8
	.type	_ZN7rocprim17ROCPRIM_400000_NS6detail17trampoline_kernelINS0_14default_configENS1_25partition_config_selectorILNS1_17partition_subalgoE8EtNS0_10empty_typeEbEEZZNS1_14partition_implILS5_8ELb0ES3_jN6thrust23THRUST_200600_302600_NS6detail15normal_iteratorINSA_10device_ptrItEEEEPS6_PKS6_NS0_5tupleIJNSA_16discard_iteratorINSA_11use_defaultEEES6_EEENSJ_IJSG_SG_EEENS0_18inequality_wrapperINSA_8equal_toItEEEEPmJS6_EEE10hipError_tPvRmT3_T4_T5_T6_T7_T9_mT8_P12ihipStream_tbDpT10_ENKUlT_T0_E_clISt17integral_constantIbLb0EES1D_EEDaS18_S19_EUlS18_E_NS1_11comp_targetILNS1_3genE3ELNS1_11target_archE908ELNS1_3gpuE7ELNS1_3repE0EEENS1_30default_config_static_selectorELNS0_4arch9wavefront6targetE1EEEvT1_,@function
_ZN7rocprim17ROCPRIM_400000_NS6detail17trampoline_kernelINS0_14default_configENS1_25partition_config_selectorILNS1_17partition_subalgoE8EtNS0_10empty_typeEbEEZZNS1_14partition_implILS5_8ELb0ES3_jN6thrust23THRUST_200600_302600_NS6detail15normal_iteratorINSA_10device_ptrItEEEEPS6_PKS6_NS0_5tupleIJNSA_16discard_iteratorINSA_11use_defaultEEES6_EEENSJ_IJSG_SG_EEENS0_18inequality_wrapperINSA_8equal_toItEEEEPmJS6_EEE10hipError_tPvRmT3_T4_T5_T6_T7_T9_mT8_P12ihipStream_tbDpT10_ENKUlT_T0_E_clISt17integral_constantIbLb0EES1D_EEDaS18_S19_EUlS18_E_NS1_11comp_targetILNS1_3genE3ELNS1_11target_archE908ELNS1_3gpuE7ELNS1_3repE0EEENS1_30default_config_static_selectorELNS0_4arch9wavefront6targetE1EEEvT1_: ; @_ZN7rocprim17ROCPRIM_400000_NS6detail17trampoline_kernelINS0_14default_configENS1_25partition_config_selectorILNS1_17partition_subalgoE8EtNS0_10empty_typeEbEEZZNS1_14partition_implILS5_8ELb0ES3_jN6thrust23THRUST_200600_302600_NS6detail15normal_iteratorINSA_10device_ptrItEEEEPS6_PKS6_NS0_5tupleIJNSA_16discard_iteratorINSA_11use_defaultEEES6_EEENSJ_IJSG_SG_EEENS0_18inequality_wrapperINSA_8equal_toItEEEEPmJS6_EEE10hipError_tPvRmT3_T4_T5_T6_T7_T9_mT8_P12ihipStream_tbDpT10_ENKUlT_T0_E_clISt17integral_constantIbLb0EES1D_EEDaS18_S19_EUlS18_E_NS1_11comp_targetILNS1_3genE3ELNS1_11target_archE908ELNS1_3gpuE7ELNS1_3repE0EEENS1_30default_config_static_selectorELNS0_4arch9wavefront6targetE1EEEvT1_
; %bb.0:
	.section	.rodata,"a",@progbits
	.p2align	6, 0x0
	.amdhsa_kernel _ZN7rocprim17ROCPRIM_400000_NS6detail17trampoline_kernelINS0_14default_configENS1_25partition_config_selectorILNS1_17partition_subalgoE8EtNS0_10empty_typeEbEEZZNS1_14partition_implILS5_8ELb0ES3_jN6thrust23THRUST_200600_302600_NS6detail15normal_iteratorINSA_10device_ptrItEEEEPS6_PKS6_NS0_5tupleIJNSA_16discard_iteratorINSA_11use_defaultEEES6_EEENSJ_IJSG_SG_EEENS0_18inequality_wrapperINSA_8equal_toItEEEEPmJS6_EEE10hipError_tPvRmT3_T4_T5_T6_T7_T9_mT8_P12ihipStream_tbDpT10_ENKUlT_T0_E_clISt17integral_constantIbLb0EES1D_EEDaS18_S19_EUlS18_E_NS1_11comp_targetILNS1_3genE3ELNS1_11target_archE908ELNS1_3gpuE7ELNS1_3repE0EEENS1_30default_config_static_selectorELNS0_4arch9wavefront6targetE1EEEvT1_
		.amdhsa_group_segment_fixed_size 0
		.amdhsa_private_segment_fixed_size 0
		.amdhsa_kernarg_size 120
		.amdhsa_user_sgpr_count 6
		.amdhsa_user_sgpr_private_segment_buffer 1
		.amdhsa_user_sgpr_dispatch_ptr 0
		.amdhsa_user_sgpr_queue_ptr 0
		.amdhsa_user_sgpr_kernarg_segment_ptr 1
		.amdhsa_user_sgpr_dispatch_id 0
		.amdhsa_user_sgpr_flat_scratch_init 0
		.amdhsa_user_sgpr_private_segment_size 0
		.amdhsa_uses_dynamic_stack 0
		.amdhsa_system_sgpr_private_segment_wavefront_offset 0
		.amdhsa_system_sgpr_workgroup_id_x 1
		.amdhsa_system_sgpr_workgroup_id_y 0
		.amdhsa_system_sgpr_workgroup_id_z 0
		.amdhsa_system_sgpr_workgroup_info 0
		.amdhsa_system_vgpr_workitem_id 0
		.amdhsa_next_free_vgpr 1
		.amdhsa_next_free_sgpr 0
		.amdhsa_reserve_vcc 0
		.amdhsa_reserve_flat_scratch 0
		.amdhsa_float_round_mode_32 0
		.amdhsa_float_round_mode_16_64 0
		.amdhsa_float_denorm_mode_32 3
		.amdhsa_float_denorm_mode_16_64 3
		.amdhsa_dx10_clamp 1
		.amdhsa_ieee_mode 1
		.amdhsa_fp16_overflow 0
		.amdhsa_exception_fp_ieee_invalid_op 0
		.amdhsa_exception_fp_denorm_src 0
		.amdhsa_exception_fp_ieee_div_zero 0
		.amdhsa_exception_fp_ieee_overflow 0
		.amdhsa_exception_fp_ieee_underflow 0
		.amdhsa_exception_fp_ieee_inexact 0
		.amdhsa_exception_int_div_zero 0
	.end_amdhsa_kernel
	.section	.text._ZN7rocprim17ROCPRIM_400000_NS6detail17trampoline_kernelINS0_14default_configENS1_25partition_config_selectorILNS1_17partition_subalgoE8EtNS0_10empty_typeEbEEZZNS1_14partition_implILS5_8ELb0ES3_jN6thrust23THRUST_200600_302600_NS6detail15normal_iteratorINSA_10device_ptrItEEEEPS6_PKS6_NS0_5tupleIJNSA_16discard_iteratorINSA_11use_defaultEEES6_EEENSJ_IJSG_SG_EEENS0_18inequality_wrapperINSA_8equal_toItEEEEPmJS6_EEE10hipError_tPvRmT3_T4_T5_T6_T7_T9_mT8_P12ihipStream_tbDpT10_ENKUlT_T0_E_clISt17integral_constantIbLb0EES1D_EEDaS18_S19_EUlS18_E_NS1_11comp_targetILNS1_3genE3ELNS1_11target_archE908ELNS1_3gpuE7ELNS1_3repE0EEENS1_30default_config_static_selectorELNS0_4arch9wavefront6targetE1EEEvT1_,"axG",@progbits,_ZN7rocprim17ROCPRIM_400000_NS6detail17trampoline_kernelINS0_14default_configENS1_25partition_config_selectorILNS1_17partition_subalgoE8EtNS0_10empty_typeEbEEZZNS1_14partition_implILS5_8ELb0ES3_jN6thrust23THRUST_200600_302600_NS6detail15normal_iteratorINSA_10device_ptrItEEEEPS6_PKS6_NS0_5tupleIJNSA_16discard_iteratorINSA_11use_defaultEEES6_EEENSJ_IJSG_SG_EEENS0_18inequality_wrapperINSA_8equal_toItEEEEPmJS6_EEE10hipError_tPvRmT3_T4_T5_T6_T7_T9_mT8_P12ihipStream_tbDpT10_ENKUlT_T0_E_clISt17integral_constantIbLb0EES1D_EEDaS18_S19_EUlS18_E_NS1_11comp_targetILNS1_3genE3ELNS1_11target_archE908ELNS1_3gpuE7ELNS1_3repE0EEENS1_30default_config_static_selectorELNS0_4arch9wavefront6targetE1EEEvT1_,comdat
.Lfunc_end600:
	.size	_ZN7rocprim17ROCPRIM_400000_NS6detail17trampoline_kernelINS0_14default_configENS1_25partition_config_selectorILNS1_17partition_subalgoE8EtNS0_10empty_typeEbEEZZNS1_14partition_implILS5_8ELb0ES3_jN6thrust23THRUST_200600_302600_NS6detail15normal_iteratorINSA_10device_ptrItEEEEPS6_PKS6_NS0_5tupleIJNSA_16discard_iteratorINSA_11use_defaultEEES6_EEENSJ_IJSG_SG_EEENS0_18inequality_wrapperINSA_8equal_toItEEEEPmJS6_EEE10hipError_tPvRmT3_T4_T5_T6_T7_T9_mT8_P12ihipStream_tbDpT10_ENKUlT_T0_E_clISt17integral_constantIbLb0EES1D_EEDaS18_S19_EUlS18_E_NS1_11comp_targetILNS1_3genE3ELNS1_11target_archE908ELNS1_3gpuE7ELNS1_3repE0EEENS1_30default_config_static_selectorELNS0_4arch9wavefront6targetE1EEEvT1_, .Lfunc_end600-_ZN7rocprim17ROCPRIM_400000_NS6detail17trampoline_kernelINS0_14default_configENS1_25partition_config_selectorILNS1_17partition_subalgoE8EtNS0_10empty_typeEbEEZZNS1_14partition_implILS5_8ELb0ES3_jN6thrust23THRUST_200600_302600_NS6detail15normal_iteratorINSA_10device_ptrItEEEEPS6_PKS6_NS0_5tupleIJNSA_16discard_iteratorINSA_11use_defaultEEES6_EEENSJ_IJSG_SG_EEENS0_18inequality_wrapperINSA_8equal_toItEEEEPmJS6_EEE10hipError_tPvRmT3_T4_T5_T6_T7_T9_mT8_P12ihipStream_tbDpT10_ENKUlT_T0_E_clISt17integral_constantIbLb0EES1D_EEDaS18_S19_EUlS18_E_NS1_11comp_targetILNS1_3genE3ELNS1_11target_archE908ELNS1_3gpuE7ELNS1_3repE0EEENS1_30default_config_static_selectorELNS0_4arch9wavefront6targetE1EEEvT1_
                                        ; -- End function
	.set _ZN7rocprim17ROCPRIM_400000_NS6detail17trampoline_kernelINS0_14default_configENS1_25partition_config_selectorILNS1_17partition_subalgoE8EtNS0_10empty_typeEbEEZZNS1_14partition_implILS5_8ELb0ES3_jN6thrust23THRUST_200600_302600_NS6detail15normal_iteratorINSA_10device_ptrItEEEEPS6_PKS6_NS0_5tupleIJNSA_16discard_iteratorINSA_11use_defaultEEES6_EEENSJ_IJSG_SG_EEENS0_18inequality_wrapperINSA_8equal_toItEEEEPmJS6_EEE10hipError_tPvRmT3_T4_T5_T6_T7_T9_mT8_P12ihipStream_tbDpT10_ENKUlT_T0_E_clISt17integral_constantIbLb0EES1D_EEDaS18_S19_EUlS18_E_NS1_11comp_targetILNS1_3genE3ELNS1_11target_archE908ELNS1_3gpuE7ELNS1_3repE0EEENS1_30default_config_static_selectorELNS0_4arch9wavefront6targetE1EEEvT1_.num_vgpr, 0
	.set _ZN7rocprim17ROCPRIM_400000_NS6detail17trampoline_kernelINS0_14default_configENS1_25partition_config_selectorILNS1_17partition_subalgoE8EtNS0_10empty_typeEbEEZZNS1_14partition_implILS5_8ELb0ES3_jN6thrust23THRUST_200600_302600_NS6detail15normal_iteratorINSA_10device_ptrItEEEEPS6_PKS6_NS0_5tupleIJNSA_16discard_iteratorINSA_11use_defaultEEES6_EEENSJ_IJSG_SG_EEENS0_18inequality_wrapperINSA_8equal_toItEEEEPmJS6_EEE10hipError_tPvRmT3_T4_T5_T6_T7_T9_mT8_P12ihipStream_tbDpT10_ENKUlT_T0_E_clISt17integral_constantIbLb0EES1D_EEDaS18_S19_EUlS18_E_NS1_11comp_targetILNS1_3genE3ELNS1_11target_archE908ELNS1_3gpuE7ELNS1_3repE0EEENS1_30default_config_static_selectorELNS0_4arch9wavefront6targetE1EEEvT1_.num_agpr, 0
	.set _ZN7rocprim17ROCPRIM_400000_NS6detail17trampoline_kernelINS0_14default_configENS1_25partition_config_selectorILNS1_17partition_subalgoE8EtNS0_10empty_typeEbEEZZNS1_14partition_implILS5_8ELb0ES3_jN6thrust23THRUST_200600_302600_NS6detail15normal_iteratorINSA_10device_ptrItEEEEPS6_PKS6_NS0_5tupleIJNSA_16discard_iteratorINSA_11use_defaultEEES6_EEENSJ_IJSG_SG_EEENS0_18inequality_wrapperINSA_8equal_toItEEEEPmJS6_EEE10hipError_tPvRmT3_T4_T5_T6_T7_T9_mT8_P12ihipStream_tbDpT10_ENKUlT_T0_E_clISt17integral_constantIbLb0EES1D_EEDaS18_S19_EUlS18_E_NS1_11comp_targetILNS1_3genE3ELNS1_11target_archE908ELNS1_3gpuE7ELNS1_3repE0EEENS1_30default_config_static_selectorELNS0_4arch9wavefront6targetE1EEEvT1_.numbered_sgpr, 0
	.set _ZN7rocprim17ROCPRIM_400000_NS6detail17trampoline_kernelINS0_14default_configENS1_25partition_config_selectorILNS1_17partition_subalgoE8EtNS0_10empty_typeEbEEZZNS1_14partition_implILS5_8ELb0ES3_jN6thrust23THRUST_200600_302600_NS6detail15normal_iteratorINSA_10device_ptrItEEEEPS6_PKS6_NS0_5tupleIJNSA_16discard_iteratorINSA_11use_defaultEEES6_EEENSJ_IJSG_SG_EEENS0_18inequality_wrapperINSA_8equal_toItEEEEPmJS6_EEE10hipError_tPvRmT3_T4_T5_T6_T7_T9_mT8_P12ihipStream_tbDpT10_ENKUlT_T0_E_clISt17integral_constantIbLb0EES1D_EEDaS18_S19_EUlS18_E_NS1_11comp_targetILNS1_3genE3ELNS1_11target_archE908ELNS1_3gpuE7ELNS1_3repE0EEENS1_30default_config_static_selectorELNS0_4arch9wavefront6targetE1EEEvT1_.num_named_barrier, 0
	.set _ZN7rocprim17ROCPRIM_400000_NS6detail17trampoline_kernelINS0_14default_configENS1_25partition_config_selectorILNS1_17partition_subalgoE8EtNS0_10empty_typeEbEEZZNS1_14partition_implILS5_8ELb0ES3_jN6thrust23THRUST_200600_302600_NS6detail15normal_iteratorINSA_10device_ptrItEEEEPS6_PKS6_NS0_5tupleIJNSA_16discard_iteratorINSA_11use_defaultEEES6_EEENSJ_IJSG_SG_EEENS0_18inequality_wrapperINSA_8equal_toItEEEEPmJS6_EEE10hipError_tPvRmT3_T4_T5_T6_T7_T9_mT8_P12ihipStream_tbDpT10_ENKUlT_T0_E_clISt17integral_constantIbLb0EES1D_EEDaS18_S19_EUlS18_E_NS1_11comp_targetILNS1_3genE3ELNS1_11target_archE908ELNS1_3gpuE7ELNS1_3repE0EEENS1_30default_config_static_selectorELNS0_4arch9wavefront6targetE1EEEvT1_.private_seg_size, 0
	.set _ZN7rocprim17ROCPRIM_400000_NS6detail17trampoline_kernelINS0_14default_configENS1_25partition_config_selectorILNS1_17partition_subalgoE8EtNS0_10empty_typeEbEEZZNS1_14partition_implILS5_8ELb0ES3_jN6thrust23THRUST_200600_302600_NS6detail15normal_iteratorINSA_10device_ptrItEEEEPS6_PKS6_NS0_5tupleIJNSA_16discard_iteratorINSA_11use_defaultEEES6_EEENSJ_IJSG_SG_EEENS0_18inequality_wrapperINSA_8equal_toItEEEEPmJS6_EEE10hipError_tPvRmT3_T4_T5_T6_T7_T9_mT8_P12ihipStream_tbDpT10_ENKUlT_T0_E_clISt17integral_constantIbLb0EES1D_EEDaS18_S19_EUlS18_E_NS1_11comp_targetILNS1_3genE3ELNS1_11target_archE908ELNS1_3gpuE7ELNS1_3repE0EEENS1_30default_config_static_selectorELNS0_4arch9wavefront6targetE1EEEvT1_.uses_vcc, 0
	.set _ZN7rocprim17ROCPRIM_400000_NS6detail17trampoline_kernelINS0_14default_configENS1_25partition_config_selectorILNS1_17partition_subalgoE8EtNS0_10empty_typeEbEEZZNS1_14partition_implILS5_8ELb0ES3_jN6thrust23THRUST_200600_302600_NS6detail15normal_iteratorINSA_10device_ptrItEEEEPS6_PKS6_NS0_5tupleIJNSA_16discard_iteratorINSA_11use_defaultEEES6_EEENSJ_IJSG_SG_EEENS0_18inequality_wrapperINSA_8equal_toItEEEEPmJS6_EEE10hipError_tPvRmT3_T4_T5_T6_T7_T9_mT8_P12ihipStream_tbDpT10_ENKUlT_T0_E_clISt17integral_constantIbLb0EES1D_EEDaS18_S19_EUlS18_E_NS1_11comp_targetILNS1_3genE3ELNS1_11target_archE908ELNS1_3gpuE7ELNS1_3repE0EEENS1_30default_config_static_selectorELNS0_4arch9wavefront6targetE1EEEvT1_.uses_flat_scratch, 0
	.set _ZN7rocprim17ROCPRIM_400000_NS6detail17trampoline_kernelINS0_14default_configENS1_25partition_config_selectorILNS1_17partition_subalgoE8EtNS0_10empty_typeEbEEZZNS1_14partition_implILS5_8ELb0ES3_jN6thrust23THRUST_200600_302600_NS6detail15normal_iteratorINSA_10device_ptrItEEEEPS6_PKS6_NS0_5tupleIJNSA_16discard_iteratorINSA_11use_defaultEEES6_EEENSJ_IJSG_SG_EEENS0_18inequality_wrapperINSA_8equal_toItEEEEPmJS6_EEE10hipError_tPvRmT3_T4_T5_T6_T7_T9_mT8_P12ihipStream_tbDpT10_ENKUlT_T0_E_clISt17integral_constantIbLb0EES1D_EEDaS18_S19_EUlS18_E_NS1_11comp_targetILNS1_3genE3ELNS1_11target_archE908ELNS1_3gpuE7ELNS1_3repE0EEENS1_30default_config_static_selectorELNS0_4arch9wavefront6targetE1EEEvT1_.has_dyn_sized_stack, 0
	.set _ZN7rocprim17ROCPRIM_400000_NS6detail17trampoline_kernelINS0_14default_configENS1_25partition_config_selectorILNS1_17partition_subalgoE8EtNS0_10empty_typeEbEEZZNS1_14partition_implILS5_8ELb0ES3_jN6thrust23THRUST_200600_302600_NS6detail15normal_iteratorINSA_10device_ptrItEEEEPS6_PKS6_NS0_5tupleIJNSA_16discard_iteratorINSA_11use_defaultEEES6_EEENSJ_IJSG_SG_EEENS0_18inequality_wrapperINSA_8equal_toItEEEEPmJS6_EEE10hipError_tPvRmT3_T4_T5_T6_T7_T9_mT8_P12ihipStream_tbDpT10_ENKUlT_T0_E_clISt17integral_constantIbLb0EES1D_EEDaS18_S19_EUlS18_E_NS1_11comp_targetILNS1_3genE3ELNS1_11target_archE908ELNS1_3gpuE7ELNS1_3repE0EEENS1_30default_config_static_selectorELNS0_4arch9wavefront6targetE1EEEvT1_.has_recursion, 0
	.set _ZN7rocprim17ROCPRIM_400000_NS6detail17trampoline_kernelINS0_14default_configENS1_25partition_config_selectorILNS1_17partition_subalgoE8EtNS0_10empty_typeEbEEZZNS1_14partition_implILS5_8ELb0ES3_jN6thrust23THRUST_200600_302600_NS6detail15normal_iteratorINSA_10device_ptrItEEEEPS6_PKS6_NS0_5tupleIJNSA_16discard_iteratorINSA_11use_defaultEEES6_EEENSJ_IJSG_SG_EEENS0_18inequality_wrapperINSA_8equal_toItEEEEPmJS6_EEE10hipError_tPvRmT3_T4_T5_T6_T7_T9_mT8_P12ihipStream_tbDpT10_ENKUlT_T0_E_clISt17integral_constantIbLb0EES1D_EEDaS18_S19_EUlS18_E_NS1_11comp_targetILNS1_3genE3ELNS1_11target_archE908ELNS1_3gpuE7ELNS1_3repE0EEENS1_30default_config_static_selectorELNS0_4arch9wavefront6targetE1EEEvT1_.has_indirect_call, 0
	.section	.AMDGPU.csdata,"",@progbits
; Kernel info:
; codeLenInByte = 0
; TotalNumSgprs: 4
; NumVgprs: 0
; ScratchSize: 0
; MemoryBound: 0
; FloatMode: 240
; IeeeMode: 1
; LDSByteSize: 0 bytes/workgroup (compile time only)
; SGPRBlocks: 0
; VGPRBlocks: 0
; NumSGPRsForWavesPerEU: 4
; NumVGPRsForWavesPerEU: 1
; Occupancy: 10
; WaveLimiterHint : 0
; COMPUTE_PGM_RSRC2:SCRATCH_EN: 0
; COMPUTE_PGM_RSRC2:USER_SGPR: 6
; COMPUTE_PGM_RSRC2:TRAP_HANDLER: 0
; COMPUTE_PGM_RSRC2:TGID_X_EN: 1
; COMPUTE_PGM_RSRC2:TGID_Y_EN: 0
; COMPUTE_PGM_RSRC2:TGID_Z_EN: 0
; COMPUTE_PGM_RSRC2:TIDIG_COMP_CNT: 0
	.section	.text._ZN7rocprim17ROCPRIM_400000_NS6detail17trampoline_kernelINS0_14default_configENS1_25partition_config_selectorILNS1_17partition_subalgoE8EtNS0_10empty_typeEbEEZZNS1_14partition_implILS5_8ELb0ES3_jN6thrust23THRUST_200600_302600_NS6detail15normal_iteratorINSA_10device_ptrItEEEEPS6_PKS6_NS0_5tupleIJNSA_16discard_iteratorINSA_11use_defaultEEES6_EEENSJ_IJSG_SG_EEENS0_18inequality_wrapperINSA_8equal_toItEEEEPmJS6_EEE10hipError_tPvRmT3_T4_T5_T6_T7_T9_mT8_P12ihipStream_tbDpT10_ENKUlT_T0_E_clISt17integral_constantIbLb0EES1D_EEDaS18_S19_EUlS18_E_NS1_11comp_targetILNS1_3genE2ELNS1_11target_archE906ELNS1_3gpuE6ELNS1_3repE0EEENS1_30default_config_static_selectorELNS0_4arch9wavefront6targetE1EEEvT1_,"axG",@progbits,_ZN7rocprim17ROCPRIM_400000_NS6detail17trampoline_kernelINS0_14default_configENS1_25partition_config_selectorILNS1_17partition_subalgoE8EtNS0_10empty_typeEbEEZZNS1_14partition_implILS5_8ELb0ES3_jN6thrust23THRUST_200600_302600_NS6detail15normal_iteratorINSA_10device_ptrItEEEEPS6_PKS6_NS0_5tupleIJNSA_16discard_iteratorINSA_11use_defaultEEES6_EEENSJ_IJSG_SG_EEENS0_18inequality_wrapperINSA_8equal_toItEEEEPmJS6_EEE10hipError_tPvRmT3_T4_T5_T6_T7_T9_mT8_P12ihipStream_tbDpT10_ENKUlT_T0_E_clISt17integral_constantIbLb0EES1D_EEDaS18_S19_EUlS18_E_NS1_11comp_targetILNS1_3genE2ELNS1_11target_archE906ELNS1_3gpuE6ELNS1_3repE0EEENS1_30default_config_static_selectorELNS0_4arch9wavefront6targetE1EEEvT1_,comdat
	.protected	_ZN7rocprim17ROCPRIM_400000_NS6detail17trampoline_kernelINS0_14default_configENS1_25partition_config_selectorILNS1_17partition_subalgoE8EtNS0_10empty_typeEbEEZZNS1_14partition_implILS5_8ELb0ES3_jN6thrust23THRUST_200600_302600_NS6detail15normal_iteratorINSA_10device_ptrItEEEEPS6_PKS6_NS0_5tupleIJNSA_16discard_iteratorINSA_11use_defaultEEES6_EEENSJ_IJSG_SG_EEENS0_18inequality_wrapperINSA_8equal_toItEEEEPmJS6_EEE10hipError_tPvRmT3_T4_T5_T6_T7_T9_mT8_P12ihipStream_tbDpT10_ENKUlT_T0_E_clISt17integral_constantIbLb0EES1D_EEDaS18_S19_EUlS18_E_NS1_11comp_targetILNS1_3genE2ELNS1_11target_archE906ELNS1_3gpuE6ELNS1_3repE0EEENS1_30default_config_static_selectorELNS0_4arch9wavefront6targetE1EEEvT1_ ; -- Begin function _ZN7rocprim17ROCPRIM_400000_NS6detail17trampoline_kernelINS0_14default_configENS1_25partition_config_selectorILNS1_17partition_subalgoE8EtNS0_10empty_typeEbEEZZNS1_14partition_implILS5_8ELb0ES3_jN6thrust23THRUST_200600_302600_NS6detail15normal_iteratorINSA_10device_ptrItEEEEPS6_PKS6_NS0_5tupleIJNSA_16discard_iteratorINSA_11use_defaultEEES6_EEENSJ_IJSG_SG_EEENS0_18inequality_wrapperINSA_8equal_toItEEEEPmJS6_EEE10hipError_tPvRmT3_T4_T5_T6_T7_T9_mT8_P12ihipStream_tbDpT10_ENKUlT_T0_E_clISt17integral_constantIbLb0EES1D_EEDaS18_S19_EUlS18_E_NS1_11comp_targetILNS1_3genE2ELNS1_11target_archE906ELNS1_3gpuE6ELNS1_3repE0EEENS1_30default_config_static_selectorELNS0_4arch9wavefront6targetE1EEEvT1_
	.globl	_ZN7rocprim17ROCPRIM_400000_NS6detail17trampoline_kernelINS0_14default_configENS1_25partition_config_selectorILNS1_17partition_subalgoE8EtNS0_10empty_typeEbEEZZNS1_14partition_implILS5_8ELb0ES3_jN6thrust23THRUST_200600_302600_NS6detail15normal_iteratorINSA_10device_ptrItEEEEPS6_PKS6_NS0_5tupleIJNSA_16discard_iteratorINSA_11use_defaultEEES6_EEENSJ_IJSG_SG_EEENS0_18inequality_wrapperINSA_8equal_toItEEEEPmJS6_EEE10hipError_tPvRmT3_T4_T5_T6_T7_T9_mT8_P12ihipStream_tbDpT10_ENKUlT_T0_E_clISt17integral_constantIbLb0EES1D_EEDaS18_S19_EUlS18_E_NS1_11comp_targetILNS1_3genE2ELNS1_11target_archE906ELNS1_3gpuE6ELNS1_3repE0EEENS1_30default_config_static_selectorELNS0_4arch9wavefront6targetE1EEEvT1_
	.p2align	8
	.type	_ZN7rocprim17ROCPRIM_400000_NS6detail17trampoline_kernelINS0_14default_configENS1_25partition_config_selectorILNS1_17partition_subalgoE8EtNS0_10empty_typeEbEEZZNS1_14partition_implILS5_8ELb0ES3_jN6thrust23THRUST_200600_302600_NS6detail15normal_iteratorINSA_10device_ptrItEEEEPS6_PKS6_NS0_5tupleIJNSA_16discard_iteratorINSA_11use_defaultEEES6_EEENSJ_IJSG_SG_EEENS0_18inequality_wrapperINSA_8equal_toItEEEEPmJS6_EEE10hipError_tPvRmT3_T4_T5_T6_T7_T9_mT8_P12ihipStream_tbDpT10_ENKUlT_T0_E_clISt17integral_constantIbLb0EES1D_EEDaS18_S19_EUlS18_E_NS1_11comp_targetILNS1_3genE2ELNS1_11target_archE906ELNS1_3gpuE6ELNS1_3repE0EEENS1_30default_config_static_selectorELNS0_4arch9wavefront6targetE1EEEvT1_,@function
_ZN7rocprim17ROCPRIM_400000_NS6detail17trampoline_kernelINS0_14default_configENS1_25partition_config_selectorILNS1_17partition_subalgoE8EtNS0_10empty_typeEbEEZZNS1_14partition_implILS5_8ELb0ES3_jN6thrust23THRUST_200600_302600_NS6detail15normal_iteratorINSA_10device_ptrItEEEEPS6_PKS6_NS0_5tupleIJNSA_16discard_iteratorINSA_11use_defaultEEES6_EEENSJ_IJSG_SG_EEENS0_18inequality_wrapperINSA_8equal_toItEEEEPmJS6_EEE10hipError_tPvRmT3_T4_T5_T6_T7_T9_mT8_P12ihipStream_tbDpT10_ENKUlT_T0_E_clISt17integral_constantIbLb0EES1D_EEDaS18_S19_EUlS18_E_NS1_11comp_targetILNS1_3genE2ELNS1_11target_archE906ELNS1_3gpuE6ELNS1_3repE0EEENS1_30default_config_static_selectorELNS0_4arch9wavefront6targetE1EEEvT1_: ; @_ZN7rocprim17ROCPRIM_400000_NS6detail17trampoline_kernelINS0_14default_configENS1_25partition_config_selectorILNS1_17partition_subalgoE8EtNS0_10empty_typeEbEEZZNS1_14partition_implILS5_8ELb0ES3_jN6thrust23THRUST_200600_302600_NS6detail15normal_iteratorINSA_10device_ptrItEEEEPS6_PKS6_NS0_5tupleIJNSA_16discard_iteratorINSA_11use_defaultEEES6_EEENSJ_IJSG_SG_EEENS0_18inequality_wrapperINSA_8equal_toItEEEEPmJS6_EEE10hipError_tPvRmT3_T4_T5_T6_T7_T9_mT8_P12ihipStream_tbDpT10_ENKUlT_T0_E_clISt17integral_constantIbLb0EES1D_EEDaS18_S19_EUlS18_E_NS1_11comp_targetILNS1_3genE2ELNS1_11target_archE906ELNS1_3gpuE6ELNS1_3repE0EEENS1_30default_config_static_selectorELNS0_4arch9wavefront6targetE1EEEvT1_
; %bb.0:
	s_load_dwordx4 s[0:3], s[4:5], 0x8
	s_load_dwordx4 s[40:43], s[4:5], 0x48
	s_load_dwordx2 s[8:9], s[4:5], 0x58
	s_load_dword s7, s[4:5], 0x70
	v_lshlrev_b32_e32 v17, 1, v0
	s_waitcnt lgkmcnt(0)
	s_lshl_b64 s[10:11], s[2:3], 1
	s_add_u32 s12, s0, s10
	s_addc_u32 s13, s1, s11
	s_mul_i32 s0, s7, 0xd80
	s_add_i32 s1, s0, s2
	s_add_i32 s14, s7, -1
	s_sub_i32 s7, s8, s1
	s_add_u32 s0, s2, s0
	s_addc_u32 s1, s3, 0
	v_mov_b32_e32 v2, s1
	v_mov_b32_e32 v1, s0
	v_cmp_le_u64_e32 vcc, s[8:9], v[1:2]
	s_cmp_eq_u32 s6, s14
	s_load_dwordx2 s[42:43], s[42:43], 0x0
	s_cselect_b64 s[44:45], -1, 0
	s_mul_i32 s10, s6, 0xd80
	s_mov_b32 s11, 0
	s_and_b64 s[46:47], s[44:45], vcc
	s_xor_b64 s[8:9], s[46:47], -1
	s_lshl_b64 s[10:11], s[10:11], 1
	s_add_u32 s10, s12, s10
	s_mov_b64 s[0:1], -1
	s_addc_u32 s11, s13, s11
	s_and_b64 vcc, exec, s[8:9]
	s_cbranch_vccz .LBB601_2
; %bb.1:
	v_mov_b32_e32 v2, s11
	v_add_co_u32_e32 v1, vcc, s10, v17
	v_addc_co_u32_e32 v2, vcc, 0, v2, vcc
	s_movk_i32 s0, 0x1000
	v_add_co_u32_e32 v3, vcc, s0, v1
	flat_load_ushort v5, v[1:2]
	flat_load_ushort v6, v[1:2] offset:384
	flat_load_ushort v7, v[1:2] offset:768
	;; [unrolled: 1-line block ×7, first 2 shown]
	v_addc_co_u32_e32 v4, vcc, 0, v2, vcc
	flat_load_ushort v13, v[1:2] offset:3072
	flat_load_ushort v14, v[1:2] offset:3456
	;; [unrolled: 1-line block ×10, first 2 shown]
	s_mov_b64 s[0:1], 0
	s_waitcnt vmcnt(0) lgkmcnt(0)
	ds_write_b16 v17, v5
	ds_write_b16 v17, v6 offset:384
	ds_write_b16 v17, v7 offset:768
	;; [unrolled: 1-line block ×17, first 2 shown]
	s_waitcnt lgkmcnt(0)
	s_barrier
.LBB601_2:
	s_andn2_b64 vcc, exec, s[0:1]
	s_addk_i32 s7, 0xd80
	s_cbranch_vccnz .LBB601_40
; %bb.3:
	v_mov_b32_e32 v1, 0
	v_cmp_gt_u32_e32 vcc, s7, v0
	v_mov_b32_e32 v2, v1
	v_mov_b32_e32 v3, v1
	;; [unrolled: 1-line block ×8, first 2 shown]
	s_and_saveexec_b64 s[0:1], vcc
	s_cbranch_execz .LBB601_5
; %bb.4:
	v_mov_b32_e32 v3, s11
	v_add_co_u32_e32 v2, vcc, s10, v17
	v_addc_co_u32_e32 v3, vcc, 0, v3, vcc
	flat_load_ushort v10, v[2:3]
	v_mov_b32_e32 v2, v1
	v_mov_b32_e32 v3, v1
	;; [unrolled: 1-line block ×8, first 2 shown]
	s_waitcnt vmcnt(0) lgkmcnt(0)
	v_and_b32_e32 v1, 0xffff, v10
.LBB601_5:
	s_or_b64 exec, exec, s[0:1]
	v_add_u32_e32 v10, 0xc0, v0
	v_cmp_gt_u32_e32 vcc, s7, v10
	s_and_saveexec_b64 s[0:1], vcc
	s_cbranch_execz .LBB601_7
; %bb.6:
	v_mov_b32_e32 v11, s11
	v_add_co_u32_e32 v10, vcc, s10, v17
	v_addc_co_u32_e32 v11, vcc, 0, v11, vcc
	flat_load_ushort v10, v[10:11] offset:384
	s_mov_b32 s12, 0x5040100
	s_waitcnt vmcnt(0) lgkmcnt(0)
	v_perm_b32 v1, v10, v1, s12
.LBB601_7:
	s_or_b64 exec, exec, s[0:1]
	v_add_u32_e32 v10, 0x180, v0
	v_cmp_gt_u32_e32 vcc, s7, v10
	s_and_saveexec_b64 s[0:1], vcc
	s_cbranch_execz .LBB601_9
; %bb.8:
	v_mov_b32_e32 v11, s11
	v_add_co_u32_e32 v10, vcc, s10, v17
	v_addc_co_u32_e32 v11, vcc, 0, v11, vcc
	flat_load_ushort v10, v[10:11] offset:768
	s_mov_b32 s12, 0xffff
	s_waitcnt vmcnt(0) lgkmcnt(0)
	v_bfi_b32 v2, s12, v10, v2
.LBB601_9:
	s_or_b64 exec, exec, s[0:1]
	v_add_u32_e32 v10, 0x240, v0
	v_cmp_gt_u32_e32 vcc, s7, v10
	s_and_saveexec_b64 s[0:1], vcc
	s_cbranch_execz .LBB601_11
; %bb.10:
	v_mov_b32_e32 v11, s11
	v_add_co_u32_e32 v10, vcc, s10, v17
	v_addc_co_u32_e32 v11, vcc, 0, v11, vcc
	flat_load_ushort v10, v[10:11] offset:1152
	s_mov_b32 s12, 0x5040100
	s_waitcnt vmcnt(0) lgkmcnt(0)
	v_perm_b32 v2, v10, v2, s12
.LBB601_11:
	s_or_b64 exec, exec, s[0:1]
	v_or_b32_e32 v10, 0x300, v0
	v_cmp_gt_u32_e32 vcc, s7, v10
	s_and_saveexec_b64 s[0:1], vcc
	s_cbranch_execz .LBB601_13
; %bb.12:
	v_mov_b32_e32 v11, s11
	v_add_co_u32_e32 v10, vcc, s10, v17
	v_addc_co_u32_e32 v11, vcc, 0, v11, vcc
	flat_load_ushort v10, v[10:11] offset:1536
	s_mov_b32 s12, 0xffff
	s_waitcnt vmcnt(0) lgkmcnt(0)
	v_bfi_b32 v3, s12, v10, v3
.LBB601_13:
	s_or_b64 exec, exec, s[0:1]
	v_add_u32_e32 v10, 0x3c0, v0
	v_cmp_gt_u32_e32 vcc, s7, v10
	s_and_saveexec_b64 s[0:1], vcc
	s_cbranch_execz .LBB601_15
; %bb.14:
	v_mov_b32_e32 v11, s11
	v_add_co_u32_e32 v10, vcc, s10, v17
	v_addc_co_u32_e32 v11, vcc, 0, v11, vcc
	flat_load_ushort v10, v[10:11] offset:1920
	s_mov_b32 s12, 0x5040100
	s_waitcnt vmcnt(0) lgkmcnt(0)
	v_perm_b32 v3, v10, v3, s12
.LBB601_15:
	s_or_b64 exec, exec, s[0:1]
	v_add_u32_e32 v10, 0x480, v0
	v_cmp_gt_u32_e32 vcc, s7, v10
	s_and_saveexec_b64 s[0:1], vcc
	s_cbranch_execz .LBB601_17
; %bb.16:
	v_mov_b32_e32 v11, s11
	v_add_co_u32_e32 v10, vcc, s10, v17
	v_addc_co_u32_e32 v11, vcc, 0, v11, vcc
	flat_load_ushort v10, v[10:11] offset:2304
	s_mov_b32 s12, 0xffff
	s_waitcnt vmcnt(0) lgkmcnt(0)
	v_bfi_b32 v4, s12, v10, v4
.LBB601_17:
	s_or_b64 exec, exec, s[0:1]
	v_add_u32_e32 v10, 0x540, v0
	v_cmp_gt_u32_e32 vcc, s7, v10
	s_and_saveexec_b64 s[0:1], vcc
	s_cbranch_execz .LBB601_19
; %bb.18:
	v_mov_b32_e32 v11, s11
	v_add_co_u32_e32 v10, vcc, s10, v17
	v_addc_co_u32_e32 v11, vcc, 0, v11, vcc
	flat_load_ushort v10, v[10:11] offset:2688
	s_mov_b32 s12, 0x5040100
	s_waitcnt vmcnt(0) lgkmcnt(0)
	v_perm_b32 v4, v10, v4, s12
.LBB601_19:
	s_or_b64 exec, exec, s[0:1]
	v_or_b32_e32 v10, 0x600, v0
	v_cmp_gt_u32_e32 vcc, s7, v10
	s_and_saveexec_b64 s[0:1], vcc
	s_cbranch_execz .LBB601_21
; %bb.20:
	v_mov_b32_e32 v11, s11
	v_add_co_u32_e32 v10, vcc, s10, v17
	v_addc_co_u32_e32 v11, vcc, 0, v11, vcc
	flat_load_ushort v10, v[10:11] offset:3072
	s_mov_b32 s12, 0xffff
	s_waitcnt vmcnt(0) lgkmcnt(0)
	v_bfi_b32 v5, s12, v10, v5
.LBB601_21:
	s_or_b64 exec, exec, s[0:1]
	v_add_u32_e32 v10, 0x6c0, v0
	v_cmp_gt_u32_e32 vcc, s7, v10
	s_and_saveexec_b64 s[0:1], vcc
	s_cbranch_execz .LBB601_23
; %bb.22:
	v_mov_b32_e32 v11, s11
	v_add_co_u32_e32 v10, vcc, s10, v17
	v_addc_co_u32_e32 v11, vcc, 0, v11, vcc
	flat_load_ushort v10, v[10:11] offset:3456
	s_mov_b32 s12, 0x5040100
	s_waitcnt vmcnt(0) lgkmcnt(0)
	v_perm_b32 v5, v10, v5, s12
.LBB601_23:
	s_or_b64 exec, exec, s[0:1]
	v_add_u32_e32 v10, 0x780, v0
	v_cmp_gt_u32_e32 vcc, s7, v10
	s_and_saveexec_b64 s[0:1], vcc
	s_cbranch_execz .LBB601_25
; %bb.24:
	v_mov_b32_e32 v11, s11
	v_add_co_u32_e32 v10, vcc, s10, v17
	v_addc_co_u32_e32 v11, vcc, 0, v11, vcc
	flat_load_ushort v10, v[10:11] offset:3840
	s_mov_b32 s12, 0xffff
	s_waitcnt vmcnt(0) lgkmcnt(0)
	v_bfi_b32 v6, s12, v10, v6
.LBB601_25:
	s_or_b64 exec, exec, s[0:1]
	v_add_u32_e32 v10, 0x840, v0
	v_cmp_gt_u32_e32 vcc, s7, v10
	s_and_saveexec_b64 s[0:1], vcc
	s_cbranch_execz .LBB601_27
; %bb.26:
	v_lshlrev_b32_e32 v10, 1, v10
	v_mov_b32_e32 v11, s11
	v_add_co_u32_e32 v10, vcc, s10, v10
	v_addc_co_u32_e32 v11, vcc, 0, v11, vcc
	flat_load_ushort v10, v[10:11]
	s_mov_b32 s12, 0x5040100
	s_waitcnt vmcnt(0) lgkmcnt(0)
	v_perm_b32 v6, v10, v6, s12
.LBB601_27:
	s_or_b64 exec, exec, s[0:1]
	v_or_b32_e32 v10, 0x900, v0
	v_cmp_gt_u32_e32 vcc, s7, v10
	s_and_saveexec_b64 s[0:1], vcc
	s_cbranch_execz .LBB601_29
; %bb.28:
	v_lshlrev_b32_e32 v10, 1, v10
	v_mov_b32_e32 v11, s11
	v_add_co_u32_e32 v10, vcc, s10, v10
	v_addc_co_u32_e32 v11, vcc, 0, v11, vcc
	flat_load_ushort v10, v[10:11]
	s_mov_b32 s12, 0xffff
	s_waitcnt vmcnt(0) lgkmcnt(0)
	v_bfi_b32 v7, s12, v10, v7
.LBB601_29:
	s_or_b64 exec, exec, s[0:1]
	v_add_u32_e32 v10, 0x9c0, v0
	v_cmp_gt_u32_e32 vcc, s7, v10
	s_and_saveexec_b64 s[0:1], vcc
	s_cbranch_execz .LBB601_31
; %bb.30:
	v_lshlrev_b32_e32 v10, 1, v10
	v_mov_b32_e32 v11, s11
	v_add_co_u32_e32 v10, vcc, s10, v10
	v_addc_co_u32_e32 v11, vcc, 0, v11, vcc
	flat_load_ushort v10, v[10:11]
	s_mov_b32 s12, 0x5040100
	s_waitcnt vmcnt(0) lgkmcnt(0)
	v_perm_b32 v7, v10, v7, s12
.LBB601_31:
	s_or_b64 exec, exec, s[0:1]
	v_add_u32_e32 v10, 0xa80, v0
	v_cmp_gt_u32_e32 vcc, s7, v10
	s_and_saveexec_b64 s[0:1], vcc
	s_cbranch_execz .LBB601_33
; %bb.32:
	v_lshlrev_b32_e32 v10, 1, v10
	v_mov_b32_e32 v11, s11
	v_add_co_u32_e32 v10, vcc, s10, v10
	v_addc_co_u32_e32 v11, vcc, 0, v11, vcc
	flat_load_ushort v10, v[10:11]
	s_mov_b32 s12, 0xffff
	s_waitcnt vmcnt(0) lgkmcnt(0)
	v_bfi_b32 v8, s12, v10, v8
.LBB601_33:
	s_or_b64 exec, exec, s[0:1]
	v_add_u32_e32 v10, 0xb40, v0
	v_cmp_gt_u32_e32 vcc, s7, v10
	s_and_saveexec_b64 s[0:1], vcc
	s_cbranch_execz .LBB601_35
; %bb.34:
	v_lshlrev_b32_e32 v10, 1, v10
	v_mov_b32_e32 v11, s11
	v_add_co_u32_e32 v10, vcc, s10, v10
	v_addc_co_u32_e32 v11, vcc, 0, v11, vcc
	flat_load_ushort v10, v[10:11]
	s_mov_b32 s12, 0x5040100
	s_waitcnt vmcnt(0) lgkmcnt(0)
	v_perm_b32 v8, v10, v8, s12
.LBB601_35:
	s_or_b64 exec, exec, s[0:1]
	v_or_b32_e32 v10, 0xc00, v0
	v_cmp_gt_u32_e32 vcc, s7, v10
	s_and_saveexec_b64 s[0:1], vcc
	s_cbranch_execz .LBB601_37
; %bb.36:
	v_lshlrev_b32_e32 v10, 1, v10
	v_mov_b32_e32 v11, s11
	v_add_co_u32_e32 v10, vcc, s10, v10
	v_addc_co_u32_e32 v11, vcc, 0, v11, vcc
	flat_load_ushort v10, v[10:11]
	s_mov_b32 s12, 0xffff
	s_waitcnt vmcnt(0) lgkmcnt(0)
	v_bfi_b32 v9, s12, v10, v9
.LBB601_37:
	s_or_b64 exec, exec, s[0:1]
	v_add_u32_e32 v10, 0xcc0, v0
	v_cmp_gt_u32_e32 vcc, s7, v10
	s_and_saveexec_b64 s[0:1], vcc
	s_cbranch_execz .LBB601_39
; %bb.38:
	v_lshlrev_b32_e32 v10, 1, v10
	v_mov_b32_e32 v11, s11
	v_add_co_u32_e32 v10, vcc, s10, v10
	v_addc_co_u32_e32 v11, vcc, 0, v11, vcc
	flat_load_ushort v10, v[10:11]
	s_mov_b32 s12, 0x5040100
	s_waitcnt vmcnt(0) lgkmcnt(0)
	v_perm_b32 v9, v10, v9, s12
.LBB601_39:
	s_or_b64 exec, exec, s[0:1]
	ds_write_b16 v17, v1
	ds_write_b16_d16_hi v17, v1 offset:384
	ds_write_b16 v17, v2 offset:768
	ds_write_b16_d16_hi v17, v2 offset:1152
	ds_write_b16 v17, v3 offset:1536
	;; [unrolled: 2-line block ×8, first 2 shown]
	ds_write_b16_d16_hi v17, v9 offset:6528
	s_waitcnt lgkmcnt(0)
	s_barrier
.LBB601_40:
	v_mul_u32_u24_e32 v9, 18, v0
	v_lshlrev_b32_e32 v10, 1, v9
	s_waitcnt lgkmcnt(0)
	ds_read2_b32 v[7:8], v10 offset1:1
	ds_read2_b32 v[5:6], v10 offset0:2 offset1:3
	ds_read2_b32 v[3:4], v10 offset0:4 offset1:5
	;; [unrolled: 1-line block ×3, first 2 shown]
	ds_read_b32 v20, v10 offset:32
	s_cmp_lg_u32 s6, 0
	s_cselect_b64 s[48:49], -1, 0
	s_cmp_lg_u64 s[2:3], 0
	s_cselect_b64 s[0:1], -1, 0
	s_or_b64 s[0:1], s[48:49], s[0:1]
	s_waitcnt lgkmcnt(4)
	v_lshrrev_b32_e32 v28, 16, v7
	v_lshrrev_b32_e32 v27, 16, v8
	s_waitcnt lgkmcnt(3)
	v_lshrrev_b32_e32 v26, 16, v5
	v_lshrrev_b32_e32 v25, 16, v6
	s_waitcnt lgkmcnt(2)
	v_lshrrev_b32_e32 v24, 16, v3
	v_lshrrev_b32_e32 v23, 16, v4
	s_waitcnt lgkmcnt(1)
	v_lshrrev_b32_e32 v22, 16, v1
	v_lshrrev_b32_e32 v21, 16, v2
	s_waitcnt lgkmcnt(0)
	v_lshrrev_b32_e32 v19, 16, v20
	s_mov_b64 s[52:53], 0
	s_and_b64 vcc, exec, s[0:1]
	s_barrier
	s_cbranch_vccz .LBB601_45
; %bb.41:
	v_mov_b32_e32 v12, s11
	v_add_co_u32_e64 v11, vcc, -2, s10
	v_addc_co_u32_e32 v12, vcc, -1, v12, vcc
	flat_load_ushort v11, v[11:12]
	s_and_b64 vcc, exec, s[8:9]
	ds_write_b16 v17, v19
	s_cbranch_vccz .LBB601_46
; %bb.42:
	v_cmp_ne_u32_e32 vcc, 0, v0
	s_waitcnt vmcnt(0) lgkmcnt(0)
	v_mov_b32_e32 v12, v11
	s_barrier
	s_and_saveexec_b64 s[0:1], vcc
; %bb.43:
	v_add_u32_e32 v12, -2, v17
	ds_read_u16 v12, v12
; %bb.44:
	s_or_b64 exec, exec, s[0:1]
	v_cmp_ne_u16_e32 vcc, v20, v19
	v_cndmask_b32_e64 v29, 0, 1, vcc
	v_cmp_ne_u16_e32 vcc, v21, v20
	v_cndmask_b32_e64 v30, 0, 1, vcc
	;; [unrolled: 2-line block ×17, first 2 shown]
	s_waitcnt lgkmcnt(0)
	v_cmp_ne_u16_e64 s[50:51], v12, v7
	s_branch .LBB601_50
.LBB601_45:
                                        ; implicit-def: $sgpr50_sgpr51
                                        ; implicit-def: $vgpr29
                                        ; implicit-def: $vgpr30
                                        ; implicit-def: $vgpr31
                                        ; implicit-def: $vgpr32
                                        ; implicit-def: $vgpr33
                                        ; implicit-def: $vgpr34
                                        ; implicit-def: $vgpr35
                                        ; implicit-def: $vgpr36
                                        ; implicit-def: $vgpr37
                                        ; implicit-def: $vgpr45
                                        ; implicit-def: $vgpr44
                                        ; implicit-def: $vgpr43
                                        ; implicit-def: $vgpr42
                                        ; implicit-def: $vgpr41
                                        ; implicit-def: $vgpr40
                                        ; implicit-def: $vgpr39
                                        ; implicit-def: $vgpr38
	s_branch .LBB601_51
.LBB601_46:
                                        ; implicit-def: $sgpr50_sgpr51
                                        ; implicit-def: $vgpr29
                                        ; implicit-def: $vgpr30
                                        ; implicit-def: $vgpr31
                                        ; implicit-def: $vgpr32
                                        ; implicit-def: $vgpr33
                                        ; implicit-def: $vgpr34
                                        ; implicit-def: $vgpr35
                                        ; implicit-def: $vgpr36
                                        ; implicit-def: $vgpr37
                                        ; implicit-def: $vgpr45
                                        ; implicit-def: $vgpr44
                                        ; implicit-def: $vgpr43
                                        ; implicit-def: $vgpr42
                                        ; implicit-def: $vgpr41
                                        ; implicit-def: $vgpr40
                                        ; implicit-def: $vgpr39
                                        ; implicit-def: $vgpr38
	s_cbranch_execz .LBB601_50
; %bb.47:
	v_cmp_ne_u32_e32 vcc, 0, v0
	s_waitcnt vmcnt(0) lgkmcnt(0)
	s_barrier
	s_and_saveexec_b64 s[0:1], vcc
; %bb.48:
	v_add_u32_e32 v11, -2, v17
	ds_read_u16 v11, v11
; %bb.49:
	s_or_b64 exec, exec, s[0:1]
	v_add_u32_e32 v12, 17, v9
	v_cmp_gt_u32_e32 vcc, s7, v12
	v_cmp_ne_u16_e64 s[0:1], v20, v19
	s_and_b64 s[0:1], vcc, s[0:1]
	v_add_u32_e32 v12, 16, v9
	v_cndmask_b32_e64 v29, 0, 1, s[0:1]
	v_cmp_gt_u32_e32 vcc, s7, v12
	v_cmp_ne_u16_e64 s[0:1], v21, v20
	s_and_b64 s[0:1], vcc, s[0:1]
	v_add_u32_e32 v12, 15, v9
	v_cndmask_b32_e64 v30, 0, 1, s[0:1]
	;; [unrolled: 5-line block ×15, first 2 shown]
	v_cmp_gt_u32_e32 vcc, s7, v12
	v_cmp_ne_u16_e64 s[0:1], v28, v8
	v_or_b32_e32 v12, 1, v9
	v_cmp_gt_u32_e64 s[2:3], s7, v12
	s_and_b64 s[0:1], vcc, s[0:1]
	v_cmp_ne_u16_e32 vcc, v7, v28
	v_cndmask_b32_e64 v44, 0, 1, s[0:1]
	s_waitcnt lgkmcnt(0)
	v_cmp_ne_u16_e64 s[0:1], v11, v7
	s_and_b64 s[2:3], s[2:3], vcc
	v_cmp_gt_u32_e32 vcc, s7, v9
	v_cndmask_b32_e64 v45, 0, 1, s[2:3]
	s_and_b64 s[50:51], vcc, s[0:1]
.LBB601_50:
	s_mov_b64 s[52:53], -1
	s_cbranch_execnz .LBB601_59
.LBB601_51:
	s_movk_i32 s0, 0xffde
	v_mad_i32_i24 v10, v0, s0, v10
	s_and_b64 vcc, exec, s[8:9]
	v_cmp_ne_u16_e64 s[0:1], v20, v19
	v_cmp_ne_u16_e64 s[2:3], v21, v20
	;; [unrolled: 1-line block ×17, first 2 shown]
	ds_write_b16 v10, v19
	s_cbranch_vccz .LBB601_55
; %bb.52:
	v_cmp_ne_u32_e32 vcc, 0, v0
	s_waitcnt vmcnt(0) lgkmcnt(0)
	s_barrier
                                        ; implicit-def: $sgpr50_sgpr51
	s_and_saveexec_b64 s[54:55], vcc
	s_xor_b64 s[54:55], exec, s[54:55]
	s_cbranch_execz .LBB601_54
; %bb.53:
	v_add_u32_e32 v11, -2, v10
	ds_read_u16 v11, v11
	s_or_b64 s[52:53], s[52:53], exec
	s_waitcnt lgkmcnt(0)
	v_cmp_ne_u16_e64 s[50:51], v11, v7
.LBB601_54:
	s_or_b64 exec, exec, s[54:55]
	v_cndmask_b32_e64 v29, 0, 1, s[0:1]
	v_cndmask_b32_e64 v30, 0, 1, s[2:3]
	;; [unrolled: 1-line block ×17, first 2 shown]
	s_branch .LBB601_59
.LBB601_55:
                                        ; implicit-def: $sgpr50_sgpr51
                                        ; implicit-def: $vgpr29
                                        ; implicit-def: $vgpr30
                                        ; implicit-def: $vgpr31
                                        ; implicit-def: $vgpr32
                                        ; implicit-def: $vgpr33
                                        ; implicit-def: $vgpr34
                                        ; implicit-def: $vgpr35
                                        ; implicit-def: $vgpr36
                                        ; implicit-def: $vgpr37
                                        ; implicit-def: $vgpr45
                                        ; implicit-def: $vgpr44
                                        ; implicit-def: $vgpr43
                                        ; implicit-def: $vgpr42
                                        ; implicit-def: $vgpr41
                                        ; implicit-def: $vgpr40
                                        ; implicit-def: $vgpr39
                                        ; implicit-def: $vgpr38
	s_cbranch_execz .LBB601_59
; %bb.56:
	s_waitcnt vmcnt(0) lgkmcnt(0)
	v_add_u32_e32 v11, 17, v9
	v_cmp_gt_u32_e32 vcc, s7, v11
	v_cmp_ne_u16_e64 s[0:1], v20, v19
	v_add_u32_e32 v11, 16, v9
	s_and_b64 s[2:3], vcc, s[0:1]
	v_cmp_gt_u32_e32 vcc, s7, v11
	v_cmp_ne_u16_e64 s[0:1], v21, v20
	v_add_u32_e32 v11, 15, v9
	s_and_b64 s[8:9], vcc, s[0:1]
	;; [unrolled: 4-line block ×15, first 2 shown]
	v_cmp_gt_u32_e32 vcc, s7, v11
	v_cmp_ne_u16_e64 s[0:1], v28, v8
	v_or_b32_e32 v11, 1, v9
	s_and_b64 s[38:39], vcc, s[0:1]
	v_cmp_gt_u32_e32 vcc, s7, v11
	v_cmp_ne_u16_e64 s[0:1], v7, v28
	s_and_b64 s[54:55], vcc, s[0:1]
	v_cmp_ne_u32_e32 vcc, 0, v0
	s_barrier
                                        ; implicit-def: $sgpr50_sgpr51
	s_and_saveexec_b64 s[56:57], vcc
	s_cbranch_execz .LBB601_58
; %bb.57:
	v_add_u32_e32 v10, -2, v10
	ds_read_u16 v10, v10
	v_cmp_gt_u32_e32 vcc, s7, v9
	s_or_b64 s[52:53], s[52:53], exec
	s_waitcnt lgkmcnt(0)
	v_cmp_ne_u16_e64 s[0:1], v10, v7
	s_and_b64 s[50:51], vcc, s[0:1]
.LBB601_58:
	s_or_b64 exec, exec, s[56:57]
	v_cndmask_b32_e64 v29, 0, 1, s[2:3]
	v_cndmask_b32_e64 v30, 0, 1, s[8:9]
	;; [unrolled: 1-line block ×17, first 2 shown]
.LBB601_59:
	v_mov_b32_e32 v50, 1
	s_and_saveexec_b64 s[0:1], s[52:53]
; %bb.60:
	v_cndmask_b32_e64 v50, 0, 1, s[50:51]
; %bb.61:
	s_or_b64 exec, exec, s[0:1]
	s_load_dwordx2 s[20:21], s[4:5], 0x68
	s_andn2_b64 vcc, exec, s[46:47]
	s_cbranch_vccnz .LBB601_63
; %bb.62:
	v_cmp_gt_u32_e32 vcc, s7, v9
	v_or_b32_e32 v10, 1, v9
	v_cndmask_b32_e32 v50, 0, v50, vcc
	v_cmp_gt_u32_e32 vcc, s7, v10
	v_add_u32_e32 v10, 2, v9
	v_cndmask_b32_e32 v45, 0, v45, vcc
	v_cmp_gt_u32_e32 vcc, s7, v10
	v_add_u32_e32 v10, 3, v9
	;; [unrolled: 3-line block ×16, first 2 shown]
	v_cndmask_b32_e32 v30, 0, v30, vcc
	v_cmp_gt_u32_e32 vcc, s7, v9
	v_cndmask_b32_e32 v29, 0, v29, vcc
.LBB601_63:
	v_and_b32_e32 v56, 0xff, v41
	v_and_b32_e32 v55, 0xff, v40
	v_add_u32_sdwa v10, v39, v38 dst_sel:DWORD dst_unused:UNUSED_PAD src0_sel:BYTE_0 src1_sel:BYTE_0
	v_and_b32_e32 v58, 0xff, v43
	v_and_b32_e32 v57, 0xff, v42
	v_add3_u32 v10, v10, v55, v56
	v_and_b32_e32 v60, 0xff, v45
	v_and_b32_e32 v59, 0xff, v44
	v_add3_u32 v10, v10, v57, v58
	;; [unrolled: 3-line block ×7, first 2 shown]
	v_add3_u32 v64, v10, v46, v9
	v_mbcnt_lo_u32_b32 v9, -1, 0
	v_mbcnt_hi_u32_b32 v62, -1, v9
	v_and_b32_e32 v9, 15, v62
	v_cmp_eq_u32_e64 s[12:13], 0, v9
	v_cmp_lt_u32_e64 s[10:11], 1, v9
	v_cmp_lt_u32_e64 s[8:9], 3, v9
	;; [unrolled: 1-line block ×3, first 2 shown]
	v_and_b32_e32 v9, 16, v62
	v_cmp_eq_u32_e64 s[2:3], 0, v9
	v_and_b32_e32 v9, 0xc0, v0
	v_min_u32_e32 v9, 0x80, v9
	v_or_b32_e32 v9, 63, v9
	v_cmp_lt_u32_e64 s[0:1], 31, v62
	v_lshrrev_b32_e32 v63, 6, v0
	v_cmp_eq_u32_e64 s[4:5], v0, v9
	s_and_b64 vcc, exec, s[48:49]
	s_waitcnt vmcnt(0) lgkmcnt(0)
	s_barrier
	s_cbranch_vccz .LBB601_85
; %bb.64:
	v_mov_b32_dpp v9, v64 row_shr:1 row_mask:0xf bank_mask:0xf
	v_cndmask_b32_e64 v9, v9, 0, s[12:13]
	v_add_u32_e32 v9, v9, v64
	s_nop 1
	v_mov_b32_dpp v10, v9 row_shr:2 row_mask:0xf bank_mask:0xf
	v_cndmask_b32_e64 v10, 0, v10, s[10:11]
	v_add_u32_e32 v9, v9, v10
	s_nop 1
	;; [unrolled: 4-line block ×4, first 2 shown]
	v_mov_b32_dpp v10, v9 row_bcast:15 row_mask:0xf bank_mask:0xf
	v_cndmask_b32_e64 v10, v10, 0, s[2:3]
	v_add_u32_e32 v9, v9, v10
	s_nop 1
	v_mov_b32_dpp v10, v9 row_bcast:31 row_mask:0xf bank_mask:0xf
	v_cndmask_b32_e64 v10, 0, v10, s[0:1]
	v_add_u32_e32 v9, v9, v10
	s_and_saveexec_b64 s[14:15], s[4:5]
; %bb.65:
	v_lshlrev_b32_e32 v10, 2, v63
	ds_write_b32 v10, v9
; %bb.66:
	s_or_b64 exec, exec, s[14:15]
	v_cmp_gt_u32_e32 vcc, 3, v0
	s_waitcnt lgkmcnt(0)
	s_barrier
	s_and_saveexec_b64 s[14:15], vcc
	s_cbranch_execz .LBB601_68
; %bb.67:
	v_lshlrev_b32_e32 v10, 2, v0
	ds_read_b32 v11, v10
	v_and_b32_e32 v12, 3, v62
	v_cmp_ne_u32_e32 vcc, 0, v12
	s_waitcnt lgkmcnt(0)
	v_mov_b32_dpp v13, v11 row_shr:1 row_mask:0xf bank_mask:0xf
	v_cndmask_b32_e32 v13, 0, v13, vcc
	v_add_u32_e32 v11, v13, v11
	v_cmp_lt_u32_e32 vcc, 1, v12
	s_nop 0
	v_mov_b32_dpp v13, v11 row_shr:2 row_mask:0xf bank_mask:0xf
	v_cndmask_b32_e32 v12, 0, v13, vcc
	v_add_u32_e32 v11, v11, v12
	ds_write_b32 v10, v11
.LBB601_68:
	s_or_b64 exec, exec, s[14:15]
	v_cmp_gt_u32_e32 vcc, 64, v0
	v_cmp_lt_u32_e64 s[14:15], 63, v0
	s_waitcnt lgkmcnt(0)
	s_barrier
                                        ; implicit-def: $vgpr65
	s_and_saveexec_b64 s[18:19], s[14:15]
	s_cbranch_execz .LBB601_70
; %bb.69:
	v_lshl_add_u32 v10, v63, 2, -4
	ds_read_b32 v65, v10
	s_waitcnt lgkmcnt(0)
	v_add_u32_e32 v9, v65, v9
.LBB601_70:
	s_or_b64 exec, exec, s[18:19]
	v_subrev_co_u32_e64 v10, s[14:15], 1, v62
	v_and_b32_e32 v11, 64, v62
	v_cmp_lt_i32_e64 s[18:19], v10, v11
	v_cndmask_b32_e64 v10, v10, v62, s[18:19]
	v_lshlrev_b32_e32 v10, 2, v10
	ds_bpermute_b32 v66, v10, v9
	s_and_saveexec_b64 s[18:19], vcc
	s_cbranch_execz .LBB601_90
; %bb.71:
	v_mov_b32_e32 v15, 0
	ds_read_b32 v9, v15 offset:8
	s_and_saveexec_b64 s[22:23], s[14:15]
	s_cbranch_execz .LBB601_73
; %bb.72:
	s_add_i32 s24, s6, 64
	s_mov_b32 s25, 0
	s_lshl_b64 s[24:25], s[24:25], 3
	s_add_u32 s24, s20, s24
	v_mov_b32_e32 v10, 1
	s_addc_u32 s25, s21, s25
	s_waitcnt lgkmcnt(0)
	global_store_dwordx2 v15, v[9:10], s[24:25]
.LBB601_73:
	s_or_b64 exec, exec, s[22:23]
	v_xad_u32 v11, v62, -1, s6
	v_add_u32_e32 v14, 64, v11
	v_lshlrev_b64 v[12:13], 3, v[14:15]
	v_mov_b32_e32 v10, s21
	v_add_co_u32_e32 v16, vcc, s20, v12
	v_addc_co_u32_e32 v17, vcc, v10, v13, vcc
	global_load_dwordx2 v[13:14], v[16:17], off glc
	s_waitcnt vmcnt(0)
	v_cmp_eq_u16_sdwa s[24:25], v14, v15 src0_sel:BYTE_0 src1_sel:DWORD
	s_and_saveexec_b64 s[22:23], s[24:25]
	s_cbranch_execz .LBB601_77
; %bb.74:
	s_mov_b64 s[24:25], 0
	v_mov_b32_e32 v10, 0
.LBB601_75:                             ; =>This Inner Loop Header: Depth=1
	global_load_dwordx2 v[13:14], v[16:17], off glc
	s_waitcnt vmcnt(0)
	v_cmp_ne_u16_sdwa s[26:27], v14, v10 src0_sel:BYTE_0 src1_sel:DWORD
	s_or_b64 s[24:25], s[26:27], s[24:25]
	s_andn2_b64 exec, exec, s[24:25]
	s_cbranch_execnz .LBB601_75
; %bb.76:
	s_or_b64 exec, exec, s[24:25]
.LBB601_77:
	s_or_b64 exec, exec, s[22:23]
	v_and_b32_e32 v68, 63, v62
	v_mov_b32_e32 v67, 2
	v_lshlrev_b64 v[15:16], v62, -1
	v_cmp_ne_u32_e32 vcc, 63, v68
	v_cmp_eq_u16_sdwa s[22:23], v14, v67 src0_sel:BYTE_0 src1_sel:DWORD
	v_addc_co_u32_e32 v17, vcc, 0, v62, vcc
	v_and_b32_e32 v10, s23, v16
	v_lshlrev_b32_e32 v69, 2, v17
	v_or_b32_e32 v10, 0x80000000, v10
	ds_bpermute_b32 v17, v69, v13
	v_and_b32_e32 v12, s22, v15
	v_ffbl_b32_e32 v10, v10
	v_add_u32_e32 v10, 32, v10
	v_ffbl_b32_e32 v12, v12
	v_min_u32_e32 v10, v12, v10
	v_cmp_lt_u32_e32 vcc, v68, v10
	s_waitcnt lgkmcnt(0)
	v_cndmask_b32_e32 v12, 0, v17, vcc
	v_cmp_gt_u32_e32 vcc, 62, v68
	v_add_u32_e32 v12, v12, v13
	v_cndmask_b32_e64 v13, 0, 2, vcc
	v_add_lshl_u32 v70, v13, v62, 2
	ds_bpermute_b32 v13, v70, v12
	v_add_u32_e32 v71, 2, v68
	v_cmp_le_u32_e32 vcc, v71, v10
	v_add_u32_e32 v73, 4, v68
	v_add_u32_e32 v75, 8, v68
	s_waitcnt lgkmcnt(0)
	v_cndmask_b32_e32 v13, 0, v13, vcc
	v_cmp_gt_u32_e32 vcc, 60, v68
	v_add_u32_e32 v12, v12, v13
	v_cndmask_b32_e64 v13, 0, 4, vcc
	v_add_lshl_u32 v72, v13, v62, 2
	ds_bpermute_b32 v13, v72, v12
	v_cmp_le_u32_e32 vcc, v73, v10
	v_add_u32_e32 v77, 16, v68
	v_add_u32_e32 v79, 32, v68
	s_waitcnt lgkmcnt(0)
	v_cndmask_b32_e32 v13, 0, v13, vcc
	v_cmp_gt_u32_e32 vcc, 56, v68
	v_add_u32_e32 v12, v12, v13
	v_cndmask_b32_e64 v13, 0, 8, vcc
	v_add_lshl_u32 v74, v13, v62, 2
	ds_bpermute_b32 v13, v74, v12
	v_cmp_le_u32_e32 vcc, v75, v10
	s_waitcnt lgkmcnt(0)
	v_cndmask_b32_e32 v13, 0, v13, vcc
	v_cmp_gt_u32_e32 vcc, 48, v68
	v_add_u32_e32 v12, v12, v13
	v_cndmask_b32_e64 v13, 0, 16, vcc
	v_add_lshl_u32 v76, v13, v62, 2
	ds_bpermute_b32 v13, v76, v12
	v_cmp_le_u32_e32 vcc, v77, v10
	s_waitcnt lgkmcnt(0)
	v_cndmask_b32_e32 v13, 0, v13, vcc
	v_add_u32_e32 v12, v12, v13
	v_mov_b32_e32 v13, 0x80
	v_lshl_or_b32 v78, v62, 2, v13
	ds_bpermute_b32 v13, v78, v12
	v_cmp_le_u32_e32 vcc, v79, v10
	s_waitcnt lgkmcnt(0)
	v_cndmask_b32_e32 v10, 0, v13, vcc
	v_add_u32_e32 v13, v12, v10
	v_mov_b32_e32 v12, 0
	s_branch .LBB601_80
.LBB601_78:                             ;   in Loop: Header=BB601_80 Depth=1
	s_or_b64 exec, exec, s[22:23]
	v_cmp_eq_u16_sdwa s[22:23], v14, v67 src0_sel:BYTE_0 src1_sel:DWORD
	v_and_b32_e32 v17, s23, v16
	v_or_b32_e32 v17, 0x80000000, v17
	ds_bpermute_b32 v80, v69, v13
	v_and_b32_e32 v18, s22, v15
	v_ffbl_b32_e32 v17, v17
	v_add_u32_e32 v17, 32, v17
	v_ffbl_b32_e32 v18, v18
	v_min_u32_e32 v17, v18, v17
	v_cmp_lt_u32_e32 vcc, v68, v17
	s_waitcnt lgkmcnt(0)
	v_cndmask_b32_e32 v18, 0, v80, vcc
	v_add_u32_e32 v13, v18, v13
	ds_bpermute_b32 v18, v70, v13
	v_cmp_le_u32_e32 vcc, v71, v17
	v_subrev_u32_e32 v11, 64, v11
	s_mov_b64 s[22:23], 0
	s_waitcnt lgkmcnt(0)
	v_cndmask_b32_e32 v18, 0, v18, vcc
	v_add_u32_e32 v13, v13, v18
	ds_bpermute_b32 v18, v72, v13
	v_cmp_le_u32_e32 vcc, v73, v17
	s_waitcnt lgkmcnt(0)
	v_cndmask_b32_e32 v18, 0, v18, vcc
	v_add_u32_e32 v13, v13, v18
	ds_bpermute_b32 v18, v74, v13
	v_cmp_le_u32_e32 vcc, v75, v17
	;; [unrolled: 5-line block ×4, first 2 shown]
	s_waitcnt lgkmcnt(0)
	v_cndmask_b32_e32 v17, 0, v18, vcc
	v_add3_u32 v13, v17, v10, v13
.LBB601_79:                             ;   in Loop: Header=BB601_80 Depth=1
	s_and_b64 vcc, exec, s[22:23]
	s_cbranch_vccnz .LBB601_86
.LBB601_80:                             ; =>This Loop Header: Depth=1
                                        ;     Child Loop BB601_83 Depth 2
	v_cmp_ne_u16_sdwa s[22:23], v14, v67 src0_sel:BYTE_0 src1_sel:DWORD
	v_mov_b32_e32 v10, v13
	s_cmp_lg_u64 s[22:23], exec
	s_mov_b64 s[22:23], -1
                                        ; implicit-def: $vgpr13
                                        ; implicit-def: $vgpr14
	s_cbranch_scc1 .LBB601_79
; %bb.81:                               ;   in Loop: Header=BB601_80 Depth=1
	v_lshlrev_b64 v[13:14], 3, v[11:12]
	v_mov_b32_e32 v18, s21
	v_add_co_u32_e32 v17, vcc, s20, v13
	v_addc_co_u32_e32 v18, vcc, v18, v14, vcc
	global_load_dwordx2 v[13:14], v[17:18], off glc
	s_waitcnt vmcnt(0)
	v_cmp_eq_u16_sdwa s[24:25], v14, v12 src0_sel:BYTE_0 src1_sel:DWORD
	s_and_saveexec_b64 s[22:23], s[24:25]
	s_cbranch_execz .LBB601_78
; %bb.82:                               ;   in Loop: Header=BB601_80 Depth=1
	s_mov_b64 s[24:25], 0
.LBB601_83:                             ;   Parent Loop BB601_80 Depth=1
                                        ; =>  This Inner Loop Header: Depth=2
	global_load_dwordx2 v[13:14], v[17:18], off glc
	s_waitcnt vmcnt(0)
	v_cmp_ne_u16_sdwa s[26:27], v14, v12 src0_sel:BYTE_0 src1_sel:DWORD
	s_or_b64 s[24:25], s[26:27], s[24:25]
	s_andn2_b64 exec, exec, s[24:25]
	s_cbranch_execnz .LBB601_83
; %bb.84:                               ;   in Loop: Header=BB601_80 Depth=1
	s_or_b64 exec, exec, s[24:25]
	s_branch .LBB601_78
.LBB601_85:
                                        ; implicit-def: $vgpr10
                                        ; implicit-def: $vgpr11
	s_cbranch_execnz .LBB601_91
	s_branch .LBB601_100
.LBB601_86:
	s_and_saveexec_b64 s[22:23], s[14:15]
	s_cbranch_execz .LBB601_88
; %bb.87:
	s_add_i32 s6, s6, 64
	s_mov_b32 s7, 0
	s_lshl_b64 s[6:7], s[6:7], 3
	s_add_u32 s6, s20, s6
	v_add_u32_e32 v11, v10, v9
	v_mov_b32_e32 v12, 2
	s_addc_u32 s7, s21, s7
	v_mov_b32_e32 v13, 0
	global_store_dwordx2 v13, v[11:12], s[6:7]
	ds_write_b64 v13, v[9:10] offset:6912
.LBB601_88:
	s_or_b64 exec, exec, s[22:23]
	v_cmp_eq_u32_e32 vcc, 0, v0
	s_and_b64 exec, exec, vcc
; %bb.89:
	v_mov_b32_e32 v9, 0
	ds_write_b32 v9, v10 offset:8
.LBB601_90:
	s_or_b64 exec, exec, s[18:19]
	v_mov_b32_e32 v9, 0
	s_waitcnt vmcnt(0) lgkmcnt(0)
	s_barrier
	ds_read_b32 v12, v9 offset:8
	s_waitcnt lgkmcnt(0)
	s_barrier
	ds_read_b64 v[9:10], v9 offset:6912
	v_cndmask_b32_e64 v11, v66, v65, s[14:15]
	v_cmp_ne_u32_e32 vcc, 0, v0
	v_cndmask_b32_e32 v11, 0, v11, vcc
	v_add_u32_e32 v11, v12, v11
	s_branch .LBB601_100
.LBB601_91:
	s_waitcnt lgkmcnt(0)
	v_mov_b32_dpp v9, v64 row_shr:1 row_mask:0xf bank_mask:0xf
	v_cndmask_b32_e64 v9, v9, 0, s[12:13]
	v_add_u32_e32 v9, v9, v64
	s_nop 1
	v_mov_b32_dpp v10, v9 row_shr:2 row_mask:0xf bank_mask:0xf
	v_cndmask_b32_e64 v10, 0, v10, s[10:11]
	v_add_u32_e32 v9, v9, v10
	s_nop 1
	;; [unrolled: 4-line block ×4, first 2 shown]
	v_mov_b32_dpp v10, v9 row_bcast:15 row_mask:0xf bank_mask:0xf
	v_cndmask_b32_e64 v10, v10, 0, s[2:3]
	v_add_u32_e32 v9, v9, v10
	s_nop 1
	v_mov_b32_dpp v10, v9 row_bcast:31 row_mask:0xf bank_mask:0xf
	v_cndmask_b32_e64 v10, 0, v10, s[0:1]
	v_add_u32_e32 v9, v9, v10
	s_and_saveexec_b64 s[0:1], s[4:5]
; %bb.92:
	v_lshlrev_b32_e32 v10, 2, v63
	ds_write_b32 v10, v9
; %bb.93:
	s_or_b64 exec, exec, s[0:1]
	v_cmp_gt_u32_e32 vcc, 3, v0
	s_waitcnt lgkmcnt(0)
	s_barrier
	s_and_saveexec_b64 s[0:1], vcc
	s_cbranch_execz .LBB601_95
; %bb.94:
	v_lshlrev_b32_e32 v10, 2, v0
	ds_read_b32 v11, v10
	v_and_b32_e32 v12, 3, v62
	v_cmp_ne_u32_e32 vcc, 0, v12
	s_waitcnt lgkmcnt(0)
	v_mov_b32_dpp v13, v11 row_shr:1 row_mask:0xf bank_mask:0xf
	v_cndmask_b32_e32 v13, 0, v13, vcc
	v_add_u32_e32 v11, v13, v11
	v_cmp_lt_u32_e32 vcc, 1, v12
	s_nop 0
	v_mov_b32_dpp v13, v11 row_shr:2 row_mask:0xf bank_mask:0xf
	v_cndmask_b32_e32 v12, 0, v13, vcc
	v_add_u32_e32 v11, v11, v12
	ds_write_b32 v10, v11
.LBB601_95:
	s_or_b64 exec, exec, s[0:1]
	v_cmp_lt_u32_e32 vcc, 63, v0
	v_mov_b32_e32 v10, 0
	v_mov_b32_e32 v11, 0
	s_waitcnt lgkmcnt(0)
	s_barrier
	s_and_saveexec_b64 s[0:1], vcc
; %bb.96:
	v_lshl_add_u32 v11, v63, 2, -4
	ds_read_b32 v11, v11
; %bb.97:
	s_or_b64 exec, exec, s[0:1]
	v_subrev_co_u32_e32 v12, vcc, 1, v62
	v_and_b32_e32 v13, 64, v62
	v_cmp_lt_i32_e64 s[0:1], v12, v13
	v_cndmask_b32_e64 v12, v12, v62, s[0:1]
	s_waitcnt lgkmcnt(0)
	v_add_u32_e32 v9, v11, v9
	v_lshlrev_b32_e32 v12, 2, v12
	ds_bpermute_b32 v12, v12, v9
	ds_read_b32 v9, v10 offset:8
	v_cmp_eq_u32_e64 s[0:1], 0, v0
	s_and_saveexec_b64 s[2:3], s[0:1]
	s_cbranch_execz .LBB601_99
; %bb.98:
	v_mov_b32_e32 v13, 0
	v_mov_b32_e32 v10, 2
	s_waitcnt lgkmcnt(0)
	global_store_dwordx2 v13, v[9:10], s[20:21] offset:512
.LBB601_99:
	s_or_b64 exec, exec, s[2:3]
	s_waitcnt lgkmcnt(1)
	v_cndmask_b32_e32 v10, v12, v11, vcc
	v_cndmask_b32_e64 v11, v10, 0, s[0:1]
	s_waitcnt vmcnt(0) lgkmcnt(0)
	s_barrier
	v_mov_b32_e32 v10, 0
.LBB601_100:
	s_movk_i32 s0, 0xc1
	s_waitcnt lgkmcnt(0)
	v_cmp_gt_u32_e32 vcc, s0, v9
	s_cbranch_vccz .LBB601_103
; %bb.101:
	v_cmp_eq_u32_e32 vcc, 0, v0
	s_and_b64 s[0:1], vcc, s[44:45]
	s_and_saveexec_b64 s[2:3], s[0:1]
	s_cbranch_execnz .LBB601_140
.LBB601_102:
	s_endpgm
.LBB601_103:
	v_and_b32_e32 v12, 1, v50
	v_cmp_eq_u32_e32 vcc, 1, v12
	s_and_saveexec_b64 s[0:1], vcc
; %bb.104:
	v_sub_u32_e32 v12, v11, v10
	v_lshlrev_b32_e32 v12, 1, v12
	ds_write_b16 v12, v7
; %bb.105:
	s_or_b64 exec, exec, s[0:1]
	v_add_u32_e32 v7, v11, v61
	v_and_b32_e32 v11, 1, v45
	v_cmp_eq_u32_e32 vcc, 1, v11
	s_and_saveexec_b64 s[0:1], vcc
; %bb.106:
	v_sub_u32_e32 v11, v7, v10
	v_lshlrev_b32_e32 v11, 1, v11
	ds_write_b16 v11, v28
; %bb.107:
	s_or_b64 exec, exec, s[0:1]
	v_and_b32_e32 v11, 1, v44
	v_add_u32_e32 v7, v7, v60
	v_cmp_eq_u32_e32 vcc, 1, v11
	s_and_saveexec_b64 s[0:1], vcc
; %bb.108:
	v_sub_u32_e32 v11, v7, v10
	v_lshlrev_b32_e32 v11, 1, v11
	ds_write_b16 v11, v8
; %bb.109:
	s_or_b64 exec, exec, s[0:1]
	v_and_b32_e32 v8, 1, v43
	v_add_u32_e32 v7, v7, v59
	;; [unrolled: 10-line block ×3, first 2 shown]
	v_cmp_eq_u32_e32 vcc, 1, v8
	s_and_saveexec_b64 s[0:1], vcc
; %bb.112:
	v_sub_u32_e32 v8, v7, v10
	v_lshlrev_b32_e32 v8, 1, v8
	ds_write_b16 v8, v5
; %bb.113:
	s_or_b64 exec, exec, s[0:1]
	v_add_u32_e32 v5, v7, v57
	v_and_b32_e32 v7, 1, v41
	v_cmp_eq_u32_e32 vcc, 1, v7
	s_and_saveexec_b64 s[0:1], vcc
; %bb.114:
	v_sub_u32_e32 v7, v5, v10
	v_lshlrev_b32_e32 v7, 1, v7
	ds_write_b16 v7, v26
; %bb.115:
	s_or_b64 exec, exec, s[0:1]
	v_and_b32_e32 v7, 1, v40
	v_add_u32_e32 v5, v5, v56
	v_cmp_eq_u32_e32 vcc, 1, v7
	s_and_saveexec_b64 s[0:1], vcc
; %bb.116:
	v_sub_u32_e32 v7, v5, v10
	v_lshlrev_b32_e32 v7, 1, v7
	ds_write_b16 v7, v6
; %bb.117:
	s_or_b64 exec, exec, s[0:1]
	v_and_b32_e32 v6, 1, v39
	v_add_u32_e32 v5, v5, v55
	v_cmp_eq_u32_e32 vcc, 1, v6
	s_and_saveexec_b64 s[0:1], vcc
; %bb.118:
	v_sub_u32_e32 v6, v5, v10
	v_lshlrev_b32_e32 v6, 1, v6
	ds_write_b16 v6, v25
; %bb.119:
	s_or_b64 exec, exec, s[0:1]
	v_and_b32_e32 v6, 1, v38
	v_add_u32_sdwa v5, v5, v39 dst_sel:DWORD dst_unused:UNUSED_PAD src0_sel:DWORD src1_sel:BYTE_0
	v_cmp_eq_u32_e32 vcc, 1, v6
	s_and_saveexec_b64 s[0:1], vcc
; %bb.120:
	v_sub_u32_e32 v6, v5, v10
	v_lshlrev_b32_e32 v6, 1, v6
	ds_write_b16 v6, v3
; %bb.121:
	s_or_b64 exec, exec, s[0:1]
	v_add_u32_sdwa v3, v5, v38 dst_sel:DWORD dst_unused:UNUSED_PAD src0_sel:DWORD src1_sel:BYTE_0
	v_and_b32_e32 v5, 1, v37
	v_cmp_eq_u32_e32 vcc, 1, v5
	s_and_saveexec_b64 s[0:1], vcc
; %bb.122:
	v_sub_u32_e32 v5, v3, v10
	v_lshlrev_b32_e32 v5, 1, v5
	ds_write_b16 v5, v24
; %bb.123:
	s_or_b64 exec, exec, s[0:1]
	v_and_b32_e32 v5, 1, v36
	v_add_u32_e32 v3, v3, v54
	v_cmp_eq_u32_e32 vcc, 1, v5
	s_and_saveexec_b64 s[0:1], vcc
; %bb.124:
	v_sub_u32_e32 v5, v3, v10
	v_lshlrev_b32_e32 v5, 1, v5
	ds_write_b16 v5, v4
; %bb.125:
	s_or_b64 exec, exec, s[0:1]
	v_and_b32_e32 v4, 1, v35
	v_add_u32_e32 v3, v3, v53
	;; [unrolled: 10-line block ×3, first 2 shown]
	v_cmp_eq_u32_e32 vcc, 1, v4
	s_and_saveexec_b64 s[0:1], vcc
; %bb.128:
	v_sub_u32_e32 v4, v3, v10
	v_lshlrev_b32_e32 v4, 1, v4
	ds_write_b16 v4, v1
; %bb.129:
	s_or_b64 exec, exec, s[0:1]
	v_add_u32_e32 v1, v3, v51
	v_and_b32_e32 v3, 1, v33
	v_cmp_eq_u32_e32 vcc, 1, v3
	s_and_saveexec_b64 s[0:1], vcc
; %bb.130:
	v_sub_u32_e32 v3, v1, v10
	v_lshlrev_b32_e32 v3, 1, v3
	ds_write_b16 v3, v22
; %bb.131:
	s_or_b64 exec, exec, s[0:1]
	v_and_b32_e32 v3, 1, v32
	v_add_u32_e32 v1, v1, v49
	v_cmp_eq_u32_e32 vcc, 1, v3
	s_and_saveexec_b64 s[0:1], vcc
; %bb.132:
	v_sub_u32_e32 v3, v1, v10
	v_lshlrev_b32_e32 v3, 1, v3
	ds_write_b16 v3, v2
; %bb.133:
	s_or_b64 exec, exec, s[0:1]
	v_and_b32_e32 v2, 1, v31
	v_add_u32_e32 v1, v1, v48
	;; [unrolled: 10-line block ×3, first 2 shown]
	v_cmp_eq_u32_e32 vcc, 1, v2
	s_and_saveexec_b64 s[0:1], vcc
; %bb.136:
	v_sub_u32_e32 v2, v1, v10
	v_lshlrev_b32_e32 v2, 1, v2
	ds_write_b16 v2, v20
; %bb.137:
	s_or_b64 exec, exec, s[0:1]
	v_and_b32_e32 v2, 1, v29
	v_cmp_eq_u32_e32 vcc, 1, v2
	s_and_saveexec_b64 s[0:1], vcc
; %bb.138:
	v_sub_u32_e32 v2, v46, v10
	v_lshlrev_b32_e32 v1, 1, v1
	v_lshl_add_u32 v1, v2, 1, v1
	ds_write_b16 v1, v19
; %bb.139:
	s_or_b64 exec, exec, s[0:1]
	s_waitcnt lgkmcnt(0)
	s_barrier
	v_cmp_eq_u32_e32 vcc, 0, v0
	s_and_b64 s[0:1], vcc, s[44:45]
	s_and_saveexec_b64 s[2:3], s[0:1]
	s_cbranch_execz .LBB601_102
.LBB601_140:
	v_mov_b32_e32 v0, s43
	v_add_co_u32_e32 v1, vcc, s42, v9
	v_addc_co_u32_e32 v3, vcc, 0, v0, vcc
	v_add_co_u32_e32 v0, vcc, v1, v10
	v_mov_b32_e32 v2, 0
	v_addc_co_u32_e32 v1, vcc, 0, v3, vcc
	global_store_dwordx2 v2, v[0:1], s[40:41]
	s_endpgm
	.section	.rodata,"a",@progbits
	.p2align	6, 0x0
	.amdhsa_kernel _ZN7rocprim17ROCPRIM_400000_NS6detail17trampoline_kernelINS0_14default_configENS1_25partition_config_selectorILNS1_17partition_subalgoE8EtNS0_10empty_typeEbEEZZNS1_14partition_implILS5_8ELb0ES3_jN6thrust23THRUST_200600_302600_NS6detail15normal_iteratorINSA_10device_ptrItEEEEPS6_PKS6_NS0_5tupleIJNSA_16discard_iteratorINSA_11use_defaultEEES6_EEENSJ_IJSG_SG_EEENS0_18inequality_wrapperINSA_8equal_toItEEEEPmJS6_EEE10hipError_tPvRmT3_T4_T5_T6_T7_T9_mT8_P12ihipStream_tbDpT10_ENKUlT_T0_E_clISt17integral_constantIbLb0EES1D_EEDaS18_S19_EUlS18_E_NS1_11comp_targetILNS1_3genE2ELNS1_11target_archE906ELNS1_3gpuE6ELNS1_3repE0EEENS1_30default_config_static_selectorELNS0_4arch9wavefront6targetE1EEEvT1_
		.amdhsa_group_segment_fixed_size 6920
		.amdhsa_private_segment_fixed_size 0
		.amdhsa_kernarg_size 120
		.amdhsa_user_sgpr_count 6
		.amdhsa_user_sgpr_private_segment_buffer 1
		.amdhsa_user_sgpr_dispatch_ptr 0
		.amdhsa_user_sgpr_queue_ptr 0
		.amdhsa_user_sgpr_kernarg_segment_ptr 1
		.amdhsa_user_sgpr_dispatch_id 0
		.amdhsa_user_sgpr_flat_scratch_init 0
		.amdhsa_user_sgpr_private_segment_size 0
		.amdhsa_uses_dynamic_stack 0
		.amdhsa_system_sgpr_private_segment_wavefront_offset 0
		.amdhsa_system_sgpr_workgroup_id_x 1
		.amdhsa_system_sgpr_workgroup_id_y 0
		.amdhsa_system_sgpr_workgroup_id_z 0
		.amdhsa_system_sgpr_workgroup_info 0
		.amdhsa_system_vgpr_workitem_id 0
		.amdhsa_next_free_vgpr 81
		.amdhsa_next_free_sgpr 77
		.amdhsa_reserve_vcc 1
		.amdhsa_reserve_flat_scratch 0
		.amdhsa_float_round_mode_32 0
		.amdhsa_float_round_mode_16_64 0
		.amdhsa_float_denorm_mode_32 3
		.amdhsa_float_denorm_mode_16_64 3
		.amdhsa_dx10_clamp 1
		.amdhsa_ieee_mode 1
		.amdhsa_fp16_overflow 0
		.amdhsa_exception_fp_ieee_invalid_op 0
		.amdhsa_exception_fp_denorm_src 0
		.amdhsa_exception_fp_ieee_div_zero 0
		.amdhsa_exception_fp_ieee_overflow 0
		.amdhsa_exception_fp_ieee_underflow 0
		.amdhsa_exception_fp_ieee_inexact 0
		.amdhsa_exception_int_div_zero 0
	.end_amdhsa_kernel
	.section	.text._ZN7rocprim17ROCPRIM_400000_NS6detail17trampoline_kernelINS0_14default_configENS1_25partition_config_selectorILNS1_17partition_subalgoE8EtNS0_10empty_typeEbEEZZNS1_14partition_implILS5_8ELb0ES3_jN6thrust23THRUST_200600_302600_NS6detail15normal_iteratorINSA_10device_ptrItEEEEPS6_PKS6_NS0_5tupleIJNSA_16discard_iteratorINSA_11use_defaultEEES6_EEENSJ_IJSG_SG_EEENS0_18inequality_wrapperINSA_8equal_toItEEEEPmJS6_EEE10hipError_tPvRmT3_T4_T5_T6_T7_T9_mT8_P12ihipStream_tbDpT10_ENKUlT_T0_E_clISt17integral_constantIbLb0EES1D_EEDaS18_S19_EUlS18_E_NS1_11comp_targetILNS1_3genE2ELNS1_11target_archE906ELNS1_3gpuE6ELNS1_3repE0EEENS1_30default_config_static_selectorELNS0_4arch9wavefront6targetE1EEEvT1_,"axG",@progbits,_ZN7rocprim17ROCPRIM_400000_NS6detail17trampoline_kernelINS0_14default_configENS1_25partition_config_selectorILNS1_17partition_subalgoE8EtNS0_10empty_typeEbEEZZNS1_14partition_implILS5_8ELb0ES3_jN6thrust23THRUST_200600_302600_NS6detail15normal_iteratorINSA_10device_ptrItEEEEPS6_PKS6_NS0_5tupleIJNSA_16discard_iteratorINSA_11use_defaultEEES6_EEENSJ_IJSG_SG_EEENS0_18inequality_wrapperINSA_8equal_toItEEEEPmJS6_EEE10hipError_tPvRmT3_T4_T5_T6_T7_T9_mT8_P12ihipStream_tbDpT10_ENKUlT_T0_E_clISt17integral_constantIbLb0EES1D_EEDaS18_S19_EUlS18_E_NS1_11comp_targetILNS1_3genE2ELNS1_11target_archE906ELNS1_3gpuE6ELNS1_3repE0EEENS1_30default_config_static_selectorELNS0_4arch9wavefront6targetE1EEEvT1_,comdat
.Lfunc_end601:
	.size	_ZN7rocprim17ROCPRIM_400000_NS6detail17trampoline_kernelINS0_14default_configENS1_25partition_config_selectorILNS1_17partition_subalgoE8EtNS0_10empty_typeEbEEZZNS1_14partition_implILS5_8ELb0ES3_jN6thrust23THRUST_200600_302600_NS6detail15normal_iteratorINSA_10device_ptrItEEEEPS6_PKS6_NS0_5tupleIJNSA_16discard_iteratorINSA_11use_defaultEEES6_EEENSJ_IJSG_SG_EEENS0_18inequality_wrapperINSA_8equal_toItEEEEPmJS6_EEE10hipError_tPvRmT3_T4_T5_T6_T7_T9_mT8_P12ihipStream_tbDpT10_ENKUlT_T0_E_clISt17integral_constantIbLb0EES1D_EEDaS18_S19_EUlS18_E_NS1_11comp_targetILNS1_3genE2ELNS1_11target_archE906ELNS1_3gpuE6ELNS1_3repE0EEENS1_30default_config_static_selectorELNS0_4arch9wavefront6targetE1EEEvT1_, .Lfunc_end601-_ZN7rocprim17ROCPRIM_400000_NS6detail17trampoline_kernelINS0_14default_configENS1_25partition_config_selectorILNS1_17partition_subalgoE8EtNS0_10empty_typeEbEEZZNS1_14partition_implILS5_8ELb0ES3_jN6thrust23THRUST_200600_302600_NS6detail15normal_iteratorINSA_10device_ptrItEEEEPS6_PKS6_NS0_5tupleIJNSA_16discard_iteratorINSA_11use_defaultEEES6_EEENSJ_IJSG_SG_EEENS0_18inequality_wrapperINSA_8equal_toItEEEEPmJS6_EEE10hipError_tPvRmT3_T4_T5_T6_T7_T9_mT8_P12ihipStream_tbDpT10_ENKUlT_T0_E_clISt17integral_constantIbLb0EES1D_EEDaS18_S19_EUlS18_E_NS1_11comp_targetILNS1_3genE2ELNS1_11target_archE906ELNS1_3gpuE6ELNS1_3repE0EEENS1_30default_config_static_selectorELNS0_4arch9wavefront6targetE1EEEvT1_
                                        ; -- End function
	.set _ZN7rocprim17ROCPRIM_400000_NS6detail17trampoline_kernelINS0_14default_configENS1_25partition_config_selectorILNS1_17partition_subalgoE8EtNS0_10empty_typeEbEEZZNS1_14partition_implILS5_8ELb0ES3_jN6thrust23THRUST_200600_302600_NS6detail15normal_iteratorINSA_10device_ptrItEEEEPS6_PKS6_NS0_5tupleIJNSA_16discard_iteratorINSA_11use_defaultEEES6_EEENSJ_IJSG_SG_EEENS0_18inequality_wrapperINSA_8equal_toItEEEEPmJS6_EEE10hipError_tPvRmT3_T4_T5_T6_T7_T9_mT8_P12ihipStream_tbDpT10_ENKUlT_T0_E_clISt17integral_constantIbLb0EES1D_EEDaS18_S19_EUlS18_E_NS1_11comp_targetILNS1_3genE2ELNS1_11target_archE906ELNS1_3gpuE6ELNS1_3repE0EEENS1_30default_config_static_selectorELNS0_4arch9wavefront6targetE1EEEvT1_.num_vgpr, 81
	.set _ZN7rocprim17ROCPRIM_400000_NS6detail17trampoline_kernelINS0_14default_configENS1_25partition_config_selectorILNS1_17partition_subalgoE8EtNS0_10empty_typeEbEEZZNS1_14partition_implILS5_8ELb0ES3_jN6thrust23THRUST_200600_302600_NS6detail15normal_iteratorINSA_10device_ptrItEEEEPS6_PKS6_NS0_5tupleIJNSA_16discard_iteratorINSA_11use_defaultEEES6_EEENSJ_IJSG_SG_EEENS0_18inequality_wrapperINSA_8equal_toItEEEEPmJS6_EEE10hipError_tPvRmT3_T4_T5_T6_T7_T9_mT8_P12ihipStream_tbDpT10_ENKUlT_T0_E_clISt17integral_constantIbLb0EES1D_EEDaS18_S19_EUlS18_E_NS1_11comp_targetILNS1_3genE2ELNS1_11target_archE906ELNS1_3gpuE6ELNS1_3repE0EEENS1_30default_config_static_selectorELNS0_4arch9wavefront6targetE1EEEvT1_.num_agpr, 0
	.set _ZN7rocprim17ROCPRIM_400000_NS6detail17trampoline_kernelINS0_14default_configENS1_25partition_config_selectorILNS1_17partition_subalgoE8EtNS0_10empty_typeEbEEZZNS1_14partition_implILS5_8ELb0ES3_jN6thrust23THRUST_200600_302600_NS6detail15normal_iteratorINSA_10device_ptrItEEEEPS6_PKS6_NS0_5tupleIJNSA_16discard_iteratorINSA_11use_defaultEEES6_EEENSJ_IJSG_SG_EEENS0_18inequality_wrapperINSA_8equal_toItEEEEPmJS6_EEE10hipError_tPvRmT3_T4_T5_T6_T7_T9_mT8_P12ihipStream_tbDpT10_ENKUlT_T0_E_clISt17integral_constantIbLb0EES1D_EEDaS18_S19_EUlS18_E_NS1_11comp_targetILNS1_3genE2ELNS1_11target_archE906ELNS1_3gpuE6ELNS1_3repE0EEENS1_30default_config_static_selectorELNS0_4arch9wavefront6targetE1EEEvT1_.numbered_sgpr, 58
	.set _ZN7rocprim17ROCPRIM_400000_NS6detail17trampoline_kernelINS0_14default_configENS1_25partition_config_selectorILNS1_17partition_subalgoE8EtNS0_10empty_typeEbEEZZNS1_14partition_implILS5_8ELb0ES3_jN6thrust23THRUST_200600_302600_NS6detail15normal_iteratorINSA_10device_ptrItEEEEPS6_PKS6_NS0_5tupleIJNSA_16discard_iteratorINSA_11use_defaultEEES6_EEENSJ_IJSG_SG_EEENS0_18inequality_wrapperINSA_8equal_toItEEEEPmJS6_EEE10hipError_tPvRmT3_T4_T5_T6_T7_T9_mT8_P12ihipStream_tbDpT10_ENKUlT_T0_E_clISt17integral_constantIbLb0EES1D_EEDaS18_S19_EUlS18_E_NS1_11comp_targetILNS1_3genE2ELNS1_11target_archE906ELNS1_3gpuE6ELNS1_3repE0EEENS1_30default_config_static_selectorELNS0_4arch9wavefront6targetE1EEEvT1_.num_named_barrier, 0
	.set _ZN7rocprim17ROCPRIM_400000_NS6detail17trampoline_kernelINS0_14default_configENS1_25partition_config_selectorILNS1_17partition_subalgoE8EtNS0_10empty_typeEbEEZZNS1_14partition_implILS5_8ELb0ES3_jN6thrust23THRUST_200600_302600_NS6detail15normal_iteratorINSA_10device_ptrItEEEEPS6_PKS6_NS0_5tupleIJNSA_16discard_iteratorINSA_11use_defaultEEES6_EEENSJ_IJSG_SG_EEENS0_18inequality_wrapperINSA_8equal_toItEEEEPmJS6_EEE10hipError_tPvRmT3_T4_T5_T6_T7_T9_mT8_P12ihipStream_tbDpT10_ENKUlT_T0_E_clISt17integral_constantIbLb0EES1D_EEDaS18_S19_EUlS18_E_NS1_11comp_targetILNS1_3genE2ELNS1_11target_archE906ELNS1_3gpuE6ELNS1_3repE0EEENS1_30default_config_static_selectorELNS0_4arch9wavefront6targetE1EEEvT1_.private_seg_size, 0
	.set _ZN7rocprim17ROCPRIM_400000_NS6detail17trampoline_kernelINS0_14default_configENS1_25partition_config_selectorILNS1_17partition_subalgoE8EtNS0_10empty_typeEbEEZZNS1_14partition_implILS5_8ELb0ES3_jN6thrust23THRUST_200600_302600_NS6detail15normal_iteratorINSA_10device_ptrItEEEEPS6_PKS6_NS0_5tupleIJNSA_16discard_iteratorINSA_11use_defaultEEES6_EEENSJ_IJSG_SG_EEENS0_18inequality_wrapperINSA_8equal_toItEEEEPmJS6_EEE10hipError_tPvRmT3_T4_T5_T6_T7_T9_mT8_P12ihipStream_tbDpT10_ENKUlT_T0_E_clISt17integral_constantIbLb0EES1D_EEDaS18_S19_EUlS18_E_NS1_11comp_targetILNS1_3genE2ELNS1_11target_archE906ELNS1_3gpuE6ELNS1_3repE0EEENS1_30default_config_static_selectorELNS0_4arch9wavefront6targetE1EEEvT1_.uses_vcc, 1
	.set _ZN7rocprim17ROCPRIM_400000_NS6detail17trampoline_kernelINS0_14default_configENS1_25partition_config_selectorILNS1_17partition_subalgoE8EtNS0_10empty_typeEbEEZZNS1_14partition_implILS5_8ELb0ES3_jN6thrust23THRUST_200600_302600_NS6detail15normal_iteratorINSA_10device_ptrItEEEEPS6_PKS6_NS0_5tupleIJNSA_16discard_iteratorINSA_11use_defaultEEES6_EEENSJ_IJSG_SG_EEENS0_18inequality_wrapperINSA_8equal_toItEEEEPmJS6_EEE10hipError_tPvRmT3_T4_T5_T6_T7_T9_mT8_P12ihipStream_tbDpT10_ENKUlT_T0_E_clISt17integral_constantIbLb0EES1D_EEDaS18_S19_EUlS18_E_NS1_11comp_targetILNS1_3genE2ELNS1_11target_archE906ELNS1_3gpuE6ELNS1_3repE0EEENS1_30default_config_static_selectorELNS0_4arch9wavefront6targetE1EEEvT1_.uses_flat_scratch, 0
	.set _ZN7rocprim17ROCPRIM_400000_NS6detail17trampoline_kernelINS0_14default_configENS1_25partition_config_selectorILNS1_17partition_subalgoE8EtNS0_10empty_typeEbEEZZNS1_14partition_implILS5_8ELb0ES3_jN6thrust23THRUST_200600_302600_NS6detail15normal_iteratorINSA_10device_ptrItEEEEPS6_PKS6_NS0_5tupleIJNSA_16discard_iteratorINSA_11use_defaultEEES6_EEENSJ_IJSG_SG_EEENS0_18inequality_wrapperINSA_8equal_toItEEEEPmJS6_EEE10hipError_tPvRmT3_T4_T5_T6_T7_T9_mT8_P12ihipStream_tbDpT10_ENKUlT_T0_E_clISt17integral_constantIbLb0EES1D_EEDaS18_S19_EUlS18_E_NS1_11comp_targetILNS1_3genE2ELNS1_11target_archE906ELNS1_3gpuE6ELNS1_3repE0EEENS1_30default_config_static_selectorELNS0_4arch9wavefront6targetE1EEEvT1_.has_dyn_sized_stack, 0
	.set _ZN7rocprim17ROCPRIM_400000_NS6detail17trampoline_kernelINS0_14default_configENS1_25partition_config_selectorILNS1_17partition_subalgoE8EtNS0_10empty_typeEbEEZZNS1_14partition_implILS5_8ELb0ES3_jN6thrust23THRUST_200600_302600_NS6detail15normal_iteratorINSA_10device_ptrItEEEEPS6_PKS6_NS0_5tupleIJNSA_16discard_iteratorINSA_11use_defaultEEES6_EEENSJ_IJSG_SG_EEENS0_18inequality_wrapperINSA_8equal_toItEEEEPmJS6_EEE10hipError_tPvRmT3_T4_T5_T6_T7_T9_mT8_P12ihipStream_tbDpT10_ENKUlT_T0_E_clISt17integral_constantIbLb0EES1D_EEDaS18_S19_EUlS18_E_NS1_11comp_targetILNS1_3genE2ELNS1_11target_archE906ELNS1_3gpuE6ELNS1_3repE0EEENS1_30default_config_static_selectorELNS0_4arch9wavefront6targetE1EEEvT1_.has_recursion, 0
	.set _ZN7rocprim17ROCPRIM_400000_NS6detail17trampoline_kernelINS0_14default_configENS1_25partition_config_selectorILNS1_17partition_subalgoE8EtNS0_10empty_typeEbEEZZNS1_14partition_implILS5_8ELb0ES3_jN6thrust23THRUST_200600_302600_NS6detail15normal_iteratorINSA_10device_ptrItEEEEPS6_PKS6_NS0_5tupleIJNSA_16discard_iteratorINSA_11use_defaultEEES6_EEENSJ_IJSG_SG_EEENS0_18inequality_wrapperINSA_8equal_toItEEEEPmJS6_EEE10hipError_tPvRmT3_T4_T5_T6_T7_T9_mT8_P12ihipStream_tbDpT10_ENKUlT_T0_E_clISt17integral_constantIbLb0EES1D_EEDaS18_S19_EUlS18_E_NS1_11comp_targetILNS1_3genE2ELNS1_11target_archE906ELNS1_3gpuE6ELNS1_3repE0EEENS1_30default_config_static_selectorELNS0_4arch9wavefront6targetE1EEEvT1_.has_indirect_call, 0
	.section	.AMDGPU.csdata,"",@progbits
; Kernel info:
; codeLenInByte = 6844
; TotalNumSgprs: 62
; NumVgprs: 81
; ScratchSize: 0
; MemoryBound: 0
; FloatMode: 240
; IeeeMode: 1
; LDSByteSize: 6920 bytes/workgroup (compile time only)
; SGPRBlocks: 10
; VGPRBlocks: 20
; NumSGPRsForWavesPerEU: 81
; NumVGPRsForWavesPerEU: 81
; Occupancy: 3
; WaveLimiterHint : 1
; COMPUTE_PGM_RSRC2:SCRATCH_EN: 0
; COMPUTE_PGM_RSRC2:USER_SGPR: 6
; COMPUTE_PGM_RSRC2:TRAP_HANDLER: 0
; COMPUTE_PGM_RSRC2:TGID_X_EN: 1
; COMPUTE_PGM_RSRC2:TGID_Y_EN: 0
; COMPUTE_PGM_RSRC2:TGID_Z_EN: 0
; COMPUTE_PGM_RSRC2:TIDIG_COMP_CNT: 0
	.section	.text._ZN7rocprim17ROCPRIM_400000_NS6detail17trampoline_kernelINS0_14default_configENS1_25partition_config_selectorILNS1_17partition_subalgoE8EtNS0_10empty_typeEbEEZZNS1_14partition_implILS5_8ELb0ES3_jN6thrust23THRUST_200600_302600_NS6detail15normal_iteratorINSA_10device_ptrItEEEEPS6_PKS6_NS0_5tupleIJNSA_16discard_iteratorINSA_11use_defaultEEES6_EEENSJ_IJSG_SG_EEENS0_18inequality_wrapperINSA_8equal_toItEEEEPmJS6_EEE10hipError_tPvRmT3_T4_T5_T6_T7_T9_mT8_P12ihipStream_tbDpT10_ENKUlT_T0_E_clISt17integral_constantIbLb0EES1D_EEDaS18_S19_EUlS18_E_NS1_11comp_targetILNS1_3genE10ELNS1_11target_archE1200ELNS1_3gpuE4ELNS1_3repE0EEENS1_30default_config_static_selectorELNS0_4arch9wavefront6targetE1EEEvT1_,"axG",@progbits,_ZN7rocprim17ROCPRIM_400000_NS6detail17trampoline_kernelINS0_14default_configENS1_25partition_config_selectorILNS1_17partition_subalgoE8EtNS0_10empty_typeEbEEZZNS1_14partition_implILS5_8ELb0ES3_jN6thrust23THRUST_200600_302600_NS6detail15normal_iteratorINSA_10device_ptrItEEEEPS6_PKS6_NS0_5tupleIJNSA_16discard_iteratorINSA_11use_defaultEEES6_EEENSJ_IJSG_SG_EEENS0_18inequality_wrapperINSA_8equal_toItEEEEPmJS6_EEE10hipError_tPvRmT3_T4_T5_T6_T7_T9_mT8_P12ihipStream_tbDpT10_ENKUlT_T0_E_clISt17integral_constantIbLb0EES1D_EEDaS18_S19_EUlS18_E_NS1_11comp_targetILNS1_3genE10ELNS1_11target_archE1200ELNS1_3gpuE4ELNS1_3repE0EEENS1_30default_config_static_selectorELNS0_4arch9wavefront6targetE1EEEvT1_,comdat
	.protected	_ZN7rocprim17ROCPRIM_400000_NS6detail17trampoline_kernelINS0_14default_configENS1_25partition_config_selectorILNS1_17partition_subalgoE8EtNS0_10empty_typeEbEEZZNS1_14partition_implILS5_8ELb0ES3_jN6thrust23THRUST_200600_302600_NS6detail15normal_iteratorINSA_10device_ptrItEEEEPS6_PKS6_NS0_5tupleIJNSA_16discard_iteratorINSA_11use_defaultEEES6_EEENSJ_IJSG_SG_EEENS0_18inequality_wrapperINSA_8equal_toItEEEEPmJS6_EEE10hipError_tPvRmT3_T4_T5_T6_T7_T9_mT8_P12ihipStream_tbDpT10_ENKUlT_T0_E_clISt17integral_constantIbLb0EES1D_EEDaS18_S19_EUlS18_E_NS1_11comp_targetILNS1_3genE10ELNS1_11target_archE1200ELNS1_3gpuE4ELNS1_3repE0EEENS1_30default_config_static_selectorELNS0_4arch9wavefront6targetE1EEEvT1_ ; -- Begin function _ZN7rocprim17ROCPRIM_400000_NS6detail17trampoline_kernelINS0_14default_configENS1_25partition_config_selectorILNS1_17partition_subalgoE8EtNS0_10empty_typeEbEEZZNS1_14partition_implILS5_8ELb0ES3_jN6thrust23THRUST_200600_302600_NS6detail15normal_iteratorINSA_10device_ptrItEEEEPS6_PKS6_NS0_5tupleIJNSA_16discard_iteratorINSA_11use_defaultEEES6_EEENSJ_IJSG_SG_EEENS0_18inequality_wrapperINSA_8equal_toItEEEEPmJS6_EEE10hipError_tPvRmT3_T4_T5_T6_T7_T9_mT8_P12ihipStream_tbDpT10_ENKUlT_T0_E_clISt17integral_constantIbLb0EES1D_EEDaS18_S19_EUlS18_E_NS1_11comp_targetILNS1_3genE10ELNS1_11target_archE1200ELNS1_3gpuE4ELNS1_3repE0EEENS1_30default_config_static_selectorELNS0_4arch9wavefront6targetE1EEEvT1_
	.globl	_ZN7rocprim17ROCPRIM_400000_NS6detail17trampoline_kernelINS0_14default_configENS1_25partition_config_selectorILNS1_17partition_subalgoE8EtNS0_10empty_typeEbEEZZNS1_14partition_implILS5_8ELb0ES3_jN6thrust23THRUST_200600_302600_NS6detail15normal_iteratorINSA_10device_ptrItEEEEPS6_PKS6_NS0_5tupleIJNSA_16discard_iteratorINSA_11use_defaultEEES6_EEENSJ_IJSG_SG_EEENS0_18inequality_wrapperINSA_8equal_toItEEEEPmJS6_EEE10hipError_tPvRmT3_T4_T5_T6_T7_T9_mT8_P12ihipStream_tbDpT10_ENKUlT_T0_E_clISt17integral_constantIbLb0EES1D_EEDaS18_S19_EUlS18_E_NS1_11comp_targetILNS1_3genE10ELNS1_11target_archE1200ELNS1_3gpuE4ELNS1_3repE0EEENS1_30default_config_static_selectorELNS0_4arch9wavefront6targetE1EEEvT1_
	.p2align	8
	.type	_ZN7rocprim17ROCPRIM_400000_NS6detail17trampoline_kernelINS0_14default_configENS1_25partition_config_selectorILNS1_17partition_subalgoE8EtNS0_10empty_typeEbEEZZNS1_14partition_implILS5_8ELb0ES3_jN6thrust23THRUST_200600_302600_NS6detail15normal_iteratorINSA_10device_ptrItEEEEPS6_PKS6_NS0_5tupleIJNSA_16discard_iteratorINSA_11use_defaultEEES6_EEENSJ_IJSG_SG_EEENS0_18inequality_wrapperINSA_8equal_toItEEEEPmJS6_EEE10hipError_tPvRmT3_T4_T5_T6_T7_T9_mT8_P12ihipStream_tbDpT10_ENKUlT_T0_E_clISt17integral_constantIbLb0EES1D_EEDaS18_S19_EUlS18_E_NS1_11comp_targetILNS1_3genE10ELNS1_11target_archE1200ELNS1_3gpuE4ELNS1_3repE0EEENS1_30default_config_static_selectorELNS0_4arch9wavefront6targetE1EEEvT1_,@function
_ZN7rocprim17ROCPRIM_400000_NS6detail17trampoline_kernelINS0_14default_configENS1_25partition_config_selectorILNS1_17partition_subalgoE8EtNS0_10empty_typeEbEEZZNS1_14partition_implILS5_8ELb0ES3_jN6thrust23THRUST_200600_302600_NS6detail15normal_iteratorINSA_10device_ptrItEEEEPS6_PKS6_NS0_5tupleIJNSA_16discard_iteratorINSA_11use_defaultEEES6_EEENSJ_IJSG_SG_EEENS0_18inequality_wrapperINSA_8equal_toItEEEEPmJS6_EEE10hipError_tPvRmT3_T4_T5_T6_T7_T9_mT8_P12ihipStream_tbDpT10_ENKUlT_T0_E_clISt17integral_constantIbLb0EES1D_EEDaS18_S19_EUlS18_E_NS1_11comp_targetILNS1_3genE10ELNS1_11target_archE1200ELNS1_3gpuE4ELNS1_3repE0EEENS1_30default_config_static_selectorELNS0_4arch9wavefront6targetE1EEEvT1_: ; @_ZN7rocprim17ROCPRIM_400000_NS6detail17trampoline_kernelINS0_14default_configENS1_25partition_config_selectorILNS1_17partition_subalgoE8EtNS0_10empty_typeEbEEZZNS1_14partition_implILS5_8ELb0ES3_jN6thrust23THRUST_200600_302600_NS6detail15normal_iteratorINSA_10device_ptrItEEEEPS6_PKS6_NS0_5tupleIJNSA_16discard_iteratorINSA_11use_defaultEEES6_EEENSJ_IJSG_SG_EEENS0_18inequality_wrapperINSA_8equal_toItEEEEPmJS6_EEE10hipError_tPvRmT3_T4_T5_T6_T7_T9_mT8_P12ihipStream_tbDpT10_ENKUlT_T0_E_clISt17integral_constantIbLb0EES1D_EEDaS18_S19_EUlS18_E_NS1_11comp_targetILNS1_3genE10ELNS1_11target_archE1200ELNS1_3gpuE4ELNS1_3repE0EEENS1_30default_config_static_selectorELNS0_4arch9wavefront6targetE1EEEvT1_
; %bb.0:
	.section	.rodata,"a",@progbits
	.p2align	6, 0x0
	.amdhsa_kernel _ZN7rocprim17ROCPRIM_400000_NS6detail17trampoline_kernelINS0_14default_configENS1_25partition_config_selectorILNS1_17partition_subalgoE8EtNS0_10empty_typeEbEEZZNS1_14partition_implILS5_8ELb0ES3_jN6thrust23THRUST_200600_302600_NS6detail15normal_iteratorINSA_10device_ptrItEEEEPS6_PKS6_NS0_5tupleIJNSA_16discard_iteratorINSA_11use_defaultEEES6_EEENSJ_IJSG_SG_EEENS0_18inequality_wrapperINSA_8equal_toItEEEEPmJS6_EEE10hipError_tPvRmT3_T4_T5_T6_T7_T9_mT8_P12ihipStream_tbDpT10_ENKUlT_T0_E_clISt17integral_constantIbLb0EES1D_EEDaS18_S19_EUlS18_E_NS1_11comp_targetILNS1_3genE10ELNS1_11target_archE1200ELNS1_3gpuE4ELNS1_3repE0EEENS1_30default_config_static_selectorELNS0_4arch9wavefront6targetE1EEEvT1_
		.amdhsa_group_segment_fixed_size 0
		.amdhsa_private_segment_fixed_size 0
		.amdhsa_kernarg_size 120
		.amdhsa_user_sgpr_count 6
		.amdhsa_user_sgpr_private_segment_buffer 1
		.amdhsa_user_sgpr_dispatch_ptr 0
		.amdhsa_user_sgpr_queue_ptr 0
		.amdhsa_user_sgpr_kernarg_segment_ptr 1
		.amdhsa_user_sgpr_dispatch_id 0
		.amdhsa_user_sgpr_flat_scratch_init 0
		.amdhsa_user_sgpr_private_segment_size 0
		.amdhsa_uses_dynamic_stack 0
		.amdhsa_system_sgpr_private_segment_wavefront_offset 0
		.amdhsa_system_sgpr_workgroup_id_x 1
		.amdhsa_system_sgpr_workgroup_id_y 0
		.amdhsa_system_sgpr_workgroup_id_z 0
		.amdhsa_system_sgpr_workgroup_info 0
		.amdhsa_system_vgpr_workitem_id 0
		.amdhsa_next_free_vgpr 1
		.amdhsa_next_free_sgpr 0
		.amdhsa_reserve_vcc 0
		.amdhsa_reserve_flat_scratch 0
		.amdhsa_float_round_mode_32 0
		.amdhsa_float_round_mode_16_64 0
		.amdhsa_float_denorm_mode_32 3
		.amdhsa_float_denorm_mode_16_64 3
		.amdhsa_dx10_clamp 1
		.amdhsa_ieee_mode 1
		.amdhsa_fp16_overflow 0
		.amdhsa_exception_fp_ieee_invalid_op 0
		.amdhsa_exception_fp_denorm_src 0
		.amdhsa_exception_fp_ieee_div_zero 0
		.amdhsa_exception_fp_ieee_overflow 0
		.amdhsa_exception_fp_ieee_underflow 0
		.amdhsa_exception_fp_ieee_inexact 0
		.amdhsa_exception_int_div_zero 0
	.end_amdhsa_kernel
	.section	.text._ZN7rocprim17ROCPRIM_400000_NS6detail17trampoline_kernelINS0_14default_configENS1_25partition_config_selectorILNS1_17partition_subalgoE8EtNS0_10empty_typeEbEEZZNS1_14partition_implILS5_8ELb0ES3_jN6thrust23THRUST_200600_302600_NS6detail15normal_iteratorINSA_10device_ptrItEEEEPS6_PKS6_NS0_5tupleIJNSA_16discard_iteratorINSA_11use_defaultEEES6_EEENSJ_IJSG_SG_EEENS0_18inequality_wrapperINSA_8equal_toItEEEEPmJS6_EEE10hipError_tPvRmT3_T4_T5_T6_T7_T9_mT8_P12ihipStream_tbDpT10_ENKUlT_T0_E_clISt17integral_constantIbLb0EES1D_EEDaS18_S19_EUlS18_E_NS1_11comp_targetILNS1_3genE10ELNS1_11target_archE1200ELNS1_3gpuE4ELNS1_3repE0EEENS1_30default_config_static_selectorELNS0_4arch9wavefront6targetE1EEEvT1_,"axG",@progbits,_ZN7rocprim17ROCPRIM_400000_NS6detail17trampoline_kernelINS0_14default_configENS1_25partition_config_selectorILNS1_17partition_subalgoE8EtNS0_10empty_typeEbEEZZNS1_14partition_implILS5_8ELb0ES3_jN6thrust23THRUST_200600_302600_NS6detail15normal_iteratorINSA_10device_ptrItEEEEPS6_PKS6_NS0_5tupleIJNSA_16discard_iteratorINSA_11use_defaultEEES6_EEENSJ_IJSG_SG_EEENS0_18inequality_wrapperINSA_8equal_toItEEEEPmJS6_EEE10hipError_tPvRmT3_T4_T5_T6_T7_T9_mT8_P12ihipStream_tbDpT10_ENKUlT_T0_E_clISt17integral_constantIbLb0EES1D_EEDaS18_S19_EUlS18_E_NS1_11comp_targetILNS1_3genE10ELNS1_11target_archE1200ELNS1_3gpuE4ELNS1_3repE0EEENS1_30default_config_static_selectorELNS0_4arch9wavefront6targetE1EEEvT1_,comdat
.Lfunc_end602:
	.size	_ZN7rocprim17ROCPRIM_400000_NS6detail17trampoline_kernelINS0_14default_configENS1_25partition_config_selectorILNS1_17partition_subalgoE8EtNS0_10empty_typeEbEEZZNS1_14partition_implILS5_8ELb0ES3_jN6thrust23THRUST_200600_302600_NS6detail15normal_iteratorINSA_10device_ptrItEEEEPS6_PKS6_NS0_5tupleIJNSA_16discard_iteratorINSA_11use_defaultEEES6_EEENSJ_IJSG_SG_EEENS0_18inequality_wrapperINSA_8equal_toItEEEEPmJS6_EEE10hipError_tPvRmT3_T4_T5_T6_T7_T9_mT8_P12ihipStream_tbDpT10_ENKUlT_T0_E_clISt17integral_constantIbLb0EES1D_EEDaS18_S19_EUlS18_E_NS1_11comp_targetILNS1_3genE10ELNS1_11target_archE1200ELNS1_3gpuE4ELNS1_3repE0EEENS1_30default_config_static_selectorELNS0_4arch9wavefront6targetE1EEEvT1_, .Lfunc_end602-_ZN7rocprim17ROCPRIM_400000_NS6detail17trampoline_kernelINS0_14default_configENS1_25partition_config_selectorILNS1_17partition_subalgoE8EtNS0_10empty_typeEbEEZZNS1_14partition_implILS5_8ELb0ES3_jN6thrust23THRUST_200600_302600_NS6detail15normal_iteratorINSA_10device_ptrItEEEEPS6_PKS6_NS0_5tupleIJNSA_16discard_iteratorINSA_11use_defaultEEES6_EEENSJ_IJSG_SG_EEENS0_18inequality_wrapperINSA_8equal_toItEEEEPmJS6_EEE10hipError_tPvRmT3_T4_T5_T6_T7_T9_mT8_P12ihipStream_tbDpT10_ENKUlT_T0_E_clISt17integral_constantIbLb0EES1D_EEDaS18_S19_EUlS18_E_NS1_11comp_targetILNS1_3genE10ELNS1_11target_archE1200ELNS1_3gpuE4ELNS1_3repE0EEENS1_30default_config_static_selectorELNS0_4arch9wavefront6targetE1EEEvT1_
                                        ; -- End function
	.set _ZN7rocprim17ROCPRIM_400000_NS6detail17trampoline_kernelINS0_14default_configENS1_25partition_config_selectorILNS1_17partition_subalgoE8EtNS0_10empty_typeEbEEZZNS1_14partition_implILS5_8ELb0ES3_jN6thrust23THRUST_200600_302600_NS6detail15normal_iteratorINSA_10device_ptrItEEEEPS6_PKS6_NS0_5tupleIJNSA_16discard_iteratorINSA_11use_defaultEEES6_EEENSJ_IJSG_SG_EEENS0_18inequality_wrapperINSA_8equal_toItEEEEPmJS6_EEE10hipError_tPvRmT3_T4_T5_T6_T7_T9_mT8_P12ihipStream_tbDpT10_ENKUlT_T0_E_clISt17integral_constantIbLb0EES1D_EEDaS18_S19_EUlS18_E_NS1_11comp_targetILNS1_3genE10ELNS1_11target_archE1200ELNS1_3gpuE4ELNS1_3repE0EEENS1_30default_config_static_selectorELNS0_4arch9wavefront6targetE1EEEvT1_.num_vgpr, 0
	.set _ZN7rocprim17ROCPRIM_400000_NS6detail17trampoline_kernelINS0_14default_configENS1_25partition_config_selectorILNS1_17partition_subalgoE8EtNS0_10empty_typeEbEEZZNS1_14partition_implILS5_8ELb0ES3_jN6thrust23THRUST_200600_302600_NS6detail15normal_iteratorINSA_10device_ptrItEEEEPS6_PKS6_NS0_5tupleIJNSA_16discard_iteratorINSA_11use_defaultEEES6_EEENSJ_IJSG_SG_EEENS0_18inequality_wrapperINSA_8equal_toItEEEEPmJS6_EEE10hipError_tPvRmT3_T4_T5_T6_T7_T9_mT8_P12ihipStream_tbDpT10_ENKUlT_T0_E_clISt17integral_constantIbLb0EES1D_EEDaS18_S19_EUlS18_E_NS1_11comp_targetILNS1_3genE10ELNS1_11target_archE1200ELNS1_3gpuE4ELNS1_3repE0EEENS1_30default_config_static_selectorELNS0_4arch9wavefront6targetE1EEEvT1_.num_agpr, 0
	.set _ZN7rocprim17ROCPRIM_400000_NS6detail17trampoline_kernelINS0_14default_configENS1_25partition_config_selectorILNS1_17partition_subalgoE8EtNS0_10empty_typeEbEEZZNS1_14partition_implILS5_8ELb0ES3_jN6thrust23THRUST_200600_302600_NS6detail15normal_iteratorINSA_10device_ptrItEEEEPS6_PKS6_NS0_5tupleIJNSA_16discard_iteratorINSA_11use_defaultEEES6_EEENSJ_IJSG_SG_EEENS0_18inequality_wrapperINSA_8equal_toItEEEEPmJS6_EEE10hipError_tPvRmT3_T4_T5_T6_T7_T9_mT8_P12ihipStream_tbDpT10_ENKUlT_T0_E_clISt17integral_constantIbLb0EES1D_EEDaS18_S19_EUlS18_E_NS1_11comp_targetILNS1_3genE10ELNS1_11target_archE1200ELNS1_3gpuE4ELNS1_3repE0EEENS1_30default_config_static_selectorELNS0_4arch9wavefront6targetE1EEEvT1_.numbered_sgpr, 0
	.set _ZN7rocprim17ROCPRIM_400000_NS6detail17trampoline_kernelINS0_14default_configENS1_25partition_config_selectorILNS1_17partition_subalgoE8EtNS0_10empty_typeEbEEZZNS1_14partition_implILS5_8ELb0ES3_jN6thrust23THRUST_200600_302600_NS6detail15normal_iteratorINSA_10device_ptrItEEEEPS6_PKS6_NS0_5tupleIJNSA_16discard_iteratorINSA_11use_defaultEEES6_EEENSJ_IJSG_SG_EEENS0_18inequality_wrapperINSA_8equal_toItEEEEPmJS6_EEE10hipError_tPvRmT3_T4_T5_T6_T7_T9_mT8_P12ihipStream_tbDpT10_ENKUlT_T0_E_clISt17integral_constantIbLb0EES1D_EEDaS18_S19_EUlS18_E_NS1_11comp_targetILNS1_3genE10ELNS1_11target_archE1200ELNS1_3gpuE4ELNS1_3repE0EEENS1_30default_config_static_selectorELNS0_4arch9wavefront6targetE1EEEvT1_.num_named_barrier, 0
	.set _ZN7rocprim17ROCPRIM_400000_NS6detail17trampoline_kernelINS0_14default_configENS1_25partition_config_selectorILNS1_17partition_subalgoE8EtNS0_10empty_typeEbEEZZNS1_14partition_implILS5_8ELb0ES3_jN6thrust23THRUST_200600_302600_NS6detail15normal_iteratorINSA_10device_ptrItEEEEPS6_PKS6_NS0_5tupleIJNSA_16discard_iteratorINSA_11use_defaultEEES6_EEENSJ_IJSG_SG_EEENS0_18inequality_wrapperINSA_8equal_toItEEEEPmJS6_EEE10hipError_tPvRmT3_T4_T5_T6_T7_T9_mT8_P12ihipStream_tbDpT10_ENKUlT_T0_E_clISt17integral_constantIbLb0EES1D_EEDaS18_S19_EUlS18_E_NS1_11comp_targetILNS1_3genE10ELNS1_11target_archE1200ELNS1_3gpuE4ELNS1_3repE0EEENS1_30default_config_static_selectorELNS0_4arch9wavefront6targetE1EEEvT1_.private_seg_size, 0
	.set _ZN7rocprim17ROCPRIM_400000_NS6detail17trampoline_kernelINS0_14default_configENS1_25partition_config_selectorILNS1_17partition_subalgoE8EtNS0_10empty_typeEbEEZZNS1_14partition_implILS5_8ELb0ES3_jN6thrust23THRUST_200600_302600_NS6detail15normal_iteratorINSA_10device_ptrItEEEEPS6_PKS6_NS0_5tupleIJNSA_16discard_iteratorINSA_11use_defaultEEES6_EEENSJ_IJSG_SG_EEENS0_18inequality_wrapperINSA_8equal_toItEEEEPmJS6_EEE10hipError_tPvRmT3_T4_T5_T6_T7_T9_mT8_P12ihipStream_tbDpT10_ENKUlT_T0_E_clISt17integral_constantIbLb0EES1D_EEDaS18_S19_EUlS18_E_NS1_11comp_targetILNS1_3genE10ELNS1_11target_archE1200ELNS1_3gpuE4ELNS1_3repE0EEENS1_30default_config_static_selectorELNS0_4arch9wavefront6targetE1EEEvT1_.uses_vcc, 0
	.set _ZN7rocprim17ROCPRIM_400000_NS6detail17trampoline_kernelINS0_14default_configENS1_25partition_config_selectorILNS1_17partition_subalgoE8EtNS0_10empty_typeEbEEZZNS1_14partition_implILS5_8ELb0ES3_jN6thrust23THRUST_200600_302600_NS6detail15normal_iteratorINSA_10device_ptrItEEEEPS6_PKS6_NS0_5tupleIJNSA_16discard_iteratorINSA_11use_defaultEEES6_EEENSJ_IJSG_SG_EEENS0_18inequality_wrapperINSA_8equal_toItEEEEPmJS6_EEE10hipError_tPvRmT3_T4_T5_T6_T7_T9_mT8_P12ihipStream_tbDpT10_ENKUlT_T0_E_clISt17integral_constantIbLb0EES1D_EEDaS18_S19_EUlS18_E_NS1_11comp_targetILNS1_3genE10ELNS1_11target_archE1200ELNS1_3gpuE4ELNS1_3repE0EEENS1_30default_config_static_selectorELNS0_4arch9wavefront6targetE1EEEvT1_.uses_flat_scratch, 0
	.set _ZN7rocprim17ROCPRIM_400000_NS6detail17trampoline_kernelINS0_14default_configENS1_25partition_config_selectorILNS1_17partition_subalgoE8EtNS0_10empty_typeEbEEZZNS1_14partition_implILS5_8ELb0ES3_jN6thrust23THRUST_200600_302600_NS6detail15normal_iteratorINSA_10device_ptrItEEEEPS6_PKS6_NS0_5tupleIJNSA_16discard_iteratorINSA_11use_defaultEEES6_EEENSJ_IJSG_SG_EEENS0_18inequality_wrapperINSA_8equal_toItEEEEPmJS6_EEE10hipError_tPvRmT3_T4_T5_T6_T7_T9_mT8_P12ihipStream_tbDpT10_ENKUlT_T0_E_clISt17integral_constantIbLb0EES1D_EEDaS18_S19_EUlS18_E_NS1_11comp_targetILNS1_3genE10ELNS1_11target_archE1200ELNS1_3gpuE4ELNS1_3repE0EEENS1_30default_config_static_selectorELNS0_4arch9wavefront6targetE1EEEvT1_.has_dyn_sized_stack, 0
	.set _ZN7rocprim17ROCPRIM_400000_NS6detail17trampoline_kernelINS0_14default_configENS1_25partition_config_selectorILNS1_17partition_subalgoE8EtNS0_10empty_typeEbEEZZNS1_14partition_implILS5_8ELb0ES3_jN6thrust23THRUST_200600_302600_NS6detail15normal_iteratorINSA_10device_ptrItEEEEPS6_PKS6_NS0_5tupleIJNSA_16discard_iteratorINSA_11use_defaultEEES6_EEENSJ_IJSG_SG_EEENS0_18inequality_wrapperINSA_8equal_toItEEEEPmJS6_EEE10hipError_tPvRmT3_T4_T5_T6_T7_T9_mT8_P12ihipStream_tbDpT10_ENKUlT_T0_E_clISt17integral_constantIbLb0EES1D_EEDaS18_S19_EUlS18_E_NS1_11comp_targetILNS1_3genE10ELNS1_11target_archE1200ELNS1_3gpuE4ELNS1_3repE0EEENS1_30default_config_static_selectorELNS0_4arch9wavefront6targetE1EEEvT1_.has_recursion, 0
	.set _ZN7rocprim17ROCPRIM_400000_NS6detail17trampoline_kernelINS0_14default_configENS1_25partition_config_selectorILNS1_17partition_subalgoE8EtNS0_10empty_typeEbEEZZNS1_14partition_implILS5_8ELb0ES3_jN6thrust23THRUST_200600_302600_NS6detail15normal_iteratorINSA_10device_ptrItEEEEPS6_PKS6_NS0_5tupleIJNSA_16discard_iteratorINSA_11use_defaultEEES6_EEENSJ_IJSG_SG_EEENS0_18inequality_wrapperINSA_8equal_toItEEEEPmJS6_EEE10hipError_tPvRmT3_T4_T5_T6_T7_T9_mT8_P12ihipStream_tbDpT10_ENKUlT_T0_E_clISt17integral_constantIbLb0EES1D_EEDaS18_S19_EUlS18_E_NS1_11comp_targetILNS1_3genE10ELNS1_11target_archE1200ELNS1_3gpuE4ELNS1_3repE0EEENS1_30default_config_static_selectorELNS0_4arch9wavefront6targetE1EEEvT1_.has_indirect_call, 0
	.section	.AMDGPU.csdata,"",@progbits
; Kernel info:
; codeLenInByte = 0
; TotalNumSgprs: 4
; NumVgprs: 0
; ScratchSize: 0
; MemoryBound: 0
; FloatMode: 240
; IeeeMode: 1
; LDSByteSize: 0 bytes/workgroup (compile time only)
; SGPRBlocks: 0
; VGPRBlocks: 0
; NumSGPRsForWavesPerEU: 4
; NumVGPRsForWavesPerEU: 1
; Occupancy: 10
; WaveLimiterHint : 0
; COMPUTE_PGM_RSRC2:SCRATCH_EN: 0
; COMPUTE_PGM_RSRC2:USER_SGPR: 6
; COMPUTE_PGM_RSRC2:TRAP_HANDLER: 0
; COMPUTE_PGM_RSRC2:TGID_X_EN: 1
; COMPUTE_PGM_RSRC2:TGID_Y_EN: 0
; COMPUTE_PGM_RSRC2:TGID_Z_EN: 0
; COMPUTE_PGM_RSRC2:TIDIG_COMP_CNT: 0
	.section	.text._ZN7rocprim17ROCPRIM_400000_NS6detail17trampoline_kernelINS0_14default_configENS1_25partition_config_selectorILNS1_17partition_subalgoE8EtNS0_10empty_typeEbEEZZNS1_14partition_implILS5_8ELb0ES3_jN6thrust23THRUST_200600_302600_NS6detail15normal_iteratorINSA_10device_ptrItEEEEPS6_PKS6_NS0_5tupleIJNSA_16discard_iteratorINSA_11use_defaultEEES6_EEENSJ_IJSG_SG_EEENS0_18inequality_wrapperINSA_8equal_toItEEEEPmJS6_EEE10hipError_tPvRmT3_T4_T5_T6_T7_T9_mT8_P12ihipStream_tbDpT10_ENKUlT_T0_E_clISt17integral_constantIbLb0EES1D_EEDaS18_S19_EUlS18_E_NS1_11comp_targetILNS1_3genE9ELNS1_11target_archE1100ELNS1_3gpuE3ELNS1_3repE0EEENS1_30default_config_static_selectorELNS0_4arch9wavefront6targetE1EEEvT1_,"axG",@progbits,_ZN7rocprim17ROCPRIM_400000_NS6detail17trampoline_kernelINS0_14default_configENS1_25partition_config_selectorILNS1_17partition_subalgoE8EtNS0_10empty_typeEbEEZZNS1_14partition_implILS5_8ELb0ES3_jN6thrust23THRUST_200600_302600_NS6detail15normal_iteratorINSA_10device_ptrItEEEEPS6_PKS6_NS0_5tupleIJNSA_16discard_iteratorINSA_11use_defaultEEES6_EEENSJ_IJSG_SG_EEENS0_18inequality_wrapperINSA_8equal_toItEEEEPmJS6_EEE10hipError_tPvRmT3_T4_T5_T6_T7_T9_mT8_P12ihipStream_tbDpT10_ENKUlT_T0_E_clISt17integral_constantIbLb0EES1D_EEDaS18_S19_EUlS18_E_NS1_11comp_targetILNS1_3genE9ELNS1_11target_archE1100ELNS1_3gpuE3ELNS1_3repE0EEENS1_30default_config_static_selectorELNS0_4arch9wavefront6targetE1EEEvT1_,comdat
	.protected	_ZN7rocprim17ROCPRIM_400000_NS6detail17trampoline_kernelINS0_14default_configENS1_25partition_config_selectorILNS1_17partition_subalgoE8EtNS0_10empty_typeEbEEZZNS1_14partition_implILS5_8ELb0ES3_jN6thrust23THRUST_200600_302600_NS6detail15normal_iteratorINSA_10device_ptrItEEEEPS6_PKS6_NS0_5tupleIJNSA_16discard_iteratorINSA_11use_defaultEEES6_EEENSJ_IJSG_SG_EEENS0_18inequality_wrapperINSA_8equal_toItEEEEPmJS6_EEE10hipError_tPvRmT3_T4_T5_T6_T7_T9_mT8_P12ihipStream_tbDpT10_ENKUlT_T0_E_clISt17integral_constantIbLb0EES1D_EEDaS18_S19_EUlS18_E_NS1_11comp_targetILNS1_3genE9ELNS1_11target_archE1100ELNS1_3gpuE3ELNS1_3repE0EEENS1_30default_config_static_selectorELNS0_4arch9wavefront6targetE1EEEvT1_ ; -- Begin function _ZN7rocprim17ROCPRIM_400000_NS6detail17trampoline_kernelINS0_14default_configENS1_25partition_config_selectorILNS1_17partition_subalgoE8EtNS0_10empty_typeEbEEZZNS1_14partition_implILS5_8ELb0ES3_jN6thrust23THRUST_200600_302600_NS6detail15normal_iteratorINSA_10device_ptrItEEEEPS6_PKS6_NS0_5tupleIJNSA_16discard_iteratorINSA_11use_defaultEEES6_EEENSJ_IJSG_SG_EEENS0_18inequality_wrapperINSA_8equal_toItEEEEPmJS6_EEE10hipError_tPvRmT3_T4_T5_T6_T7_T9_mT8_P12ihipStream_tbDpT10_ENKUlT_T0_E_clISt17integral_constantIbLb0EES1D_EEDaS18_S19_EUlS18_E_NS1_11comp_targetILNS1_3genE9ELNS1_11target_archE1100ELNS1_3gpuE3ELNS1_3repE0EEENS1_30default_config_static_selectorELNS0_4arch9wavefront6targetE1EEEvT1_
	.globl	_ZN7rocprim17ROCPRIM_400000_NS6detail17trampoline_kernelINS0_14default_configENS1_25partition_config_selectorILNS1_17partition_subalgoE8EtNS0_10empty_typeEbEEZZNS1_14partition_implILS5_8ELb0ES3_jN6thrust23THRUST_200600_302600_NS6detail15normal_iteratorINSA_10device_ptrItEEEEPS6_PKS6_NS0_5tupleIJNSA_16discard_iteratorINSA_11use_defaultEEES6_EEENSJ_IJSG_SG_EEENS0_18inequality_wrapperINSA_8equal_toItEEEEPmJS6_EEE10hipError_tPvRmT3_T4_T5_T6_T7_T9_mT8_P12ihipStream_tbDpT10_ENKUlT_T0_E_clISt17integral_constantIbLb0EES1D_EEDaS18_S19_EUlS18_E_NS1_11comp_targetILNS1_3genE9ELNS1_11target_archE1100ELNS1_3gpuE3ELNS1_3repE0EEENS1_30default_config_static_selectorELNS0_4arch9wavefront6targetE1EEEvT1_
	.p2align	8
	.type	_ZN7rocprim17ROCPRIM_400000_NS6detail17trampoline_kernelINS0_14default_configENS1_25partition_config_selectorILNS1_17partition_subalgoE8EtNS0_10empty_typeEbEEZZNS1_14partition_implILS5_8ELb0ES3_jN6thrust23THRUST_200600_302600_NS6detail15normal_iteratorINSA_10device_ptrItEEEEPS6_PKS6_NS0_5tupleIJNSA_16discard_iteratorINSA_11use_defaultEEES6_EEENSJ_IJSG_SG_EEENS0_18inequality_wrapperINSA_8equal_toItEEEEPmJS6_EEE10hipError_tPvRmT3_T4_T5_T6_T7_T9_mT8_P12ihipStream_tbDpT10_ENKUlT_T0_E_clISt17integral_constantIbLb0EES1D_EEDaS18_S19_EUlS18_E_NS1_11comp_targetILNS1_3genE9ELNS1_11target_archE1100ELNS1_3gpuE3ELNS1_3repE0EEENS1_30default_config_static_selectorELNS0_4arch9wavefront6targetE1EEEvT1_,@function
_ZN7rocprim17ROCPRIM_400000_NS6detail17trampoline_kernelINS0_14default_configENS1_25partition_config_selectorILNS1_17partition_subalgoE8EtNS0_10empty_typeEbEEZZNS1_14partition_implILS5_8ELb0ES3_jN6thrust23THRUST_200600_302600_NS6detail15normal_iteratorINSA_10device_ptrItEEEEPS6_PKS6_NS0_5tupleIJNSA_16discard_iteratorINSA_11use_defaultEEES6_EEENSJ_IJSG_SG_EEENS0_18inequality_wrapperINSA_8equal_toItEEEEPmJS6_EEE10hipError_tPvRmT3_T4_T5_T6_T7_T9_mT8_P12ihipStream_tbDpT10_ENKUlT_T0_E_clISt17integral_constantIbLb0EES1D_EEDaS18_S19_EUlS18_E_NS1_11comp_targetILNS1_3genE9ELNS1_11target_archE1100ELNS1_3gpuE3ELNS1_3repE0EEENS1_30default_config_static_selectorELNS0_4arch9wavefront6targetE1EEEvT1_: ; @_ZN7rocprim17ROCPRIM_400000_NS6detail17trampoline_kernelINS0_14default_configENS1_25partition_config_selectorILNS1_17partition_subalgoE8EtNS0_10empty_typeEbEEZZNS1_14partition_implILS5_8ELb0ES3_jN6thrust23THRUST_200600_302600_NS6detail15normal_iteratorINSA_10device_ptrItEEEEPS6_PKS6_NS0_5tupleIJNSA_16discard_iteratorINSA_11use_defaultEEES6_EEENSJ_IJSG_SG_EEENS0_18inequality_wrapperINSA_8equal_toItEEEEPmJS6_EEE10hipError_tPvRmT3_T4_T5_T6_T7_T9_mT8_P12ihipStream_tbDpT10_ENKUlT_T0_E_clISt17integral_constantIbLb0EES1D_EEDaS18_S19_EUlS18_E_NS1_11comp_targetILNS1_3genE9ELNS1_11target_archE1100ELNS1_3gpuE3ELNS1_3repE0EEENS1_30default_config_static_selectorELNS0_4arch9wavefront6targetE1EEEvT1_
; %bb.0:
	.section	.rodata,"a",@progbits
	.p2align	6, 0x0
	.amdhsa_kernel _ZN7rocprim17ROCPRIM_400000_NS6detail17trampoline_kernelINS0_14default_configENS1_25partition_config_selectorILNS1_17partition_subalgoE8EtNS0_10empty_typeEbEEZZNS1_14partition_implILS5_8ELb0ES3_jN6thrust23THRUST_200600_302600_NS6detail15normal_iteratorINSA_10device_ptrItEEEEPS6_PKS6_NS0_5tupleIJNSA_16discard_iteratorINSA_11use_defaultEEES6_EEENSJ_IJSG_SG_EEENS0_18inequality_wrapperINSA_8equal_toItEEEEPmJS6_EEE10hipError_tPvRmT3_T4_T5_T6_T7_T9_mT8_P12ihipStream_tbDpT10_ENKUlT_T0_E_clISt17integral_constantIbLb0EES1D_EEDaS18_S19_EUlS18_E_NS1_11comp_targetILNS1_3genE9ELNS1_11target_archE1100ELNS1_3gpuE3ELNS1_3repE0EEENS1_30default_config_static_selectorELNS0_4arch9wavefront6targetE1EEEvT1_
		.amdhsa_group_segment_fixed_size 0
		.amdhsa_private_segment_fixed_size 0
		.amdhsa_kernarg_size 120
		.amdhsa_user_sgpr_count 6
		.amdhsa_user_sgpr_private_segment_buffer 1
		.amdhsa_user_sgpr_dispatch_ptr 0
		.amdhsa_user_sgpr_queue_ptr 0
		.amdhsa_user_sgpr_kernarg_segment_ptr 1
		.amdhsa_user_sgpr_dispatch_id 0
		.amdhsa_user_sgpr_flat_scratch_init 0
		.amdhsa_user_sgpr_private_segment_size 0
		.amdhsa_uses_dynamic_stack 0
		.amdhsa_system_sgpr_private_segment_wavefront_offset 0
		.amdhsa_system_sgpr_workgroup_id_x 1
		.amdhsa_system_sgpr_workgroup_id_y 0
		.amdhsa_system_sgpr_workgroup_id_z 0
		.amdhsa_system_sgpr_workgroup_info 0
		.amdhsa_system_vgpr_workitem_id 0
		.amdhsa_next_free_vgpr 1
		.amdhsa_next_free_sgpr 0
		.amdhsa_reserve_vcc 0
		.amdhsa_reserve_flat_scratch 0
		.amdhsa_float_round_mode_32 0
		.amdhsa_float_round_mode_16_64 0
		.amdhsa_float_denorm_mode_32 3
		.amdhsa_float_denorm_mode_16_64 3
		.amdhsa_dx10_clamp 1
		.amdhsa_ieee_mode 1
		.amdhsa_fp16_overflow 0
		.amdhsa_exception_fp_ieee_invalid_op 0
		.amdhsa_exception_fp_denorm_src 0
		.amdhsa_exception_fp_ieee_div_zero 0
		.amdhsa_exception_fp_ieee_overflow 0
		.amdhsa_exception_fp_ieee_underflow 0
		.amdhsa_exception_fp_ieee_inexact 0
		.amdhsa_exception_int_div_zero 0
	.end_amdhsa_kernel
	.section	.text._ZN7rocprim17ROCPRIM_400000_NS6detail17trampoline_kernelINS0_14default_configENS1_25partition_config_selectorILNS1_17partition_subalgoE8EtNS0_10empty_typeEbEEZZNS1_14partition_implILS5_8ELb0ES3_jN6thrust23THRUST_200600_302600_NS6detail15normal_iteratorINSA_10device_ptrItEEEEPS6_PKS6_NS0_5tupleIJNSA_16discard_iteratorINSA_11use_defaultEEES6_EEENSJ_IJSG_SG_EEENS0_18inequality_wrapperINSA_8equal_toItEEEEPmJS6_EEE10hipError_tPvRmT3_T4_T5_T6_T7_T9_mT8_P12ihipStream_tbDpT10_ENKUlT_T0_E_clISt17integral_constantIbLb0EES1D_EEDaS18_S19_EUlS18_E_NS1_11comp_targetILNS1_3genE9ELNS1_11target_archE1100ELNS1_3gpuE3ELNS1_3repE0EEENS1_30default_config_static_selectorELNS0_4arch9wavefront6targetE1EEEvT1_,"axG",@progbits,_ZN7rocprim17ROCPRIM_400000_NS6detail17trampoline_kernelINS0_14default_configENS1_25partition_config_selectorILNS1_17partition_subalgoE8EtNS0_10empty_typeEbEEZZNS1_14partition_implILS5_8ELb0ES3_jN6thrust23THRUST_200600_302600_NS6detail15normal_iteratorINSA_10device_ptrItEEEEPS6_PKS6_NS0_5tupleIJNSA_16discard_iteratorINSA_11use_defaultEEES6_EEENSJ_IJSG_SG_EEENS0_18inequality_wrapperINSA_8equal_toItEEEEPmJS6_EEE10hipError_tPvRmT3_T4_T5_T6_T7_T9_mT8_P12ihipStream_tbDpT10_ENKUlT_T0_E_clISt17integral_constantIbLb0EES1D_EEDaS18_S19_EUlS18_E_NS1_11comp_targetILNS1_3genE9ELNS1_11target_archE1100ELNS1_3gpuE3ELNS1_3repE0EEENS1_30default_config_static_selectorELNS0_4arch9wavefront6targetE1EEEvT1_,comdat
.Lfunc_end603:
	.size	_ZN7rocprim17ROCPRIM_400000_NS6detail17trampoline_kernelINS0_14default_configENS1_25partition_config_selectorILNS1_17partition_subalgoE8EtNS0_10empty_typeEbEEZZNS1_14partition_implILS5_8ELb0ES3_jN6thrust23THRUST_200600_302600_NS6detail15normal_iteratorINSA_10device_ptrItEEEEPS6_PKS6_NS0_5tupleIJNSA_16discard_iteratorINSA_11use_defaultEEES6_EEENSJ_IJSG_SG_EEENS0_18inequality_wrapperINSA_8equal_toItEEEEPmJS6_EEE10hipError_tPvRmT3_T4_T5_T6_T7_T9_mT8_P12ihipStream_tbDpT10_ENKUlT_T0_E_clISt17integral_constantIbLb0EES1D_EEDaS18_S19_EUlS18_E_NS1_11comp_targetILNS1_3genE9ELNS1_11target_archE1100ELNS1_3gpuE3ELNS1_3repE0EEENS1_30default_config_static_selectorELNS0_4arch9wavefront6targetE1EEEvT1_, .Lfunc_end603-_ZN7rocprim17ROCPRIM_400000_NS6detail17trampoline_kernelINS0_14default_configENS1_25partition_config_selectorILNS1_17partition_subalgoE8EtNS0_10empty_typeEbEEZZNS1_14partition_implILS5_8ELb0ES3_jN6thrust23THRUST_200600_302600_NS6detail15normal_iteratorINSA_10device_ptrItEEEEPS6_PKS6_NS0_5tupleIJNSA_16discard_iteratorINSA_11use_defaultEEES6_EEENSJ_IJSG_SG_EEENS0_18inequality_wrapperINSA_8equal_toItEEEEPmJS6_EEE10hipError_tPvRmT3_T4_T5_T6_T7_T9_mT8_P12ihipStream_tbDpT10_ENKUlT_T0_E_clISt17integral_constantIbLb0EES1D_EEDaS18_S19_EUlS18_E_NS1_11comp_targetILNS1_3genE9ELNS1_11target_archE1100ELNS1_3gpuE3ELNS1_3repE0EEENS1_30default_config_static_selectorELNS0_4arch9wavefront6targetE1EEEvT1_
                                        ; -- End function
	.set _ZN7rocprim17ROCPRIM_400000_NS6detail17trampoline_kernelINS0_14default_configENS1_25partition_config_selectorILNS1_17partition_subalgoE8EtNS0_10empty_typeEbEEZZNS1_14partition_implILS5_8ELb0ES3_jN6thrust23THRUST_200600_302600_NS6detail15normal_iteratorINSA_10device_ptrItEEEEPS6_PKS6_NS0_5tupleIJNSA_16discard_iteratorINSA_11use_defaultEEES6_EEENSJ_IJSG_SG_EEENS0_18inequality_wrapperINSA_8equal_toItEEEEPmJS6_EEE10hipError_tPvRmT3_T4_T5_T6_T7_T9_mT8_P12ihipStream_tbDpT10_ENKUlT_T0_E_clISt17integral_constantIbLb0EES1D_EEDaS18_S19_EUlS18_E_NS1_11comp_targetILNS1_3genE9ELNS1_11target_archE1100ELNS1_3gpuE3ELNS1_3repE0EEENS1_30default_config_static_selectorELNS0_4arch9wavefront6targetE1EEEvT1_.num_vgpr, 0
	.set _ZN7rocprim17ROCPRIM_400000_NS6detail17trampoline_kernelINS0_14default_configENS1_25partition_config_selectorILNS1_17partition_subalgoE8EtNS0_10empty_typeEbEEZZNS1_14partition_implILS5_8ELb0ES3_jN6thrust23THRUST_200600_302600_NS6detail15normal_iteratorINSA_10device_ptrItEEEEPS6_PKS6_NS0_5tupleIJNSA_16discard_iteratorINSA_11use_defaultEEES6_EEENSJ_IJSG_SG_EEENS0_18inequality_wrapperINSA_8equal_toItEEEEPmJS6_EEE10hipError_tPvRmT3_T4_T5_T6_T7_T9_mT8_P12ihipStream_tbDpT10_ENKUlT_T0_E_clISt17integral_constantIbLb0EES1D_EEDaS18_S19_EUlS18_E_NS1_11comp_targetILNS1_3genE9ELNS1_11target_archE1100ELNS1_3gpuE3ELNS1_3repE0EEENS1_30default_config_static_selectorELNS0_4arch9wavefront6targetE1EEEvT1_.num_agpr, 0
	.set _ZN7rocprim17ROCPRIM_400000_NS6detail17trampoline_kernelINS0_14default_configENS1_25partition_config_selectorILNS1_17partition_subalgoE8EtNS0_10empty_typeEbEEZZNS1_14partition_implILS5_8ELb0ES3_jN6thrust23THRUST_200600_302600_NS6detail15normal_iteratorINSA_10device_ptrItEEEEPS6_PKS6_NS0_5tupleIJNSA_16discard_iteratorINSA_11use_defaultEEES6_EEENSJ_IJSG_SG_EEENS0_18inequality_wrapperINSA_8equal_toItEEEEPmJS6_EEE10hipError_tPvRmT3_T4_T5_T6_T7_T9_mT8_P12ihipStream_tbDpT10_ENKUlT_T0_E_clISt17integral_constantIbLb0EES1D_EEDaS18_S19_EUlS18_E_NS1_11comp_targetILNS1_3genE9ELNS1_11target_archE1100ELNS1_3gpuE3ELNS1_3repE0EEENS1_30default_config_static_selectorELNS0_4arch9wavefront6targetE1EEEvT1_.numbered_sgpr, 0
	.set _ZN7rocprim17ROCPRIM_400000_NS6detail17trampoline_kernelINS0_14default_configENS1_25partition_config_selectorILNS1_17partition_subalgoE8EtNS0_10empty_typeEbEEZZNS1_14partition_implILS5_8ELb0ES3_jN6thrust23THRUST_200600_302600_NS6detail15normal_iteratorINSA_10device_ptrItEEEEPS6_PKS6_NS0_5tupleIJNSA_16discard_iteratorINSA_11use_defaultEEES6_EEENSJ_IJSG_SG_EEENS0_18inequality_wrapperINSA_8equal_toItEEEEPmJS6_EEE10hipError_tPvRmT3_T4_T5_T6_T7_T9_mT8_P12ihipStream_tbDpT10_ENKUlT_T0_E_clISt17integral_constantIbLb0EES1D_EEDaS18_S19_EUlS18_E_NS1_11comp_targetILNS1_3genE9ELNS1_11target_archE1100ELNS1_3gpuE3ELNS1_3repE0EEENS1_30default_config_static_selectorELNS0_4arch9wavefront6targetE1EEEvT1_.num_named_barrier, 0
	.set _ZN7rocprim17ROCPRIM_400000_NS6detail17trampoline_kernelINS0_14default_configENS1_25partition_config_selectorILNS1_17partition_subalgoE8EtNS0_10empty_typeEbEEZZNS1_14partition_implILS5_8ELb0ES3_jN6thrust23THRUST_200600_302600_NS6detail15normal_iteratorINSA_10device_ptrItEEEEPS6_PKS6_NS0_5tupleIJNSA_16discard_iteratorINSA_11use_defaultEEES6_EEENSJ_IJSG_SG_EEENS0_18inequality_wrapperINSA_8equal_toItEEEEPmJS6_EEE10hipError_tPvRmT3_T4_T5_T6_T7_T9_mT8_P12ihipStream_tbDpT10_ENKUlT_T0_E_clISt17integral_constantIbLb0EES1D_EEDaS18_S19_EUlS18_E_NS1_11comp_targetILNS1_3genE9ELNS1_11target_archE1100ELNS1_3gpuE3ELNS1_3repE0EEENS1_30default_config_static_selectorELNS0_4arch9wavefront6targetE1EEEvT1_.private_seg_size, 0
	.set _ZN7rocprim17ROCPRIM_400000_NS6detail17trampoline_kernelINS0_14default_configENS1_25partition_config_selectorILNS1_17partition_subalgoE8EtNS0_10empty_typeEbEEZZNS1_14partition_implILS5_8ELb0ES3_jN6thrust23THRUST_200600_302600_NS6detail15normal_iteratorINSA_10device_ptrItEEEEPS6_PKS6_NS0_5tupleIJNSA_16discard_iteratorINSA_11use_defaultEEES6_EEENSJ_IJSG_SG_EEENS0_18inequality_wrapperINSA_8equal_toItEEEEPmJS6_EEE10hipError_tPvRmT3_T4_T5_T6_T7_T9_mT8_P12ihipStream_tbDpT10_ENKUlT_T0_E_clISt17integral_constantIbLb0EES1D_EEDaS18_S19_EUlS18_E_NS1_11comp_targetILNS1_3genE9ELNS1_11target_archE1100ELNS1_3gpuE3ELNS1_3repE0EEENS1_30default_config_static_selectorELNS0_4arch9wavefront6targetE1EEEvT1_.uses_vcc, 0
	.set _ZN7rocprim17ROCPRIM_400000_NS6detail17trampoline_kernelINS0_14default_configENS1_25partition_config_selectorILNS1_17partition_subalgoE8EtNS0_10empty_typeEbEEZZNS1_14partition_implILS5_8ELb0ES3_jN6thrust23THRUST_200600_302600_NS6detail15normal_iteratorINSA_10device_ptrItEEEEPS6_PKS6_NS0_5tupleIJNSA_16discard_iteratorINSA_11use_defaultEEES6_EEENSJ_IJSG_SG_EEENS0_18inequality_wrapperINSA_8equal_toItEEEEPmJS6_EEE10hipError_tPvRmT3_T4_T5_T6_T7_T9_mT8_P12ihipStream_tbDpT10_ENKUlT_T0_E_clISt17integral_constantIbLb0EES1D_EEDaS18_S19_EUlS18_E_NS1_11comp_targetILNS1_3genE9ELNS1_11target_archE1100ELNS1_3gpuE3ELNS1_3repE0EEENS1_30default_config_static_selectorELNS0_4arch9wavefront6targetE1EEEvT1_.uses_flat_scratch, 0
	.set _ZN7rocprim17ROCPRIM_400000_NS6detail17trampoline_kernelINS0_14default_configENS1_25partition_config_selectorILNS1_17partition_subalgoE8EtNS0_10empty_typeEbEEZZNS1_14partition_implILS5_8ELb0ES3_jN6thrust23THRUST_200600_302600_NS6detail15normal_iteratorINSA_10device_ptrItEEEEPS6_PKS6_NS0_5tupleIJNSA_16discard_iteratorINSA_11use_defaultEEES6_EEENSJ_IJSG_SG_EEENS0_18inequality_wrapperINSA_8equal_toItEEEEPmJS6_EEE10hipError_tPvRmT3_T4_T5_T6_T7_T9_mT8_P12ihipStream_tbDpT10_ENKUlT_T0_E_clISt17integral_constantIbLb0EES1D_EEDaS18_S19_EUlS18_E_NS1_11comp_targetILNS1_3genE9ELNS1_11target_archE1100ELNS1_3gpuE3ELNS1_3repE0EEENS1_30default_config_static_selectorELNS0_4arch9wavefront6targetE1EEEvT1_.has_dyn_sized_stack, 0
	.set _ZN7rocprim17ROCPRIM_400000_NS6detail17trampoline_kernelINS0_14default_configENS1_25partition_config_selectorILNS1_17partition_subalgoE8EtNS0_10empty_typeEbEEZZNS1_14partition_implILS5_8ELb0ES3_jN6thrust23THRUST_200600_302600_NS6detail15normal_iteratorINSA_10device_ptrItEEEEPS6_PKS6_NS0_5tupleIJNSA_16discard_iteratorINSA_11use_defaultEEES6_EEENSJ_IJSG_SG_EEENS0_18inequality_wrapperINSA_8equal_toItEEEEPmJS6_EEE10hipError_tPvRmT3_T4_T5_T6_T7_T9_mT8_P12ihipStream_tbDpT10_ENKUlT_T0_E_clISt17integral_constantIbLb0EES1D_EEDaS18_S19_EUlS18_E_NS1_11comp_targetILNS1_3genE9ELNS1_11target_archE1100ELNS1_3gpuE3ELNS1_3repE0EEENS1_30default_config_static_selectorELNS0_4arch9wavefront6targetE1EEEvT1_.has_recursion, 0
	.set _ZN7rocprim17ROCPRIM_400000_NS6detail17trampoline_kernelINS0_14default_configENS1_25partition_config_selectorILNS1_17partition_subalgoE8EtNS0_10empty_typeEbEEZZNS1_14partition_implILS5_8ELb0ES3_jN6thrust23THRUST_200600_302600_NS6detail15normal_iteratorINSA_10device_ptrItEEEEPS6_PKS6_NS0_5tupleIJNSA_16discard_iteratorINSA_11use_defaultEEES6_EEENSJ_IJSG_SG_EEENS0_18inequality_wrapperINSA_8equal_toItEEEEPmJS6_EEE10hipError_tPvRmT3_T4_T5_T6_T7_T9_mT8_P12ihipStream_tbDpT10_ENKUlT_T0_E_clISt17integral_constantIbLb0EES1D_EEDaS18_S19_EUlS18_E_NS1_11comp_targetILNS1_3genE9ELNS1_11target_archE1100ELNS1_3gpuE3ELNS1_3repE0EEENS1_30default_config_static_selectorELNS0_4arch9wavefront6targetE1EEEvT1_.has_indirect_call, 0
	.section	.AMDGPU.csdata,"",@progbits
; Kernel info:
; codeLenInByte = 0
; TotalNumSgprs: 4
; NumVgprs: 0
; ScratchSize: 0
; MemoryBound: 0
; FloatMode: 240
; IeeeMode: 1
; LDSByteSize: 0 bytes/workgroup (compile time only)
; SGPRBlocks: 0
; VGPRBlocks: 0
; NumSGPRsForWavesPerEU: 4
; NumVGPRsForWavesPerEU: 1
; Occupancy: 10
; WaveLimiterHint : 0
; COMPUTE_PGM_RSRC2:SCRATCH_EN: 0
; COMPUTE_PGM_RSRC2:USER_SGPR: 6
; COMPUTE_PGM_RSRC2:TRAP_HANDLER: 0
; COMPUTE_PGM_RSRC2:TGID_X_EN: 1
; COMPUTE_PGM_RSRC2:TGID_Y_EN: 0
; COMPUTE_PGM_RSRC2:TGID_Z_EN: 0
; COMPUTE_PGM_RSRC2:TIDIG_COMP_CNT: 0
	.section	.text._ZN7rocprim17ROCPRIM_400000_NS6detail17trampoline_kernelINS0_14default_configENS1_25partition_config_selectorILNS1_17partition_subalgoE8EtNS0_10empty_typeEbEEZZNS1_14partition_implILS5_8ELb0ES3_jN6thrust23THRUST_200600_302600_NS6detail15normal_iteratorINSA_10device_ptrItEEEEPS6_PKS6_NS0_5tupleIJNSA_16discard_iteratorINSA_11use_defaultEEES6_EEENSJ_IJSG_SG_EEENS0_18inequality_wrapperINSA_8equal_toItEEEEPmJS6_EEE10hipError_tPvRmT3_T4_T5_T6_T7_T9_mT8_P12ihipStream_tbDpT10_ENKUlT_T0_E_clISt17integral_constantIbLb0EES1D_EEDaS18_S19_EUlS18_E_NS1_11comp_targetILNS1_3genE8ELNS1_11target_archE1030ELNS1_3gpuE2ELNS1_3repE0EEENS1_30default_config_static_selectorELNS0_4arch9wavefront6targetE1EEEvT1_,"axG",@progbits,_ZN7rocprim17ROCPRIM_400000_NS6detail17trampoline_kernelINS0_14default_configENS1_25partition_config_selectorILNS1_17partition_subalgoE8EtNS0_10empty_typeEbEEZZNS1_14partition_implILS5_8ELb0ES3_jN6thrust23THRUST_200600_302600_NS6detail15normal_iteratorINSA_10device_ptrItEEEEPS6_PKS6_NS0_5tupleIJNSA_16discard_iteratorINSA_11use_defaultEEES6_EEENSJ_IJSG_SG_EEENS0_18inequality_wrapperINSA_8equal_toItEEEEPmJS6_EEE10hipError_tPvRmT3_T4_T5_T6_T7_T9_mT8_P12ihipStream_tbDpT10_ENKUlT_T0_E_clISt17integral_constantIbLb0EES1D_EEDaS18_S19_EUlS18_E_NS1_11comp_targetILNS1_3genE8ELNS1_11target_archE1030ELNS1_3gpuE2ELNS1_3repE0EEENS1_30default_config_static_selectorELNS0_4arch9wavefront6targetE1EEEvT1_,comdat
	.protected	_ZN7rocprim17ROCPRIM_400000_NS6detail17trampoline_kernelINS0_14default_configENS1_25partition_config_selectorILNS1_17partition_subalgoE8EtNS0_10empty_typeEbEEZZNS1_14partition_implILS5_8ELb0ES3_jN6thrust23THRUST_200600_302600_NS6detail15normal_iteratorINSA_10device_ptrItEEEEPS6_PKS6_NS0_5tupleIJNSA_16discard_iteratorINSA_11use_defaultEEES6_EEENSJ_IJSG_SG_EEENS0_18inequality_wrapperINSA_8equal_toItEEEEPmJS6_EEE10hipError_tPvRmT3_T4_T5_T6_T7_T9_mT8_P12ihipStream_tbDpT10_ENKUlT_T0_E_clISt17integral_constantIbLb0EES1D_EEDaS18_S19_EUlS18_E_NS1_11comp_targetILNS1_3genE8ELNS1_11target_archE1030ELNS1_3gpuE2ELNS1_3repE0EEENS1_30default_config_static_selectorELNS0_4arch9wavefront6targetE1EEEvT1_ ; -- Begin function _ZN7rocprim17ROCPRIM_400000_NS6detail17trampoline_kernelINS0_14default_configENS1_25partition_config_selectorILNS1_17partition_subalgoE8EtNS0_10empty_typeEbEEZZNS1_14partition_implILS5_8ELb0ES3_jN6thrust23THRUST_200600_302600_NS6detail15normal_iteratorINSA_10device_ptrItEEEEPS6_PKS6_NS0_5tupleIJNSA_16discard_iteratorINSA_11use_defaultEEES6_EEENSJ_IJSG_SG_EEENS0_18inequality_wrapperINSA_8equal_toItEEEEPmJS6_EEE10hipError_tPvRmT3_T4_T5_T6_T7_T9_mT8_P12ihipStream_tbDpT10_ENKUlT_T0_E_clISt17integral_constantIbLb0EES1D_EEDaS18_S19_EUlS18_E_NS1_11comp_targetILNS1_3genE8ELNS1_11target_archE1030ELNS1_3gpuE2ELNS1_3repE0EEENS1_30default_config_static_selectorELNS0_4arch9wavefront6targetE1EEEvT1_
	.globl	_ZN7rocprim17ROCPRIM_400000_NS6detail17trampoline_kernelINS0_14default_configENS1_25partition_config_selectorILNS1_17partition_subalgoE8EtNS0_10empty_typeEbEEZZNS1_14partition_implILS5_8ELb0ES3_jN6thrust23THRUST_200600_302600_NS6detail15normal_iteratorINSA_10device_ptrItEEEEPS6_PKS6_NS0_5tupleIJNSA_16discard_iteratorINSA_11use_defaultEEES6_EEENSJ_IJSG_SG_EEENS0_18inequality_wrapperINSA_8equal_toItEEEEPmJS6_EEE10hipError_tPvRmT3_T4_T5_T6_T7_T9_mT8_P12ihipStream_tbDpT10_ENKUlT_T0_E_clISt17integral_constantIbLb0EES1D_EEDaS18_S19_EUlS18_E_NS1_11comp_targetILNS1_3genE8ELNS1_11target_archE1030ELNS1_3gpuE2ELNS1_3repE0EEENS1_30default_config_static_selectorELNS0_4arch9wavefront6targetE1EEEvT1_
	.p2align	8
	.type	_ZN7rocprim17ROCPRIM_400000_NS6detail17trampoline_kernelINS0_14default_configENS1_25partition_config_selectorILNS1_17partition_subalgoE8EtNS0_10empty_typeEbEEZZNS1_14partition_implILS5_8ELb0ES3_jN6thrust23THRUST_200600_302600_NS6detail15normal_iteratorINSA_10device_ptrItEEEEPS6_PKS6_NS0_5tupleIJNSA_16discard_iteratorINSA_11use_defaultEEES6_EEENSJ_IJSG_SG_EEENS0_18inequality_wrapperINSA_8equal_toItEEEEPmJS6_EEE10hipError_tPvRmT3_T4_T5_T6_T7_T9_mT8_P12ihipStream_tbDpT10_ENKUlT_T0_E_clISt17integral_constantIbLb0EES1D_EEDaS18_S19_EUlS18_E_NS1_11comp_targetILNS1_3genE8ELNS1_11target_archE1030ELNS1_3gpuE2ELNS1_3repE0EEENS1_30default_config_static_selectorELNS0_4arch9wavefront6targetE1EEEvT1_,@function
_ZN7rocprim17ROCPRIM_400000_NS6detail17trampoline_kernelINS0_14default_configENS1_25partition_config_selectorILNS1_17partition_subalgoE8EtNS0_10empty_typeEbEEZZNS1_14partition_implILS5_8ELb0ES3_jN6thrust23THRUST_200600_302600_NS6detail15normal_iteratorINSA_10device_ptrItEEEEPS6_PKS6_NS0_5tupleIJNSA_16discard_iteratorINSA_11use_defaultEEES6_EEENSJ_IJSG_SG_EEENS0_18inequality_wrapperINSA_8equal_toItEEEEPmJS6_EEE10hipError_tPvRmT3_T4_T5_T6_T7_T9_mT8_P12ihipStream_tbDpT10_ENKUlT_T0_E_clISt17integral_constantIbLb0EES1D_EEDaS18_S19_EUlS18_E_NS1_11comp_targetILNS1_3genE8ELNS1_11target_archE1030ELNS1_3gpuE2ELNS1_3repE0EEENS1_30default_config_static_selectorELNS0_4arch9wavefront6targetE1EEEvT1_: ; @_ZN7rocprim17ROCPRIM_400000_NS6detail17trampoline_kernelINS0_14default_configENS1_25partition_config_selectorILNS1_17partition_subalgoE8EtNS0_10empty_typeEbEEZZNS1_14partition_implILS5_8ELb0ES3_jN6thrust23THRUST_200600_302600_NS6detail15normal_iteratorINSA_10device_ptrItEEEEPS6_PKS6_NS0_5tupleIJNSA_16discard_iteratorINSA_11use_defaultEEES6_EEENSJ_IJSG_SG_EEENS0_18inequality_wrapperINSA_8equal_toItEEEEPmJS6_EEE10hipError_tPvRmT3_T4_T5_T6_T7_T9_mT8_P12ihipStream_tbDpT10_ENKUlT_T0_E_clISt17integral_constantIbLb0EES1D_EEDaS18_S19_EUlS18_E_NS1_11comp_targetILNS1_3genE8ELNS1_11target_archE1030ELNS1_3gpuE2ELNS1_3repE0EEENS1_30default_config_static_selectorELNS0_4arch9wavefront6targetE1EEEvT1_
; %bb.0:
	.section	.rodata,"a",@progbits
	.p2align	6, 0x0
	.amdhsa_kernel _ZN7rocprim17ROCPRIM_400000_NS6detail17trampoline_kernelINS0_14default_configENS1_25partition_config_selectorILNS1_17partition_subalgoE8EtNS0_10empty_typeEbEEZZNS1_14partition_implILS5_8ELb0ES3_jN6thrust23THRUST_200600_302600_NS6detail15normal_iteratorINSA_10device_ptrItEEEEPS6_PKS6_NS0_5tupleIJNSA_16discard_iteratorINSA_11use_defaultEEES6_EEENSJ_IJSG_SG_EEENS0_18inequality_wrapperINSA_8equal_toItEEEEPmJS6_EEE10hipError_tPvRmT3_T4_T5_T6_T7_T9_mT8_P12ihipStream_tbDpT10_ENKUlT_T0_E_clISt17integral_constantIbLb0EES1D_EEDaS18_S19_EUlS18_E_NS1_11comp_targetILNS1_3genE8ELNS1_11target_archE1030ELNS1_3gpuE2ELNS1_3repE0EEENS1_30default_config_static_selectorELNS0_4arch9wavefront6targetE1EEEvT1_
		.amdhsa_group_segment_fixed_size 0
		.amdhsa_private_segment_fixed_size 0
		.amdhsa_kernarg_size 120
		.amdhsa_user_sgpr_count 6
		.amdhsa_user_sgpr_private_segment_buffer 1
		.amdhsa_user_sgpr_dispatch_ptr 0
		.amdhsa_user_sgpr_queue_ptr 0
		.amdhsa_user_sgpr_kernarg_segment_ptr 1
		.amdhsa_user_sgpr_dispatch_id 0
		.amdhsa_user_sgpr_flat_scratch_init 0
		.amdhsa_user_sgpr_private_segment_size 0
		.amdhsa_uses_dynamic_stack 0
		.amdhsa_system_sgpr_private_segment_wavefront_offset 0
		.amdhsa_system_sgpr_workgroup_id_x 1
		.amdhsa_system_sgpr_workgroup_id_y 0
		.amdhsa_system_sgpr_workgroup_id_z 0
		.amdhsa_system_sgpr_workgroup_info 0
		.amdhsa_system_vgpr_workitem_id 0
		.amdhsa_next_free_vgpr 1
		.amdhsa_next_free_sgpr 0
		.amdhsa_reserve_vcc 0
		.amdhsa_reserve_flat_scratch 0
		.amdhsa_float_round_mode_32 0
		.amdhsa_float_round_mode_16_64 0
		.amdhsa_float_denorm_mode_32 3
		.amdhsa_float_denorm_mode_16_64 3
		.amdhsa_dx10_clamp 1
		.amdhsa_ieee_mode 1
		.amdhsa_fp16_overflow 0
		.amdhsa_exception_fp_ieee_invalid_op 0
		.amdhsa_exception_fp_denorm_src 0
		.amdhsa_exception_fp_ieee_div_zero 0
		.amdhsa_exception_fp_ieee_overflow 0
		.amdhsa_exception_fp_ieee_underflow 0
		.amdhsa_exception_fp_ieee_inexact 0
		.amdhsa_exception_int_div_zero 0
	.end_amdhsa_kernel
	.section	.text._ZN7rocprim17ROCPRIM_400000_NS6detail17trampoline_kernelINS0_14default_configENS1_25partition_config_selectorILNS1_17partition_subalgoE8EtNS0_10empty_typeEbEEZZNS1_14partition_implILS5_8ELb0ES3_jN6thrust23THRUST_200600_302600_NS6detail15normal_iteratorINSA_10device_ptrItEEEEPS6_PKS6_NS0_5tupleIJNSA_16discard_iteratorINSA_11use_defaultEEES6_EEENSJ_IJSG_SG_EEENS0_18inequality_wrapperINSA_8equal_toItEEEEPmJS6_EEE10hipError_tPvRmT3_T4_T5_T6_T7_T9_mT8_P12ihipStream_tbDpT10_ENKUlT_T0_E_clISt17integral_constantIbLb0EES1D_EEDaS18_S19_EUlS18_E_NS1_11comp_targetILNS1_3genE8ELNS1_11target_archE1030ELNS1_3gpuE2ELNS1_3repE0EEENS1_30default_config_static_selectorELNS0_4arch9wavefront6targetE1EEEvT1_,"axG",@progbits,_ZN7rocprim17ROCPRIM_400000_NS6detail17trampoline_kernelINS0_14default_configENS1_25partition_config_selectorILNS1_17partition_subalgoE8EtNS0_10empty_typeEbEEZZNS1_14partition_implILS5_8ELb0ES3_jN6thrust23THRUST_200600_302600_NS6detail15normal_iteratorINSA_10device_ptrItEEEEPS6_PKS6_NS0_5tupleIJNSA_16discard_iteratorINSA_11use_defaultEEES6_EEENSJ_IJSG_SG_EEENS0_18inequality_wrapperINSA_8equal_toItEEEEPmJS6_EEE10hipError_tPvRmT3_T4_T5_T6_T7_T9_mT8_P12ihipStream_tbDpT10_ENKUlT_T0_E_clISt17integral_constantIbLb0EES1D_EEDaS18_S19_EUlS18_E_NS1_11comp_targetILNS1_3genE8ELNS1_11target_archE1030ELNS1_3gpuE2ELNS1_3repE0EEENS1_30default_config_static_selectorELNS0_4arch9wavefront6targetE1EEEvT1_,comdat
.Lfunc_end604:
	.size	_ZN7rocprim17ROCPRIM_400000_NS6detail17trampoline_kernelINS0_14default_configENS1_25partition_config_selectorILNS1_17partition_subalgoE8EtNS0_10empty_typeEbEEZZNS1_14partition_implILS5_8ELb0ES3_jN6thrust23THRUST_200600_302600_NS6detail15normal_iteratorINSA_10device_ptrItEEEEPS6_PKS6_NS0_5tupleIJNSA_16discard_iteratorINSA_11use_defaultEEES6_EEENSJ_IJSG_SG_EEENS0_18inequality_wrapperINSA_8equal_toItEEEEPmJS6_EEE10hipError_tPvRmT3_T4_T5_T6_T7_T9_mT8_P12ihipStream_tbDpT10_ENKUlT_T0_E_clISt17integral_constantIbLb0EES1D_EEDaS18_S19_EUlS18_E_NS1_11comp_targetILNS1_3genE8ELNS1_11target_archE1030ELNS1_3gpuE2ELNS1_3repE0EEENS1_30default_config_static_selectorELNS0_4arch9wavefront6targetE1EEEvT1_, .Lfunc_end604-_ZN7rocprim17ROCPRIM_400000_NS6detail17trampoline_kernelINS0_14default_configENS1_25partition_config_selectorILNS1_17partition_subalgoE8EtNS0_10empty_typeEbEEZZNS1_14partition_implILS5_8ELb0ES3_jN6thrust23THRUST_200600_302600_NS6detail15normal_iteratorINSA_10device_ptrItEEEEPS6_PKS6_NS0_5tupleIJNSA_16discard_iteratorINSA_11use_defaultEEES6_EEENSJ_IJSG_SG_EEENS0_18inequality_wrapperINSA_8equal_toItEEEEPmJS6_EEE10hipError_tPvRmT3_T4_T5_T6_T7_T9_mT8_P12ihipStream_tbDpT10_ENKUlT_T0_E_clISt17integral_constantIbLb0EES1D_EEDaS18_S19_EUlS18_E_NS1_11comp_targetILNS1_3genE8ELNS1_11target_archE1030ELNS1_3gpuE2ELNS1_3repE0EEENS1_30default_config_static_selectorELNS0_4arch9wavefront6targetE1EEEvT1_
                                        ; -- End function
	.set _ZN7rocprim17ROCPRIM_400000_NS6detail17trampoline_kernelINS0_14default_configENS1_25partition_config_selectorILNS1_17partition_subalgoE8EtNS0_10empty_typeEbEEZZNS1_14partition_implILS5_8ELb0ES3_jN6thrust23THRUST_200600_302600_NS6detail15normal_iteratorINSA_10device_ptrItEEEEPS6_PKS6_NS0_5tupleIJNSA_16discard_iteratorINSA_11use_defaultEEES6_EEENSJ_IJSG_SG_EEENS0_18inequality_wrapperINSA_8equal_toItEEEEPmJS6_EEE10hipError_tPvRmT3_T4_T5_T6_T7_T9_mT8_P12ihipStream_tbDpT10_ENKUlT_T0_E_clISt17integral_constantIbLb0EES1D_EEDaS18_S19_EUlS18_E_NS1_11comp_targetILNS1_3genE8ELNS1_11target_archE1030ELNS1_3gpuE2ELNS1_3repE0EEENS1_30default_config_static_selectorELNS0_4arch9wavefront6targetE1EEEvT1_.num_vgpr, 0
	.set _ZN7rocprim17ROCPRIM_400000_NS6detail17trampoline_kernelINS0_14default_configENS1_25partition_config_selectorILNS1_17partition_subalgoE8EtNS0_10empty_typeEbEEZZNS1_14partition_implILS5_8ELb0ES3_jN6thrust23THRUST_200600_302600_NS6detail15normal_iteratorINSA_10device_ptrItEEEEPS6_PKS6_NS0_5tupleIJNSA_16discard_iteratorINSA_11use_defaultEEES6_EEENSJ_IJSG_SG_EEENS0_18inequality_wrapperINSA_8equal_toItEEEEPmJS6_EEE10hipError_tPvRmT3_T4_T5_T6_T7_T9_mT8_P12ihipStream_tbDpT10_ENKUlT_T0_E_clISt17integral_constantIbLb0EES1D_EEDaS18_S19_EUlS18_E_NS1_11comp_targetILNS1_3genE8ELNS1_11target_archE1030ELNS1_3gpuE2ELNS1_3repE0EEENS1_30default_config_static_selectorELNS0_4arch9wavefront6targetE1EEEvT1_.num_agpr, 0
	.set _ZN7rocprim17ROCPRIM_400000_NS6detail17trampoline_kernelINS0_14default_configENS1_25partition_config_selectorILNS1_17partition_subalgoE8EtNS0_10empty_typeEbEEZZNS1_14partition_implILS5_8ELb0ES3_jN6thrust23THRUST_200600_302600_NS6detail15normal_iteratorINSA_10device_ptrItEEEEPS6_PKS6_NS0_5tupleIJNSA_16discard_iteratorINSA_11use_defaultEEES6_EEENSJ_IJSG_SG_EEENS0_18inequality_wrapperINSA_8equal_toItEEEEPmJS6_EEE10hipError_tPvRmT3_T4_T5_T6_T7_T9_mT8_P12ihipStream_tbDpT10_ENKUlT_T0_E_clISt17integral_constantIbLb0EES1D_EEDaS18_S19_EUlS18_E_NS1_11comp_targetILNS1_3genE8ELNS1_11target_archE1030ELNS1_3gpuE2ELNS1_3repE0EEENS1_30default_config_static_selectorELNS0_4arch9wavefront6targetE1EEEvT1_.numbered_sgpr, 0
	.set _ZN7rocprim17ROCPRIM_400000_NS6detail17trampoline_kernelINS0_14default_configENS1_25partition_config_selectorILNS1_17partition_subalgoE8EtNS0_10empty_typeEbEEZZNS1_14partition_implILS5_8ELb0ES3_jN6thrust23THRUST_200600_302600_NS6detail15normal_iteratorINSA_10device_ptrItEEEEPS6_PKS6_NS0_5tupleIJNSA_16discard_iteratorINSA_11use_defaultEEES6_EEENSJ_IJSG_SG_EEENS0_18inequality_wrapperINSA_8equal_toItEEEEPmJS6_EEE10hipError_tPvRmT3_T4_T5_T6_T7_T9_mT8_P12ihipStream_tbDpT10_ENKUlT_T0_E_clISt17integral_constantIbLb0EES1D_EEDaS18_S19_EUlS18_E_NS1_11comp_targetILNS1_3genE8ELNS1_11target_archE1030ELNS1_3gpuE2ELNS1_3repE0EEENS1_30default_config_static_selectorELNS0_4arch9wavefront6targetE1EEEvT1_.num_named_barrier, 0
	.set _ZN7rocprim17ROCPRIM_400000_NS6detail17trampoline_kernelINS0_14default_configENS1_25partition_config_selectorILNS1_17partition_subalgoE8EtNS0_10empty_typeEbEEZZNS1_14partition_implILS5_8ELb0ES3_jN6thrust23THRUST_200600_302600_NS6detail15normal_iteratorINSA_10device_ptrItEEEEPS6_PKS6_NS0_5tupleIJNSA_16discard_iteratorINSA_11use_defaultEEES6_EEENSJ_IJSG_SG_EEENS0_18inequality_wrapperINSA_8equal_toItEEEEPmJS6_EEE10hipError_tPvRmT3_T4_T5_T6_T7_T9_mT8_P12ihipStream_tbDpT10_ENKUlT_T0_E_clISt17integral_constantIbLb0EES1D_EEDaS18_S19_EUlS18_E_NS1_11comp_targetILNS1_3genE8ELNS1_11target_archE1030ELNS1_3gpuE2ELNS1_3repE0EEENS1_30default_config_static_selectorELNS0_4arch9wavefront6targetE1EEEvT1_.private_seg_size, 0
	.set _ZN7rocprim17ROCPRIM_400000_NS6detail17trampoline_kernelINS0_14default_configENS1_25partition_config_selectorILNS1_17partition_subalgoE8EtNS0_10empty_typeEbEEZZNS1_14partition_implILS5_8ELb0ES3_jN6thrust23THRUST_200600_302600_NS6detail15normal_iteratorINSA_10device_ptrItEEEEPS6_PKS6_NS0_5tupleIJNSA_16discard_iteratorINSA_11use_defaultEEES6_EEENSJ_IJSG_SG_EEENS0_18inequality_wrapperINSA_8equal_toItEEEEPmJS6_EEE10hipError_tPvRmT3_T4_T5_T6_T7_T9_mT8_P12ihipStream_tbDpT10_ENKUlT_T0_E_clISt17integral_constantIbLb0EES1D_EEDaS18_S19_EUlS18_E_NS1_11comp_targetILNS1_3genE8ELNS1_11target_archE1030ELNS1_3gpuE2ELNS1_3repE0EEENS1_30default_config_static_selectorELNS0_4arch9wavefront6targetE1EEEvT1_.uses_vcc, 0
	.set _ZN7rocprim17ROCPRIM_400000_NS6detail17trampoline_kernelINS0_14default_configENS1_25partition_config_selectorILNS1_17partition_subalgoE8EtNS0_10empty_typeEbEEZZNS1_14partition_implILS5_8ELb0ES3_jN6thrust23THRUST_200600_302600_NS6detail15normal_iteratorINSA_10device_ptrItEEEEPS6_PKS6_NS0_5tupleIJNSA_16discard_iteratorINSA_11use_defaultEEES6_EEENSJ_IJSG_SG_EEENS0_18inequality_wrapperINSA_8equal_toItEEEEPmJS6_EEE10hipError_tPvRmT3_T4_T5_T6_T7_T9_mT8_P12ihipStream_tbDpT10_ENKUlT_T0_E_clISt17integral_constantIbLb0EES1D_EEDaS18_S19_EUlS18_E_NS1_11comp_targetILNS1_3genE8ELNS1_11target_archE1030ELNS1_3gpuE2ELNS1_3repE0EEENS1_30default_config_static_selectorELNS0_4arch9wavefront6targetE1EEEvT1_.uses_flat_scratch, 0
	.set _ZN7rocprim17ROCPRIM_400000_NS6detail17trampoline_kernelINS0_14default_configENS1_25partition_config_selectorILNS1_17partition_subalgoE8EtNS0_10empty_typeEbEEZZNS1_14partition_implILS5_8ELb0ES3_jN6thrust23THRUST_200600_302600_NS6detail15normal_iteratorINSA_10device_ptrItEEEEPS6_PKS6_NS0_5tupleIJNSA_16discard_iteratorINSA_11use_defaultEEES6_EEENSJ_IJSG_SG_EEENS0_18inequality_wrapperINSA_8equal_toItEEEEPmJS6_EEE10hipError_tPvRmT3_T4_T5_T6_T7_T9_mT8_P12ihipStream_tbDpT10_ENKUlT_T0_E_clISt17integral_constantIbLb0EES1D_EEDaS18_S19_EUlS18_E_NS1_11comp_targetILNS1_3genE8ELNS1_11target_archE1030ELNS1_3gpuE2ELNS1_3repE0EEENS1_30default_config_static_selectorELNS0_4arch9wavefront6targetE1EEEvT1_.has_dyn_sized_stack, 0
	.set _ZN7rocprim17ROCPRIM_400000_NS6detail17trampoline_kernelINS0_14default_configENS1_25partition_config_selectorILNS1_17partition_subalgoE8EtNS0_10empty_typeEbEEZZNS1_14partition_implILS5_8ELb0ES3_jN6thrust23THRUST_200600_302600_NS6detail15normal_iteratorINSA_10device_ptrItEEEEPS6_PKS6_NS0_5tupleIJNSA_16discard_iteratorINSA_11use_defaultEEES6_EEENSJ_IJSG_SG_EEENS0_18inequality_wrapperINSA_8equal_toItEEEEPmJS6_EEE10hipError_tPvRmT3_T4_T5_T6_T7_T9_mT8_P12ihipStream_tbDpT10_ENKUlT_T0_E_clISt17integral_constantIbLb0EES1D_EEDaS18_S19_EUlS18_E_NS1_11comp_targetILNS1_3genE8ELNS1_11target_archE1030ELNS1_3gpuE2ELNS1_3repE0EEENS1_30default_config_static_selectorELNS0_4arch9wavefront6targetE1EEEvT1_.has_recursion, 0
	.set _ZN7rocprim17ROCPRIM_400000_NS6detail17trampoline_kernelINS0_14default_configENS1_25partition_config_selectorILNS1_17partition_subalgoE8EtNS0_10empty_typeEbEEZZNS1_14partition_implILS5_8ELb0ES3_jN6thrust23THRUST_200600_302600_NS6detail15normal_iteratorINSA_10device_ptrItEEEEPS6_PKS6_NS0_5tupleIJNSA_16discard_iteratorINSA_11use_defaultEEES6_EEENSJ_IJSG_SG_EEENS0_18inequality_wrapperINSA_8equal_toItEEEEPmJS6_EEE10hipError_tPvRmT3_T4_T5_T6_T7_T9_mT8_P12ihipStream_tbDpT10_ENKUlT_T0_E_clISt17integral_constantIbLb0EES1D_EEDaS18_S19_EUlS18_E_NS1_11comp_targetILNS1_3genE8ELNS1_11target_archE1030ELNS1_3gpuE2ELNS1_3repE0EEENS1_30default_config_static_selectorELNS0_4arch9wavefront6targetE1EEEvT1_.has_indirect_call, 0
	.section	.AMDGPU.csdata,"",@progbits
; Kernel info:
; codeLenInByte = 0
; TotalNumSgprs: 4
; NumVgprs: 0
; ScratchSize: 0
; MemoryBound: 0
; FloatMode: 240
; IeeeMode: 1
; LDSByteSize: 0 bytes/workgroup (compile time only)
; SGPRBlocks: 0
; VGPRBlocks: 0
; NumSGPRsForWavesPerEU: 4
; NumVGPRsForWavesPerEU: 1
; Occupancy: 10
; WaveLimiterHint : 0
; COMPUTE_PGM_RSRC2:SCRATCH_EN: 0
; COMPUTE_PGM_RSRC2:USER_SGPR: 6
; COMPUTE_PGM_RSRC2:TRAP_HANDLER: 0
; COMPUTE_PGM_RSRC2:TGID_X_EN: 1
; COMPUTE_PGM_RSRC2:TGID_Y_EN: 0
; COMPUTE_PGM_RSRC2:TGID_Z_EN: 0
; COMPUTE_PGM_RSRC2:TIDIG_COMP_CNT: 0
	.section	.text._ZN7rocprim17ROCPRIM_400000_NS6detail17trampoline_kernelINS0_14default_configENS1_25partition_config_selectorILNS1_17partition_subalgoE8EtNS0_10empty_typeEbEEZZNS1_14partition_implILS5_8ELb0ES3_jN6thrust23THRUST_200600_302600_NS6detail15normal_iteratorINSA_10device_ptrItEEEEPS6_PKS6_NS0_5tupleIJNSA_16discard_iteratorINSA_11use_defaultEEES6_EEENSJ_IJSG_SG_EEENS0_18inequality_wrapperINSA_8equal_toItEEEEPmJS6_EEE10hipError_tPvRmT3_T4_T5_T6_T7_T9_mT8_P12ihipStream_tbDpT10_ENKUlT_T0_E_clISt17integral_constantIbLb1EES1D_EEDaS18_S19_EUlS18_E_NS1_11comp_targetILNS1_3genE0ELNS1_11target_archE4294967295ELNS1_3gpuE0ELNS1_3repE0EEENS1_30default_config_static_selectorELNS0_4arch9wavefront6targetE1EEEvT1_,"axG",@progbits,_ZN7rocprim17ROCPRIM_400000_NS6detail17trampoline_kernelINS0_14default_configENS1_25partition_config_selectorILNS1_17partition_subalgoE8EtNS0_10empty_typeEbEEZZNS1_14partition_implILS5_8ELb0ES3_jN6thrust23THRUST_200600_302600_NS6detail15normal_iteratorINSA_10device_ptrItEEEEPS6_PKS6_NS0_5tupleIJNSA_16discard_iteratorINSA_11use_defaultEEES6_EEENSJ_IJSG_SG_EEENS0_18inequality_wrapperINSA_8equal_toItEEEEPmJS6_EEE10hipError_tPvRmT3_T4_T5_T6_T7_T9_mT8_P12ihipStream_tbDpT10_ENKUlT_T0_E_clISt17integral_constantIbLb1EES1D_EEDaS18_S19_EUlS18_E_NS1_11comp_targetILNS1_3genE0ELNS1_11target_archE4294967295ELNS1_3gpuE0ELNS1_3repE0EEENS1_30default_config_static_selectorELNS0_4arch9wavefront6targetE1EEEvT1_,comdat
	.protected	_ZN7rocprim17ROCPRIM_400000_NS6detail17trampoline_kernelINS0_14default_configENS1_25partition_config_selectorILNS1_17partition_subalgoE8EtNS0_10empty_typeEbEEZZNS1_14partition_implILS5_8ELb0ES3_jN6thrust23THRUST_200600_302600_NS6detail15normal_iteratorINSA_10device_ptrItEEEEPS6_PKS6_NS0_5tupleIJNSA_16discard_iteratorINSA_11use_defaultEEES6_EEENSJ_IJSG_SG_EEENS0_18inequality_wrapperINSA_8equal_toItEEEEPmJS6_EEE10hipError_tPvRmT3_T4_T5_T6_T7_T9_mT8_P12ihipStream_tbDpT10_ENKUlT_T0_E_clISt17integral_constantIbLb1EES1D_EEDaS18_S19_EUlS18_E_NS1_11comp_targetILNS1_3genE0ELNS1_11target_archE4294967295ELNS1_3gpuE0ELNS1_3repE0EEENS1_30default_config_static_selectorELNS0_4arch9wavefront6targetE1EEEvT1_ ; -- Begin function _ZN7rocprim17ROCPRIM_400000_NS6detail17trampoline_kernelINS0_14default_configENS1_25partition_config_selectorILNS1_17partition_subalgoE8EtNS0_10empty_typeEbEEZZNS1_14partition_implILS5_8ELb0ES3_jN6thrust23THRUST_200600_302600_NS6detail15normal_iteratorINSA_10device_ptrItEEEEPS6_PKS6_NS0_5tupleIJNSA_16discard_iteratorINSA_11use_defaultEEES6_EEENSJ_IJSG_SG_EEENS0_18inequality_wrapperINSA_8equal_toItEEEEPmJS6_EEE10hipError_tPvRmT3_T4_T5_T6_T7_T9_mT8_P12ihipStream_tbDpT10_ENKUlT_T0_E_clISt17integral_constantIbLb1EES1D_EEDaS18_S19_EUlS18_E_NS1_11comp_targetILNS1_3genE0ELNS1_11target_archE4294967295ELNS1_3gpuE0ELNS1_3repE0EEENS1_30default_config_static_selectorELNS0_4arch9wavefront6targetE1EEEvT1_
	.globl	_ZN7rocprim17ROCPRIM_400000_NS6detail17trampoline_kernelINS0_14default_configENS1_25partition_config_selectorILNS1_17partition_subalgoE8EtNS0_10empty_typeEbEEZZNS1_14partition_implILS5_8ELb0ES3_jN6thrust23THRUST_200600_302600_NS6detail15normal_iteratorINSA_10device_ptrItEEEEPS6_PKS6_NS0_5tupleIJNSA_16discard_iteratorINSA_11use_defaultEEES6_EEENSJ_IJSG_SG_EEENS0_18inequality_wrapperINSA_8equal_toItEEEEPmJS6_EEE10hipError_tPvRmT3_T4_T5_T6_T7_T9_mT8_P12ihipStream_tbDpT10_ENKUlT_T0_E_clISt17integral_constantIbLb1EES1D_EEDaS18_S19_EUlS18_E_NS1_11comp_targetILNS1_3genE0ELNS1_11target_archE4294967295ELNS1_3gpuE0ELNS1_3repE0EEENS1_30default_config_static_selectorELNS0_4arch9wavefront6targetE1EEEvT1_
	.p2align	8
	.type	_ZN7rocprim17ROCPRIM_400000_NS6detail17trampoline_kernelINS0_14default_configENS1_25partition_config_selectorILNS1_17partition_subalgoE8EtNS0_10empty_typeEbEEZZNS1_14partition_implILS5_8ELb0ES3_jN6thrust23THRUST_200600_302600_NS6detail15normal_iteratorINSA_10device_ptrItEEEEPS6_PKS6_NS0_5tupleIJNSA_16discard_iteratorINSA_11use_defaultEEES6_EEENSJ_IJSG_SG_EEENS0_18inequality_wrapperINSA_8equal_toItEEEEPmJS6_EEE10hipError_tPvRmT3_T4_T5_T6_T7_T9_mT8_P12ihipStream_tbDpT10_ENKUlT_T0_E_clISt17integral_constantIbLb1EES1D_EEDaS18_S19_EUlS18_E_NS1_11comp_targetILNS1_3genE0ELNS1_11target_archE4294967295ELNS1_3gpuE0ELNS1_3repE0EEENS1_30default_config_static_selectorELNS0_4arch9wavefront6targetE1EEEvT1_,@function
_ZN7rocprim17ROCPRIM_400000_NS6detail17trampoline_kernelINS0_14default_configENS1_25partition_config_selectorILNS1_17partition_subalgoE8EtNS0_10empty_typeEbEEZZNS1_14partition_implILS5_8ELb0ES3_jN6thrust23THRUST_200600_302600_NS6detail15normal_iteratorINSA_10device_ptrItEEEEPS6_PKS6_NS0_5tupleIJNSA_16discard_iteratorINSA_11use_defaultEEES6_EEENSJ_IJSG_SG_EEENS0_18inequality_wrapperINSA_8equal_toItEEEEPmJS6_EEE10hipError_tPvRmT3_T4_T5_T6_T7_T9_mT8_P12ihipStream_tbDpT10_ENKUlT_T0_E_clISt17integral_constantIbLb1EES1D_EEDaS18_S19_EUlS18_E_NS1_11comp_targetILNS1_3genE0ELNS1_11target_archE4294967295ELNS1_3gpuE0ELNS1_3repE0EEENS1_30default_config_static_selectorELNS0_4arch9wavefront6targetE1EEEvT1_: ; @_ZN7rocprim17ROCPRIM_400000_NS6detail17trampoline_kernelINS0_14default_configENS1_25partition_config_selectorILNS1_17partition_subalgoE8EtNS0_10empty_typeEbEEZZNS1_14partition_implILS5_8ELb0ES3_jN6thrust23THRUST_200600_302600_NS6detail15normal_iteratorINSA_10device_ptrItEEEEPS6_PKS6_NS0_5tupleIJNSA_16discard_iteratorINSA_11use_defaultEEES6_EEENSJ_IJSG_SG_EEENS0_18inequality_wrapperINSA_8equal_toItEEEEPmJS6_EEE10hipError_tPvRmT3_T4_T5_T6_T7_T9_mT8_P12ihipStream_tbDpT10_ENKUlT_T0_E_clISt17integral_constantIbLb1EES1D_EEDaS18_S19_EUlS18_E_NS1_11comp_targetILNS1_3genE0ELNS1_11target_archE4294967295ELNS1_3gpuE0ELNS1_3repE0EEENS1_30default_config_static_selectorELNS0_4arch9wavefront6targetE1EEEvT1_
; %bb.0:
	.section	.rodata,"a",@progbits
	.p2align	6, 0x0
	.amdhsa_kernel _ZN7rocprim17ROCPRIM_400000_NS6detail17trampoline_kernelINS0_14default_configENS1_25partition_config_selectorILNS1_17partition_subalgoE8EtNS0_10empty_typeEbEEZZNS1_14partition_implILS5_8ELb0ES3_jN6thrust23THRUST_200600_302600_NS6detail15normal_iteratorINSA_10device_ptrItEEEEPS6_PKS6_NS0_5tupleIJNSA_16discard_iteratorINSA_11use_defaultEEES6_EEENSJ_IJSG_SG_EEENS0_18inequality_wrapperINSA_8equal_toItEEEEPmJS6_EEE10hipError_tPvRmT3_T4_T5_T6_T7_T9_mT8_P12ihipStream_tbDpT10_ENKUlT_T0_E_clISt17integral_constantIbLb1EES1D_EEDaS18_S19_EUlS18_E_NS1_11comp_targetILNS1_3genE0ELNS1_11target_archE4294967295ELNS1_3gpuE0ELNS1_3repE0EEENS1_30default_config_static_selectorELNS0_4arch9wavefront6targetE1EEEvT1_
		.amdhsa_group_segment_fixed_size 0
		.amdhsa_private_segment_fixed_size 0
		.amdhsa_kernarg_size 136
		.amdhsa_user_sgpr_count 6
		.amdhsa_user_sgpr_private_segment_buffer 1
		.amdhsa_user_sgpr_dispatch_ptr 0
		.amdhsa_user_sgpr_queue_ptr 0
		.amdhsa_user_sgpr_kernarg_segment_ptr 1
		.amdhsa_user_sgpr_dispatch_id 0
		.amdhsa_user_sgpr_flat_scratch_init 0
		.amdhsa_user_sgpr_private_segment_size 0
		.amdhsa_uses_dynamic_stack 0
		.amdhsa_system_sgpr_private_segment_wavefront_offset 0
		.amdhsa_system_sgpr_workgroup_id_x 1
		.amdhsa_system_sgpr_workgroup_id_y 0
		.amdhsa_system_sgpr_workgroup_id_z 0
		.amdhsa_system_sgpr_workgroup_info 0
		.amdhsa_system_vgpr_workitem_id 0
		.amdhsa_next_free_vgpr 1
		.amdhsa_next_free_sgpr 0
		.amdhsa_reserve_vcc 0
		.amdhsa_reserve_flat_scratch 0
		.amdhsa_float_round_mode_32 0
		.amdhsa_float_round_mode_16_64 0
		.amdhsa_float_denorm_mode_32 3
		.amdhsa_float_denorm_mode_16_64 3
		.amdhsa_dx10_clamp 1
		.amdhsa_ieee_mode 1
		.amdhsa_fp16_overflow 0
		.amdhsa_exception_fp_ieee_invalid_op 0
		.amdhsa_exception_fp_denorm_src 0
		.amdhsa_exception_fp_ieee_div_zero 0
		.amdhsa_exception_fp_ieee_overflow 0
		.amdhsa_exception_fp_ieee_underflow 0
		.amdhsa_exception_fp_ieee_inexact 0
		.amdhsa_exception_int_div_zero 0
	.end_amdhsa_kernel
	.section	.text._ZN7rocprim17ROCPRIM_400000_NS6detail17trampoline_kernelINS0_14default_configENS1_25partition_config_selectorILNS1_17partition_subalgoE8EtNS0_10empty_typeEbEEZZNS1_14partition_implILS5_8ELb0ES3_jN6thrust23THRUST_200600_302600_NS6detail15normal_iteratorINSA_10device_ptrItEEEEPS6_PKS6_NS0_5tupleIJNSA_16discard_iteratorINSA_11use_defaultEEES6_EEENSJ_IJSG_SG_EEENS0_18inequality_wrapperINSA_8equal_toItEEEEPmJS6_EEE10hipError_tPvRmT3_T4_T5_T6_T7_T9_mT8_P12ihipStream_tbDpT10_ENKUlT_T0_E_clISt17integral_constantIbLb1EES1D_EEDaS18_S19_EUlS18_E_NS1_11comp_targetILNS1_3genE0ELNS1_11target_archE4294967295ELNS1_3gpuE0ELNS1_3repE0EEENS1_30default_config_static_selectorELNS0_4arch9wavefront6targetE1EEEvT1_,"axG",@progbits,_ZN7rocprim17ROCPRIM_400000_NS6detail17trampoline_kernelINS0_14default_configENS1_25partition_config_selectorILNS1_17partition_subalgoE8EtNS0_10empty_typeEbEEZZNS1_14partition_implILS5_8ELb0ES3_jN6thrust23THRUST_200600_302600_NS6detail15normal_iteratorINSA_10device_ptrItEEEEPS6_PKS6_NS0_5tupleIJNSA_16discard_iteratorINSA_11use_defaultEEES6_EEENSJ_IJSG_SG_EEENS0_18inequality_wrapperINSA_8equal_toItEEEEPmJS6_EEE10hipError_tPvRmT3_T4_T5_T6_T7_T9_mT8_P12ihipStream_tbDpT10_ENKUlT_T0_E_clISt17integral_constantIbLb1EES1D_EEDaS18_S19_EUlS18_E_NS1_11comp_targetILNS1_3genE0ELNS1_11target_archE4294967295ELNS1_3gpuE0ELNS1_3repE0EEENS1_30default_config_static_selectorELNS0_4arch9wavefront6targetE1EEEvT1_,comdat
.Lfunc_end605:
	.size	_ZN7rocprim17ROCPRIM_400000_NS6detail17trampoline_kernelINS0_14default_configENS1_25partition_config_selectorILNS1_17partition_subalgoE8EtNS0_10empty_typeEbEEZZNS1_14partition_implILS5_8ELb0ES3_jN6thrust23THRUST_200600_302600_NS6detail15normal_iteratorINSA_10device_ptrItEEEEPS6_PKS6_NS0_5tupleIJNSA_16discard_iteratorINSA_11use_defaultEEES6_EEENSJ_IJSG_SG_EEENS0_18inequality_wrapperINSA_8equal_toItEEEEPmJS6_EEE10hipError_tPvRmT3_T4_T5_T6_T7_T9_mT8_P12ihipStream_tbDpT10_ENKUlT_T0_E_clISt17integral_constantIbLb1EES1D_EEDaS18_S19_EUlS18_E_NS1_11comp_targetILNS1_3genE0ELNS1_11target_archE4294967295ELNS1_3gpuE0ELNS1_3repE0EEENS1_30default_config_static_selectorELNS0_4arch9wavefront6targetE1EEEvT1_, .Lfunc_end605-_ZN7rocprim17ROCPRIM_400000_NS6detail17trampoline_kernelINS0_14default_configENS1_25partition_config_selectorILNS1_17partition_subalgoE8EtNS0_10empty_typeEbEEZZNS1_14partition_implILS5_8ELb0ES3_jN6thrust23THRUST_200600_302600_NS6detail15normal_iteratorINSA_10device_ptrItEEEEPS6_PKS6_NS0_5tupleIJNSA_16discard_iteratorINSA_11use_defaultEEES6_EEENSJ_IJSG_SG_EEENS0_18inequality_wrapperINSA_8equal_toItEEEEPmJS6_EEE10hipError_tPvRmT3_T4_T5_T6_T7_T9_mT8_P12ihipStream_tbDpT10_ENKUlT_T0_E_clISt17integral_constantIbLb1EES1D_EEDaS18_S19_EUlS18_E_NS1_11comp_targetILNS1_3genE0ELNS1_11target_archE4294967295ELNS1_3gpuE0ELNS1_3repE0EEENS1_30default_config_static_selectorELNS0_4arch9wavefront6targetE1EEEvT1_
                                        ; -- End function
	.set _ZN7rocprim17ROCPRIM_400000_NS6detail17trampoline_kernelINS0_14default_configENS1_25partition_config_selectorILNS1_17partition_subalgoE8EtNS0_10empty_typeEbEEZZNS1_14partition_implILS5_8ELb0ES3_jN6thrust23THRUST_200600_302600_NS6detail15normal_iteratorINSA_10device_ptrItEEEEPS6_PKS6_NS0_5tupleIJNSA_16discard_iteratorINSA_11use_defaultEEES6_EEENSJ_IJSG_SG_EEENS0_18inequality_wrapperINSA_8equal_toItEEEEPmJS6_EEE10hipError_tPvRmT3_T4_T5_T6_T7_T9_mT8_P12ihipStream_tbDpT10_ENKUlT_T0_E_clISt17integral_constantIbLb1EES1D_EEDaS18_S19_EUlS18_E_NS1_11comp_targetILNS1_3genE0ELNS1_11target_archE4294967295ELNS1_3gpuE0ELNS1_3repE0EEENS1_30default_config_static_selectorELNS0_4arch9wavefront6targetE1EEEvT1_.num_vgpr, 0
	.set _ZN7rocprim17ROCPRIM_400000_NS6detail17trampoline_kernelINS0_14default_configENS1_25partition_config_selectorILNS1_17partition_subalgoE8EtNS0_10empty_typeEbEEZZNS1_14partition_implILS5_8ELb0ES3_jN6thrust23THRUST_200600_302600_NS6detail15normal_iteratorINSA_10device_ptrItEEEEPS6_PKS6_NS0_5tupleIJNSA_16discard_iteratorINSA_11use_defaultEEES6_EEENSJ_IJSG_SG_EEENS0_18inequality_wrapperINSA_8equal_toItEEEEPmJS6_EEE10hipError_tPvRmT3_T4_T5_T6_T7_T9_mT8_P12ihipStream_tbDpT10_ENKUlT_T0_E_clISt17integral_constantIbLb1EES1D_EEDaS18_S19_EUlS18_E_NS1_11comp_targetILNS1_3genE0ELNS1_11target_archE4294967295ELNS1_3gpuE0ELNS1_3repE0EEENS1_30default_config_static_selectorELNS0_4arch9wavefront6targetE1EEEvT1_.num_agpr, 0
	.set _ZN7rocprim17ROCPRIM_400000_NS6detail17trampoline_kernelINS0_14default_configENS1_25partition_config_selectorILNS1_17partition_subalgoE8EtNS0_10empty_typeEbEEZZNS1_14partition_implILS5_8ELb0ES3_jN6thrust23THRUST_200600_302600_NS6detail15normal_iteratorINSA_10device_ptrItEEEEPS6_PKS6_NS0_5tupleIJNSA_16discard_iteratorINSA_11use_defaultEEES6_EEENSJ_IJSG_SG_EEENS0_18inequality_wrapperINSA_8equal_toItEEEEPmJS6_EEE10hipError_tPvRmT3_T4_T5_T6_T7_T9_mT8_P12ihipStream_tbDpT10_ENKUlT_T0_E_clISt17integral_constantIbLb1EES1D_EEDaS18_S19_EUlS18_E_NS1_11comp_targetILNS1_3genE0ELNS1_11target_archE4294967295ELNS1_3gpuE0ELNS1_3repE0EEENS1_30default_config_static_selectorELNS0_4arch9wavefront6targetE1EEEvT1_.numbered_sgpr, 0
	.set _ZN7rocprim17ROCPRIM_400000_NS6detail17trampoline_kernelINS0_14default_configENS1_25partition_config_selectorILNS1_17partition_subalgoE8EtNS0_10empty_typeEbEEZZNS1_14partition_implILS5_8ELb0ES3_jN6thrust23THRUST_200600_302600_NS6detail15normal_iteratorINSA_10device_ptrItEEEEPS6_PKS6_NS0_5tupleIJNSA_16discard_iteratorINSA_11use_defaultEEES6_EEENSJ_IJSG_SG_EEENS0_18inequality_wrapperINSA_8equal_toItEEEEPmJS6_EEE10hipError_tPvRmT3_T4_T5_T6_T7_T9_mT8_P12ihipStream_tbDpT10_ENKUlT_T0_E_clISt17integral_constantIbLb1EES1D_EEDaS18_S19_EUlS18_E_NS1_11comp_targetILNS1_3genE0ELNS1_11target_archE4294967295ELNS1_3gpuE0ELNS1_3repE0EEENS1_30default_config_static_selectorELNS0_4arch9wavefront6targetE1EEEvT1_.num_named_barrier, 0
	.set _ZN7rocprim17ROCPRIM_400000_NS6detail17trampoline_kernelINS0_14default_configENS1_25partition_config_selectorILNS1_17partition_subalgoE8EtNS0_10empty_typeEbEEZZNS1_14partition_implILS5_8ELb0ES3_jN6thrust23THRUST_200600_302600_NS6detail15normal_iteratorINSA_10device_ptrItEEEEPS6_PKS6_NS0_5tupleIJNSA_16discard_iteratorINSA_11use_defaultEEES6_EEENSJ_IJSG_SG_EEENS0_18inequality_wrapperINSA_8equal_toItEEEEPmJS6_EEE10hipError_tPvRmT3_T4_T5_T6_T7_T9_mT8_P12ihipStream_tbDpT10_ENKUlT_T0_E_clISt17integral_constantIbLb1EES1D_EEDaS18_S19_EUlS18_E_NS1_11comp_targetILNS1_3genE0ELNS1_11target_archE4294967295ELNS1_3gpuE0ELNS1_3repE0EEENS1_30default_config_static_selectorELNS0_4arch9wavefront6targetE1EEEvT1_.private_seg_size, 0
	.set _ZN7rocprim17ROCPRIM_400000_NS6detail17trampoline_kernelINS0_14default_configENS1_25partition_config_selectorILNS1_17partition_subalgoE8EtNS0_10empty_typeEbEEZZNS1_14partition_implILS5_8ELb0ES3_jN6thrust23THRUST_200600_302600_NS6detail15normal_iteratorINSA_10device_ptrItEEEEPS6_PKS6_NS0_5tupleIJNSA_16discard_iteratorINSA_11use_defaultEEES6_EEENSJ_IJSG_SG_EEENS0_18inequality_wrapperINSA_8equal_toItEEEEPmJS6_EEE10hipError_tPvRmT3_T4_T5_T6_T7_T9_mT8_P12ihipStream_tbDpT10_ENKUlT_T0_E_clISt17integral_constantIbLb1EES1D_EEDaS18_S19_EUlS18_E_NS1_11comp_targetILNS1_3genE0ELNS1_11target_archE4294967295ELNS1_3gpuE0ELNS1_3repE0EEENS1_30default_config_static_selectorELNS0_4arch9wavefront6targetE1EEEvT1_.uses_vcc, 0
	.set _ZN7rocprim17ROCPRIM_400000_NS6detail17trampoline_kernelINS0_14default_configENS1_25partition_config_selectorILNS1_17partition_subalgoE8EtNS0_10empty_typeEbEEZZNS1_14partition_implILS5_8ELb0ES3_jN6thrust23THRUST_200600_302600_NS6detail15normal_iteratorINSA_10device_ptrItEEEEPS6_PKS6_NS0_5tupleIJNSA_16discard_iteratorINSA_11use_defaultEEES6_EEENSJ_IJSG_SG_EEENS0_18inequality_wrapperINSA_8equal_toItEEEEPmJS6_EEE10hipError_tPvRmT3_T4_T5_T6_T7_T9_mT8_P12ihipStream_tbDpT10_ENKUlT_T0_E_clISt17integral_constantIbLb1EES1D_EEDaS18_S19_EUlS18_E_NS1_11comp_targetILNS1_3genE0ELNS1_11target_archE4294967295ELNS1_3gpuE0ELNS1_3repE0EEENS1_30default_config_static_selectorELNS0_4arch9wavefront6targetE1EEEvT1_.uses_flat_scratch, 0
	.set _ZN7rocprim17ROCPRIM_400000_NS6detail17trampoline_kernelINS0_14default_configENS1_25partition_config_selectorILNS1_17partition_subalgoE8EtNS0_10empty_typeEbEEZZNS1_14partition_implILS5_8ELb0ES3_jN6thrust23THRUST_200600_302600_NS6detail15normal_iteratorINSA_10device_ptrItEEEEPS6_PKS6_NS0_5tupleIJNSA_16discard_iteratorINSA_11use_defaultEEES6_EEENSJ_IJSG_SG_EEENS0_18inequality_wrapperINSA_8equal_toItEEEEPmJS6_EEE10hipError_tPvRmT3_T4_T5_T6_T7_T9_mT8_P12ihipStream_tbDpT10_ENKUlT_T0_E_clISt17integral_constantIbLb1EES1D_EEDaS18_S19_EUlS18_E_NS1_11comp_targetILNS1_3genE0ELNS1_11target_archE4294967295ELNS1_3gpuE0ELNS1_3repE0EEENS1_30default_config_static_selectorELNS0_4arch9wavefront6targetE1EEEvT1_.has_dyn_sized_stack, 0
	.set _ZN7rocprim17ROCPRIM_400000_NS6detail17trampoline_kernelINS0_14default_configENS1_25partition_config_selectorILNS1_17partition_subalgoE8EtNS0_10empty_typeEbEEZZNS1_14partition_implILS5_8ELb0ES3_jN6thrust23THRUST_200600_302600_NS6detail15normal_iteratorINSA_10device_ptrItEEEEPS6_PKS6_NS0_5tupleIJNSA_16discard_iteratorINSA_11use_defaultEEES6_EEENSJ_IJSG_SG_EEENS0_18inequality_wrapperINSA_8equal_toItEEEEPmJS6_EEE10hipError_tPvRmT3_T4_T5_T6_T7_T9_mT8_P12ihipStream_tbDpT10_ENKUlT_T0_E_clISt17integral_constantIbLb1EES1D_EEDaS18_S19_EUlS18_E_NS1_11comp_targetILNS1_3genE0ELNS1_11target_archE4294967295ELNS1_3gpuE0ELNS1_3repE0EEENS1_30default_config_static_selectorELNS0_4arch9wavefront6targetE1EEEvT1_.has_recursion, 0
	.set _ZN7rocprim17ROCPRIM_400000_NS6detail17trampoline_kernelINS0_14default_configENS1_25partition_config_selectorILNS1_17partition_subalgoE8EtNS0_10empty_typeEbEEZZNS1_14partition_implILS5_8ELb0ES3_jN6thrust23THRUST_200600_302600_NS6detail15normal_iteratorINSA_10device_ptrItEEEEPS6_PKS6_NS0_5tupleIJNSA_16discard_iteratorINSA_11use_defaultEEES6_EEENSJ_IJSG_SG_EEENS0_18inequality_wrapperINSA_8equal_toItEEEEPmJS6_EEE10hipError_tPvRmT3_T4_T5_T6_T7_T9_mT8_P12ihipStream_tbDpT10_ENKUlT_T0_E_clISt17integral_constantIbLb1EES1D_EEDaS18_S19_EUlS18_E_NS1_11comp_targetILNS1_3genE0ELNS1_11target_archE4294967295ELNS1_3gpuE0ELNS1_3repE0EEENS1_30default_config_static_selectorELNS0_4arch9wavefront6targetE1EEEvT1_.has_indirect_call, 0
	.section	.AMDGPU.csdata,"",@progbits
; Kernel info:
; codeLenInByte = 0
; TotalNumSgprs: 4
; NumVgprs: 0
; ScratchSize: 0
; MemoryBound: 0
; FloatMode: 240
; IeeeMode: 1
; LDSByteSize: 0 bytes/workgroup (compile time only)
; SGPRBlocks: 0
; VGPRBlocks: 0
; NumSGPRsForWavesPerEU: 4
; NumVGPRsForWavesPerEU: 1
; Occupancy: 10
; WaveLimiterHint : 0
; COMPUTE_PGM_RSRC2:SCRATCH_EN: 0
; COMPUTE_PGM_RSRC2:USER_SGPR: 6
; COMPUTE_PGM_RSRC2:TRAP_HANDLER: 0
; COMPUTE_PGM_RSRC2:TGID_X_EN: 1
; COMPUTE_PGM_RSRC2:TGID_Y_EN: 0
; COMPUTE_PGM_RSRC2:TGID_Z_EN: 0
; COMPUTE_PGM_RSRC2:TIDIG_COMP_CNT: 0
	.section	.text._ZN7rocprim17ROCPRIM_400000_NS6detail17trampoline_kernelINS0_14default_configENS1_25partition_config_selectorILNS1_17partition_subalgoE8EtNS0_10empty_typeEbEEZZNS1_14partition_implILS5_8ELb0ES3_jN6thrust23THRUST_200600_302600_NS6detail15normal_iteratorINSA_10device_ptrItEEEEPS6_PKS6_NS0_5tupleIJNSA_16discard_iteratorINSA_11use_defaultEEES6_EEENSJ_IJSG_SG_EEENS0_18inequality_wrapperINSA_8equal_toItEEEEPmJS6_EEE10hipError_tPvRmT3_T4_T5_T6_T7_T9_mT8_P12ihipStream_tbDpT10_ENKUlT_T0_E_clISt17integral_constantIbLb1EES1D_EEDaS18_S19_EUlS18_E_NS1_11comp_targetILNS1_3genE5ELNS1_11target_archE942ELNS1_3gpuE9ELNS1_3repE0EEENS1_30default_config_static_selectorELNS0_4arch9wavefront6targetE1EEEvT1_,"axG",@progbits,_ZN7rocprim17ROCPRIM_400000_NS6detail17trampoline_kernelINS0_14default_configENS1_25partition_config_selectorILNS1_17partition_subalgoE8EtNS0_10empty_typeEbEEZZNS1_14partition_implILS5_8ELb0ES3_jN6thrust23THRUST_200600_302600_NS6detail15normal_iteratorINSA_10device_ptrItEEEEPS6_PKS6_NS0_5tupleIJNSA_16discard_iteratorINSA_11use_defaultEEES6_EEENSJ_IJSG_SG_EEENS0_18inequality_wrapperINSA_8equal_toItEEEEPmJS6_EEE10hipError_tPvRmT3_T4_T5_T6_T7_T9_mT8_P12ihipStream_tbDpT10_ENKUlT_T0_E_clISt17integral_constantIbLb1EES1D_EEDaS18_S19_EUlS18_E_NS1_11comp_targetILNS1_3genE5ELNS1_11target_archE942ELNS1_3gpuE9ELNS1_3repE0EEENS1_30default_config_static_selectorELNS0_4arch9wavefront6targetE1EEEvT1_,comdat
	.protected	_ZN7rocprim17ROCPRIM_400000_NS6detail17trampoline_kernelINS0_14default_configENS1_25partition_config_selectorILNS1_17partition_subalgoE8EtNS0_10empty_typeEbEEZZNS1_14partition_implILS5_8ELb0ES3_jN6thrust23THRUST_200600_302600_NS6detail15normal_iteratorINSA_10device_ptrItEEEEPS6_PKS6_NS0_5tupleIJNSA_16discard_iteratorINSA_11use_defaultEEES6_EEENSJ_IJSG_SG_EEENS0_18inequality_wrapperINSA_8equal_toItEEEEPmJS6_EEE10hipError_tPvRmT3_T4_T5_T6_T7_T9_mT8_P12ihipStream_tbDpT10_ENKUlT_T0_E_clISt17integral_constantIbLb1EES1D_EEDaS18_S19_EUlS18_E_NS1_11comp_targetILNS1_3genE5ELNS1_11target_archE942ELNS1_3gpuE9ELNS1_3repE0EEENS1_30default_config_static_selectorELNS0_4arch9wavefront6targetE1EEEvT1_ ; -- Begin function _ZN7rocprim17ROCPRIM_400000_NS6detail17trampoline_kernelINS0_14default_configENS1_25partition_config_selectorILNS1_17partition_subalgoE8EtNS0_10empty_typeEbEEZZNS1_14partition_implILS5_8ELb0ES3_jN6thrust23THRUST_200600_302600_NS6detail15normal_iteratorINSA_10device_ptrItEEEEPS6_PKS6_NS0_5tupleIJNSA_16discard_iteratorINSA_11use_defaultEEES6_EEENSJ_IJSG_SG_EEENS0_18inequality_wrapperINSA_8equal_toItEEEEPmJS6_EEE10hipError_tPvRmT3_T4_T5_T6_T7_T9_mT8_P12ihipStream_tbDpT10_ENKUlT_T0_E_clISt17integral_constantIbLb1EES1D_EEDaS18_S19_EUlS18_E_NS1_11comp_targetILNS1_3genE5ELNS1_11target_archE942ELNS1_3gpuE9ELNS1_3repE0EEENS1_30default_config_static_selectorELNS0_4arch9wavefront6targetE1EEEvT1_
	.globl	_ZN7rocprim17ROCPRIM_400000_NS6detail17trampoline_kernelINS0_14default_configENS1_25partition_config_selectorILNS1_17partition_subalgoE8EtNS0_10empty_typeEbEEZZNS1_14partition_implILS5_8ELb0ES3_jN6thrust23THRUST_200600_302600_NS6detail15normal_iteratorINSA_10device_ptrItEEEEPS6_PKS6_NS0_5tupleIJNSA_16discard_iteratorINSA_11use_defaultEEES6_EEENSJ_IJSG_SG_EEENS0_18inequality_wrapperINSA_8equal_toItEEEEPmJS6_EEE10hipError_tPvRmT3_T4_T5_T6_T7_T9_mT8_P12ihipStream_tbDpT10_ENKUlT_T0_E_clISt17integral_constantIbLb1EES1D_EEDaS18_S19_EUlS18_E_NS1_11comp_targetILNS1_3genE5ELNS1_11target_archE942ELNS1_3gpuE9ELNS1_3repE0EEENS1_30default_config_static_selectorELNS0_4arch9wavefront6targetE1EEEvT1_
	.p2align	8
	.type	_ZN7rocprim17ROCPRIM_400000_NS6detail17trampoline_kernelINS0_14default_configENS1_25partition_config_selectorILNS1_17partition_subalgoE8EtNS0_10empty_typeEbEEZZNS1_14partition_implILS5_8ELb0ES3_jN6thrust23THRUST_200600_302600_NS6detail15normal_iteratorINSA_10device_ptrItEEEEPS6_PKS6_NS0_5tupleIJNSA_16discard_iteratorINSA_11use_defaultEEES6_EEENSJ_IJSG_SG_EEENS0_18inequality_wrapperINSA_8equal_toItEEEEPmJS6_EEE10hipError_tPvRmT3_T4_T5_T6_T7_T9_mT8_P12ihipStream_tbDpT10_ENKUlT_T0_E_clISt17integral_constantIbLb1EES1D_EEDaS18_S19_EUlS18_E_NS1_11comp_targetILNS1_3genE5ELNS1_11target_archE942ELNS1_3gpuE9ELNS1_3repE0EEENS1_30default_config_static_selectorELNS0_4arch9wavefront6targetE1EEEvT1_,@function
_ZN7rocprim17ROCPRIM_400000_NS6detail17trampoline_kernelINS0_14default_configENS1_25partition_config_selectorILNS1_17partition_subalgoE8EtNS0_10empty_typeEbEEZZNS1_14partition_implILS5_8ELb0ES3_jN6thrust23THRUST_200600_302600_NS6detail15normal_iteratorINSA_10device_ptrItEEEEPS6_PKS6_NS0_5tupleIJNSA_16discard_iteratorINSA_11use_defaultEEES6_EEENSJ_IJSG_SG_EEENS0_18inequality_wrapperINSA_8equal_toItEEEEPmJS6_EEE10hipError_tPvRmT3_T4_T5_T6_T7_T9_mT8_P12ihipStream_tbDpT10_ENKUlT_T0_E_clISt17integral_constantIbLb1EES1D_EEDaS18_S19_EUlS18_E_NS1_11comp_targetILNS1_3genE5ELNS1_11target_archE942ELNS1_3gpuE9ELNS1_3repE0EEENS1_30default_config_static_selectorELNS0_4arch9wavefront6targetE1EEEvT1_: ; @_ZN7rocprim17ROCPRIM_400000_NS6detail17trampoline_kernelINS0_14default_configENS1_25partition_config_selectorILNS1_17partition_subalgoE8EtNS0_10empty_typeEbEEZZNS1_14partition_implILS5_8ELb0ES3_jN6thrust23THRUST_200600_302600_NS6detail15normal_iteratorINSA_10device_ptrItEEEEPS6_PKS6_NS0_5tupleIJNSA_16discard_iteratorINSA_11use_defaultEEES6_EEENSJ_IJSG_SG_EEENS0_18inequality_wrapperINSA_8equal_toItEEEEPmJS6_EEE10hipError_tPvRmT3_T4_T5_T6_T7_T9_mT8_P12ihipStream_tbDpT10_ENKUlT_T0_E_clISt17integral_constantIbLb1EES1D_EEDaS18_S19_EUlS18_E_NS1_11comp_targetILNS1_3genE5ELNS1_11target_archE942ELNS1_3gpuE9ELNS1_3repE0EEENS1_30default_config_static_selectorELNS0_4arch9wavefront6targetE1EEEvT1_
; %bb.0:
	.section	.rodata,"a",@progbits
	.p2align	6, 0x0
	.amdhsa_kernel _ZN7rocprim17ROCPRIM_400000_NS6detail17trampoline_kernelINS0_14default_configENS1_25partition_config_selectorILNS1_17partition_subalgoE8EtNS0_10empty_typeEbEEZZNS1_14partition_implILS5_8ELb0ES3_jN6thrust23THRUST_200600_302600_NS6detail15normal_iteratorINSA_10device_ptrItEEEEPS6_PKS6_NS0_5tupleIJNSA_16discard_iteratorINSA_11use_defaultEEES6_EEENSJ_IJSG_SG_EEENS0_18inequality_wrapperINSA_8equal_toItEEEEPmJS6_EEE10hipError_tPvRmT3_T4_T5_T6_T7_T9_mT8_P12ihipStream_tbDpT10_ENKUlT_T0_E_clISt17integral_constantIbLb1EES1D_EEDaS18_S19_EUlS18_E_NS1_11comp_targetILNS1_3genE5ELNS1_11target_archE942ELNS1_3gpuE9ELNS1_3repE0EEENS1_30default_config_static_selectorELNS0_4arch9wavefront6targetE1EEEvT1_
		.amdhsa_group_segment_fixed_size 0
		.amdhsa_private_segment_fixed_size 0
		.amdhsa_kernarg_size 136
		.amdhsa_user_sgpr_count 6
		.amdhsa_user_sgpr_private_segment_buffer 1
		.amdhsa_user_sgpr_dispatch_ptr 0
		.amdhsa_user_sgpr_queue_ptr 0
		.amdhsa_user_sgpr_kernarg_segment_ptr 1
		.amdhsa_user_sgpr_dispatch_id 0
		.amdhsa_user_sgpr_flat_scratch_init 0
		.amdhsa_user_sgpr_private_segment_size 0
		.amdhsa_uses_dynamic_stack 0
		.amdhsa_system_sgpr_private_segment_wavefront_offset 0
		.amdhsa_system_sgpr_workgroup_id_x 1
		.amdhsa_system_sgpr_workgroup_id_y 0
		.amdhsa_system_sgpr_workgroup_id_z 0
		.amdhsa_system_sgpr_workgroup_info 0
		.amdhsa_system_vgpr_workitem_id 0
		.amdhsa_next_free_vgpr 1
		.amdhsa_next_free_sgpr 0
		.amdhsa_reserve_vcc 0
		.amdhsa_reserve_flat_scratch 0
		.amdhsa_float_round_mode_32 0
		.amdhsa_float_round_mode_16_64 0
		.amdhsa_float_denorm_mode_32 3
		.amdhsa_float_denorm_mode_16_64 3
		.amdhsa_dx10_clamp 1
		.amdhsa_ieee_mode 1
		.amdhsa_fp16_overflow 0
		.amdhsa_exception_fp_ieee_invalid_op 0
		.amdhsa_exception_fp_denorm_src 0
		.amdhsa_exception_fp_ieee_div_zero 0
		.amdhsa_exception_fp_ieee_overflow 0
		.amdhsa_exception_fp_ieee_underflow 0
		.amdhsa_exception_fp_ieee_inexact 0
		.amdhsa_exception_int_div_zero 0
	.end_amdhsa_kernel
	.section	.text._ZN7rocprim17ROCPRIM_400000_NS6detail17trampoline_kernelINS0_14default_configENS1_25partition_config_selectorILNS1_17partition_subalgoE8EtNS0_10empty_typeEbEEZZNS1_14partition_implILS5_8ELb0ES3_jN6thrust23THRUST_200600_302600_NS6detail15normal_iteratorINSA_10device_ptrItEEEEPS6_PKS6_NS0_5tupleIJNSA_16discard_iteratorINSA_11use_defaultEEES6_EEENSJ_IJSG_SG_EEENS0_18inequality_wrapperINSA_8equal_toItEEEEPmJS6_EEE10hipError_tPvRmT3_T4_T5_T6_T7_T9_mT8_P12ihipStream_tbDpT10_ENKUlT_T0_E_clISt17integral_constantIbLb1EES1D_EEDaS18_S19_EUlS18_E_NS1_11comp_targetILNS1_3genE5ELNS1_11target_archE942ELNS1_3gpuE9ELNS1_3repE0EEENS1_30default_config_static_selectorELNS0_4arch9wavefront6targetE1EEEvT1_,"axG",@progbits,_ZN7rocprim17ROCPRIM_400000_NS6detail17trampoline_kernelINS0_14default_configENS1_25partition_config_selectorILNS1_17partition_subalgoE8EtNS0_10empty_typeEbEEZZNS1_14partition_implILS5_8ELb0ES3_jN6thrust23THRUST_200600_302600_NS6detail15normal_iteratorINSA_10device_ptrItEEEEPS6_PKS6_NS0_5tupleIJNSA_16discard_iteratorINSA_11use_defaultEEES6_EEENSJ_IJSG_SG_EEENS0_18inequality_wrapperINSA_8equal_toItEEEEPmJS6_EEE10hipError_tPvRmT3_T4_T5_T6_T7_T9_mT8_P12ihipStream_tbDpT10_ENKUlT_T0_E_clISt17integral_constantIbLb1EES1D_EEDaS18_S19_EUlS18_E_NS1_11comp_targetILNS1_3genE5ELNS1_11target_archE942ELNS1_3gpuE9ELNS1_3repE0EEENS1_30default_config_static_selectorELNS0_4arch9wavefront6targetE1EEEvT1_,comdat
.Lfunc_end606:
	.size	_ZN7rocprim17ROCPRIM_400000_NS6detail17trampoline_kernelINS0_14default_configENS1_25partition_config_selectorILNS1_17partition_subalgoE8EtNS0_10empty_typeEbEEZZNS1_14partition_implILS5_8ELb0ES3_jN6thrust23THRUST_200600_302600_NS6detail15normal_iteratorINSA_10device_ptrItEEEEPS6_PKS6_NS0_5tupleIJNSA_16discard_iteratorINSA_11use_defaultEEES6_EEENSJ_IJSG_SG_EEENS0_18inequality_wrapperINSA_8equal_toItEEEEPmJS6_EEE10hipError_tPvRmT3_T4_T5_T6_T7_T9_mT8_P12ihipStream_tbDpT10_ENKUlT_T0_E_clISt17integral_constantIbLb1EES1D_EEDaS18_S19_EUlS18_E_NS1_11comp_targetILNS1_3genE5ELNS1_11target_archE942ELNS1_3gpuE9ELNS1_3repE0EEENS1_30default_config_static_selectorELNS0_4arch9wavefront6targetE1EEEvT1_, .Lfunc_end606-_ZN7rocprim17ROCPRIM_400000_NS6detail17trampoline_kernelINS0_14default_configENS1_25partition_config_selectorILNS1_17partition_subalgoE8EtNS0_10empty_typeEbEEZZNS1_14partition_implILS5_8ELb0ES3_jN6thrust23THRUST_200600_302600_NS6detail15normal_iteratorINSA_10device_ptrItEEEEPS6_PKS6_NS0_5tupleIJNSA_16discard_iteratorINSA_11use_defaultEEES6_EEENSJ_IJSG_SG_EEENS0_18inequality_wrapperINSA_8equal_toItEEEEPmJS6_EEE10hipError_tPvRmT3_T4_T5_T6_T7_T9_mT8_P12ihipStream_tbDpT10_ENKUlT_T0_E_clISt17integral_constantIbLb1EES1D_EEDaS18_S19_EUlS18_E_NS1_11comp_targetILNS1_3genE5ELNS1_11target_archE942ELNS1_3gpuE9ELNS1_3repE0EEENS1_30default_config_static_selectorELNS0_4arch9wavefront6targetE1EEEvT1_
                                        ; -- End function
	.set _ZN7rocprim17ROCPRIM_400000_NS6detail17trampoline_kernelINS0_14default_configENS1_25partition_config_selectorILNS1_17partition_subalgoE8EtNS0_10empty_typeEbEEZZNS1_14partition_implILS5_8ELb0ES3_jN6thrust23THRUST_200600_302600_NS6detail15normal_iteratorINSA_10device_ptrItEEEEPS6_PKS6_NS0_5tupleIJNSA_16discard_iteratorINSA_11use_defaultEEES6_EEENSJ_IJSG_SG_EEENS0_18inequality_wrapperINSA_8equal_toItEEEEPmJS6_EEE10hipError_tPvRmT3_T4_T5_T6_T7_T9_mT8_P12ihipStream_tbDpT10_ENKUlT_T0_E_clISt17integral_constantIbLb1EES1D_EEDaS18_S19_EUlS18_E_NS1_11comp_targetILNS1_3genE5ELNS1_11target_archE942ELNS1_3gpuE9ELNS1_3repE0EEENS1_30default_config_static_selectorELNS0_4arch9wavefront6targetE1EEEvT1_.num_vgpr, 0
	.set _ZN7rocprim17ROCPRIM_400000_NS6detail17trampoline_kernelINS0_14default_configENS1_25partition_config_selectorILNS1_17partition_subalgoE8EtNS0_10empty_typeEbEEZZNS1_14partition_implILS5_8ELb0ES3_jN6thrust23THRUST_200600_302600_NS6detail15normal_iteratorINSA_10device_ptrItEEEEPS6_PKS6_NS0_5tupleIJNSA_16discard_iteratorINSA_11use_defaultEEES6_EEENSJ_IJSG_SG_EEENS0_18inequality_wrapperINSA_8equal_toItEEEEPmJS6_EEE10hipError_tPvRmT3_T4_T5_T6_T7_T9_mT8_P12ihipStream_tbDpT10_ENKUlT_T0_E_clISt17integral_constantIbLb1EES1D_EEDaS18_S19_EUlS18_E_NS1_11comp_targetILNS1_3genE5ELNS1_11target_archE942ELNS1_3gpuE9ELNS1_3repE0EEENS1_30default_config_static_selectorELNS0_4arch9wavefront6targetE1EEEvT1_.num_agpr, 0
	.set _ZN7rocprim17ROCPRIM_400000_NS6detail17trampoline_kernelINS0_14default_configENS1_25partition_config_selectorILNS1_17partition_subalgoE8EtNS0_10empty_typeEbEEZZNS1_14partition_implILS5_8ELb0ES3_jN6thrust23THRUST_200600_302600_NS6detail15normal_iteratorINSA_10device_ptrItEEEEPS6_PKS6_NS0_5tupleIJNSA_16discard_iteratorINSA_11use_defaultEEES6_EEENSJ_IJSG_SG_EEENS0_18inequality_wrapperINSA_8equal_toItEEEEPmJS6_EEE10hipError_tPvRmT3_T4_T5_T6_T7_T9_mT8_P12ihipStream_tbDpT10_ENKUlT_T0_E_clISt17integral_constantIbLb1EES1D_EEDaS18_S19_EUlS18_E_NS1_11comp_targetILNS1_3genE5ELNS1_11target_archE942ELNS1_3gpuE9ELNS1_3repE0EEENS1_30default_config_static_selectorELNS0_4arch9wavefront6targetE1EEEvT1_.numbered_sgpr, 0
	.set _ZN7rocprim17ROCPRIM_400000_NS6detail17trampoline_kernelINS0_14default_configENS1_25partition_config_selectorILNS1_17partition_subalgoE8EtNS0_10empty_typeEbEEZZNS1_14partition_implILS5_8ELb0ES3_jN6thrust23THRUST_200600_302600_NS6detail15normal_iteratorINSA_10device_ptrItEEEEPS6_PKS6_NS0_5tupleIJNSA_16discard_iteratorINSA_11use_defaultEEES6_EEENSJ_IJSG_SG_EEENS0_18inequality_wrapperINSA_8equal_toItEEEEPmJS6_EEE10hipError_tPvRmT3_T4_T5_T6_T7_T9_mT8_P12ihipStream_tbDpT10_ENKUlT_T0_E_clISt17integral_constantIbLb1EES1D_EEDaS18_S19_EUlS18_E_NS1_11comp_targetILNS1_3genE5ELNS1_11target_archE942ELNS1_3gpuE9ELNS1_3repE0EEENS1_30default_config_static_selectorELNS0_4arch9wavefront6targetE1EEEvT1_.num_named_barrier, 0
	.set _ZN7rocprim17ROCPRIM_400000_NS6detail17trampoline_kernelINS0_14default_configENS1_25partition_config_selectorILNS1_17partition_subalgoE8EtNS0_10empty_typeEbEEZZNS1_14partition_implILS5_8ELb0ES3_jN6thrust23THRUST_200600_302600_NS6detail15normal_iteratorINSA_10device_ptrItEEEEPS6_PKS6_NS0_5tupleIJNSA_16discard_iteratorINSA_11use_defaultEEES6_EEENSJ_IJSG_SG_EEENS0_18inequality_wrapperINSA_8equal_toItEEEEPmJS6_EEE10hipError_tPvRmT3_T4_T5_T6_T7_T9_mT8_P12ihipStream_tbDpT10_ENKUlT_T0_E_clISt17integral_constantIbLb1EES1D_EEDaS18_S19_EUlS18_E_NS1_11comp_targetILNS1_3genE5ELNS1_11target_archE942ELNS1_3gpuE9ELNS1_3repE0EEENS1_30default_config_static_selectorELNS0_4arch9wavefront6targetE1EEEvT1_.private_seg_size, 0
	.set _ZN7rocprim17ROCPRIM_400000_NS6detail17trampoline_kernelINS0_14default_configENS1_25partition_config_selectorILNS1_17partition_subalgoE8EtNS0_10empty_typeEbEEZZNS1_14partition_implILS5_8ELb0ES3_jN6thrust23THRUST_200600_302600_NS6detail15normal_iteratorINSA_10device_ptrItEEEEPS6_PKS6_NS0_5tupleIJNSA_16discard_iteratorINSA_11use_defaultEEES6_EEENSJ_IJSG_SG_EEENS0_18inequality_wrapperINSA_8equal_toItEEEEPmJS6_EEE10hipError_tPvRmT3_T4_T5_T6_T7_T9_mT8_P12ihipStream_tbDpT10_ENKUlT_T0_E_clISt17integral_constantIbLb1EES1D_EEDaS18_S19_EUlS18_E_NS1_11comp_targetILNS1_3genE5ELNS1_11target_archE942ELNS1_3gpuE9ELNS1_3repE0EEENS1_30default_config_static_selectorELNS0_4arch9wavefront6targetE1EEEvT1_.uses_vcc, 0
	.set _ZN7rocprim17ROCPRIM_400000_NS6detail17trampoline_kernelINS0_14default_configENS1_25partition_config_selectorILNS1_17partition_subalgoE8EtNS0_10empty_typeEbEEZZNS1_14partition_implILS5_8ELb0ES3_jN6thrust23THRUST_200600_302600_NS6detail15normal_iteratorINSA_10device_ptrItEEEEPS6_PKS6_NS0_5tupleIJNSA_16discard_iteratorINSA_11use_defaultEEES6_EEENSJ_IJSG_SG_EEENS0_18inequality_wrapperINSA_8equal_toItEEEEPmJS6_EEE10hipError_tPvRmT3_T4_T5_T6_T7_T9_mT8_P12ihipStream_tbDpT10_ENKUlT_T0_E_clISt17integral_constantIbLb1EES1D_EEDaS18_S19_EUlS18_E_NS1_11comp_targetILNS1_3genE5ELNS1_11target_archE942ELNS1_3gpuE9ELNS1_3repE0EEENS1_30default_config_static_selectorELNS0_4arch9wavefront6targetE1EEEvT1_.uses_flat_scratch, 0
	.set _ZN7rocprim17ROCPRIM_400000_NS6detail17trampoline_kernelINS0_14default_configENS1_25partition_config_selectorILNS1_17partition_subalgoE8EtNS0_10empty_typeEbEEZZNS1_14partition_implILS5_8ELb0ES3_jN6thrust23THRUST_200600_302600_NS6detail15normal_iteratorINSA_10device_ptrItEEEEPS6_PKS6_NS0_5tupleIJNSA_16discard_iteratorINSA_11use_defaultEEES6_EEENSJ_IJSG_SG_EEENS0_18inequality_wrapperINSA_8equal_toItEEEEPmJS6_EEE10hipError_tPvRmT3_T4_T5_T6_T7_T9_mT8_P12ihipStream_tbDpT10_ENKUlT_T0_E_clISt17integral_constantIbLb1EES1D_EEDaS18_S19_EUlS18_E_NS1_11comp_targetILNS1_3genE5ELNS1_11target_archE942ELNS1_3gpuE9ELNS1_3repE0EEENS1_30default_config_static_selectorELNS0_4arch9wavefront6targetE1EEEvT1_.has_dyn_sized_stack, 0
	.set _ZN7rocprim17ROCPRIM_400000_NS6detail17trampoline_kernelINS0_14default_configENS1_25partition_config_selectorILNS1_17partition_subalgoE8EtNS0_10empty_typeEbEEZZNS1_14partition_implILS5_8ELb0ES3_jN6thrust23THRUST_200600_302600_NS6detail15normal_iteratorINSA_10device_ptrItEEEEPS6_PKS6_NS0_5tupleIJNSA_16discard_iteratorINSA_11use_defaultEEES6_EEENSJ_IJSG_SG_EEENS0_18inequality_wrapperINSA_8equal_toItEEEEPmJS6_EEE10hipError_tPvRmT3_T4_T5_T6_T7_T9_mT8_P12ihipStream_tbDpT10_ENKUlT_T0_E_clISt17integral_constantIbLb1EES1D_EEDaS18_S19_EUlS18_E_NS1_11comp_targetILNS1_3genE5ELNS1_11target_archE942ELNS1_3gpuE9ELNS1_3repE0EEENS1_30default_config_static_selectorELNS0_4arch9wavefront6targetE1EEEvT1_.has_recursion, 0
	.set _ZN7rocprim17ROCPRIM_400000_NS6detail17trampoline_kernelINS0_14default_configENS1_25partition_config_selectorILNS1_17partition_subalgoE8EtNS0_10empty_typeEbEEZZNS1_14partition_implILS5_8ELb0ES3_jN6thrust23THRUST_200600_302600_NS6detail15normal_iteratorINSA_10device_ptrItEEEEPS6_PKS6_NS0_5tupleIJNSA_16discard_iteratorINSA_11use_defaultEEES6_EEENSJ_IJSG_SG_EEENS0_18inequality_wrapperINSA_8equal_toItEEEEPmJS6_EEE10hipError_tPvRmT3_T4_T5_T6_T7_T9_mT8_P12ihipStream_tbDpT10_ENKUlT_T0_E_clISt17integral_constantIbLb1EES1D_EEDaS18_S19_EUlS18_E_NS1_11comp_targetILNS1_3genE5ELNS1_11target_archE942ELNS1_3gpuE9ELNS1_3repE0EEENS1_30default_config_static_selectorELNS0_4arch9wavefront6targetE1EEEvT1_.has_indirect_call, 0
	.section	.AMDGPU.csdata,"",@progbits
; Kernel info:
; codeLenInByte = 0
; TotalNumSgprs: 4
; NumVgprs: 0
; ScratchSize: 0
; MemoryBound: 0
; FloatMode: 240
; IeeeMode: 1
; LDSByteSize: 0 bytes/workgroup (compile time only)
; SGPRBlocks: 0
; VGPRBlocks: 0
; NumSGPRsForWavesPerEU: 4
; NumVGPRsForWavesPerEU: 1
; Occupancy: 10
; WaveLimiterHint : 0
; COMPUTE_PGM_RSRC2:SCRATCH_EN: 0
; COMPUTE_PGM_RSRC2:USER_SGPR: 6
; COMPUTE_PGM_RSRC2:TRAP_HANDLER: 0
; COMPUTE_PGM_RSRC2:TGID_X_EN: 1
; COMPUTE_PGM_RSRC2:TGID_Y_EN: 0
; COMPUTE_PGM_RSRC2:TGID_Z_EN: 0
; COMPUTE_PGM_RSRC2:TIDIG_COMP_CNT: 0
	.section	.text._ZN7rocprim17ROCPRIM_400000_NS6detail17trampoline_kernelINS0_14default_configENS1_25partition_config_selectorILNS1_17partition_subalgoE8EtNS0_10empty_typeEbEEZZNS1_14partition_implILS5_8ELb0ES3_jN6thrust23THRUST_200600_302600_NS6detail15normal_iteratorINSA_10device_ptrItEEEEPS6_PKS6_NS0_5tupleIJNSA_16discard_iteratorINSA_11use_defaultEEES6_EEENSJ_IJSG_SG_EEENS0_18inequality_wrapperINSA_8equal_toItEEEEPmJS6_EEE10hipError_tPvRmT3_T4_T5_T6_T7_T9_mT8_P12ihipStream_tbDpT10_ENKUlT_T0_E_clISt17integral_constantIbLb1EES1D_EEDaS18_S19_EUlS18_E_NS1_11comp_targetILNS1_3genE4ELNS1_11target_archE910ELNS1_3gpuE8ELNS1_3repE0EEENS1_30default_config_static_selectorELNS0_4arch9wavefront6targetE1EEEvT1_,"axG",@progbits,_ZN7rocprim17ROCPRIM_400000_NS6detail17trampoline_kernelINS0_14default_configENS1_25partition_config_selectorILNS1_17partition_subalgoE8EtNS0_10empty_typeEbEEZZNS1_14partition_implILS5_8ELb0ES3_jN6thrust23THRUST_200600_302600_NS6detail15normal_iteratorINSA_10device_ptrItEEEEPS6_PKS6_NS0_5tupleIJNSA_16discard_iteratorINSA_11use_defaultEEES6_EEENSJ_IJSG_SG_EEENS0_18inequality_wrapperINSA_8equal_toItEEEEPmJS6_EEE10hipError_tPvRmT3_T4_T5_T6_T7_T9_mT8_P12ihipStream_tbDpT10_ENKUlT_T0_E_clISt17integral_constantIbLb1EES1D_EEDaS18_S19_EUlS18_E_NS1_11comp_targetILNS1_3genE4ELNS1_11target_archE910ELNS1_3gpuE8ELNS1_3repE0EEENS1_30default_config_static_selectorELNS0_4arch9wavefront6targetE1EEEvT1_,comdat
	.protected	_ZN7rocprim17ROCPRIM_400000_NS6detail17trampoline_kernelINS0_14default_configENS1_25partition_config_selectorILNS1_17partition_subalgoE8EtNS0_10empty_typeEbEEZZNS1_14partition_implILS5_8ELb0ES3_jN6thrust23THRUST_200600_302600_NS6detail15normal_iteratorINSA_10device_ptrItEEEEPS6_PKS6_NS0_5tupleIJNSA_16discard_iteratorINSA_11use_defaultEEES6_EEENSJ_IJSG_SG_EEENS0_18inequality_wrapperINSA_8equal_toItEEEEPmJS6_EEE10hipError_tPvRmT3_T4_T5_T6_T7_T9_mT8_P12ihipStream_tbDpT10_ENKUlT_T0_E_clISt17integral_constantIbLb1EES1D_EEDaS18_S19_EUlS18_E_NS1_11comp_targetILNS1_3genE4ELNS1_11target_archE910ELNS1_3gpuE8ELNS1_3repE0EEENS1_30default_config_static_selectorELNS0_4arch9wavefront6targetE1EEEvT1_ ; -- Begin function _ZN7rocprim17ROCPRIM_400000_NS6detail17trampoline_kernelINS0_14default_configENS1_25partition_config_selectorILNS1_17partition_subalgoE8EtNS0_10empty_typeEbEEZZNS1_14partition_implILS5_8ELb0ES3_jN6thrust23THRUST_200600_302600_NS6detail15normal_iteratorINSA_10device_ptrItEEEEPS6_PKS6_NS0_5tupleIJNSA_16discard_iteratorINSA_11use_defaultEEES6_EEENSJ_IJSG_SG_EEENS0_18inequality_wrapperINSA_8equal_toItEEEEPmJS6_EEE10hipError_tPvRmT3_T4_T5_T6_T7_T9_mT8_P12ihipStream_tbDpT10_ENKUlT_T0_E_clISt17integral_constantIbLb1EES1D_EEDaS18_S19_EUlS18_E_NS1_11comp_targetILNS1_3genE4ELNS1_11target_archE910ELNS1_3gpuE8ELNS1_3repE0EEENS1_30default_config_static_selectorELNS0_4arch9wavefront6targetE1EEEvT1_
	.globl	_ZN7rocprim17ROCPRIM_400000_NS6detail17trampoline_kernelINS0_14default_configENS1_25partition_config_selectorILNS1_17partition_subalgoE8EtNS0_10empty_typeEbEEZZNS1_14partition_implILS5_8ELb0ES3_jN6thrust23THRUST_200600_302600_NS6detail15normal_iteratorINSA_10device_ptrItEEEEPS6_PKS6_NS0_5tupleIJNSA_16discard_iteratorINSA_11use_defaultEEES6_EEENSJ_IJSG_SG_EEENS0_18inequality_wrapperINSA_8equal_toItEEEEPmJS6_EEE10hipError_tPvRmT3_T4_T5_T6_T7_T9_mT8_P12ihipStream_tbDpT10_ENKUlT_T0_E_clISt17integral_constantIbLb1EES1D_EEDaS18_S19_EUlS18_E_NS1_11comp_targetILNS1_3genE4ELNS1_11target_archE910ELNS1_3gpuE8ELNS1_3repE0EEENS1_30default_config_static_selectorELNS0_4arch9wavefront6targetE1EEEvT1_
	.p2align	8
	.type	_ZN7rocprim17ROCPRIM_400000_NS6detail17trampoline_kernelINS0_14default_configENS1_25partition_config_selectorILNS1_17partition_subalgoE8EtNS0_10empty_typeEbEEZZNS1_14partition_implILS5_8ELb0ES3_jN6thrust23THRUST_200600_302600_NS6detail15normal_iteratorINSA_10device_ptrItEEEEPS6_PKS6_NS0_5tupleIJNSA_16discard_iteratorINSA_11use_defaultEEES6_EEENSJ_IJSG_SG_EEENS0_18inequality_wrapperINSA_8equal_toItEEEEPmJS6_EEE10hipError_tPvRmT3_T4_T5_T6_T7_T9_mT8_P12ihipStream_tbDpT10_ENKUlT_T0_E_clISt17integral_constantIbLb1EES1D_EEDaS18_S19_EUlS18_E_NS1_11comp_targetILNS1_3genE4ELNS1_11target_archE910ELNS1_3gpuE8ELNS1_3repE0EEENS1_30default_config_static_selectorELNS0_4arch9wavefront6targetE1EEEvT1_,@function
_ZN7rocprim17ROCPRIM_400000_NS6detail17trampoline_kernelINS0_14default_configENS1_25partition_config_selectorILNS1_17partition_subalgoE8EtNS0_10empty_typeEbEEZZNS1_14partition_implILS5_8ELb0ES3_jN6thrust23THRUST_200600_302600_NS6detail15normal_iteratorINSA_10device_ptrItEEEEPS6_PKS6_NS0_5tupleIJNSA_16discard_iteratorINSA_11use_defaultEEES6_EEENSJ_IJSG_SG_EEENS0_18inequality_wrapperINSA_8equal_toItEEEEPmJS6_EEE10hipError_tPvRmT3_T4_T5_T6_T7_T9_mT8_P12ihipStream_tbDpT10_ENKUlT_T0_E_clISt17integral_constantIbLb1EES1D_EEDaS18_S19_EUlS18_E_NS1_11comp_targetILNS1_3genE4ELNS1_11target_archE910ELNS1_3gpuE8ELNS1_3repE0EEENS1_30default_config_static_selectorELNS0_4arch9wavefront6targetE1EEEvT1_: ; @_ZN7rocprim17ROCPRIM_400000_NS6detail17trampoline_kernelINS0_14default_configENS1_25partition_config_selectorILNS1_17partition_subalgoE8EtNS0_10empty_typeEbEEZZNS1_14partition_implILS5_8ELb0ES3_jN6thrust23THRUST_200600_302600_NS6detail15normal_iteratorINSA_10device_ptrItEEEEPS6_PKS6_NS0_5tupleIJNSA_16discard_iteratorINSA_11use_defaultEEES6_EEENSJ_IJSG_SG_EEENS0_18inequality_wrapperINSA_8equal_toItEEEEPmJS6_EEE10hipError_tPvRmT3_T4_T5_T6_T7_T9_mT8_P12ihipStream_tbDpT10_ENKUlT_T0_E_clISt17integral_constantIbLb1EES1D_EEDaS18_S19_EUlS18_E_NS1_11comp_targetILNS1_3genE4ELNS1_11target_archE910ELNS1_3gpuE8ELNS1_3repE0EEENS1_30default_config_static_selectorELNS0_4arch9wavefront6targetE1EEEvT1_
; %bb.0:
	.section	.rodata,"a",@progbits
	.p2align	6, 0x0
	.amdhsa_kernel _ZN7rocprim17ROCPRIM_400000_NS6detail17trampoline_kernelINS0_14default_configENS1_25partition_config_selectorILNS1_17partition_subalgoE8EtNS0_10empty_typeEbEEZZNS1_14partition_implILS5_8ELb0ES3_jN6thrust23THRUST_200600_302600_NS6detail15normal_iteratorINSA_10device_ptrItEEEEPS6_PKS6_NS0_5tupleIJNSA_16discard_iteratorINSA_11use_defaultEEES6_EEENSJ_IJSG_SG_EEENS0_18inequality_wrapperINSA_8equal_toItEEEEPmJS6_EEE10hipError_tPvRmT3_T4_T5_T6_T7_T9_mT8_P12ihipStream_tbDpT10_ENKUlT_T0_E_clISt17integral_constantIbLb1EES1D_EEDaS18_S19_EUlS18_E_NS1_11comp_targetILNS1_3genE4ELNS1_11target_archE910ELNS1_3gpuE8ELNS1_3repE0EEENS1_30default_config_static_selectorELNS0_4arch9wavefront6targetE1EEEvT1_
		.amdhsa_group_segment_fixed_size 0
		.amdhsa_private_segment_fixed_size 0
		.amdhsa_kernarg_size 136
		.amdhsa_user_sgpr_count 6
		.amdhsa_user_sgpr_private_segment_buffer 1
		.amdhsa_user_sgpr_dispatch_ptr 0
		.amdhsa_user_sgpr_queue_ptr 0
		.amdhsa_user_sgpr_kernarg_segment_ptr 1
		.amdhsa_user_sgpr_dispatch_id 0
		.amdhsa_user_sgpr_flat_scratch_init 0
		.amdhsa_user_sgpr_private_segment_size 0
		.amdhsa_uses_dynamic_stack 0
		.amdhsa_system_sgpr_private_segment_wavefront_offset 0
		.amdhsa_system_sgpr_workgroup_id_x 1
		.amdhsa_system_sgpr_workgroup_id_y 0
		.amdhsa_system_sgpr_workgroup_id_z 0
		.amdhsa_system_sgpr_workgroup_info 0
		.amdhsa_system_vgpr_workitem_id 0
		.amdhsa_next_free_vgpr 1
		.amdhsa_next_free_sgpr 0
		.amdhsa_reserve_vcc 0
		.amdhsa_reserve_flat_scratch 0
		.amdhsa_float_round_mode_32 0
		.amdhsa_float_round_mode_16_64 0
		.amdhsa_float_denorm_mode_32 3
		.amdhsa_float_denorm_mode_16_64 3
		.amdhsa_dx10_clamp 1
		.amdhsa_ieee_mode 1
		.amdhsa_fp16_overflow 0
		.amdhsa_exception_fp_ieee_invalid_op 0
		.amdhsa_exception_fp_denorm_src 0
		.amdhsa_exception_fp_ieee_div_zero 0
		.amdhsa_exception_fp_ieee_overflow 0
		.amdhsa_exception_fp_ieee_underflow 0
		.amdhsa_exception_fp_ieee_inexact 0
		.amdhsa_exception_int_div_zero 0
	.end_amdhsa_kernel
	.section	.text._ZN7rocprim17ROCPRIM_400000_NS6detail17trampoline_kernelINS0_14default_configENS1_25partition_config_selectorILNS1_17partition_subalgoE8EtNS0_10empty_typeEbEEZZNS1_14partition_implILS5_8ELb0ES3_jN6thrust23THRUST_200600_302600_NS6detail15normal_iteratorINSA_10device_ptrItEEEEPS6_PKS6_NS0_5tupleIJNSA_16discard_iteratorINSA_11use_defaultEEES6_EEENSJ_IJSG_SG_EEENS0_18inequality_wrapperINSA_8equal_toItEEEEPmJS6_EEE10hipError_tPvRmT3_T4_T5_T6_T7_T9_mT8_P12ihipStream_tbDpT10_ENKUlT_T0_E_clISt17integral_constantIbLb1EES1D_EEDaS18_S19_EUlS18_E_NS1_11comp_targetILNS1_3genE4ELNS1_11target_archE910ELNS1_3gpuE8ELNS1_3repE0EEENS1_30default_config_static_selectorELNS0_4arch9wavefront6targetE1EEEvT1_,"axG",@progbits,_ZN7rocprim17ROCPRIM_400000_NS6detail17trampoline_kernelINS0_14default_configENS1_25partition_config_selectorILNS1_17partition_subalgoE8EtNS0_10empty_typeEbEEZZNS1_14partition_implILS5_8ELb0ES3_jN6thrust23THRUST_200600_302600_NS6detail15normal_iteratorINSA_10device_ptrItEEEEPS6_PKS6_NS0_5tupleIJNSA_16discard_iteratorINSA_11use_defaultEEES6_EEENSJ_IJSG_SG_EEENS0_18inequality_wrapperINSA_8equal_toItEEEEPmJS6_EEE10hipError_tPvRmT3_T4_T5_T6_T7_T9_mT8_P12ihipStream_tbDpT10_ENKUlT_T0_E_clISt17integral_constantIbLb1EES1D_EEDaS18_S19_EUlS18_E_NS1_11comp_targetILNS1_3genE4ELNS1_11target_archE910ELNS1_3gpuE8ELNS1_3repE0EEENS1_30default_config_static_selectorELNS0_4arch9wavefront6targetE1EEEvT1_,comdat
.Lfunc_end607:
	.size	_ZN7rocprim17ROCPRIM_400000_NS6detail17trampoline_kernelINS0_14default_configENS1_25partition_config_selectorILNS1_17partition_subalgoE8EtNS0_10empty_typeEbEEZZNS1_14partition_implILS5_8ELb0ES3_jN6thrust23THRUST_200600_302600_NS6detail15normal_iteratorINSA_10device_ptrItEEEEPS6_PKS6_NS0_5tupleIJNSA_16discard_iteratorINSA_11use_defaultEEES6_EEENSJ_IJSG_SG_EEENS0_18inequality_wrapperINSA_8equal_toItEEEEPmJS6_EEE10hipError_tPvRmT3_T4_T5_T6_T7_T9_mT8_P12ihipStream_tbDpT10_ENKUlT_T0_E_clISt17integral_constantIbLb1EES1D_EEDaS18_S19_EUlS18_E_NS1_11comp_targetILNS1_3genE4ELNS1_11target_archE910ELNS1_3gpuE8ELNS1_3repE0EEENS1_30default_config_static_selectorELNS0_4arch9wavefront6targetE1EEEvT1_, .Lfunc_end607-_ZN7rocprim17ROCPRIM_400000_NS6detail17trampoline_kernelINS0_14default_configENS1_25partition_config_selectorILNS1_17partition_subalgoE8EtNS0_10empty_typeEbEEZZNS1_14partition_implILS5_8ELb0ES3_jN6thrust23THRUST_200600_302600_NS6detail15normal_iteratorINSA_10device_ptrItEEEEPS6_PKS6_NS0_5tupleIJNSA_16discard_iteratorINSA_11use_defaultEEES6_EEENSJ_IJSG_SG_EEENS0_18inequality_wrapperINSA_8equal_toItEEEEPmJS6_EEE10hipError_tPvRmT3_T4_T5_T6_T7_T9_mT8_P12ihipStream_tbDpT10_ENKUlT_T0_E_clISt17integral_constantIbLb1EES1D_EEDaS18_S19_EUlS18_E_NS1_11comp_targetILNS1_3genE4ELNS1_11target_archE910ELNS1_3gpuE8ELNS1_3repE0EEENS1_30default_config_static_selectorELNS0_4arch9wavefront6targetE1EEEvT1_
                                        ; -- End function
	.set _ZN7rocprim17ROCPRIM_400000_NS6detail17trampoline_kernelINS0_14default_configENS1_25partition_config_selectorILNS1_17partition_subalgoE8EtNS0_10empty_typeEbEEZZNS1_14partition_implILS5_8ELb0ES3_jN6thrust23THRUST_200600_302600_NS6detail15normal_iteratorINSA_10device_ptrItEEEEPS6_PKS6_NS0_5tupleIJNSA_16discard_iteratorINSA_11use_defaultEEES6_EEENSJ_IJSG_SG_EEENS0_18inequality_wrapperINSA_8equal_toItEEEEPmJS6_EEE10hipError_tPvRmT3_T4_T5_T6_T7_T9_mT8_P12ihipStream_tbDpT10_ENKUlT_T0_E_clISt17integral_constantIbLb1EES1D_EEDaS18_S19_EUlS18_E_NS1_11comp_targetILNS1_3genE4ELNS1_11target_archE910ELNS1_3gpuE8ELNS1_3repE0EEENS1_30default_config_static_selectorELNS0_4arch9wavefront6targetE1EEEvT1_.num_vgpr, 0
	.set _ZN7rocprim17ROCPRIM_400000_NS6detail17trampoline_kernelINS0_14default_configENS1_25partition_config_selectorILNS1_17partition_subalgoE8EtNS0_10empty_typeEbEEZZNS1_14partition_implILS5_8ELb0ES3_jN6thrust23THRUST_200600_302600_NS6detail15normal_iteratorINSA_10device_ptrItEEEEPS6_PKS6_NS0_5tupleIJNSA_16discard_iteratorINSA_11use_defaultEEES6_EEENSJ_IJSG_SG_EEENS0_18inequality_wrapperINSA_8equal_toItEEEEPmJS6_EEE10hipError_tPvRmT3_T4_T5_T6_T7_T9_mT8_P12ihipStream_tbDpT10_ENKUlT_T0_E_clISt17integral_constantIbLb1EES1D_EEDaS18_S19_EUlS18_E_NS1_11comp_targetILNS1_3genE4ELNS1_11target_archE910ELNS1_3gpuE8ELNS1_3repE0EEENS1_30default_config_static_selectorELNS0_4arch9wavefront6targetE1EEEvT1_.num_agpr, 0
	.set _ZN7rocprim17ROCPRIM_400000_NS6detail17trampoline_kernelINS0_14default_configENS1_25partition_config_selectorILNS1_17partition_subalgoE8EtNS0_10empty_typeEbEEZZNS1_14partition_implILS5_8ELb0ES3_jN6thrust23THRUST_200600_302600_NS6detail15normal_iteratorINSA_10device_ptrItEEEEPS6_PKS6_NS0_5tupleIJNSA_16discard_iteratorINSA_11use_defaultEEES6_EEENSJ_IJSG_SG_EEENS0_18inequality_wrapperINSA_8equal_toItEEEEPmJS6_EEE10hipError_tPvRmT3_T4_T5_T6_T7_T9_mT8_P12ihipStream_tbDpT10_ENKUlT_T0_E_clISt17integral_constantIbLb1EES1D_EEDaS18_S19_EUlS18_E_NS1_11comp_targetILNS1_3genE4ELNS1_11target_archE910ELNS1_3gpuE8ELNS1_3repE0EEENS1_30default_config_static_selectorELNS0_4arch9wavefront6targetE1EEEvT1_.numbered_sgpr, 0
	.set _ZN7rocprim17ROCPRIM_400000_NS6detail17trampoline_kernelINS0_14default_configENS1_25partition_config_selectorILNS1_17partition_subalgoE8EtNS0_10empty_typeEbEEZZNS1_14partition_implILS5_8ELb0ES3_jN6thrust23THRUST_200600_302600_NS6detail15normal_iteratorINSA_10device_ptrItEEEEPS6_PKS6_NS0_5tupleIJNSA_16discard_iteratorINSA_11use_defaultEEES6_EEENSJ_IJSG_SG_EEENS0_18inequality_wrapperINSA_8equal_toItEEEEPmJS6_EEE10hipError_tPvRmT3_T4_T5_T6_T7_T9_mT8_P12ihipStream_tbDpT10_ENKUlT_T0_E_clISt17integral_constantIbLb1EES1D_EEDaS18_S19_EUlS18_E_NS1_11comp_targetILNS1_3genE4ELNS1_11target_archE910ELNS1_3gpuE8ELNS1_3repE0EEENS1_30default_config_static_selectorELNS0_4arch9wavefront6targetE1EEEvT1_.num_named_barrier, 0
	.set _ZN7rocprim17ROCPRIM_400000_NS6detail17trampoline_kernelINS0_14default_configENS1_25partition_config_selectorILNS1_17partition_subalgoE8EtNS0_10empty_typeEbEEZZNS1_14partition_implILS5_8ELb0ES3_jN6thrust23THRUST_200600_302600_NS6detail15normal_iteratorINSA_10device_ptrItEEEEPS6_PKS6_NS0_5tupleIJNSA_16discard_iteratorINSA_11use_defaultEEES6_EEENSJ_IJSG_SG_EEENS0_18inequality_wrapperINSA_8equal_toItEEEEPmJS6_EEE10hipError_tPvRmT3_T4_T5_T6_T7_T9_mT8_P12ihipStream_tbDpT10_ENKUlT_T0_E_clISt17integral_constantIbLb1EES1D_EEDaS18_S19_EUlS18_E_NS1_11comp_targetILNS1_3genE4ELNS1_11target_archE910ELNS1_3gpuE8ELNS1_3repE0EEENS1_30default_config_static_selectorELNS0_4arch9wavefront6targetE1EEEvT1_.private_seg_size, 0
	.set _ZN7rocprim17ROCPRIM_400000_NS6detail17trampoline_kernelINS0_14default_configENS1_25partition_config_selectorILNS1_17partition_subalgoE8EtNS0_10empty_typeEbEEZZNS1_14partition_implILS5_8ELb0ES3_jN6thrust23THRUST_200600_302600_NS6detail15normal_iteratorINSA_10device_ptrItEEEEPS6_PKS6_NS0_5tupleIJNSA_16discard_iteratorINSA_11use_defaultEEES6_EEENSJ_IJSG_SG_EEENS0_18inequality_wrapperINSA_8equal_toItEEEEPmJS6_EEE10hipError_tPvRmT3_T4_T5_T6_T7_T9_mT8_P12ihipStream_tbDpT10_ENKUlT_T0_E_clISt17integral_constantIbLb1EES1D_EEDaS18_S19_EUlS18_E_NS1_11comp_targetILNS1_3genE4ELNS1_11target_archE910ELNS1_3gpuE8ELNS1_3repE0EEENS1_30default_config_static_selectorELNS0_4arch9wavefront6targetE1EEEvT1_.uses_vcc, 0
	.set _ZN7rocprim17ROCPRIM_400000_NS6detail17trampoline_kernelINS0_14default_configENS1_25partition_config_selectorILNS1_17partition_subalgoE8EtNS0_10empty_typeEbEEZZNS1_14partition_implILS5_8ELb0ES3_jN6thrust23THRUST_200600_302600_NS6detail15normal_iteratorINSA_10device_ptrItEEEEPS6_PKS6_NS0_5tupleIJNSA_16discard_iteratorINSA_11use_defaultEEES6_EEENSJ_IJSG_SG_EEENS0_18inequality_wrapperINSA_8equal_toItEEEEPmJS6_EEE10hipError_tPvRmT3_T4_T5_T6_T7_T9_mT8_P12ihipStream_tbDpT10_ENKUlT_T0_E_clISt17integral_constantIbLb1EES1D_EEDaS18_S19_EUlS18_E_NS1_11comp_targetILNS1_3genE4ELNS1_11target_archE910ELNS1_3gpuE8ELNS1_3repE0EEENS1_30default_config_static_selectorELNS0_4arch9wavefront6targetE1EEEvT1_.uses_flat_scratch, 0
	.set _ZN7rocprim17ROCPRIM_400000_NS6detail17trampoline_kernelINS0_14default_configENS1_25partition_config_selectorILNS1_17partition_subalgoE8EtNS0_10empty_typeEbEEZZNS1_14partition_implILS5_8ELb0ES3_jN6thrust23THRUST_200600_302600_NS6detail15normal_iteratorINSA_10device_ptrItEEEEPS6_PKS6_NS0_5tupleIJNSA_16discard_iteratorINSA_11use_defaultEEES6_EEENSJ_IJSG_SG_EEENS0_18inequality_wrapperINSA_8equal_toItEEEEPmJS6_EEE10hipError_tPvRmT3_T4_T5_T6_T7_T9_mT8_P12ihipStream_tbDpT10_ENKUlT_T0_E_clISt17integral_constantIbLb1EES1D_EEDaS18_S19_EUlS18_E_NS1_11comp_targetILNS1_3genE4ELNS1_11target_archE910ELNS1_3gpuE8ELNS1_3repE0EEENS1_30default_config_static_selectorELNS0_4arch9wavefront6targetE1EEEvT1_.has_dyn_sized_stack, 0
	.set _ZN7rocprim17ROCPRIM_400000_NS6detail17trampoline_kernelINS0_14default_configENS1_25partition_config_selectorILNS1_17partition_subalgoE8EtNS0_10empty_typeEbEEZZNS1_14partition_implILS5_8ELb0ES3_jN6thrust23THRUST_200600_302600_NS6detail15normal_iteratorINSA_10device_ptrItEEEEPS6_PKS6_NS0_5tupleIJNSA_16discard_iteratorINSA_11use_defaultEEES6_EEENSJ_IJSG_SG_EEENS0_18inequality_wrapperINSA_8equal_toItEEEEPmJS6_EEE10hipError_tPvRmT3_T4_T5_T6_T7_T9_mT8_P12ihipStream_tbDpT10_ENKUlT_T0_E_clISt17integral_constantIbLb1EES1D_EEDaS18_S19_EUlS18_E_NS1_11comp_targetILNS1_3genE4ELNS1_11target_archE910ELNS1_3gpuE8ELNS1_3repE0EEENS1_30default_config_static_selectorELNS0_4arch9wavefront6targetE1EEEvT1_.has_recursion, 0
	.set _ZN7rocprim17ROCPRIM_400000_NS6detail17trampoline_kernelINS0_14default_configENS1_25partition_config_selectorILNS1_17partition_subalgoE8EtNS0_10empty_typeEbEEZZNS1_14partition_implILS5_8ELb0ES3_jN6thrust23THRUST_200600_302600_NS6detail15normal_iteratorINSA_10device_ptrItEEEEPS6_PKS6_NS0_5tupleIJNSA_16discard_iteratorINSA_11use_defaultEEES6_EEENSJ_IJSG_SG_EEENS0_18inequality_wrapperINSA_8equal_toItEEEEPmJS6_EEE10hipError_tPvRmT3_T4_T5_T6_T7_T9_mT8_P12ihipStream_tbDpT10_ENKUlT_T0_E_clISt17integral_constantIbLb1EES1D_EEDaS18_S19_EUlS18_E_NS1_11comp_targetILNS1_3genE4ELNS1_11target_archE910ELNS1_3gpuE8ELNS1_3repE0EEENS1_30default_config_static_selectorELNS0_4arch9wavefront6targetE1EEEvT1_.has_indirect_call, 0
	.section	.AMDGPU.csdata,"",@progbits
; Kernel info:
; codeLenInByte = 0
; TotalNumSgprs: 4
; NumVgprs: 0
; ScratchSize: 0
; MemoryBound: 0
; FloatMode: 240
; IeeeMode: 1
; LDSByteSize: 0 bytes/workgroup (compile time only)
; SGPRBlocks: 0
; VGPRBlocks: 0
; NumSGPRsForWavesPerEU: 4
; NumVGPRsForWavesPerEU: 1
; Occupancy: 10
; WaveLimiterHint : 0
; COMPUTE_PGM_RSRC2:SCRATCH_EN: 0
; COMPUTE_PGM_RSRC2:USER_SGPR: 6
; COMPUTE_PGM_RSRC2:TRAP_HANDLER: 0
; COMPUTE_PGM_RSRC2:TGID_X_EN: 1
; COMPUTE_PGM_RSRC2:TGID_Y_EN: 0
; COMPUTE_PGM_RSRC2:TGID_Z_EN: 0
; COMPUTE_PGM_RSRC2:TIDIG_COMP_CNT: 0
	.section	.text._ZN7rocprim17ROCPRIM_400000_NS6detail17trampoline_kernelINS0_14default_configENS1_25partition_config_selectorILNS1_17partition_subalgoE8EtNS0_10empty_typeEbEEZZNS1_14partition_implILS5_8ELb0ES3_jN6thrust23THRUST_200600_302600_NS6detail15normal_iteratorINSA_10device_ptrItEEEEPS6_PKS6_NS0_5tupleIJNSA_16discard_iteratorINSA_11use_defaultEEES6_EEENSJ_IJSG_SG_EEENS0_18inequality_wrapperINSA_8equal_toItEEEEPmJS6_EEE10hipError_tPvRmT3_T4_T5_T6_T7_T9_mT8_P12ihipStream_tbDpT10_ENKUlT_T0_E_clISt17integral_constantIbLb1EES1D_EEDaS18_S19_EUlS18_E_NS1_11comp_targetILNS1_3genE3ELNS1_11target_archE908ELNS1_3gpuE7ELNS1_3repE0EEENS1_30default_config_static_selectorELNS0_4arch9wavefront6targetE1EEEvT1_,"axG",@progbits,_ZN7rocprim17ROCPRIM_400000_NS6detail17trampoline_kernelINS0_14default_configENS1_25partition_config_selectorILNS1_17partition_subalgoE8EtNS0_10empty_typeEbEEZZNS1_14partition_implILS5_8ELb0ES3_jN6thrust23THRUST_200600_302600_NS6detail15normal_iteratorINSA_10device_ptrItEEEEPS6_PKS6_NS0_5tupleIJNSA_16discard_iteratorINSA_11use_defaultEEES6_EEENSJ_IJSG_SG_EEENS0_18inequality_wrapperINSA_8equal_toItEEEEPmJS6_EEE10hipError_tPvRmT3_T4_T5_T6_T7_T9_mT8_P12ihipStream_tbDpT10_ENKUlT_T0_E_clISt17integral_constantIbLb1EES1D_EEDaS18_S19_EUlS18_E_NS1_11comp_targetILNS1_3genE3ELNS1_11target_archE908ELNS1_3gpuE7ELNS1_3repE0EEENS1_30default_config_static_selectorELNS0_4arch9wavefront6targetE1EEEvT1_,comdat
	.protected	_ZN7rocprim17ROCPRIM_400000_NS6detail17trampoline_kernelINS0_14default_configENS1_25partition_config_selectorILNS1_17partition_subalgoE8EtNS0_10empty_typeEbEEZZNS1_14partition_implILS5_8ELb0ES3_jN6thrust23THRUST_200600_302600_NS6detail15normal_iteratorINSA_10device_ptrItEEEEPS6_PKS6_NS0_5tupleIJNSA_16discard_iteratorINSA_11use_defaultEEES6_EEENSJ_IJSG_SG_EEENS0_18inequality_wrapperINSA_8equal_toItEEEEPmJS6_EEE10hipError_tPvRmT3_T4_T5_T6_T7_T9_mT8_P12ihipStream_tbDpT10_ENKUlT_T0_E_clISt17integral_constantIbLb1EES1D_EEDaS18_S19_EUlS18_E_NS1_11comp_targetILNS1_3genE3ELNS1_11target_archE908ELNS1_3gpuE7ELNS1_3repE0EEENS1_30default_config_static_selectorELNS0_4arch9wavefront6targetE1EEEvT1_ ; -- Begin function _ZN7rocprim17ROCPRIM_400000_NS6detail17trampoline_kernelINS0_14default_configENS1_25partition_config_selectorILNS1_17partition_subalgoE8EtNS0_10empty_typeEbEEZZNS1_14partition_implILS5_8ELb0ES3_jN6thrust23THRUST_200600_302600_NS6detail15normal_iteratorINSA_10device_ptrItEEEEPS6_PKS6_NS0_5tupleIJNSA_16discard_iteratorINSA_11use_defaultEEES6_EEENSJ_IJSG_SG_EEENS0_18inequality_wrapperINSA_8equal_toItEEEEPmJS6_EEE10hipError_tPvRmT3_T4_T5_T6_T7_T9_mT8_P12ihipStream_tbDpT10_ENKUlT_T0_E_clISt17integral_constantIbLb1EES1D_EEDaS18_S19_EUlS18_E_NS1_11comp_targetILNS1_3genE3ELNS1_11target_archE908ELNS1_3gpuE7ELNS1_3repE0EEENS1_30default_config_static_selectorELNS0_4arch9wavefront6targetE1EEEvT1_
	.globl	_ZN7rocprim17ROCPRIM_400000_NS6detail17trampoline_kernelINS0_14default_configENS1_25partition_config_selectorILNS1_17partition_subalgoE8EtNS0_10empty_typeEbEEZZNS1_14partition_implILS5_8ELb0ES3_jN6thrust23THRUST_200600_302600_NS6detail15normal_iteratorINSA_10device_ptrItEEEEPS6_PKS6_NS0_5tupleIJNSA_16discard_iteratorINSA_11use_defaultEEES6_EEENSJ_IJSG_SG_EEENS0_18inequality_wrapperINSA_8equal_toItEEEEPmJS6_EEE10hipError_tPvRmT3_T4_T5_T6_T7_T9_mT8_P12ihipStream_tbDpT10_ENKUlT_T0_E_clISt17integral_constantIbLb1EES1D_EEDaS18_S19_EUlS18_E_NS1_11comp_targetILNS1_3genE3ELNS1_11target_archE908ELNS1_3gpuE7ELNS1_3repE0EEENS1_30default_config_static_selectorELNS0_4arch9wavefront6targetE1EEEvT1_
	.p2align	8
	.type	_ZN7rocprim17ROCPRIM_400000_NS6detail17trampoline_kernelINS0_14default_configENS1_25partition_config_selectorILNS1_17partition_subalgoE8EtNS0_10empty_typeEbEEZZNS1_14partition_implILS5_8ELb0ES3_jN6thrust23THRUST_200600_302600_NS6detail15normal_iteratorINSA_10device_ptrItEEEEPS6_PKS6_NS0_5tupleIJNSA_16discard_iteratorINSA_11use_defaultEEES6_EEENSJ_IJSG_SG_EEENS0_18inequality_wrapperINSA_8equal_toItEEEEPmJS6_EEE10hipError_tPvRmT3_T4_T5_T6_T7_T9_mT8_P12ihipStream_tbDpT10_ENKUlT_T0_E_clISt17integral_constantIbLb1EES1D_EEDaS18_S19_EUlS18_E_NS1_11comp_targetILNS1_3genE3ELNS1_11target_archE908ELNS1_3gpuE7ELNS1_3repE0EEENS1_30default_config_static_selectorELNS0_4arch9wavefront6targetE1EEEvT1_,@function
_ZN7rocprim17ROCPRIM_400000_NS6detail17trampoline_kernelINS0_14default_configENS1_25partition_config_selectorILNS1_17partition_subalgoE8EtNS0_10empty_typeEbEEZZNS1_14partition_implILS5_8ELb0ES3_jN6thrust23THRUST_200600_302600_NS6detail15normal_iteratorINSA_10device_ptrItEEEEPS6_PKS6_NS0_5tupleIJNSA_16discard_iteratorINSA_11use_defaultEEES6_EEENSJ_IJSG_SG_EEENS0_18inequality_wrapperINSA_8equal_toItEEEEPmJS6_EEE10hipError_tPvRmT3_T4_T5_T6_T7_T9_mT8_P12ihipStream_tbDpT10_ENKUlT_T0_E_clISt17integral_constantIbLb1EES1D_EEDaS18_S19_EUlS18_E_NS1_11comp_targetILNS1_3genE3ELNS1_11target_archE908ELNS1_3gpuE7ELNS1_3repE0EEENS1_30default_config_static_selectorELNS0_4arch9wavefront6targetE1EEEvT1_: ; @_ZN7rocprim17ROCPRIM_400000_NS6detail17trampoline_kernelINS0_14default_configENS1_25partition_config_selectorILNS1_17partition_subalgoE8EtNS0_10empty_typeEbEEZZNS1_14partition_implILS5_8ELb0ES3_jN6thrust23THRUST_200600_302600_NS6detail15normal_iteratorINSA_10device_ptrItEEEEPS6_PKS6_NS0_5tupleIJNSA_16discard_iteratorINSA_11use_defaultEEES6_EEENSJ_IJSG_SG_EEENS0_18inequality_wrapperINSA_8equal_toItEEEEPmJS6_EEE10hipError_tPvRmT3_T4_T5_T6_T7_T9_mT8_P12ihipStream_tbDpT10_ENKUlT_T0_E_clISt17integral_constantIbLb1EES1D_EEDaS18_S19_EUlS18_E_NS1_11comp_targetILNS1_3genE3ELNS1_11target_archE908ELNS1_3gpuE7ELNS1_3repE0EEENS1_30default_config_static_selectorELNS0_4arch9wavefront6targetE1EEEvT1_
; %bb.0:
	.section	.rodata,"a",@progbits
	.p2align	6, 0x0
	.amdhsa_kernel _ZN7rocprim17ROCPRIM_400000_NS6detail17trampoline_kernelINS0_14default_configENS1_25partition_config_selectorILNS1_17partition_subalgoE8EtNS0_10empty_typeEbEEZZNS1_14partition_implILS5_8ELb0ES3_jN6thrust23THRUST_200600_302600_NS6detail15normal_iteratorINSA_10device_ptrItEEEEPS6_PKS6_NS0_5tupleIJNSA_16discard_iteratorINSA_11use_defaultEEES6_EEENSJ_IJSG_SG_EEENS0_18inequality_wrapperINSA_8equal_toItEEEEPmJS6_EEE10hipError_tPvRmT3_T4_T5_T6_T7_T9_mT8_P12ihipStream_tbDpT10_ENKUlT_T0_E_clISt17integral_constantIbLb1EES1D_EEDaS18_S19_EUlS18_E_NS1_11comp_targetILNS1_3genE3ELNS1_11target_archE908ELNS1_3gpuE7ELNS1_3repE0EEENS1_30default_config_static_selectorELNS0_4arch9wavefront6targetE1EEEvT1_
		.amdhsa_group_segment_fixed_size 0
		.amdhsa_private_segment_fixed_size 0
		.amdhsa_kernarg_size 136
		.amdhsa_user_sgpr_count 6
		.amdhsa_user_sgpr_private_segment_buffer 1
		.amdhsa_user_sgpr_dispatch_ptr 0
		.amdhsa_user_sgpr_queue_ptr 0
		.amdhsa_user_sgpr_kernarg_segment_ptr 1
		.amdhsa_user_sgpr_dispatch_id 0
		.amdhsa_user_sgpr_flat_scratch_init 0
		.amdhsa_user_sgpr_private_segment_size 0
		.amdhsa_uses_dynamic_stack 0
		.amdhsa_system_sgpr_private_segment_wavefront_offset 0
		.amdhsa_system_sgpr_workgroup_id_x 1
		.amdhsa_system_sgpr_workgroup_id_y 0
		.amdhsa_system_sgpr_workgroup_id_z 0
		.amdhsa_system_sgpr_workgroup_info 0
		.amdhsa_system_vgpr_workitem_id 0
		.amdhsa_next_free_vgpr 1
		.amdhsa_next_free_sgpr 0
		.amdhsa_reserve_vcc 0
		.amdhsa_reserve_flat_scratch 0
		.amdhsa_float_round_mode_32 0
		.amdhsa_float_round_mode_16_64 0
		.amdhsa_float_denorm_mode_32 3
		.amdhsa_float_denorm_mode_16_64 3
		.amdhsa_dx10_clamp 1
		.amdhsa_ieee_mode 1
		.amdhsa_fp16_overflow 0
		.amdhsa_exception_fp_ieee_invalid_op 0
		.amdhsa_exception_fp_denorm_src 0
		.amdhsa_exception_fp_ieee_div_zero 0
		.amdhsa_exception_fp_ieee_overflow 0
		.amdhsa_exception_fp_ieee_underflow 0
		.amdhsa_exception_fp_ieee_inexact 0
		.amdhsa_exception_int_div_zero 0
	.end_amdhsa_kernel
	.section	.text._ZN7rocprim17ROCPRIM_400000_NS6detail17trampoline_kernelINS0_14default_configENS1_25partition_config_selectorILNS1_17partition_subalgoE8EtNS0_10empty_typeEbEEZZNS1_14partition_implILS5_8ELb0ES3_jN6thrust23THRUST_200600_302600_NS6detail15normal_iteratorINSA_10device_ptrItEEEEPS6_PKS6_NS0_5tupleIJNSA_16discard_iteratorINSA_11use_defaultEEES6_EEENSJ_IJSG_SG_EEENS0_18inequality_wrapperINSA_8equal_toItEEEEPmJS6_EEE10hipError_tPvRmT3_T4_T5_T6_T7_T9_mT8_P12ihipStream_tbDpT10_ENKUlT_T0_E_clISt17integral_constantIbLb1EES1D_EEDaS18_S19_EUlS18_E_NS1_11comp_targetILNS1_3genE3ELNS1_11target_archE908ELNS1_3gpuE7ELNS1_3repE0EEENS1_30default_config_static_selectorELNS0_4arch9wavefront6targetE1EEEvT1_,"axG",@progbits,_ZN7rocprim17ROCPRIM_400000_NS6detail17trampoline_kernelINS0_14default_configENS1_25partition_config_selectorILNS1_17partition_subalgoE8EtNS0_10empty_typeEbEEZZNS1_14partition_implILS5_8ELb0ES3_jN6thrust23THRUST_200600_302600_NS6detail15normal_iteratorINSA_10device_ptrItEEEEPS6_PKS6_NS0_5tupleIJNSA_16discard_iteratorINSA_11use_defaultEEES6_EEENSJ_IJSG_SG_EEENS0_18inequality_wrapperINSA_8equal_toItEEEEPmJS6_EEE10hipError_tPvRmT3_T4_T5_T6_T7_T9_mT8_P12ihipStream_tbDpT10_ENKUlT_T0_E_clISt17integral_constantIbLb1EES1D_EEDaS18_S19_EUlS18_E_NS1_11comp_targetILNS1_3genE3ELNS1_11target_archE908ELNS1_3gpuE7ELNS1_3repE0EEENS1_30default_config_static_selectorELNS0_4arch9wavefront6targetE1EEEvT1_,comdat
.Lfunc_end608:
	.size	_ZN7rocprim17ROCPRIM_400000_NS6detail17trampoline_kernelINS0_14default_configENS1_25partition_config_selectorILNS1_17partition_subalgoE8EtNS0_10empty_typeEbEEZZNS1_14partition_implILS5_8ELb0ES3_jN6thrust23THRUST_200600_302600_NS6detail15normal_iteratorINSA_10device_ptrItEEEEPS6_PKS6_NS0_5tupleIJNSA_16discard_iteratorINSA_11use_defaultEEES6_EEENSJ_IJSG_SG_EEENS0_18inequality_wrapperINSA_8equal_toItEEEEPmJS6_EEE10hipError_tPvRmT3_T4_T5_T6_T7_T9_mT8_P12ihipStream_tbDpT10_ENKUlT_T0_E_clISt17integral_constantIbLb1EES1D_EEDaS18_S19_EUlS18_E_NS1_11comp_targetILNS1_3genE3ELNS1_11target_archE908ELNS1_3gpuE7ELNS1_3repE0EEENS1_30default_config_static_selectorELNS0_4arch9wavefront6targetE1EEEvT1_, .Lfunc_end608-_ZN7rocprim17ROCPRIM_400000_NS6detail17trampoline_kernelINS0_14default_configENS1_25partition_config_selectorILNS1_17partition_subalgoE8EtNS0_10empty_typeEbEEZZNS1_14partition_implILS5_8ELb0ES3_jN6thrust23THRUST_200600_302600_NS6detail15normal_iteratorINSA_10device_ptrItEEEEPS6_PKS6_NS0_5tupleIJNSA_16discard_iteratorINSA_11use_defaultEEES6_EEENSJ_IJSG_SG_EEENS0_18inequality_wrapperINSA_8equal_toItEEEEPmJS6_EEE10hipError_tPvRmT3_T4_T5_T6_T7_T9_mT8_P12ihipStream_tbDpT10_ENKUlT_T0_E_clISt17integral_constantIbLb1EES1D_EEDaS18_S19_EUlS18_E_NS1_11comp_targetILNS1_3genE3ELNS1_11target_archE908ELNS1_3gpuE7ELNS1_3repE0EEENS1_30default_config_static_selectorELNS0_4arch9wavefront6targetE1EEEvT1_
                                        ; -- End function
	.set _ZN7rocprim17ROCPRIM_400000_NS6detail17trampoline_kernelINS0_14default_configENS1_25partition_config_selectorILNS1_17partition_subalgoE8EtNS0_10empty_typeEbEEZZNS1_14partition_implILS5_8ELb0ES3_jN6thrust23THRUST_200600_302600_NS6detail15normal_iteratorINSA_10device_ptrItEEEEPS6_PKS6_NS0_5tupleIJNSA_16discard_iteratorINSA_11use_defaultEEES6_EEENSJ_IJSG_SG_EEENS0_18inequality_wrapperINSA_8equal_toItEEEEPmJS6_EEE10hipError_tPvRmT3_T4_T5_T6_T7_T9_mT8_P12ihipStream_tbDpT10_ENKUlT_T0_E_clISt17integral_constantIbLb1EES1D_EEDaS18_S19_EUlS18_E_NS1_11comp_targetILNS1_3genE3ELNS1_11target_archE908ELNS1_3gpuE7ELNS1_3repE0EEENS1_30default_config_static_selectorELNS0_4arch9wavefront6targetE1EEEvT1_.num_vgpr, 0
	.set _ZN7rocprim17ROCPRIM_400000_NS6detail17trampoline_kernelINS0_14default_configENS1_25partition_config_selectorILNS1_17partition_subalgoE8EtNS0_10empty_typeEbEEZZNS1_14partition_implILS5_8ELb0ES3_jN6thrust23THRUST_200600_302600_NS6detail15normal_iteratorINSA_10device_ptrItEEEEPS6_PKS6_NS0_5tupleIJNSA_16discard_iteratorINSA_11use_defaultEEES6_EEENSJ_IJSG_SG_EEENS0_18inequality_wrapperINSA_8equal_toItEEEEPmJS6_EEE10hipError_tPvRmT3_T4_T5_T6_T7_T9_mT8_P12ihipStream_tbDpT10_ENKUlT_T0_E_clISt17integral_constantIbLb1EES1D_EEDaS18_S19_EUlS18_E_NS1_11comp_targetILNS1_3genE3ELNS1_11target_archE908ELNS1_3gpuE7ELNS1_3repE0EEENS1_30default_config_static_selectorELNS0_4arch9wavefront6targetE1EEEvT1_.num_agpr, 0
	.set _ZN7rocprim17ROCPRIM_400000_NS6detail17trampoline_kernelINS0_14default_configENS1_25partition_config_selectorILNS1_17partition_subalgoE8EtNS0_10empty_typeEbEEZZNS1_14partition_implILS5_8ELb0ES3_jN6thrust23THRUST_200600_302600_NS6detail15normal_iteratorINSA_10device_ptrItEEEEPS6_PKS6_NS0_5tupleIJNSA_16discard_iteratorINSA_11use_defaultEEES6_EEENSJ_IJSG_SG_EEENS0_18inequality_wrapperINSA_8equal_toItEEEEPmJS6_EEE10hipError_tPvRmT3_T4_T5_T6_T7_T9_mT8_P12ihipStream_tbDpT10_ENKUlT_T0_E_clISt17integral_constantIbLb1EES1D_EEDaS18_S19_EUlS18_E_NS1_11comp_targetILNS1_3genE3ELNS1_11target_archE908ELNS1_3gpuE7ELNS1_3repE0EEENS1_30default_config_static_selectorELNS0_4arch9wavefront6targetE1EEEvT1_.numbered_sgpr, 0
	.set _ZN7rocprim17ROCPRIM_400000_NS6detail17trampoline_kernelINS0_14default_configENS1_25partition_config_selectorILNS1_17partition_subalgoE8EtNS0_10empty_typeEbEEZZNS1_14partition_implILS5_8ELb0ES3_jN6thrust23THRUST_200600_302600_NS6detail15normal_iteratorINSA_10device_ptrItEEEEPS6_PKS6_NS0_5tupleIJNSA_16discard_iteratorINSA_11use_defaultEEES6_EEENSJ_IJSG_SG_EEENS0_18inequality_wrapperINSA_8equal_toItEEEEPmJS6_EEE10hipError_tPvRmT3_T4_T5_T6_T7_T9_mT8_P12ihipStream_tbDpT10_ENKUlT_T0_E_clISt17integral_constantIbLb1EES1D_EEDaS18_S19_EUlS18_E_NS1_11comp_targetILNS1_3genE3ELNS1_11target_archE908ELNS1_3gpuE7ELNS1_3repE0EEENS1_30default_config_static_selectorELNS0_4arch9wavefront6targetE1EEEvT1_.num_named_barrier, 0
	.set _ZN7rocprim17ROCPRIM_400000_NS6detail17trampoline_kernelINS0_14default_configENS1_25partition_config_selectorILNS1_17partition_subalgoE8EtNS0_10empty_typeEbEEZZNS1_14partition_implILS5_8ELb0ES3_jN6thrust23THRUST_200600_302600_NS6detail15normal_iteratorINSA_10device_ptrItEEEEPS6_PKS6_NS0_5tupleIJNSA_16discard_iteratorINSA_11use_defaultEEES6_EEENSJ_IJSG_SG_EEENS0_18inequality_wrapperINSA_8equal_toItEEEEPmJS6_EEE10hipError_tPvRmT3_T4_T5_T6_T7_T9_mT8_P12ihipStream_tbDpT10_ENKUlT_T0_E_clISt17integral_constantIbLb1EES1D_EEDaS18_S19_EUlS18_E_NS1_11comp_targetILNS1_3genE3ELNS1_11target_archE908ELNS1_3gpuE7ELNS1_3repE0EEENS1_30default_config_static_selectorELNS0_4arch9wavefront6targetE1EEEvT1_.private_seg_size, 0
	.set _ZN7rocprim17ROCPRIM_400000_NS6detail17trampoline_kernelINS0_14default_configENS1_25partition_config_selectorILNS1_17partition_subalgoE8EtNS0_10empty_typeEbEEZZNS1_14partition_implILS5_8ELb0ES3_jN6thrust23THRUST_200600_302600_NS6detail15normal_iteratorINSA_10device_ptrItEEEEPS6_PKS6_NS0_5tupleIJNSA_16discard_iteratorINSA_11use_defaultEEES6_EEENSJ_IJSG_SG_EEENS0_18inequality_wrapperINSA_8equal_toItEEEEPmJS6_EEE10hipError_tPvRmT3_T4_T5_T6_T7_T9_mT8_P12ihipStream_tbDpT10_ENKUlT_T0_E_clISt17integral_constantIbLb1EES1D_EEDaS18_S19_EUlS18_E_NS1_11comp_targetILNS1_3genE3ELNS1_11target_archE908ELNS1_3gpuE7ELNS1_3repE0EEENS1_30default_config_static_selectorELNS0_4arch9wavefront6targetE1EEEvT1_.uses_vcc, 0
	.set _ZN7rocprim17ROCPRIM_400000_NS6detail17trampoline_kernelINS0_14default_configENS1_25partition_config_selectorILNS1_17partition_subalgoE8EtNS0_10empty_typeEbEEZZNS1_14partition_implILS5_8ELb0ES3_jN6thrust23THRUST_200600_302600_NS6detail15normal_iteratorINSA_10device_ptrItEEEEPS6_PKS6_NS0_5tupleIJNSA_16discard_iteratorINSA_11use_defaultEEES6_EEENSJ_IJSG_SG_EEENS0_18inequality_wrapperINSA_8equal_toItEEEEPmJS6_EEE10hipError_tPvRmT3_T4_T5_T6_T7_T9_mT8_P12ihipStream_tbDpT10_ENKUlT_T0_E_clISt17integral_constantIbLb1EES1D_EEDaS18_S19_EUlS18_E_NS1_11comp_targetILNS1_3genE3ELNS1_11target_archE908ELNS1_3gpuE7ELNS1_3repE0EEENS1_30default_config_static_selectorELNS0_4arch9wavefront6targetE1EEEvT1_.uses_flat_scratch, 0
	.set _ZN7rocprim17ROCPRIM_400000_NS6detail17trampoline_kernelINS0_14default_configENS1_25partition_config_selectorILNS1_17partition_subalgoE8EtNS0_10empty_typeEbEEZZNS1_14partition_implILS5_8ELb0ES3_jN6thrust23THRUST_200600_302600_NS6detail15normal_iteratorINSA_10device_ptrItEEEEPS6_PKS6_NS0_5tupleIJNSA_16discard_iteratorINSA_11use_defaultEEES6_EEENSJ_IJSG_SG_EEENS0_18inequality_wrapperINSA_8equal_toItEEEEPmJS6_EEE10hipError_tPvRmT3_T4_T5_T6_T7_T9_mT8_P12ihipStream_tbDpT10_ENKUlT_T0_E_clISt17integral_constantIbLb1EES1D_EEDaS18_S19_EUlS18_E_NS1_11comp_targetILNS1_3genE3ELNS1_11target_archE908ELNS1_3gpuE7ELNS1_3repE0EEENS1_30default_config_static_selectorELNS0_4arch9wavefront6targetE1EEEvT1_.has_dyn_sized_stack, 0
	.set _ZN7rocprim17ROCPRIM_400000_NS6detail17trampoline_kernelINS0_14default_configENS1_25partition_config_selectorILNS1_17partition_subalgoE8EtNS0_10empty_typeEbEEZZNS1_14partition_implILS5_8ELb0ES3_jN6thrust23THRUST_200600_302600_NS6detail15normal_iteratorINSA_10device_ptrItEEEEPS6_PKS6_NS0_5tupleIJNSA_16discard_iteratorINSA_11use_defaultEEES6_EEENSJ_IJSG_SG_EEENS0_18inequality_wrapperINSA_8equal_toItEEEEPmJS6_EEE10hipError_tPvRmT3_T4_T5_T6_T7_T9_mT8_P12ihipStream_tbDpT10_ENKUlT_T0_E_clISt17integral_constantIbLb1EES1D_EEDaS18_S19_EUlS18_E_NS1_11comp_targetILNS1_3genE3ELNS1_11target_archE908ELNS1_3gpuE7ELNS1_3repE0EEENS1_30default_config_static_selectorELNS0_4arch9wavefront6targetE1EEEvT1_.has_recursion, 0
	.set _ZN7rocprim17ROCPRIM_400000_NS6detail17trampoline_kernelINS0_14default_configENS1_25partition_config_selectorILNS1_17partition_subalgoE8EtNS0_10empty_typeEbEEZZNS1_14partition_implILS5_8ELb0ES3_jN6thrust23THRUST_200600_302600_NS6detail15normal_iteratorINSA_10device_ptrItEEEEPS6_PKS6_NS0_5tupleIJNSA_16discard_iteratorINSA_11use_defaultEEES6_EEENSJ_IJSG_SG_EEENS0_18inequality_wrapperINSA_8equal_toItEEEEPmJS6_EEE10hipError_tPvRmT3_T4_T5_T6_T7_T9_mT8_P12ihipStream_tbDpT10_ENKUlT_T0_E_clISt17integral_constantIbLb1EES1D_EEDaS18_S19_EUlS18_E_NS1_11comp_targetILNS1_3genE3ELNS1_11target_archE908ELNS1_3gpuE7ELNS1_3repE0EEENS1_30default_config_static_selectorELNS0_4arch9wavefront6targetE1EEEvT1_.has_indirect_call, 0
	.section	.AMDGPU.csdata,"",@progbits
; Kernel info:
; codeLenInByte = 0
; TotalNumSgprs: 4
; NumVgprs: 0
; ScratchSize: 0
; MemoryBound: 0
; FloatMode: 240
; IeeeMode: 1
; LDSByteSize: 0 bytes/workgroup (compile time only)
; SGPRBlocks: 0
; VGPRBlocks: 0
; NumSGPRsForWavesPerEU: 4
; NumVGPRsForWavesPerEU: 1
; Occupancy: 10
; WaveLimiterHint : 0
; COMPUTE_PGM_RSRC2:SCRATCH_EN: 0
; COMPUTE_PGM_RSRC2:USER_SGPR: 6
; COMPUTE_PGM_RSRC2:TRAP_HANDLER: 0
; COMPUTE_PGM_RSRC2:TGID_X_EN: 1
; COMPUTE_PGM_RSRC2:TGID_Y_EN: 0
; COMPUTE_PGM_RSRC2:TGID_Z_EN: 0
; COMPUTE_PGM_RSRC2:TIDIG_COMP_CNT: 0
	.section	.text._ZN7rocprim17ROCPRIM_400000_NS6detail17trampoline_kernelINS0_14default_configENS1_25partition_config_selectorILNS1_17partition_subalgoE8EtNS0_10empty_typeEbEEZZNS1_14partition_implILS5_8ELb0ES3_jN6thrust23THRUST_200600_302600_NS6detail15normal_iteratorINSA_10device_ptrItEEEEPS6_PKS6_NS0_5tupleIJNSA_16discard_iteratorINSA_11use_defaultEEES6_EEENSJ_IJSG_SG_EEENS0_18inequality_wrapperINSA_8equal_toItEEEEPmJS6_EEE10hipError_tPvRmT3_T4_T5_T6_T7_T9_mT8_P12ihipStream_tbDpT10_ENKUlT_T0_E_clISt17integral_constantIbLb1EES1D_EEDaS18_S19_EUlS18_E_NS1_11comp_targetILNS1_3genE2ELNS1_11target_archE906ELNS1_3gpuE6ELNS1_3repE0EEENS1_30default_config_static_selectorELNS0_4arch9wavefront6targetE1EEEvT1_,"axG",@progbits,_ZN7rocprim17ROCPRIM_400000_NS6detail17trampoline_kernelINS0_14default_configENS1_25partition_config_selectorILNS1_17partition_subalgoE8EtNS0_10empty_typeEbEEZZNS1_14partition_implILS5_8ELb0ES3_jN6thrust23THRUST_200600_302600_NS6detail15normal_iteratorINSA_10device_ptrItEEEEPS6_PKS6_NS0_5tupleIJNSA_16discard_iteratorINSA_11use_defaultEEES6_EEENSJ_IJSG_SG_EEENS0_18inequality_wrapperINSA_8equal_toItEEEEPmJS6_EEE10hipError_tPvRmT3_T4_T5_T6_T7_T9_mT8_P12ihipStream_tbDpT10_ENKUlT_T0_E_clISt17integral_constantIbLb1EES1D_EEDaS18_S19_EUlS18_E_NS1_11comp_targetILNS1_3genE2ELNS1_11target_archE906ELNS1_3gpuE6ELNS1_3repE0EEENS1_30default_config_static_selectorELNS0_4arch9wavefront6targetE1EEEvT1_,comdat
	.protected	_ZN7rocprim17ROCPRIM_400000_NS6detail17trampoline_kernelINS0_14default_configENS1_25partition_config_selectorILNS1_17partition_subalgoE8EtNS0_10empty_typeEbEEZZNS1_14partition_implILS5_8ELb0ES3_jN6thrust23THRUST_200600_302600_NS6detail15normal_iteratorINSA_10device_ptrItEEEEPS6_PKS6_NS0_5tupleIJNSA_16discard_iteratorINSA_11use_defaultEEES6_EEENSJ_IJSG_SG_EEENS0_18inequality_wrapperINSA_8equal_toItEEEEPmJS6_EEE10hipError_tPvRmT3_T4_T5_T6_T7_T9_mT8_P12ihipStream_tbDpT10_ENKUlT_T0_E_clISt17integral_constantIbLb1EES1D_EEDaS18_S19_EUlS18_E_NS1_11comp_targetILNS1_3genE2ELNS1_11target_archE906ELNS1_3gpuE6ELNS1_3repE0EEENS1_30default_config_static_selectorELNS0_4arch9wavefront6targetE1EEEvT1_ ; -- Begin function _ZN7rocprim17ROCPRIM_400000_NS6detail17trampoline_kernelINS0_14default_configENS1_25partition_config_selectorILNS1_17partition_subalgoE8EtNS0_10empty_typeEbEEZZNS1_14partition_implILS5_8ELb0ES3_jN6thrust23THRUST_200600_302600_NS6detail15normal_iteratorINSA_10device_ptrItEEEEPS6_PKS6_NS0_5tupleIJNSA_16discard_iteratorINSA_11use_defaultEEES6_EEENSJ_IJSG_SG_EEENS0_18inequality_wrapperINSA_8equal_toItEEEEPmJS6_EEE10hipError_tPvRmT3_T4_T5_T6_T7_T9_mT8_P12ihipStream_tbDpT10_ENKUlT_T0_E_clISt17integral_constantIbLb1EES1D_EEDaS18_S19_EUlS18_E_NS1_11comp_targetILNS1_3genE2ELNS1_11target_archE906ELNS1_3gpuE6ELNS1_3repE0EEENS1_30default_config_static_selectorELNS0_4arch9wavefront6targetE1EEEvT1_
	.globl	_ZN7rocprim17ROCPRIM_400000_NS6detail17trampoline_kernelINS0_14default_configENS1_25partition_config_selectorILNS1_17partition_subalgoE8EtNS0_10empty_typeEbEEZZNS1_14partition_implILS5_8ELb0ES3_jN6thrust23THRUST_200600_302600_NS6detail15normal_iteratorINSA_10device_ptrItEEEEPS6_PKS6_NS0_5tupleIJNSA_16discard_iteratorINSA_11use_defaultEEES6_EEENSJ_IJSG_SG_EEENS0_18inequality_wrapperINSA_8equal_toItEEEEPmJS6_EEE10hipError_tPvRmT3_T4_T5_T6_T7_T9_mT8_P12ihipStream_tbDpT10_ENKUlT_T0_E_clISt17integral_constantIbLb1EES1D_EEDaS18_S19_EUlS18_E_NS1_11comp_targetILNS1_3genE2ELNS1_11target_archE906ELNS1_3gpuE6ELNS1_3repE0EEENS1_30default_config_static_selectorELNS0_4arch9wavefront6targetE1EEEvT1_
	.p2align	8
	.type	_ZN7rocprim17ROCPRIM_400000_NS6detail17trampoline_kernelINS0_14default_configENS1_25partition_config_selectorILNS1_17partition_subalgoE8EtNS0_10empty_typeEbEEZZNS1_14partition_implILS5_8ELb0ES3_jN6thrust23THRUST_200600_302600_NS6detail15normal_iteratorINSA_10device_ptrItEEEEPS6_PKS6_NS0_5tupleIJNSA_16discard_iteratorINSA_11use_defaultEEES6_EEENSJ_IJSG_SG_EEENS0_18inequality_wrapperINSA_8equal_toItEEEEPmJS6_EEE10hipError_tPvRmT3_T4_T5_T6_T7_T9_mT8_P12ihipStream_tbDpT10_ENKUlT_T0_E_clISt17integral_constantIbLb1EES1D_EEDaS18_S19_EUlS18_E_NS1_11comp_targetILNS1_3genE2ELNS1_11target_archE906ELNS1_3gpuE6ELNS1_3repE0EEENS1_30default_config_static_selectorELNS0_4arch9wavefront6targetE1EEEvT1_,@function
_ZN7rocprim17ROCPRIM_400000_NS6detail17trampoline_kernelINS0_14default_configENS1_25partition_config_selectorILNS1_17partition_subalgoE8EtNS0_10empty_typeEbEEZZNS1_14partition_implILS5_8ELb0ES3_jN6thrust23THRUST_200600_302600_NS6detail15normal_iteratorINSA_10device_ptrItEEEEPS6_PKS6_NS0_5tupleIJNSA_16discard_iteratorINSA_11use_defaultEEES6_EEENSJ_IJSG_SG_EEENS0_18inequality_wrapperINSA_8equal_toItEEEEPmJS6_EEE10hipError_tPvRmT3_T4_T5_T6_T7_T9_mT8_P12ihipStream_tbDpT10_ENKUlT_T0_E_clISt17integral_constantIbLb1EES1D_EEDaS18_S19_EUlS18_E_NS1_11comp_targetILNS1_3genE2ELNS1_11target_archE906ELNS1_3gpuE6ELNS1_3repE0EEENS1_30default_config_static_selectorELNS0_4arch9wavefront6targetE1EEEvT1_: ; @_ZN7rocprim17ROCPRIM_400000_NS6detail17trampoline_kernelINS0_14default_configENS1_25partition_config_selectorILNS1_17partition_subalgoE8EtNS0_10empty_typeEbEEZZNS1_14partition_implILS5_8ELb0ES3_jN6thrust23THRUST_200600_302600_NS6detail15normal_iteratorINSA_10device_ptrItEEEEPS6_PKS6_NS0_5tupleIJNSA_16discard_iteratorINSA_11use_defaultEEES6_EEENSJ_IJSG_SG_EEENS0_18inequality_wrapperINSA_8equal_toItEEEEPmJS6_EEE10hipError_tPvRmT3_T4_T5_T6_T7_T9_mT8_P12ihipStream_tbDpT10_ENKUlT_T0_E_clISt17integral_constantIbLb1EES1D_EEDaS18_S19_EUlS18_E_NS1_11comp_targetILNS1_3genE2ELNS1_11target_archE906ELNS1_3gpuE6ELNS1_3repE0EEENS1_30default_config_static_selectorELNS0_4arch9wavefront6targetE1EEEvT1_
; %bb.0:
	s_endpgm
	.section	.rodata,"a",@progbits
	.p2align	6, 0x0
	.amdhsa_kernel _ZN7rocprim17ROCPRIM_400000_NS6detail17trampoline_kernelINS0_14default_configENS1_25partition_config_selectorILNS1_17partition_subalgoE8EtNS0_10empty_typeEbEEZZNS1_14partition_implILS5_8ELb0ES3_jN6thrust23THRUST_200600_302600_NS6detail15normal_iteratorINSA_10device_ptrItEEEEPS6_PKS6_NS0_5tupleIJNSA_16discard_iteratorINSA_11use_defaultEEES6_EEENSJ_IJSG_SG_EEENS0_18inequality_wrapperINSA_8equal_toItEEEEPmJS6_EEE10hipError_tPvRmT3_T4_T5_T6_T7_T9_mT8_P12ihipStream_tbDpT10_ENKUlT_T0_E_clISt17integral_constantIbLb1EES1D_EEDaS18_S19_EUlS18_E_NS1_11comp_targetILNS1_3genE2ELNS1_11target_archE906ELNS1_3gpuE6ELNS1_3repE0EEENS1_30default_config_static_selectorELNS0_4arch9wavefront6targetE1EEEvT1_
		.amdhsa_group_segment_fixed_size 0
		.amdhsa_private_segment_fixed_size 0
		.amdhsa_kernarg_size 136
		.amdhsa_user_sgpr_count 6
		.amdhsa_user_sgpr_private_segment_buffer 1
		.amdhsa_user_sgpr_dispatch_ptr 0
		.amdhsa_user_sgpr_queue_ptr 0
		.amdhsa_user_sgpr_kernarg_segment_ptr 1
		.amdhsa_user_sgpr_dispatch_id 0
		.amdhsa_user_sgpr_flat_scratch_init 0
		.amdhsa_user_sgpr_private_segment_size 0
		.amdhsa_uses_dynamic_stack 0
		.amdhsa_system_sgpr_private_segment_wavefront_offset 0
		.amdhsa_system_sgpr_workgroup_id_x 1
		.amdhsa_system_sgpr_workgroup_id_y 0
		.amdhsa_system_sgpr_workgroup_id_z 0
		.amdhsa_system_sgpr_workgroup_info 0
		.amdhsa_system_vgpr_workitem_id 0
		.amdhsa_next_free_vgpr 1
		.amdhsa_next_free_sgpr 0
		.amdhsa_reserve_vcc 0
		.amdhsa_reserve_flat_scratch 0
		.amdhsa_float_round_mode_32 0
		.amdhsa_float_round_mode_16_64 0
		.amdhsa_float_denorm_mode_32 3
		.amdhsa_float_denorm_mode_16_64 3
		.amdhsa_dx10_clamp 1
		.amdhsa_ieee_mode 1
		.amdhsa_fp16_overflow 0
		.amdhsa_exception_fp_ieee_invalid_op 0
		.amdhsa_exception_fp_denorm_src 0
		.amdhsa_exception_fp_ieee_div_zero 0
		.amdhsa_exception_fp_ieee_overflow 0
		.amdhsa_exception_fp_ieee_underflow 0
		.amdhsa_exception_fp_ieee_inexact 0
		.amdhsa_exception_int_div_zero 0
	.end_amdhsa_kernel
	.section	.text._ZN7rocprim17ROCPRIM_400000_NS6detail17trampoline_kernelINS0_14default_configENS1_25partition_config_selectorILNS1_17partition_subalgoE8EtNS0_10empty_typeEbEEZZNS1_14partition_implILS5_8ELb0ES3_jN6thrust23THRUST_200600_302600_NS6detail15normal_iteratorINSA_10device_ptrItEEEEPS6_PKS6_NS0_5tupleIJNSA_16discard_iteratorINSA_11use_defaultEEES6_EEENSJ_IJSG_SG_EEENS0_18inequality_wrapperINSA_8equal_toItEEEEPmJS6_EEE10hipError_tPvRmT3_T4_T5_T6_T7_T9_mT8_P12ihipStream_tbDpT10_ENKUlT_T0_E_clISt17integral_constantIbLb1EES1D_EEDaS18_S19_EUlS18_E_NS1_11comp_targetILNS1_3genE2ELNS1_11target_archE906ELNS1_3gpuE6ELNS1_3repE0EEENS1_30default_config_static_selectorELNS0_4arch9wavefront6targetE1EEEvT1_,"axG",@progbits,_ZN7rocprim17ROCPRIM_400000_NS6detail17trampoline_kernelINS0_14default_configENS1_25partition_config_selectorILNS1_17partition_subalgoE8EtNS0_10empty_typeEbEEZZNS1_14partition_implILS5_8ELb0ES3_jN6thrust23THRUST_200600_302600_NS6detail15normal_iteratorINSA_10device_ptrItEEEEPS6_PKS6_NS0_5tupleIJNSA_16discard_iteratorINSA_11use_defaultEEES6_EEENSJ_IJSG_SG_EEENS0_18inequality_wrapperINSA_8equal_toItEEEEPmJS6_EEE10hipError_tPvRmT3_T4_T5_T6_T7_T9_mT8_P12ihipStream_tbDpT10_ENKUlT_T0_E_clISt17integral_constantIbLb1EES1D_EEDaS18_S19_EUlS18_E_NS1_11comp_targetILNS1_3genE2ELNS1_11target_archE906ELNS1_3gpuE6ELNS1_3repE0EEENS1_30default_config_static_selectorELNS0_4arch9wavefront6targetE1EEEvT1_,comdat
.Lfunc_end609:
	.size	_ZN7rocprim17ROCPRIM_400000_NS6detail17trampoline_kernelINS0_14default_configENS1_25partition_config_selectorILNS1_17partition_subalgoE8EtNS0_10empty_typeEbEEZZNS1_14partition_implILS5_8ELb0ES3_jN6thrust23THRUST_200600_302600_NS6detail15normal_iteratorINSA_10device_ptrItEEEEPS6_PKS6_NS0_5tupleIJNSA_16discard_iteratorINSA_11use_defaultEEES6_EEENSJ_IJSG_SG_EEENS0_18inequality_wrapperINSA_8equal_toItEEEEPmJS6_EEE10hipError_tPvRmT3_T4_T5_T6_T7_T9_mT8_P12ihipStream_tbDpT10_ENKUlT_T0_E_clISt17integral_constantIbLb1EES1D_EEDaS18_S19_EUlS18_E_NS1_11comp_targetILNS1_3genE2ELNS1_11target_archE906ELNS1_3gpuE6ELNS1_3repE0EEENS1_30default_config_static_selectorELNS0_4arch9wavefront6targetE1EEEvT1_, .Lfunc_end609-_ZN7rocprim17ROCPRIM_400000_NS6detail17trampoline_kernelINS0_14default_configENS1_25partition_config_selectorILNS1_17partition_subalgoE8EtNS0_10empty_typeEbEEZZNS1_14partition_implILS5_8ELb0ES3_jN6thrust23THRUST_200600_302600_NS6detail15normal_iteratorINSA_10device_ptrItEEEEPS6_PKS6_NS0_5tupleIJNSA_16discard_iteratorINSA_11use_defaultEEES6_EEENSJ_IJSG_SG_EEENS0_18inequality_wrapperINSA_8equal_toItEEEEPmJS6_EEE10hipError_tPvRmT3_T4_T5_T6_T7_T9_mT8_P12ihipStream_tbDpT10_ENKUlT_T0_E_clISt17integral_constantIbLb1EES1D_EEDaS18_S19_EUlS18_E_NS1_11comp_targetILNS1_3genE2ELNS1_11target_archE906ELNS1_3gpuE6ELNS1_3repE0EEENS1_30default_config_static_selectorELNS0_4arch9wavefront6targetE1EEEvT1_
                                        ; -- End function
	.set _ZN7rocprim17ROCPRIM_400000_NS6detail17trampoline_kernelINS0_14default_configENS1_25partition_config_selectorILNS1_17partition_subalgoE8EtNS0_10empty_typeEbEEZZNS1_14partition_implILS5_8ELb0ES3_jN6thrust23THRUST_200600_302600_NS6detail15normal_iteratorINSA_10device_ptrItEEEEPS6_PKS6_NS0_5tupleIJNSA_16discard_iteratorINSA_11use_defaultEEES6_EEENSJ_IJSG_SG_EEENS0_18inequality_wrapperINSA_8equal_toItEEEEPmJS6_EEE10hipError_tPvRmT3_T4_T5_T6_T7_T9_mT8_P12ihipStream_tbDpT10_ENKUlT_T0_E_clISt17integral_constantIbLb1EES1D_EEDaS18_S19_EUlS18_E_NS1_11comp_targetILNS1_3genE2ELNS1_11target_archE906ELNS1_3gpuE6ELNS1_3repE0EEENS1_30default_config_static_selectorELNS0_4arch9wavefront6targetE1EEEvT1_.num_vgpr, 0
	.set _ZN7rocprim17ROCPRIM_400000_NS6detail17trampoline_kernelINS0_14default_configENS1_25partition_config_selectorILNS1_17partition_subalgoE8EtNS0_10empty_typeEbEEZZNS1_14partition_implILS5_8ELb0ES3_jN6thrust23THRUST_200600_302600_NS6detail15normal_iteratorINSA_10device_ptrItEEEEPS6_PKS6_NS0_5tupleIJNSA_16discard_iteratorINSA_11use_defaultEEES6_EEENSJ_IJSG_SG_EEENS0_18inequality_wrapperINSA_8equal_toItEEEEPmJS6_EEE10hipError_tPvRmT3_T4_T5_T6_T7_T9_mT8_P12ihipStream_tbDpT10_ENKUlT_T0_E_clISt17integral_constantIbLb1EES1D_EEDaS18_S19_EUlS18_E_NS1_11comp_targetILNS1_3genE2ELNS1_11target_archE906ELNS1_3gpuE6ELNS1_3repE0EEENS1_30default_config_static_selectorELNS0_4arch9wavefront6targetE1EEEvT1_.num_agpr, 0
	.set _ZN7rocprim17ROCPRIM_400000_NS6detail17trampoline_kernelINS0_14default_configENS1_25partition_config_selectorILNS1_17partition_subalgoE8EtNS0_10empty_typeEbEEZZNS1_14partition_implILS5_8ELb0ES3_jN6thrust23THRUST_200600_302600_NS6detail15normal_iteratorINSA_10device_ptrItEEEEPS6_PKS6_NS0_5tupleIJNSA_16discard_iteratorINSA_11use_defaultEEES6_EEENSJ_IJSG_SG_EEENS0_18inequality_wrapperINSA_8equal_toItEEEEPmJS6_EEE10hipError_tPvRmT3_T4_T5_T6_T7_T9_mT8_P12ihipStream_tbDpT10_ENKUlT_T0_E_clISt17integral_constantIbLb1EES1D_EEDaS18_S19_EUlS18_E_NS1_11comp_targetILNS1_3genE2ELNS1_11target_archE906ELNS1_3gpuE6ELNS1_3repE0EEENS1_30default_config_static_selectorELNS0_4arch9wavefront6targetE1EEEvT1_.numbered_sgpr, 0
	.set _ZN7rocprim17ROCPRIM_400000_NS6detail17trampoline_kernelINS0_14default_configENS1_25partition_config_selectorILNS1_17partition_subalgoE8EtNS0_10empty_typeEbEEZZNS1_14partition_implILS5_8ELb0ES3_jN6thrust23THRUST_200600_302600_NS6detail15normal_iteratorINSA_10device_ptrItEEEEPS6_PKS6_NS0_5tupleIJNSA_16discard_iteratorINSA_11use_defaultEEES6_EEENSJ_IJSG_SG_EEENS0_18inequality_wrapperINSA_8equal_toItEEEEPmJS6_EEE10hipError_tPvRmT3_T4_T5_T6_T7_T9_mT8_P12ihipStream_tbDpT10_ENKUlT_T0_E_clISt17integral_constantIbLb1EES1D_EEDaS18_S19_EUlS18_E_NS1_11comp_targetILNS1_3genE2ELNS1_11target_archE906ELNS1_3gpuE6ELNS1_3repE0EEENS1_30default_config_static_selectorELNS0_4arch9wavefront6targetE1EEEvT1_.num_named_barrier, 0
	.set _ZN7rocprim17ROCPRIM_400000_NS6detail17trampoline_kernelINS0_14default_configENS1_25partition_config_selectorILNS1_17partition_subalgoE8EtNS0_10empty_typeEbEEZZNS1_14partition_implILS5_8ELb0ES3_jN6thrust23THRUST_200600_302600_NS6detail15normal_iteratorINSA_10device_ptrItEEEEPS6_PKS6_NS0_5tupleIJNSA_16discard_iteratorINSA_11use_defaultEEES6_EEENSJ_IJSG_SG_EEENS0_18inequality_wrapperINSA_8equal_toItEEEEPmJS6_EEE10hipError_tPvRmT3_T4_T5_T6_T7_T9_mT8_P12ihipStream_tbDpT10_ENKUlT_T0_E_clISt17integral_constantIbLb1EES1D_EEDaS18_S19_EUlS18_E_NS1_11comp_targetILNS1_3genE2ELNS1_11target_archE906ELNS1_3gpuE6ELNS1_3repE0EEENS1_30default_config_static_selectorELNS0_4arch9wavefront6targetE1EEEvT1_.private_seg_size, 0
	.set _ZN7rocprim17ROCPRIM_400000_NS6detail17trampoline_kernelINS0_14default_configENS1_25partition_config_selectorILNS1_17partition_subalgoE8EtNS0_10empty_typeEbEEZZNS1_14partition_implILS5_8ELb0ES3_jN6thrust23THRUST_200600_302600_NS6detail15normal_iteratorINSA_10device_ptrItEEEEPS6_PKS6_NS0_5tupleIJNSA_16discard_iteratorINSA_11use_defaultEEES6_EEENSJ_IJSG_SG_EEENS0_18inequality_wrapperINSA_8equal_toItEEEEPmJS6_EEE10hipError_tPvRmT3_T4_T5_T6_T7_T9_mT8_P12ihipStream_tbDpT10_ENKUlT_T0_E_clISt17integral_constantIbLb1EES1D_EEDaS18_S19_EUlS18_E_NS1_11comp_targetILNS1_3genE2ELNS1_11target_archE906ELNS1_3gpuE6ELNS1_3repE0EEENS1_30default_config_static_selectorELNS0_4arch9wavefront6targetE1EEEvT1_.uses_vcc, 0
	.set _ZN7rocprim17ROCPRIM_400000_NS6detail17trampoline_kernelINS0_14default_configENS1_25partition_config_selectorILNS1_17partition_subalgoE8EtNS0_10empty_typeEbEEZZNS1_14partition_implILS5_8ELb0ES3_jN6thrust23THRUST_200600_302600_NS6detail15normal_iteratorINSA_10device_ptrItEEEEPS6_PKS6_NS0_5tupleIJNSA_16discard_iteratorINSA_11use_defaultEEES6_EEENSJ_IJSG_SG_EEENS0_18inequality_wrapperINSA_8equal_toItEEEEPmJS6_EEE10hipError_tPvRmT3_T4_T5_T6_T7_T9_mT8_P12ihipStream_tbDpT10_ENKUlT_T0_E_clISt17integral_constantIbLb1EES1D_EEDaS18_S19_EUlS18_E_NS1_11comp_targetILNS1_3genE2ELNS1_11target_archE906ELNS1_3gpuE6ELNS1_3repE0EEENS1_30default_config_static_selectorELNS0_4arch9wavefront6targetE1EEEvT1_.uses_flat_scratch, 0
	.set _ZN7rocprim17ROCPRIM_400000_NS6detail17trampoline_kernelINS0_14default_configENS1_25partition_config_selectorILNS1_17partition_subalgoE8EtNS0_10empty_typeEbEEZZNS1_14partition_implILS5_8ELb0ES3_jN6thrust23THRUST_200600_302600_NS6detail15normal_iteratorINSA_10device_ptrItEEEEPS6_PKS6_NS0_5tupleIJNSA_16discard_iteratorINSA_11use_defaultEEES6_EEENSJ_IJSG_SG_EEENS0_18inequality_wrapperINSA_8equal_toItEEEEPmJS6_EEE10hipError_tPvRmT3_T4_T5_T6_T7_T9_mT8_P12ihipStream_tbDpT10_ENKUlT_T0_E_clISt17integral_constantIbLb1EES1D_EEDaS18_S19_EUlS18_E_NS1_11comp_targetILNS1_3genE2ELNS1_11target_archE906ELNS1_3gpuE6ELNS1_3repE0EEENS1_30default_config_static_selectorELNS0_4arch9wavefront6targetE1EEEvT1_.has_dyn_sized_stack, 0
	.set _ZN7rocprim17ROCPRIM_400000_NS6detail17trampoline_kernelINS0_14default_configENS1_25partition_config_selectorILNS1_17partition_subalgoE8EtNS0_10empty_typeEbEEZZNS1_14partition_implILS5_8ELb0ES3_jN6thrust23THRUST_200600_302600_NS6detail15normal_iteratorINSA_10device_ptrItEEEEPS6_PKS6_NS0_5tupleIJNSA_16discard_iteratorINSA_11use_defaultEEES6_EEENSJ_IJSG_SG_EEENS0_18inequality_wrapperINSA_8equal_toItEEEEPmJS6_EEE10hipError_tPvRmT3_T4_T5_T6_T7_T9_mT8_P12ihipStream_tbDpT10_ENKUlT_T0_E_clISt17integral_constantIbLb1EES1D_EEDaS18_S19_EUlS18_E_NS1_11comp_targetILNS1_3genE2ELNS1_11target_archE906ELNS1_3gpuE6ELNS1_3repE0EEENS1_30default_config_static_selectorELNS0_4arch9wavefront6targetE1EEEvT1_.has_recursion, 0
	.set _ZN7rocprim17ROCPRIM_400000_NS6detail17trampoline_kernelINS0_14default_configENS1_25partition_config_selectorILNS1_17partition_subalgoE8EtNS0_10empty_typeEbEEZZNS1_14partition_implILS5_8ELb0ES3_jN6thrust23THRUST_200600_302600_NS6detail15normal_iteratorINSA_10device_ptrItEEEEPS6_PKS6_NS0_5tupleIJNSA_16discard_iteratorINSA_11use_defaultEEES6_EEENSJ_IJSG_SG_EEENS0_18inequality_wrapperINSA_8equal_toItEEEEPmJS6_EEE10hipError_tPvRmT3_T4_T5_T6_T7_T9_mT8_P12ihipStream_tbDpT10_ENKUlT_T0_E_clISt17integral_constantIbLb1EES1D_EEDaS18_S19_EUlS18_E_NS1_11comp_targetILNS1_3genE2ELNS1_11target_archE906ELNS1_3gpuE6ELNS1_3repE0EEENS1_30default_config_static_selectorELNS0_4arch9wavefront6targetE1EEEvT1_.has_indirect_call, 0
	.section	.AMDGPU.csdata,"",@progbits
; Kernel info:
; codeLenInByte = 4
; TotalNumSgprs: 4
; NumVgprs: 0
; ScratchSize: 0
; MemoryBound: 0
; FloatMode: 240
; IeeeMode: 1
; LDSByteSize: 0 bytes/workgroup (compile time only)
; SGPRBlocks: 0
; VGPRBlocks: 0
; NumSGPRsForWavesPerEU: 4
; NumVGPRsForWavesPerEU: 1
; Occupancy: 10
; WaveLimiterHint : 0
; COMPUTE_PGM_RSRC2:SCRATCH_EN: 0
; COMPUTE_PGM_RSRC2:USER_SGPR: 6
; COMPUTE_PGM_RSRC2:TRAP_HANDLER: 0
; COMPUTE_PGM_RSRC2:TGID_X_EN: 1
; COMPUTE_PGM_RSRC2:TGID_Y_EN: 0
; COMPUTE_PGM_RSRC2:TGID_Z_EN: 0
; COMPUTE_PGM_RSRC2:TIDIG_COMP_CNT: 0
	.section	.text._ZN7rocprim17ROCPRIM_400000_NS6detail17trampoline_kernelINS0_14default_configENS1_25partition_config_selectorILNS1_17partition_subalgoE8EtNS0_10empty_typeEbEEZZNS1_14partition_implILS5_8ELb0ES3_jN6thrust23THRUST_200600_302600_NS6detail15normal_iteratorINSA_10device_ptrItEEEEPS6_PKS6_NS0_5tupleIJNSA_16discard_iteratorINSA_11use_defaultEEES6_EEENSJ_IJSG_SG_EEENS0_18inequality_wrapperINSA_8equal_toItEEEEPmJS6_EEE10hipError_tPvRmT3_T4_T5_T6_T7_T9_mT8_P12ihipStream_tbDpT10_ENKUlT_T0_E_clISt17integral_constantIbLb1EES1D_EEDaS18_S19_EUlS18_E_NS1_11comp_targetILNS1_3genE10ELNS1_11target_archE1200ELNS1_3gpuE4ELNS1_3repE0EEENS1_30default_config_static_selectorELNS0_4arch9wavefront6targetE1EEEvT1_,"axG",@progbits,_ZN7rocprim17ROCPRIM_400000_NS6detail17trampoline_kernelINS0_14default_configENS1_25partition_config_selectorILNS1_17partition_subalgoE8EtNS0_10empty_typeEbEEZZNS1_14partition_implILS5_8ELb0ES3_jN6thrust23THRUST_200600_302600_NS6detail15normal_iteratorINSA_10device_ptrItEEEEPS6_PKS6_NS0_5tupleIJNSA_16discard_iteratorINSA_11use_defaultEEES6_EEENSJ_IJSG_SG_EEENS0_18inequality_wrapperINSA_8equal_toItEEEEPmJS6_EEE10hipError_tPvRmT3_T4_T5_T6_T7_T9_mT8_P12ihipStream_tbDpT10_ENKUlT_T0_E_clISt17integral_constantIbLb1EES1D_EEDaS18_S19_EUlS18_E_NS1_11comp_targetILNS1_3genE10ELNS1_11target_archE1200ELNS1_3gpuE4ELNS1_3repE0EEENS1_30default_config_static_selectorELNS0_4arch9wavefront6targetE1EEEvT1_,comdat
	.protected	_ZN7rocprim17ROCPRIM_400000_NS6detail17trampoline_kernelINS0_14default_configENS1_25partition_config_selectorILNS1_17partition_subalgoE8EtNS0_10empty_typeEbEEZZNS1_14partition_implILS5_8ELb0ES3_jN6thrust23THRUST_200600_302600_NS6detail15normal_iteratorINSA_10device_ptrItEEEEPS6_PKS6_NS0_5tupleIJNSA_16discard_iteratorINSA_11use_defaultEEES6_EEENSJ_IJSG_SG_EEENS0_18inequality_wrapperINSA_8equal_toItEEEEPmJS6_EEE10hipError_tPvRmT3_T4_T5_T6_T7_T9_mT8_P12ihipStream_tbDpT10_ENKUlT_T0_E_clISt17integral_constantIbLb1EES1D_EEDaS18_S19_EUlS18_E_NS1_11comp_targetILNS1_3genE10ELNS1_11target_archE1200ELNS1_3gpuE4ELNS1_3repE0EEENS1_30default_config_static_selectorELNS0_4arch9wavefront6targetE1EEEvT1_ ; -- Begin function _ZN7rocprim17ROCPRIM_400000_NS6detail17trampoline_kernelINS0_14default_configENS1_25partition_config_selectorILNS1_17partition_subalgoE8EtNS0_10empty_typeEbEEZZNS1_14partition_implILS5_8ELb0ES3_jN6thrust23THRUST_200600_302600_NS6detail15normal_iteratorINSA_10device_ptrItEEEEPS6_PKS6_NS0_5tupleIJNSA_16discard_iteratorINSA_11use_defaultEEES6_EEENSJ_IJSG_SG_EEENS0_18inequality_wrapperINSA_8equal_toItEEEEPmJS6_EEE10hipError_tPvRmT3_T4_T5_T6_T7_T9_mT8_P12ihipStream_tbDpT10_ENKUlT_T0_E_clISt17integral_constantIbLb1EES1D_EEDaS18_S19_EUlS18_E_NS1_11comp_targetILNS1_3genE10ELNS1_11target_archE1200ELNS1_3gpuE4ELNS1_3repE0EEENS1_30default_config_static_selectorELNS0_4arch9wavefront6targetE1EEEvT1_
	.globl	_ZN7rocprim17ROCPRIM_400000_NS6detail17trampoline_kernelINS0_14default_configENS1_25partition_config_selectorILNS1_17partition_subalgoE8EtNS0_10empty_typeEbEEZZNS1_14partition_implILS5_8ELb0ES3_jN6thrust23THRUST_200600_302600_NS6detail15normal_iteratorINSA_10device_ptrItEEEEPS6_PKS6_NS0_5tupleIJNSA_16discard_iteratorINSA_11use_defaultEEES6_EEENSJ_IJSG_SG_EEENS0_18inequality_wrapperINSA_8equal_toItEEEEPmJS6_EEE10hipError_tPvRmT3_T4_T5_T6_T7_T9_mT8_P12ihipStream_tbDpT10_ENKUlT_T0_E_clISt17integral_constantIbLb1EES1D_EEDaS18_S19_EUlS18_E_NS1_11comp_targetILNS1_3genE10ELNS1_11target_archE1200ELNS1_3gpuE4ELNS1_3repE0EEENS1_30default_config_static_selectorELNS0_4arch9wavefront6targetE1EEEvT1_
	.p2align	8
	.type	_ZN7rocprim17ROCPRIM_400000_NS6detail17trampoline_kernelINS0_14default_configENS1_25partition_config_selectorILNS1_17partition_subalgoE8EtNS0_10empty_typeEbEEZZNS1_14partition_implILS5_8ELb0ES3_jN6thrust23THRUST_200600_302600_NS6detail15normal_iteratorINSA_10device_ptrItEEEEPS6_PKS6_NS0_5tupleIJNSA_16discard_iteratorINSA_11use_defaultEEES6_EEENSJ_IJSG_SG_EEENS0_18inequality_wrapperINSA_8equal_toItEEEEPmJS6_EEE10hipError_tPvRmT3_T4_T5_T6_T7_T9_mT8_P12ihipStream_tbDpT10_ENKUlT_T0_E_clISt17integral_constantIbLb1EES1D_EEDaS18_S19_EUlS18_E_NS1_11comp_targetILNS1_3genE10ELNS1_11target_archE1200ELNS1_3gpuE4ELNS1_3repE0EEENS1_30default_config_static_selectorELNS0_4arch9wavefront6targetE1EEEvT1_,@function
_ZN7rocprim17ROCPRIM_400000_NS6detail17trampoline_kernelINS0_14default_configENS1_25partition_config_selectorILNS1_17partition_subalgoE8EtNS0_10empty_typeEbEEZZNS1_14partition_implILS5_8ELb0ES3_jN6thrust23THRUST_200600_302600_NS6detail15normal_iteratorINSA_10device_ptrItEEEEPS6_PKS6_NS0_5tupleIJNSA_16discard_iteratorINSA_11use_defaultEEES6_EEENSJ_IJSG_SG_EEENS0_18inequality_wrapperINSA_8equal_toItEEEEPmJS6_EEE10hipError_tPvRmT3_T4_T5_T6_T7_T9_mT8_P12ihipStream_tbDpT10_ENKUlT_T0_E_clISt17integral_constantIbLb1EES1D_EEDaS18_S19_EUlS18_E_NS1_11comp_targetILNS1_3genE10ELNS1_11target_archE1200ELNS1_3gpuE4ELNS1_3repE0EEENS1_30default_config_static_selectorELNS0_4arch9wavefront6targetE1EEEvT1_: ; @_ZN7rocprim17ROCPRIM_400000_NS6detail17trampoline_kernelINS0_14default_configENS1_25partition_config_selectorILNS1_17partition_subalgoE8EtNS0_10empty_typeEbEEZZNS1_14partition_implILS5_8ELb0ES3_jN6thrust23THRUST_200600_302600_NS6detail15normal_iteratorINSA_10device_ptrItEEEEPS6_PKS6_NS0_5tupleIJNSA_16discard_iteratorINSA_11use_defaultEEES6_EEENSJ_IJSG_SG_EEENS0_18inequality_wrapperINSA_8equal_toItEEEEPmJS6_EEE10hipError_tPvRmT3_T4_T5_T6_T7_T9_mT8_P12ihipStream_tbDpT10_ENKUlT_T0_E_clISt17integral_constantIbLb1EES1D_EEDaS18_S19_EUlS18_E_NS1_11comp_targetILNS1_3genE10ELNS1_11target_archE1200ELNS1_3gpuE4ELNS1_3repE0EEENS1_30default_config_static_selectorELNS0_4arch9wavefront6targetE1EEEvT1_
; %bb.0:
	.section	.rodata,"a",@progbits
	.p2align	6, 0x0
	.amdhsa_kernel _ZN7rocprim17ROCPRIM_400000_NS6detail17trampoline_kernelINS0_14default_configENS1_25partition_config_selectorILNS1_17partition_subalgoE8EtNS0_10empty_typeEbEEZZNS1_14partition_implILS5_8ELb0ES3_jN6thrust23THRUST_200600_302600_NS6detail15normal_iteratorINSA_10device_ptrItEEEEPS6_PKS6_NS0_5tupleIJNSA_16discard_iteratorINSA_11use_defaultEEES6_EEENSJ_IJSG_SG_EEENS0_18inequality_wrapperINSA_8equal_toItEEEEPmJS6_EEE10hipError_tPvRmT3_T4_T5_T6_T7_T9_mT8_P12ihipStream_tbDpT10_ENKUlT_T0_E_clISt17integral_constantIbLb1EES1D_EEDaS18_S19_EUlS18_E_NS1_11comp_targetILNS1_3genE10ELNS1_11target_archE1200ELNS1_3gpuE4ELNS1_3repE0EEENS1_30default_config_static_selectorELNS0_4arch9wavefront6targetE1EEEvT1_
		.amdhsa_group_segment_fixed_size 0
		.amdhsa_private_segment_fixed_size 0
		.amdhsa_kernarg_size 136
		.amdhsa_user_sgpr_count 6
		.amdhsa_user_sgpr_private_segment_buffer 1
		.amdhsa_user_sgpr_dispatch_ptr 0
		.amdhsa_user_sgpr_queue_ptr 0
		.amdhsa_user_sgpr_kernarg_segment_ptr 1
		.amdhsa_user_sgpr_dispatch_id 0
		.amdhsa_user_sgpr_flat_scratch_init 0
		.amdhsa_user_sgpr_private_segment_size 0
		.amdhsa_uses_dynamic_stack 0
		.amdhsa_system_sgpr_private_segment_wavefront_offset 0
		.amdhsa_system_sgpr_workgroup_id_x 1
		.amdhsa_system_sgpr_workgroup_id_y 0
		.amdhsa_system_sgpr_workgroup_id_z 0
		.amdhsa_system_sgpr_workgroup_info 0
		.amdhsa_system_vgpr_workitem_id 0
		.amdhsa_next_free_vgpr 1
		.amdhsa_next_free_sgpr 0
		.amdhsa_reserve_vcc 0
		.amdhsa_reserve_flat_scratch 0
		.amdhsa_float_round_mode_32 0
		.amdhsa_float_round_mode_16_64 0
		.amdhsa_float_denorm_mode_32 3
		.amdhsa_float_denorm_mode_16_64 3
		.amdhsa_dx10_clamp 1
		.amdhsa_ieee_mode 1
		.amdhsa_fp16_overflow 0
		.amdhsa_exception_fp_ieee_invalid_op 0
		.amdhsa_exception_fp_denorm_src 0
		.amdhsa_exception_fp_ieee_div_zero 0
		.amdhsa_exception_fp_ieee_overflow 0
		.amdhsa_exception_fp_ieee_underflow 0
		.amdhsa_exception_fp_ieee_inexact 0
		.amdhsa_exception_int_div_zero 0
	.end_amdhsa_kernel
	.section	.text._ZN7rocprim17ROCPRIM_400000_NS6detail17trampoline_kernelINS0_14default_configENS1_25partition_config_selectorILNS1_17partition_subalgoE8EtNS0_10empty_typeEbEEZZNS1_14partition_implILS5_8ELb0ES3_jN6thrust23THRUST_200600_302600_NS6detail15normal_iteratorINSA_10device_ptrItEEEEPS6_PKS6_NS0_5tupleIJNSA_16discard_iteratorINSA_11use_defaultEEES6_EEENSJ_IJSG_SG_EEENS0_18inequality_wrapperINSA_8equal_toItEEEEPmJS6_EEE10hipError_tPvRmT3_T4_T5_T6_T7_T9_mT8_P12ihipStream_tbDpT10_ENKUlT_T0_E_clISt17integral_constantIbLb1EES1D_EEDaS18_S19_EUlS18_E_NS1_11comp_targetILNS1_3genE10ELNS1_11target_archE1200ELNS1_3gpuE4ELNS1_3repE0EEENS1_30default_config_static_selectorELNS0_4arch9wavefront6targetE1EEEvT1_,"axG",@progbits,_ZN7rocprim17ROCPRIM_400000_NS6detail17trampoline_kernelINS0_14default_configENS1_25partition_config_selectorILNS1_17partition_subalgoE8EtNS0_10empty_typeEbEEZZNS1_14partition_implILS5_8ELb0ES3_jN6thrust23THRUST_200600_302600_NS6detail15normal_iteratorINSA_10device_ptrItEEEEPS6_PKS6_NS0_5tupleIJNSA_16discard_iteratorINSA_11use_defaultEEES6_EEENSJ_IJSG_SG_EEENS0_18inequality_wrapperINSA_8equal_toItEEEEPmJS6_EEE10hipError_tPvRmT3_T4_T5_T6_T7_T9_mT8_P12ihipStream_tbDpT10_ENKUlT_T0_E_clISt17integral_constantIbLb1EES1D_EEDaS18_S19_EUlS18_E_NS1_11comp_targetILNS1_3genE10ELNS1_11target_archE1200ELNS1_3gpuE4ELNS1_3repE0EEENS1_30default_config_static_selectorELNS0_4arch9wavefront6targetE1EEEvT1_,comdat
.Lfunc_end610:
	.size	_ZN7rocprim17ROCPRIM_400000_NS6detail17trampoline_kernelINS0_14default_configENS1_25partition_config_selectorILNS1_17partition_subalgoE8EtNS0_10empty_typeEbEEZZNS1_14partition_implILS5_8ELb0ES3_jN6thrust23THRUST_200600_302600_NS6detail15normal_iteratorINSA_10device_ptrItEEEEPS6_PKS6_NS0_5tupleIJNSA_16discard_iteratorINSA_11use_defaultEEES6_EEENSJ_IJSG_SG_EEENS0_18inequality_wrapperINSA_8equal_toItEEEEPmJS6_EEE10hipError_tPvRmT3_T4_T5_T6_T7_T9_mT8_P12ihipStream_tbDpT10_ENKUlT_T0_E_clISt17integral_constantIbLb1EES1D_EEDaS18_S19_EUlS18_E_NS1_11comp_targetILNS1_3genE10ELNS1_11target_archE1200ELNS1_3gpuE4ELNS1_3repE0EEENS1_30default_config_static_selectorELNS0_4arch9wavefront6targetE1EEEvT1_, .Lfunc_end610-_ZN7rocprim17ROCPRIM_400000_NS6detail17trampoline_kernelINS0_14default_configENS1_25partition_config_selectorILNS1_17partition_subalgoE8EtNS0_10empty_typeEbEEZZNS1_14partition_implILS5_8ELb0ES3_jN6thrust23THRUST_200600_302600_NS6detail15normal_iteratorINSA_10device_ptrItEEEEPS6_PKS6_NS0_5tupleIJNSA_16discard_iteratorINSA_11use_defaultEEES6_EEENSJ_IJSG_SG_EEENS0_18inequality_wrapperINSA_8equal_toItEEEEPmJS6_EEE10hipError_tPvRmT3_T4_T5_T6_T7_T9_mT8_P12ihipStream_tbDpT10_ENKUlT_T0_E_clISt17integral_constantIbLb1EES1D_EEDaS18_S19_EUlS18_E_NS1_11comp_targetILNS1_3genE10ELNS1_11target_archE1200ELNS1_3gpuE4ELNS1_3repE0EEENS1_30default_config_static_selectorELNS0_4arch9wavefront6targetE1EEEvT1_
                                        ; -- End function
	.set _ZN7rocprim17ROCPRIM_400000_NS6detail17trampoline_kernelINS0_14default_configENS1_25partition_config_selectorILNS1_17partition_subalgoE8EtNS0_10empty_typeEbEEZZNS1_14partition_implILS5_8ELb0ES3_jN6thrust23THRUST_200600_302600_NS6detail15normal_iteratorINSA_10device_ptrItEEEEPS6_PKS6_NS0_5tupleIJNSA_16discard_iteratorINSA_11use_defaultEEES6_EEENSJ_IJSG_SG_EEENS0_18inequality_wrapperINSA_8equal_toItEEEEPmJS6_EEE10hipError_tPvRmT3_T4_T5_T6_T7_T9_mT8_P12ihipStream_tbDpT10_ENKUlT_T0_E_clISt17integral_constantIbLb1EES1D_EEDaS18_S19_EUlS18_E_NS1_11comp_targetILNS1_3genE10ELNS1_11target_archE1200ELNS1_3gpuE4ELNS1_3repE0EEENS1_30default_config_static_selectorELNS0_4arch9wavefront6targetE1EEEvT1_.num_vgpr, 0
	.set _ZN7rocprim17ROCPRIM_400000_NS6detail17trampoline_kernelINS0_14default_configENS1_25partition_config_selectorILNS1_17partition_subalgoE8EtNS0_10empty_typeEbEEZZNS1_14partition_implILS5_8ELb0ES3_jN6thrust23THRUST_200600_302600_NS6detail15normal_iteratorINSA_10device_ptrItEEEEPS6_PKS6_NS0_5tupleIJNSA_16discard_iteratorINSA_11use_defaultEEES6_EEENSJ_IJSG_SG_EEENS0_18inequality_wrapperINSA_8equal_toItEEEEPmJS6_EEE10hipError_tPvRmT3_T4_T5_T6_T7_T9_mT8_P12ihipStream_tbDpT10_ENKUlT_T0_E_clISt17integral_constantIbLb1EES1D_EEDaS18_S19_EUlS18_E_NS1_11comp_targetILNS1_3genE10ELNS1_11target_archE1200ELNS1_3gpuE4ELNS1_3repE0EEENS1_30default_config_static_selectorELNS0_4arch9wavefront6targetE1EEEvT1_.num_agpr, 0
	.set _ZN7rocprim17ROCPRIM_400000_NS6detail17trampoline_kernelINS0_14default_configENS1_25partition_config_selectorILNS1_17partition_subalgoE8EtNS0_10empty_typeEbEEZZNS1_14partition_implILS5_8ELb0ES3_jN6thrust23THRUST_200600_302600_NS6detail15normal_iteratorINSA_10device_ptrItEEEEPS6_PKS6_NS0_5tupleIJNSA_16discard_iteratorINSA_11use_defaultEEES6_EEENSJ_IJSG_SG_EEENS0_18inequality_wrapperINSA_8equal_toItEEEEPmJS6_EEE10hipError_tPvRmT3_T4_T5_T6_T7_T9_mT8_P12ihipStream_tbDpT10_ENKUlT_T0_E_clISt17integral_constantIbLb1EES1D_EEDaS18_S19_EUlS18_E_NS1_11comp_targetILNS1_3genE10ELNS1_11target_archE1200ELNS1_3gpuE4ELNS1_3repE0EEENS1_30default_config_static_selectorELNS0_4arch9wavefront6targetE1EEEvT1_.numbered_sgpr, 0
	.set _ZN7rocprim17ROCPRIM_400000_NS6detail17trampoline_kernelINS0_14default_configENS1_25partition_config_selectorILNS1_17partition_subalgoE8EtNS0_10empty_typeEbEEZZNS1_14partition_implILS5_8ELb0ES3_jN6thrust23THRUST_200600_302600_NS6detail15normal_iteratorINSA_10device_ptrItEEEEPS6_PKS6_NS0_5tupleIJNSA_16discard_iteratorINSA_11use_defaultEEES6_EEENSJ_IJSG_SG_EEENS0_18inequality_wrapperINSA_8equal_toItEEEEPmJS6_EEE10hipError_tPvRmT3_T4_T5_T6_T7_T9_mT8_P12ihipStream_tbDpT10_ENKUlT_T0_E_clISt17integral_constantIbLb1EES1D_EEDaS18_S19_EUlS18_E_NS1_11comp_targetILNS1_3genE10ELNS1_11target_archE1200ELNS1_3gpuE4ELNS1_3repE0EEENS1_30default_config_static_selectorELNS0_4arch9wavefront6targetE1EEEvT1_.num_named_barrier, 0
	.set _ZN7rocprim17ROCPRIM_400000_NS6detail17trampoline_kernelINS0_14default_configENS1_25partition_config_selectorILNS1_17partition_subalgoE8EtNS0_10empty_typeEbEEZZNS1_14partition_implILS5_8ELb0ES3_jN6thrust23THRUST_200600_302600_NS6detail15normal_iteratorINSA_10device_ptrItEEEEPS6_PKS6_NS0_5tupleIJNSA_16discard_iteratorINSA_11use_defaultEEES6_EEENSJ_IJSG_SG_EEENS0_18inequality_wrapperINSA_8equal_toItEEEEPmJS6_EEE10hipError_tPvRmT3_T4_T5_T6_T7_T9_mT8_P12ihipStream_tbDpT10_ENKUlT_T0_E_clISt17integral_constantIbLb1EES1D_EEDaS18_S19_EUlS18_E_NS1_11comp_targetILNS1_3genE10ELNS1_11target_archE1200ELNS1_3gpuE4ELNS1_3repE0EEENS1_30default_config_static_selectorELNS0_4arch9wavefront6targetE1EEEvT1_.private_seg_size, 0
	.set _ZN7rocprim17ROCPRIM_400000_NS6detail17trampoline_kernelINS0_14default_configENS1_25partition_config_selectorILNS1_17partition_subalgoE8EtNS0_10empty_typeEbEEZZNS1_14partition_implILS5_8ELb0ES3_jN6thrust23THRUST_200600_302600_NS6detail15normal_iteratorINSA_10device_ptrItEEEEPS6_PKS6_NS0_5tupleIJNSA_16discard_iteratorINSA_11use_defaultEEES6_EEENSJ_IJSG_SG_EEENS0_18inequality_wrapperINSA_8equal_toItEEEEPmJS6_EEE10hipError_tPvRmT3_T4_T5_T6_T7_T9_mT8_P12ihipStream_tbDpT10_ENKUlT_T0_E_clISt17integral_constantIbLb1EES1D_EEDaS18_S19_EUlS18_E_NS1_11comp_targetILNS1_3genE10ELNS1_11target_archE1200ELNS1_3gpuE4ELNS1_3repE0EEENS1_30default_config_static_selectorELNS0_4arch9wavefront6targetE1EEEvT1_.uses_vcc, 0
	.set _ZN7rocprim17ROCPRIM_400000_NS6detail17trampoline_kernelINS0_14default_configENS1_25partition_config_selectorILNS1_17partition_subalgoE8EtNS0_10empty_typeEbEEZZNS1_14partition_implILS5_8ELb0ES3_jN6thrust23THRUST_200600_302600_NS6detail15normal_iteratorINSA_10device_ptrItEEEEPS6_PKS6_NS0_5tupleIJNSA_16discard_iteratorINSA_11use_defaultEEES6_EEENSJ_IJSG_SG_EEENS0_18inequality_wrapperINSA_8equal_toItEEEEPmJS6_EEE10hipError_tPvRmT3_T4_T5_T6_T7_T9_mT8_P12ihipStream_tbDpT10_ENKUlT_T0_E_clISt17integral_constantIbLb1EES1D_EEDaS18_S19_EUlS18_E_NS1_11comp_targetILNS1_3genE10ELNS1_11target_archE1200ELNS1_3gpuE4ELNS1_3repE0EEENS1_30default_config_static_selectorELNS0_4arch9wavefront6targetE1EEEvT1_.uses_flat_scratch, 0
	.set _ZN7rocprim17ROCPRIM_400000_NS6detail17trampoline_kernelINS0_14default_configENS1_25partition_config_selectorILNS1_17partition_subalgoE8EtNS0_10empty_typeEbEEZZNS1_14partition_implILS5_8ELb0ES3_jN6thrust23THRUST_200600_302600_NS6detail15normal_iteratorINSA_10device_ptrItEEEEPS6_PKS6_NS0_5tupleIJNSA_16discard_iteratorINSA_11use_defaultEEES6_EEENSJ_IJSG_SG_EEENS0_18inequality_wrapperINSA_8equal_toItEEEEPmJS6_EEE10hipError_tPvRmT3_T4_T5_T6_T7_T9_mT8_P12ihipStream_tbDpT10_ENKUlT_T0_E_clISt17integral_constantIbLb1EES1D_EEDaS18_S19_EUlS18_E_NS1_11comp_targetILNS1_3genE10ELNS1_11target_archE1200ELNS1_3gpuE4ELNS1_3repE0EEENS1_30default_config_static_selectorELNS0_4arch9wavefront6targetE1EEEvT1_.has_dyn_sized_stack, 0
	.set _ZN7rocprim17ROCPRIM_400000_NS6detail17trampoline_kernelINS0_14default_configENS1_25partition_config_selectorILNS1_17partition_subalgoE8EtNS0_10empty_typeEbEEZZNS1_14partition_implILS5_8ELb0ES3_jN6thrust23THRUST_200600_302600_NS6detail15normal_iteratorINSA_10device_ptrItEEEEPS6_PKS6_NS0_5tupleIJNSA_16discard_iteratorINSA_11use_defaultEEES6_EEENSJ_IJSG_SG_EEENS0_18inequality_wrapperINSA_8equal_toItEEEEPmJS6_EEE10hipError_tPvRmT3_T4_T5_T6_T7_T9_mT8_P12ihipStream_tbDpT10_ENKUlT_T0_E_clISt17integral_constantIbLb1EES1D_EEDaS18_S19_EUlS18_E_NS1_11comp_targetILNS1_3genE10ELNS1_11target_archE1200ELNS1_3gpuE4ELNS1_3repE0EEENS1_30default_config_static_selectorELNS0_4arch9wavefront6targetE1EEEvT1_.has_recursion, 0
	.set _ZN7rocprim17ROCPRIM_400000_NS6detail17trampoline_kernelINS0_14default_configENS1_25partition_config_selectorILNS1_17partition_subalgoE8EtNS0_10empty_typeEbEEZZNS1_14partition_implILS5_8ELb0ES3_jN6thrust23THRUST_200600_302600_NS6detail15normal_iteratorINSA_10device_ptrItEEEEPS6_PKS6_NS0_5tupleIJNSA_16discard_iteratorINSA_11use_defaultEEES6_EEENSJ_IJSG_SG_EEENS0_18inequality_wrapperINSA_8equal_toItEEEEPmJS6_EEE10hipError_tPvRmT3_T4_T5_T6_T7_T9_mT8_P12ihipStream_tbDpT10_ENKUlT_T0_E_clISt17integral_constantIbLb1EES1D_EEDaS18_S19_EUlS18_E_NS1_11comp_targetILNS1_3genE10ELNS1_11target_archE1200ELNS1_3gpuE4ELNS1_3repE0EEENS1_30default_config_static_selectorELNS0_4arch9wavefront6targetE1EEEvT1_.has_indirect_call, 0
	.section	.AMDGPU.csdata,"",@progbits
; Kernel info:
; codeLenInByte = 0
; TotalNumSgprs: 4
; NumVgprs: 0
; ScratchSize: 0
; MemoryBound: 0
; FloatMode: 240
; IeeeMode: 1
; LDSByteSize: 0 bytes/workgroup (compile time only)
; SGPRBlocks: 0
; VGPRBlocks: 0
; NumSGPRsForWavesPerEU: 4
; NumVGPRsForWavesPerEU: 1
; Occupancy: 10
; WaveLimiterHint : 0
; COMPUTE_PGM_RSRC2:SCRATCH_EN: 0
; COMPUTE_PGM_RSRC2:USER_SGPR: 6
; COMPUTE_PGM_RSRC2:TRAP_HANDLER: 0
; COMPUTE_PGM_RSRC2:TGID_X_EN: 1
; COMPUTE_PGM_RSRC2:TGID_Y_EN: 0
; COMPUTE_PGM_RSRC2:TGID_Z_EN: 0
; COMPUTE_PGM_RSRC2:TIDIG_COMP_CNT: 0
	.section	.text._ZN7rocprim17ROCPRIM_400000_NS6detail17trampoline_kernelINS0_14default_configENS1_25partition_config_selectorILNS1_17partition_subalgoE8EtNS0_10empty_typeEbEEZZNS1_14partition_implILS5_8ELb0ES3_jN6thrust23THRUST_200600_302600_NS6detail15normal_iteratorINSA_10device_ptrItEEEEPS6_PKS6_NS0_5tupleIJNSA_16discard_iteratorINSA_11use_defaultEEES6_EEENSJ_IJSG_SG_EEENS0_18inequality_wrapperINSA_8equal_toItEEEEPmJS6_EEE10hipError_tPvRmT3_T4_T5_T6_T7_T9_mT8_P12ihipStream_tbDpT10_ENKUlT_T0_E_clISt17integral_constantIbLb1EES1D_EEDaS18_S19_EUlS18_E_NS1_11comp_targetILNS1_3genE9ELNS1_11target_archE1100ELNS1_3gpuE3ELNS1_3repE0EEENS1_30default_config_static_selectorELNS0_4arch9wavefront6targetE1EEEvT1_,"axG",@progbits,_ZN7rocprim17ROCPRIM_400000_NS6detail17trampoline_kernelINS0_14default_configENS1_25partition_config_selectorILNS1_17partition_subalgoE8EtNS0_10empty_typeEbEEZZNS1_14partition_implILS5_8ELb0ES3_jN6thrust23THRUST_200600_302600_NS6detail15normal_iteratorINSA_10device_ptrItEEEEPS6_PKS6_NS0_5tupleIJNSA_16discard_iteratorINSA_11use_defaultEEES6_EEENSJ_IJSG_SG_EEENS0_18inequality_wrapperINSA_8equal_toItEEEEPmJS6_EEE10hipError_tPvRmT3_T4_T5_T6_T7_T9_mT8_P12ihipStream_tbDpT10_ENKUlT_T0_E_clISt17integral_constantIbLb1EES1D_EEDaS18_S19_EUlS18_E_NS1_11comp_targetILNS1_3genE9ELNS1_11target_archE1100ELNS1_3gpuE3ELNS1_3repE0EEENS1_30default_config_static_selectorELNS0_4arch9wavefront6targetE1EEEvT1_,comdat
	.protected	_ZN7rocprim17ROCPRIM_400000_NS6detail17trampoline_kernelINS0_14default_configENS1_25partition_config_selectorILNS1_17partition_subalgoE8EtNS0_10empty_typeEbEEZZNS1_14partition_implILS5_8ELb0ES3_jN6thrust23THRUST_200600_302600_NS6detail15normal_iteratorINSA_10device_ptrItEEEEPS6_PKS6_NS0_5tupleIJNSA_16discard_iteratorINSA_11use_defaultEEES6_EEENSJ_IJSG_SG_EEENS0_18inequality_wrapperINSA_8equal_toItEEEEPmJS6_EEE10hipError_tPvRmT3_T4_T5_T6_T7_T9_mT8_P12ihipStream_tbDpT10_ENKUlT_T0_E_clISt17integral_constantIbLb1EES1D_EEDaS18_S19_EUlS18_E_NS1_11comp_targetILNS1_3genE9ELNS1_11target_archE1100ELNS1_3gpuE3ELNS1_3repE0EEENS1_30default_config_static_selectorELNS0_4arch9wavefront6targetE1EEEvT1_ ; -- Begin function _ZN7rocprim17ROCPRIM_400000_NS6detail17trampoline_kernelINS0_14default_configENS1_25partition_config_selectorILNS1_17partition_subalgoE8EtNS0_10empty_typeEbEEZZNS1_14partition_implILS5_8ELb0ES3_jN6thrust23THRUST_200600_302600_NS6detail15normal_iteratorINSA_10device_ptrItEEEEPS6_PKS6_NS0_5tupleIJNSA_16discard_iteratorINSA_11use_defaultEEES6_EEENSJ_IJSG_SG_EEENS0_18inequality_wrapperINSA_8equal_toItEEEEPmJS6_EEE10hipError_tPvRmT3_T4_T5_T6_T7_T9_mT8_P12ihipStream_tbDpT10_ENKUlT_T0_E_clISt17integral_constantIbLb1EES1D_EEDaS18_S19_EUlS18_E_NS1_11comp_targetILNS1_3genE9ELNS1_11target_archE1100ELNS1_3gpuE3ELNS1_3repE0EEENS1_30default_config_static_selectorELNS0_4arch9wavefront6targetE1EEEvT1_
	.globl	_ZN7rocprim17ROCPRIM_400000_NS6detail17trampoline_kernelINS0_14default_configENS1_25partition_config_selectorILNS1_17partition_subalgoE8EtNS0_10empty_typeEbEEZZNS1_14partition_implILS5_8ELb0ES3_jN6thrust23THRUST_200600_302600_NS6detail15normal_iteratorINSA_10device_ptrItEEEEPS6_PKS6_NS0_5tupleIJNSA_16discard_iteratorINSA_11use_defaultEEES6_EEENSJ_IJSG_SG_EEENS0_18inequality_wrapperINSA_8equal_toItEEEEPmJS6_EEE10hipError_tPvRmT3_T4_T5_T6_T7_T9_mT8_P12ihipStream_tbDpT10_ENKUlT_T0_E_clISt17integral_constantIbLb1EES1D_EEDaS18_S19_EUlS18_E_NS1_11comp_targetILNS1_3genE9ELNS1_11target_archE1100ELNS1_3gpuE3ELNS1_3repE0EEENS1_30default_config_static_selectorELNS0_4arch9wavefront6targetE1EEEvT1_
	.p2align	8
	.type	_ZN7rocprim17ROCPRIM_400000_NS6detail17trampoline_kernelINS0_14default_configENS1_25partition_config_selectorILNS1_17partition_subalgoE8EtNS0_10empty_typeEbEEZZNS1_14partition_implILS5_8ELb0ES3_jN6thrust23THRUST_200600_302600_NS6detail15normal_iteratorINSA_10device_ptrItEEEEPS6_PKS6_NS0_5tupleIJNSA_16discard_iteratorINSA_11use_defaultEEES6_EEENSJ_IJSG_SG_EEENS0_18inequality_wrapperINSA_8equal_toItEEEEPmJS6_EEE10hipError_tPvRmT3_T4_T5_T6_T7_T9_mT8_P12ihipStream_tbDpT10_ENKUlT_T0_E_clISt17integral_constantIbLb1EES1D_EEDaS18_S19_EUlS18_E_NS1_11comp_targetILNS1_3genE9ELNS1_11target_archE1100ELNS1_3gpuE3ELNS1_3repE0EEENS1_30default_config_static_selectorELNS0_4arch9wavefront6targetE1EEEvT1_,@function
_ZN7rocprim17ROCPRIM_400000_NS6detail17trampoline_kernelINS0_14default_configENS1_25partition_config_selectorILNS1_17partition_subalgoE8EtNS0_10empty_typeEbEEZZNS1_14partition_implILS5_8ELb0ES3_jN6thrust23THRUST_200600_302600_NS6detail15normal_iteratorINSA_10device_ptrItEEEEPS6_PKS6_NS0_5tupleIJNSA_16discard_iteratorINSA_11use_defaultEEES6_EEENSJ_IJSG_SG_EEENS0_18inequality_wrapperINSA_8equal_toItEEEEPmJS6_EEE10hipError_tPvRmT3_T4_T5_T6_T7_T9_mT8_P12ihipStream_tbDpT10_ENKUlT_T0_E_clISt17integral_constantIbLb1EES1D_EEDaS18_S19_EUlS18_E_NS1_11comp_targetILNS1_3genE9ELNS1_11target_archE1100ELNS1_3gpuE3ELNS1_3repE0EEENS1_30default_config_static_selectorELNS0_4arch9wavefront6targetE1EEEvT1_: ; @_ZN7rocprim17ROCPRIM_400000_NS6detail17trampoline_kernelINS0_14default_configENS1_25partition_config_selectorILNS1_17partition_subalgoE8EtNS0_10empty_typeEbEEZZNS1_14partition_implILS5_8ELb0ES3_jN6thrust23THRUST_200600_302600_NS6detail15normal_iteratorINSA_10device_ptrItEEEEPS6_PKS6_NS0_5tupleIJNSA_16discard_iteratorINSA_11use_defaultEEES6_EEENSJ_IJSG_SG_EEENS0_18inequality_wrapperINSA_8equal_toItEEEEPmJS6_EEE10hipError_tPvRmT3_T4_T5_T6_T7_T9_mT8_P12ihipStream_tbDpT10_ENKUlT_T0_E_clISt17integral_constantIbLb1EES1D_EEDaS18_S19_EUlS18_E_NS1_11comp_targetILNS1_3genE9ELNS1_11target_archE1100ELNS1_3gpuE3ELNS1_3repE0EEENS1_30default_config_static_selectorELNS0_4arch9wavefront6targetE1EEEvT1_
; %bb.0:
	.section	.rodata,"a",@progbits
	.p2align	6, 0x0
	.amdhsa_kernel _ZN7rocprim17ROCPRIM_400000_NS6detail17trampoline_kernelINS0_14default_configENS1_25partition_config_selectorILNS1_17partition_subalgoE8EtNS0_10empty_typeEbEEZZNS1_14partition_implILS5_8ELb0ES3_jN6thrust23THRUST_200600_302600_NS6detail15normal_iteratorINSA_10device_ptrItEEEEPS6_PKS6_NS0_5tupleIJNSA_16discard_iteratorINSA_11use_defaultEEES6_EEENSJ_IJSG_SG_EEENS0_18inequality_wrapperINSA_8equal_toItEEEEPmJS6_EEE10hipError_tPvRmT3_T4_T5_T6_T7_T9_mT8_P12ihipStream_tbDpT10_ENKUlT_T0_E_clISt17integral_constantIbLb1EES1D_EEDaS18_S19_EUlS18_E_NS1_11comp_targetILNS1_3genE9ELNS1_11target_archE1100ELNS1_3gpuE3ELNS1_3repE0EEENS1_30default_config_static_selectorELNS0_4arch9wavefront6targetE1EEEvT1_
		.amdhsa_group_segment_fixed_size 0
		.amdhsa_private_segment_fixed_size 0
		.amdhsa_kernarg_size 136
		.amdhsa_user_sgpr_count 6
		.amdhsa_user_sgpr_private_segment_buffer 1
		.amdhsa_user_sgpr_dispatch_ptr 0
		.amdhsa_user_sgpr_queue_ptr 0
		.amdhsa_user_sgpr_kernarg_segment_ptr 1
		.amdhsa_user_sgpr_dispatch_id 0
		.amdhsa_user_sgpr_flat_scratch_init 0
		.amdhsa_user_sgpr_private_segment_size 0
		.amdhsa_uses_dynamic_stack 0
		.amdhsa_system_sgpr_private_segment_wavefront_offset 0
		.amdhsa_system_sgpr_workgroup_id_x 1
		.amdhsa_system_sgpr_workgroup_id_y 0
		.amdhsa_system_sgpr_workgroup_id_z 0
		.amdhsa_system_sgpr_workgroup_info 0
		.amdhsa_system_vgpr_workitem_id 0
		.amdhsa_next_free_vgpr 1
		.amdhsa_next_free_sgpr 0
		.amdhsa_reserve_vcc 0
		.amdhsa_reserve_flat_scratch 0
		.amdhsa_float_round_mode_32 0
		.amdhsa_float_round_mode_16_64 0
		.amdhsa_float_denorm_mode_32 3
		.amdhsa_float_denorm_mode_16_64 3
		.amdhsa_dx10_clamp 1
		.amdhsa_ieee_mode 1
		.amdhsa_fp16_overflow 0
		.amdhsa_exception_fp_ieee_invalid_op 0
		.amdhsa_exception_fp_denorm_src 0
		.amdhsa_exception_fp_ieee_div_zero 0
		.amdhsa_exception_fp_ieee_overflow 0
		.amdhsa_exception_fp_ieee_underflow 0
		.amdhsa_exception_fp_ieee_inexact 0
		.amdhsa_exception_int_div_zero 0
	.end_amdhsa_kernel
	.section	.text._ZN7rocprim17ROCPRIM_400000_NS6detail17trampoline_kernelINS0_14default_configENS1_25partition_config_selectorILNS1_17partition_subalgoE8EtNS0_10empty_typeEbEEZZNS1_14partition_implILS5_8ELb0ES3_jN6thrust23THRUST_200600_302600_NS6detail15normal_iteratorINSA_10device_ptrItEEEEPS6_PKS6_NS0_5tupleIJNSA_16discard_iteratorINSA_11use_defaultEEES6_EEENSJ_IJSG_SG_EEENS0_18inequality_wrapperINSA_8equal_toItEEEEPmJS6_EEE10hipError_tPvRmT3_T4_T5_T6_T7_T9_mT8_P12ihipStream_tbDpT10_ENKUlT_T0_E_clISt17integral_constantIbLb1EES1D_EEDaS18_S19_EUlS18_E_NS1_11comp_targetILNS1_3genE9ELNS1_11target_archE1100ELNS1_3gpuE3ELNS1_3repE0EEENS1_30default_config_static_selectorELNS0_4arch9wavefront6targetE1EEEvT1_,"axG",@progbits,_ZN7rocprim17ROCPRIM_400000_NS6detail17trampoline_kernelINS0_14default_configENS1_25partition_config_selectorILNS1_17partition_subalgoE8EtNS0_10empty_typeEbEEZZNS1_14partition_implILS5_8ELb0ES3_jN6thrust23THRUST_200600_302600_NS6detail15normal_iteratorINSA_10device_ptrItEEEEPS6_PKS6_NS0_5tupleIJNSA_16discard_iteratorINSA_11use_defaultEEES6_EEENSJ_IJSG_SG_EEENS0_18inequality_wrapperINSA_8equal_toItEEEEPmJS6_EEE10hipError_tPvRmT3_T4_T5_T6_T7_T9_mT8_P12ihipStream_tbDpT10_ENKUlT_T0_E_clISt17integral_constantIbLb1EES1D_EEDaS18_S19_EUlS18_E_NS1_11comp_targetILNS1_3genE9ELNS1_11target_archE1100ELNS1_3gpuE3ELNS1_3repE0EEENS1_30default_config_static_selectorELNS0_4arch9wavefront6targetE1EEEvT1_,comdat
.Lfunc_end611:
	.size	_ZN7rocprim17ROCPRIM_400000_NS6detail17trampoline_kernelINS0_14default_configENS1_25partition_config_selectorILNS1_17partition_subalgoE8EtNS0_10empty_typeEbEEZZNS1_14partition_implILS5_8ELb0ES3_jN6thrust23THRUST_200600_302600_NS6detail15normal_iteratorINSA_10device_ptrItEEEEPS6_PKS6_NS0_5tupleIJNSA_16discard_iteratorINSA_11use_defaultEEES6_EEENSJ_IJSG_SG_EEENS0_18inequality_wrapperINSA_8equal_toItEEEEPmJS6_EEE10hipError_tPvRmT3_T4_T5_T6_T7_T9_mT8_P12ihipStream_tbDpT10_ENKUlT_T0_E_clISt17integral_constantIbLb1EES1D_EEDaS18_S19_EUlS18_E_NS1_11comp_targetILNS1_3genE9ELNS1_11target_archE1100ELNS1_3gpuE3ELNS1_3repE0EEENS1_30default_config_static_selectorELNS0_4arch9wavefront6targetE1EEEvT1_, .Lfunc_end611-_ZN7rocprim17ROCPRIM_400000_NS6detail17trampoline_kernelINS0_14default_configENS1_25partition_config_selectorILNS1_17partition_subalgoE8EtNS0_10empty_typeEbEEZZNS1_14partition_implILS5_8ELb0ES3_jN6thrust23THRUST_200600_302600_NS6detail15normal_iteratorINSA_10device_ptrItEEEEPS6_PKS6_NS0_5tupleIJNSA_16discard_iteratorINSA_11use_defaultEEES6_EEENSJ_IJSG_SG_EEENS0_18inequality_wrapperINSA_8equal_toItEEEEPmJS6_EEE10hipError_tPvRmT3_T4_T5_T6_T7_T9_mT8_P12ihipStream_tbDpT10_ENKUlT_T0_E_clISt17integral_constantIbLb1EES1D_EEDaS18_S19_EUlS18_E_NS1_11comp_targetILNS1_3genE9ELNS1_11target_archE1100ELNS1_3gpuE3ELNS1_3repE0EEENS1_30default_config_static_selectorELNS0_4arch9wavefront6targetE1EEEvT1_
                                        ; -- End function
	.set _ZN7rocprim17ROCPRIM_400000_NS6detail17trampoline_kernelINS0_14default_configENS1_25partition_config_selectorILNS1_17partition_subalgoE8EtNS0_10empty_typeEbEEZZNS1_14partition_implILS5_8ELb0ES3_jN6thrust23THRUST_200600_302600_NS6detail15normal_iteratorINSA_10device_ptrItEEEEPS6_PKS6_NS0_5tupleIJNSA_16discard_iteratorINSA_11use_defaultEEES6_EEENSJ_IJSG_SG_EEENS0_18inequality_wrapperINSA_8equal_toItEEEEPmJS6_EEE10hipError_tPvRmT3_T4_T5_T6_T7_T9_mT8_P12ihipStream_tbDpT10_ENKUlT_T0_E_clISt17integral_constantIbLb1EES1D_EEDaS18_S19_EUlS18_E_NS1_11comp_targetILNS1_3genE9ELNS1_11target_archE1100ELNS1_3gpuE3ELNS1_3repE0EEENS1_30default_config_static_selectorELNS0_4arch9wavefront6targetE1EEEvT1_.num_vgpr, 0
	.set _ZN7rocprim17ROCPRIM_400000_NS6detail17trampoline_kernelINS0_14default_configENS1_25partition_config_selectorILNS1_17partition_subalgoE8EtNS0_10empty_typeEbEEZZNS1_14partition_implILS5_8ELb0ES3_jN6thrust23THRUST_200600_302600_NS6detail15normal_iteratorINSA_10device_ptrItEEEEPS6_PKS6_NS0_5tupleIJNSA_16discard_iteratorINSA_11use_defaultEEES6_EEENSJ_IJSG_SG_EEENS0_18inequality_wrapperINSA_8equal_toItEEEEPmJS6_EEE10hipError_tPvRmT3_T4_T5_T6_T7_T9_mT8_P12ihipStream_tbDpT10_ENKUlT_T0_E_clISt17integral_constantIbLb1EES1D_EEDaS18_S19_EUlS18_E_NS1_11comp_targetILNS1_3genE9ELNS1_11target_archE1100ELNS1_3gpuE3ELNS1_3repE0EEENS1_30default_config_static_selectorELNS0_4arch9wavefront6targetE1EEEvT1_.num_agpr, 0
	.set _ZN7rocprim17ROCPRIM_400000_NS6detail17trampoline_kernelINS0_14default_configENS1_25partition_config_selectorILNS1_17partition_subalgoE8EtNS0_10empty_typeEbEEZZNS1_14partition_implILS5_8ELb0ES3_jN6thrust23THRUST_200600_302600_NS6detail15normal_iteratorINSA_10device_ptrItEEEEPS6_PKS6_NS0_5tupleIJNSA_16discard_iteratorINSA_11use_defaultEEES6_EEENSJ_IJSG_SG_EEENS0_18inequality_wrapperINSA_8equal_toItEEEEPmJS6_EEE10hipError_tPvRmT3_T4_T5_T6_T7_T9_mT8_P12ihipStream_tbDpT10_ENKUlT_T0_E_clISt17integral_constantIbLb1EES1D_EEDaS18_S19_EUlS18_E_NS1_11comp_targetILNS1_3genE9ELNS1_11target_archE1100ELNS1_3gpuE3ELNS1_3repE0EEENS1_30default_config_static_selectorELNS0_4arch9wavefront6targetE1EEEvT1_.numbered_sgpr, 0
	.set _ZN7rocprim17ROCPRIM_400000_NS6detail17trampoline_kernelINS0_14default_configENS1_25partition_config_selectorILNS1_17partition_subalgoE8EtNS0_10empty_typeEbEEZZNS1_14partition_implILS5_8ELb0ES3_jN6thrust23THRUST_200600_302600_NS6detail15normal_iteratorINSA_10device_ptrItEEEEPS6_PKS6_NS0_5tupleIJNSA_16discard_iteratorINSA_11use_defaultEEES6_EEENSJ_IJSG_SG_EEENS0_18inequality_wrapperINSA_8equal_toItEEEEPmJS6_EEE10hipError_tPvRmT3_T4_T5_T6_T7_T9_mT8_P12ihipStream_tbDpT10_ENKUlT_T0_E_clISt17integral_constantIbLb1EES1D_EEDaS18_S19_EUlS18_E_NS1_11comp_targetILNS1_3genE9ELNS1_11target_archE1100ELNS1_3gpuE3ELNS1_3repE0EEENS1_30default_config_static_selectorELNS0_4arch9wavefront6targetE1EEEvT1_.num_named_barrier, 0
	.set _ZN7rocprim17ROCPRIM_400000_NS6detail17trampoline_kernelINS0_14default_configENS1_25partition_config_selectorILNS1_17partition_subalgoE8EtNS0_10empty_typeEbEEZZNS1_14partition_implILS5_8ELb0ES3_jN6thrust23THRUST_200600_302600_NS6detail15normal_iteratorINSA_10device_ptrItEEEEPS6_PKS6_NS0_5tupleIJNSA_16discard_iteratorINSA_11use_defaultEEES6_EEENSJ_IJSG_SG_EEENS0_18inequality_wrapperINSA_8equal_toItEEEEPmJS6_EEE10hipError_tPvRmT3_T4_T5_T6_T7_T9_mT8_P12ihipStream_tbDpT10_ENKUlT_T0_E_clISt17integral_constantIbLb1EES1D_EEDaS18_S19_EUlS18_E_NS1_11comp_targetILNS1_3genE9ELNS1_11target_archE1100ELNS1_3gpuE3ELNS1_3repE0EEENS1_30default_config_static_selectorELNS0_4arch9wavefront6targetE1EEEvT1_.private_seg_size, 0
	.set _ZN7rocprim17ROCPRIM_400000_NS6detail17trampoline_kernelINS0_14default_configENS1_25partition_config_selectorILNS1_17partition_subalgoE8EtNS0_10empty_typeEbEEZZNS1_14partition_implILS5_8ELb0ES3_jN6thrust23THRUST_200600_302600_NS6detail15normal_iteratorINSA_10device_ptrItEEEEPS6_PKS6_NS0_5tupleIJNSA_16discard_iteratorINSA_11use_defaultEEES6_EEENSJ_IJSG_SG_EEENS0_18inequality_wrapperINSA_8equal_toItEEEEPmJS6_EEE10hipError_tPvRmT3_T4_T5_T6_T7_T9_mT8_P12ihipStream_tbDpT10_ENKUlT_T0_E_clISt17integral_constantIbLb1EES1D_EEDaS18_S19_EUlS18_E_NS1_11comp_targetILNS1_3genE9ELNS1_11target_archE1100ELNS1_3gpuE3ELNS1_3repE0EEENS1_30default_config_static_selectorELNS0_4arch9wavefront6targetE1EEEvT1_.uses_vcc, 0
	.set _ZN7rocprim17ROCPRIM_400000_NS6detail17trampoline_kernelINS0_14default_configENS1_25partition_config_selectorILNS1_17partition_subalgoE8EtNS0_10empty_typeEbEEZZNS1_14partition_implILS5_8ELb0ES3_jN6thrust23THRUST_200600_302600_NS6detail15normal_iteratorINSA_10device_ptrItEEEEPS6_PKS6_NS0_5tupleIJNSA_16discard_iteratorINSA_11use_defaultEEES6_EEENSJ_IJSG_SG_EEENS0_18inequality_wrapperINSA_8equal_toItEEEEPmJS6_EEE10hipError_tPvRmT3_T4_T5_T6_T7_T9_mT8_P12ihipStream_tbDpT10_ENKUlT_T0_E_clISt17integral_constantIbLb1EES1D_EEDaS18_S19_EUlS18_E_NS1_11comp_targetILNS1_3genE9ELNS1_11target_archE1100ELNS1_3gpuE3ELNS1_3repE0EEENS1_30default_config_static_selectorELNS0_4arch9wavefront6targetE1EEEvT1_.uses_flat_scratch, 0
	.set _ZN7rocprim17ROCPRIM_400000_NS6detail17trampoline_kernelINS0_14default_configENS1_25partition_config_selectorILNS1_17partition_subalgoE8EtNS0_10empty_typeEbEEZZNS1_14partition_implILS5_8ELb0ES3_jN6thrust23THRUST_200600_302600_NS6detail15normal_iteratorINSA_10device_ptrItEEEEPS6_PKS6_NS0_5tupleIJNSA_16discard_iteratorINSA_11use_defaultEEES6_EEENSJ_IJSG_SG_EEENS0_18inequality_wrapperINSA_8equal_toItEEEEPmJS6_EEE10hipError_tPvRmT3_T4_T5_T6_T7_T9_mT8_P12ihipStream_tbDpT10_ENKUlT_T0_E_clISt17integral_constantIbLb1EES1D_EEDaS18_S19_EUlS18_E_NS1_11comp_targetILNS1_3genE9ELNS1_11target_archE1100ELNS1_3gpuE3ELNS1_3repE0EEENS1_30default_config_static_selectorELNS0_4arch9wavefront6targetE1EEEvT1_.has_dyn_sized_stack, 0
	.set _ZN7rocprim17ROCPRIM_400000_NS6detail17trampoline_kernelINS0_14default_configENS1_25partition_config_selectorILNS1_17partition_subalgoE8EtNS0_10empty_typeEbEEZZNS1_14partition_implILS5_8ELb0ES3_jN6thrust23THRUST_200600_302600_NS6detail15normal_iteratorINSA_10device_ptrItEEEEPS6_PKS6_NS0_5tupleIJNSA_16discard_iteratorINSA_11use_defaultEEES6_EEENSJ_IJSG_SG_EEENS0_18inequality_wrapperINSA_8equal_toItEEEEPmJS6_EEE10hipError_tPvRmT3_T4_T5_T6_T7_T9_mT8_P12ihipStream_tbDpT10_ENKUlT_T0_E_clISt17integral_constantIbLb1EES1D_EEDaS18_S19_EUlS18_E_NS1_11comp_targetILNS1_3genE9ELNS1_11target_archE1100ELNS1_3gpuE3ELNS1_3repE0EEENS1_30default_config_static_selectorELNS0_4arch9wavefront6targetE1EEEvT1_.has_recursion, 0
	.set _ZN7rocprim17ROCPRIM_400000_NS6detail17trampoline_kernelINS0_14default_configENS1_25partition_config_selectorILNS1_17partition_subalgoE8EtNS0_10empty_typeEbEEZZNS1_14partition_implILS5_8ELb0ES3_jN6thrust23THRUST_200600_302600_NS6detail15normal_iteratorINSA_10device_ptrItEEEEPS6_PKS6_NS0_5tupleIJNSA_16discard_iteratorINSA_11use_defaultEEES6_EEENSJ_IJSG_SG_EEENS0_18inequality_wrapperINSA_8equal_toItEEEEPmJS6_EEE10hipError_tPvRmT3_T4_T5_T6_T7_T9_mT8_P12ihipStream_tbDpT10_ENKUlT_T0_E_clISt17integral_constantIbLb1EES1D_EEDaS18_S19_EUlS18_E_NS1_11comp_targetILNS1_3genE9ELNS1_11target_archE1100ELNS1_3gpuE3ELNS1_3repE0EEENS1_30default_config_static_selectorELNS0_4arch9wavefront6targetE1EEEvT1_.has_indirect_call, 0
	.section	.AMDGPU.csdata,"",@progbits
; Kernel info:
; codeLenInByte = 0
; TotalNumSgprs: 4
; NumVgprs: 0
; ScratchSize: 0
; MemoryBound: 0
; FloatMode: 240
; IeeeMode: 1
; LDSByteSize: 0 bytes/workgroup (compile time only)
; SGPRBlocks: 0
; VGPRBlocks: 0
; NumSGPRsForWavesPerEU: 4
; NumVGPRsForWavesPerEU: 1
; Occupancy: 10
; WaveLimiterHint : 0
; COMPUTE_PGM_RSRC2:SCRATCH_EN: 0
; COMPUTE_PGM_RSRC2:USER_SGPR: 6
; COMPUTE_PGM_RSRC2:TRAP_HANDLER: 0
; COMPUTE_PGM_RSRC2:TGID_X_EN: 1
; COMPUTE_PGM_RSRC2:TGID_Y_EN: 0
; COMPUTE_PGM_RSRC2:TGID_Z_EN: 0
; COMPUTE_PGM_RSRC2:TIDIG_COMP_CNT: 0
	.section	.text._ZN7rocprim17ROCPRIM_400000_NS6detail17trampoline_kernelINS0_14default_configENS1_25partition_config_selectorILNS1_17partition_subalgoE8EtNS0_10empty_typeEbEEZZNS1_14partition_implILS5_8ELb0ES3_jN6thrust23THRUST_200600_302600_NS6detail15normal_iteratorINSA_10device_ptrItEEEEPS6_PKS6_NS0_5tupleIJNSA_16discard_iteratorINSA_11use_defaultEEES6_EEENSJ_IJSG_SG_EEENS0_18inequality_wrapperINSA_8equal_toItEEEEPmJS6_EEE10hipError_tPvRmT3_T4_T5_T6_T7_T9_mT8_P12ihipStream_tbDpT10_ENKUlT_T0_E_clISt17integral_constantIbLb1EES1D_EEDaS18_S19_EUlS18_E_NS1_11comp_targetILNS1_3genE8ELNS1_11target_archE1030ELNS1_3gpuE2ELNS1_3repE0EEENS1_30default_config_static_selectorELNS0_4arch9wavefront6targetE1EEEvT1_,"axG",@progbits,_ZN7rocprim17ROCPRIM_400000_NS6detail17trampoline_kernelINS0_14default_configENS1_25partition_config_selectorILNS1_17partition_subalgoE8EtNS0_10empty_typeEbEEZZNS1_14partition_implILS5_8ELb0ES3_jN6thrust23THRUST_200600_302600_NS6detail15normal_iteratorINSA_10device_ptrItEEEEPS6_PKS6_NS0_5tupleIJNSA_16discard_iteratorINSA_11use_defaultEEES6_EEENSJ_IJSG_SG_EEENS0_18inequality_wrapperINSA_8equal_toItEEEEPmJS6_EEE10hipError_tPvRmT3_T4_T5_T6_T7_T9_mT8_P12ihipStream_tbDpT10_ENKUlT_T0_E_clISt17integral_constantIbLb1EES1D_EEDaS18_S19_EUlS18_E_NS1_11comp_targetILNS1_3genE8ELNS1_11target_archE1030ELNS1_3gpuE2ELNS1_3repE0EEENS1_30default_config_static_selectorELNS0_4arch9wavefront6targetE1EEEvT1_,comdat
	.protected	_ZN7rocprim17ROCPRIM_400000_NS6detail17trampoline_kernelINS0_14default_configENS1_25partition_config_selectorILNS1_17partition_subalgoE8EtNS0_10empty_typeEbEEZZNS1_14partition_implILS5_8ELb0ES3_jN6thrust23THRUST_200600_302600_NS6detail15normal_iteratorINSA_10device_ptrItEEEEPS6_PKS6_NS0_5tupleIJNSA_16discard_iteratorINSA_11use_defaultEEES6_EEENSJ_IJSG_SG_EEENS0_18inequality_wrapperINSA_8equal_toItEEEEPmJS6_EEE10hipError_tPvRmT3_T4_T5_T6_T7_T9_mT8_P12ihipStream_tbDpT10_ENKUlT_T0_E_clISt17integral_constantIbLb1EES1D_EEDaS18_S19_EUlS18_E_NS1_11comp_targetILNS1_3genE8ELNS1_11target_archE1030ELNS1_3gpuE2ELNS1_3repE0EEENS1_30default_config_static_selectorELNS0_4arch9wavefront6targetE1EEEvT1_ ; -- Begin function _ZN7rocprim17ROCPRIM_400000_NS6detail17trampoline_kernelINS0_14default_configENS1_25partition_config_selectorILNS1_17partition_subalgoE8EtNS0_10empty_typeEbEEZZNS1_14partition_implILS5_8ELb0ES3_jN6thrust23THRUST_200600_302600_NS6detail15normal_iteratorINSA_10device_ptrItEEEEPS6_PKS6_NS0_5tupleIJNSA_16discard_iteratorINSA_11use_defaultEEES6_EEENSJ_IJSG_SG_EEENS0_18inequality_wrapperINSA_8equal_toItEEEEPmJS6_EEE10hipError_tPvRmT3_T4_T5_T6_T7_T9_mT8_P12ihipStream_tbDpT10_ENKUlT_T0_E_clISt17integral_constantIbLb1EES1D_EEDaS18_S19_EUlS18_E_NS1_11comp_targetILNS1_3genE8ELNS1_11target_archE1030ELNS1_3gpuE2ELNS1_3repE0EEENS1_30default_config_static_selectorELNS0_4arch9wavefront6targetE1EEEvT1_
	.globl	_ZN7rocprim17ROCPRIM_400000_NS6detail17trampoline_kernelINS0_14default_configENS1_25partition_config_selectorILNS1_17partition_subalgoE8EtNS0_10empty_typeEbEEZZNS1_14partition_implILS5_8ELb0ES3_jN6thrust23THRUST_200600_302600_NS6detail15normal_iteratorINSA_10device_ptrItEEEEPS6_PKS6_NS0_5tupleIJNSA_16discard_iteratorINSA_11use_defaultEEES6_EEENSJ_IJSG_SG_EEENS0_18inequality_wrapperINSA_8equal_toItEEEEPmJS6_EEE10hipError_tPvRmT3_T4_T5_T6_T7_T9_mT8_P12ihipStream_tbDpT10_ENKUlT_T0_E_clISt17integral_constantIbLb1EES1D_EEDaS18_S19_EUlS18_E_NS1_11comp_targetILNS1_3genE8ELNS1_11target_archE1030ELNS1_3gpuE2ELNS1_3repE0EEENS1_30default_config_static_selectorELNS0_4arch9wavefront6targetE1EEEvT1_
	.p2align	8
	.type	_ZN7rocprim17ROCPRIM_400000_NS6detail17trampoline_kernelINS0_14default_configENS1_25partition_config_selectorILNS1_17partition_subalgoE8EtNS0_10empty_typeEbEEZZNS1_14partition_implILS5_8ELb0ES3_jN6thrust23THRUST_200600_302600_NS6detail15normal_iteratorINSA_10device_ptrItEEEEPS6_PKS6_NS0_5tupleIJNSA_16discard_iteratorINSA_11use_defaultEEES6_EEENSJ_IJSG_SG_EEENS0_18inequality_wrapperINSA_8equal_toItEEEEPmJS6_EEE10hipError_tPvRmT3_T4_T5_T6_T7_T9_mT8_P12ihipStream_tbDpT10_ENKUlT_T0_E_clISt17integral_constantIbLb1EES1D_EEDaS18_S19_EUlS18_E_NS1_11comp_targetILNS1_3genE8ELNS1_11target_archE1030ELNS1_3gpuE2ELNS1_3repE0EEENS1_30default_config_static_selectorELNS0_4arch9wavefront6targetE1EEEvT1_,@function
_ZN7rocprim17ROCPRIM_400000_NS6detail17trampoline_kernelINS0_14default_configENS1_25partition_config_selectorILNS1_17partition_subalgoE8EtNS0_10empty_typeEbEEZZNS1_14partition_implILS5_8ELb0ES3_jN6thrust23THRUST_200600_302600_NS6detail15normal_iteratorINSA_10device_ptrItEEEEPS6_PKS6_NS0_5tupleIJNSA_16discard_iteratorINSA_11use_defaultEEES6_EEENSJ_IJSG_SG_EEENS0_18inequality_wrapperINSA_8equal_toItEEEEPmJS6_EEE10hipError_tPvRmT3_T4_T5_T6_T7_T9_mT8_P12ihipStream_tbDpT10_ENKUlT_T0_E_clISt17integral_constantIbLb1EES1D_EEDaS18_S19_EUlS18_E_NS1_11comp_targetILNS1_3genE8ELNS1_11target_archE1030ELNS1_3gpuE2ELNS1_3repE0EEENS1_30default_config_static_selectorELNS0_4arch9wavefront6targetE1EEEvT1_: ; @_ZN7rocprim17ROCPRIM_400000_NS6detail17trampoline_kernelINS0_14default_configENS1_25partition_config_selectorILNS1_17partition_subalgoE8EtNS0_10empty_typeEbEEZZNS1_14partition_implILS5_8ELb0ES3_jN6thrust23THRUST_200600_302600_NS6detail15normal_iteratorINSA_10device_ptrItEEEEPS6_PKS6_NS0_5tupleIJNSA_16discard_iteratorINSA_11use_defaultEEES6_EEENSJ_IJSG_SG_EEENS0_18inequality_wrapperINSA_8equal_toItEEEEPmJS6_EEE10hipError_tPvRmT3_T4_T5_T6_T7_T9_mT8_P12ihipStream_tbDpT10_ENKUlT_T0_E_clISt17integral_constantIbLb1EES1D_EEDaS18_S19_EUlS18_E_NS1_11comp_targetILNS1_3genE8ELNS1_11target_archE1030ELNS1_3gpuE2ELNS1_3repE0EEENS1_30default_config_static_selectorELNS0_4arch9wavefront6targetE1EEEvT1_
; %bb.0:
	.section	.rodata,"a",@progbits
	.p2align	6, 0x0
	.amdhsa_kernel _ZN7rocprim17ROCPRIM_400000_NS6detail17trampoline_kernelINS0_14default_configENS1_25partition_config_selectorILNS1_17partition_subalgoE8EtNS0_10empty_typeEbEEZZNS1_14partition_implILS5_8ELb0ES3_jN6thrust23THRUST_200600_302600_NS6detail15normal_iteratorINSA_10device_ptrItEEEEPS6_PKS6_NS0_5tupleIJNSA_16discard_iteratorINSA_11use_defaultEEES6_EEENSJ_IJSG_SG_EEENS0_18inequality_wrapperINSA_8equal_toItEEEEPmJS6_EEE10hipError_tPvRmT3_T4_T5_T6_T7_T9_mT8_P12ihipStream_tbDpT10_ENKUlT_T0_E_clISt17integral_constantIbLb1EES1D_EEDaS18_S19_EUlS18_E_NS1_11comp_targetILNS1_3genE8ELNS1_11target_archE1030ELNS1_3gpuE2ELNS1_3repE0EEENS1_30default_config_static_selectorELNS0_4arch9wavefront6targetE1EEEvT1_
		.amdhsa_group_segment_fixed_size 0
		.amdhsa_private_segment_fixed_size 0
		.amdhsa_kernarg_size 136
		.amdhsa_user_sgpr_count 6
		.amdhsa_user_sgpr_private_segment_buffer 1
		.amdhsa_user_sgpr_dispatch_ptr 0
		.amdhsa_user_sgpr_queue_ptr 0
		.amdhsa_user_sgpr_kernarg_segment_ptr 1
		.amdhsa_user_sgpr_dispatch_id 0
		.amdhsa_user_sgpr_flat_scratch_init 0
		.amdhsa_user_sgpr_private_segment_size 0
		.amdhsa_uses_dynamic_stack 0
		.amdhsa_system_sgpr_private_segment_wavefront_offset 0
		.amdhsa_system_sgpr_workgroup_id_x 1
		.amdhsa_system_sgpr_workgroup_id_y 0
		.amdhsa_system_sgpr_workgroup_id_z 0
		.amdhsa_system_sgpr_workgroup_info 0
		.amdhsa_system_vgpr_workitem_id 0
		.amdhsa_next_free_vgpr 1
		.amdhsa_next_free_sgpr 0
		.amdhsa_reserve_vcc 0
		.amdhsa_reserve_flat_scratch 0
		.amdhsa_float_round_mode_32 0
		.amdhsa_float_round_mode_16_64 0
		.amdhsa_float_denorm_mode_32 3
		.amdhsa_float_denorm_mode_16_64 3
		.amdhsa_dx10_clamp 1
		.amdhsa_ieee_mode 1
		.amdhsa_fp16_overflow 0
		.amdhsa_exception_fp_ieee_invalid_op 0
		.amdhsa_exception_fp_denorm_src 0
		.amdhsa_exception_fp_ieee_div_zero 0
		.amdhsa_exception_fp_ieee_overflow 0
		.amdhsa_exception_fp_ieee_underflow 0
		.amdhsa_exception_fp_ieee_inexact 0
		.amdhsa_exception_int_div_zero 0
	.end_amdhsa_kernel
	.section	.text._ZN7rocprim17ROCPRIM_400000_NS6detail17trampoline_kernelINS0_14default_configENS1_25partition_config_selectorILNS1_17partition_subalgoE8EtNS0_10empty_typeEbEEZZNS1_14partition_implILS5_8ELb0ES3_jN6thrust23THRUST_200600_302600_NS6detail15normal_iteratorINSA_10device_ptrItEEEEPS6_PKS6_NS0_5tupleIJNSA_16discard_iteratorINSA_11use_defaultEEES6_EEENSJ_IJSG_SG_EEENS0_18inequality_wrapperINSA_8equal_toItEEEEPmJS6_EEE10hipError_tPvRmT3_T4_T5_T6_T7_T9_mT8_P12ihipStream_tbDpT10_ENKUlT_T0_E_clISt17integral_constantIbLb1EES1D_EEDaS18_S19_EUlS18_E_NS1_11comp_targetILNS1_3genE8ELNS1_11target_archE1030ELNS1_3gpuE2ELNS1_3repE0EEENS1_30default_config_static_selectorELNS0_4arch9wavefront6targetE1EEEvT1_,"axG",@progbits,_ZN7rocprim17ROCPRIM_400000_NS6detail17trampoline_kernelINS0_14default_configENS1_25partition_config_selectorILNS1_17partition_subalgoE8EtNS0_10empty_typeEbEEZZNS1_14partition_implILS5_8ELb0ES3_jN6thrust23THRUST_200600_302600_NS6detail15normal_iteratorINSA_10device_ptrItEEEEPS6_PKS6_NS0_5tupleIJNSA_16discard_iteratorINSA_11use_defaultEEES6_EEENSJ_IJSG_SG_EEENS0_18inequality_wrapperINSA_8equal_toItEEEEPmJS6_EEE10hipError_tPvRmT3_T4_T5_T6_T7_T9_mT8_P12ihipStream_tbDpT10_ENKUlT_T0_E_clISt17integral_constantIbLb1EES1D_EEDaS18_S19_EUlS18_E_NS1_11comp_targetILNS1_3genE8ELNS1_11target_archE1030ELNS1_3gpuE2ELNS1_3repE0EEENS1_30default_config_static_selectorELNS0_4arch9wavefront6targetE1EEEvT1_,comdat
.Lfunc_end612:
	.size	_ZN7rocprim17ROCPRIM_400000_NS6detail17trampoline_kernelINS0_14default_configENS1_25partition_config_selectorILNS1_17partition_subalgoE8EtNS0_10empty_typeEbEEZZNS1_14partition_implILS5_8ELb0ES3_jN6thrust23THRUST_200600_302600_NS6detail15normal_iteratorINSA_10device_ptrItEEEEPS6_PKS6_NS0_5tupleIJNSA_16discard_iteratorINSA_11use_defaultEEES6_EEENSJ_IJSG_SG_EEENS0_18inequality_wrapperINSA_8equal_toItEEEEPmJS6_EEE10hipError_tPvRmT3_T4_T5_T6_T7_T9_mT8_P12ihipStream_tbDpT10_ENKUlT_T0_E_clISt17integral_constantIbLb1EES1D_EEDaS18_S19_EUlS18_E_NS1_11comp_targetILNS1_3genE8ELNS1_11target_archE1030ELNS1_3gpuE2ELNS1_3repE0EEENS1_30default_config_static_selectorELNS0_4arch9wavefront6targetE1EEEvT1_, .Lfunc_end612-_ZN7rocprim17ROCPRIM_400000_NS6detail17trampoline_kernelINS0_14default_configENS1_25partition_config_selectorILNS1_17partition_subalgoE8EtNS0_10empty_typeEbEEZZNS1_14partition_implILS5_8ELb0ES3_jN6thrust23THRUST_200600_302600_NS6detail15normal_iteratorINSA_10device_ptrItEEEEPS6_PKS6_NS0_5tupleIJNSA_16discard_iteratorINSA_11use_defaultEEES6_EEENSJ_IJSG_SG_EEENS0_18inequality_wrapperINSA_8equal_toItEEEEPmJS6_EEE10hipError_tPvRmT3_T4_T5_T6_T7_T9_mT8_P12ihipStream_tbDpT10_ENKUlT_T0_E_clISt17integral_constantIbLb1EES1D_EEDaS18_S19_EUlS18_E_NS1_11comp_targetILNS1_3genE8ELNS1_11target_archE1030ELNS1_3gpuE2ELNS1_3repE0EEENS1_30default_config_static_selectorELNS0_4arch9wavefront6targetE1EEEvT1_
                                        ; -- End function
	.set _ZN7rocprim17ROCPRIM_400000_NS6detail17trampoline_kernelINS0_14default_configENS1_25partition_config_selectorILNS1_17partition_subalgoE8EtNS0_10empty_typeEbEEZZNS1_14partition_implILS5_8ELb0ES3_jN6thrust23THRUST_200600_302600_NS6detail15normal_iteratorINSA_10device_ptrItEEEEPS6_PKS6_NS0_5tupleIJNSA_16discard_iteratorINSA_11use_defaultEEES6_EEENSJ_IJSG_SG_EEENS0_18inequality_wrapperINSA_8equal_toItEEEEPmJS6_EEE10hipError_tPvRmT3_T4_T5_T6_T7_T9_mT8_P12ihipStream_tbDpT10_ENKUlT_T0_E_clISt17integral_constantIbLb1EES1D_EEDaS18_S19_EUlS18_E_NS1_11comp_targetILNS1_3genE8ELNS1_11target_archE1030ELNS1_3gpuE2ELNS1_3repE0EEENS1_30default_config_static_selectorELNS0_4arch9wavefront6targetE1EEEvT1_.num_vgpr, 0
	.set _ZN7rocprim17ROCPRIM_400000_NS6detail17trampoline_kernelINS0_14default_configENS1_25partition_config_selectorILNS1_17partition_subalgoE8EtNS0_10empty_typeEbEEZZNS1_14partition_implILS5_8ELb0ES3_jN6thrust23THRUST_200600_302600_NS6detail15normal_iteratorINSA_10device_ptrItEEEEPS6_PKS6_NS0_5tupleIJNSA_16discard_iteratorINSA_11use_defaultEEES6_EEENSJ_IJSG_SG_EEENS0_18inequality_wrapperINSA_8equal_toItEEEEPmJS6_EEE10hipError_tPvRmT3_T4_T5_T6_T7_T9_mT8_P12ihipStream_tbDpT10_ENKUlT_T0_E_clISt17integral_constantIbLb1EES1D_EEDaS18_S19_EUlS18_E_NS1_11comp_targetILNS1_3genE8ELNS1_11target_archE1030ELNS1_3gpuE2ELNS1_3repE0EEENS1_30default_config_static_selectorELNS0_4arch9wavefront6targetE1EEEvT1_.num_agpr, 0
	.set _ZN7rocprim17ROCPRIM_400000_NS6detail17trampoline_kernelINS0_14default_configENS1_25partition_config_selectorILNS1_17partition_subalgoE8EtNS0_10empty_typeEbEEZZNS1_14partition_implILS5_8ELb0ES3_jN6thrust23THRUST_200600_302600_NS6detail15normal_iteratorINSA_10device_ptrItEEEEPS6_PKS6_NS0_5tupleIJNSA_16discard_iteratorINSA_11use_defaultEEES6_EEENSJ_IJSG_SG_EEENS0_18inequality_wrapperINSA_8equal_toItEEEEPmJS6_EEE10hipError_tPvRmT3_T4_T5_T6_T7_T9_mT8_P12ihipStream_tbDpT10_ENKUlT_T0_E_clISt17integral_constantIbLb1EES1D_EEDaS18_S19_EUlS18_E_NS1_11comp_targetILNS1_3genE8ELNS1_11target_archE1030ELNS1_3gpuE2ELNS1_3repE0EEENS1_30default_config_static_selectorELNS0_4arch9wavefront6targetE1EEEvT1_.numbered_sgpr, 0
	.set _ZN7rocprim17ROCPRIM_400000_NS6detail17trampoline_kernelINS0_14default_configENS1_25partition_config_selectorILNS1_17partition_subalgoE8EtNS0_10empty_typeEbEEZZNS1_14partition_implILS5_8ELb0ES3_jN6thrust23THRUST_200600_302600_NS6detail15normal_iteratorINSA_10device_ptrItEEEEPS6_PKS6_NS0_5tupleIJNSA_16discard_iteratorINSA_11use_defaultEEES6_EEENSJ_IJSG_SG_EEENS0_18inequality_wrapperINSA_8equal_toItEEEEPmJS6_EEE10hipError_tPvRmT3_T4_T5_T6_T7_T9_mT8_P12ihipStream_tbDpT10_ENKUlT_T0_E_clISt17integral_constantIbLb1EES1D_EEDaS18_S19_EUlS18_E_NS1_11comp_targetILNS1_3genE8ELNS1_11target_archE1030ELNS1_3gpuE2ELNS1_3repE0EEENS1_30default_config_static_selectorELNS0_4arch9wavefront6targetE1EEEvT1_.num_named_barrier, 0
	.set _ZN7rocprim17ROCPRIM_400000_NS6detail17trampoline_kernelINS0_14default_configENS1_25partition_config_selectorILNS1_17partition_subalgoE8EtNS0_10empty_typeEbEEZZNS1_14partition_implILS5_8ELb0ES3_jN6thrust23THRUST_200600_302600_NS6detail15normal_iteratorINSA_10device_ptrItEEEEPS6_PKS6_NS0_5tupleIJNSA_16discard_iteratorINSA_11use_defaultEEES6_EEENSJ_IJSG_SG_EEENS0_18inequality_wrapperINSA_8equal_toItEEEEPmJS6_EEE10hipError_tPvRmT3_T4_T5_T6_T7_T9_mT8_P12ihipStream_tbDpT10_ENKUlT_T0_E_clISt17integral_constantIbLb1EES1D_EEDaS18_S19_EUlS18_E_NS1_11comp_targetILNS1_3genE8ELNS1_11target_archE1030ELNS1_3gpuE2ELNS1_3repE0EEENS1_30default_config_static_selectorELNS0_4arch9wavefront6targetE1EEEvT1_.private_seg_size, 0
	.set _ZN7rocprim17ROCPRIM_400000_NS6detail17trampoline_kernelINS0_14default_configENS1_25partition_config_selectorILNS1_17partition_subalgoE8EtNS0_10empty_typeEbEEZZNS1_14partition_implILS5_8ELb0ES3_jN6thrust23THRUST_200600_302600_NS6detail15normal_iteratorINSA_10device_ptrItEEEEPS6_PKS6_NS0_5tupleIJNSA_16discard_iteratorINSA_11use_defaultEEES6_EEENSJ_IJSG_SG_EEENS0_18inequality_wrapperINSA_8equal_toItEEEEPmJS6_EEE10hipError_tPvRmT3_T4_T5_T6_T7_T9_mT8_P12ihipStream_tbDpT10_ENKUlT_T0_E_clISt17integral_constantIbLb1EES1D_EEDaS18_S19_EUlS18_E_NS1_11comp_targetILNS1_3genE8ELNS1_11target_archE1030ELNS1_3gpuE2ELNS1_3repE0EEENS1_30default_config_static_selectorELNS0_4arch9wavefront6targetE1EEEvT1_.uses_vcc, 0
	.set _ZN7rocprim17ROCPRIM_400000_NS6detail17trampoline_kernelINS0_14default_configENS1_25partition_config_selectorILNS1_17partition_subalgoE8EtNS0_10empty_typeEbEEZZNS1_14partition_implILS5_8ELb0ES3_jN6thrust23THRUST_200600_302600_NS6detail15normal_iteratorINSA_10device_ptrItEEEEPS6_PKS6_NS0_5tupleIJNSA_16discard_iteratorINSA_11use_defaultEEES6_EEENSJ_IJSG_SG_EEENS0_18inequality_wrapperINSA_8equal_toItEEEEPmJS6_EEE10hipError_tPvRmT3_T4_T5_T6_T7_T9_mT8_P12ihipStream_tbDpT10_ENKUlT_T0_E_clISt17integral_constantIbLb1EES1D_EEDaS18_S19_EUlS18_E_NS1_11comp_targetILNS1_3genE8ELNS1_11target_archE1030ELNS1_3gpuE2ELNS1_3repE0EEENS1_30default_config_static_selectorELNS0_4arch9wavefront6targetE1EEEvT1_.uses_flat_scratch, 0
	.set _ZN7rocprim17ROCPRIM_400000_NS6detail17trampoline_kernelINS0_14default_configENS1_25partition_config_selectorILNS1_17partition_subalgoE8EtNS0_10empty_typeEbEEZZNS1_14partition_implILS5_8ELb0ES3_jN6thrust23THRUST_200600_302600_NS6detail15normal_iteratorINSA_10device_ptrItEEEEPS6_PKS6_NS0_5tupleIJNSA_16discard_iteratorINSA_11use_defaultEEES6_EEENSJ_IJSG_SG_EEENS0_18inequality_wrapperINSA_8equal_toItEEEEPmJS6_EEE10hipError_tPvRmT3_T4_T5_T6_T7_T9_mT8_P12ihipStream_tbDpT10_ENKUlT_T0_E_clISt17integral_constantIbLb1EES1D_EEDaS18_S19_EUlS18_E_NS1_11comp_targetILNS1_3genE8ELNS1_11target_archE1030ELNS1_3gpuE2ELNS1_3repE0EEENS1_30default_config_static_selectorELNS0_4arch9wavefront6targetE1EEEvT1_.has_dyn_sized_stack, 0
	.set _ZN7rocprim17ROCPRIM_400000_NS6detail17trampoline_kernelINS0_14default_configENS1_25partition_config_selectorILNS1_17partition_subalgoE8EtNS0_10empty_typeEbEEZZNS1_14partition_implILS5_8ELb0ES3_jN6thrust23THRUST_200600_302600_NS6detail15normal_iteratorINSA_10device_ptrItEEEEPS6_PKS6_NS0_5tupleIJNSA_16discard_iteratorINSA_11use_defaultEEES6_EEENSJ_IJSG_SG_EEENS0_18inequality_wrapperINSA_8equal_toItEEEEPmJS6_EEE10hipError_tPvRmT3_T4_T5_T6_T7_T9_mT8_P12ihipStream_tbDpT10_ENKUlT_T0_E_clISt17integral_constantIbLb1EES1D_EEDaS18_S19_EUlS18_E_NS1_11comp_targetILNS1_3genE8ELNS1_11target_archE1030ELNS1_3gpuE2ELNS1_3repE0EEENS1_30default_config_static_selectorELNS0_4arch9wavefront6targetE1EEEvT1_.has_recursion, 0
	.set _ZN7rocprim17ROCPRIM_400000_NS6detail17trampoline_kernelINS0_14default_configENS1_25partition_config_selectorILNS1_17partition_subalgoE8EtNS0_10empty_typeEbEEZZNS1_14partition_implILS5_8ELb0ES3_jN6thrust23THRUST_200600_302600_NS6detail15normal_iteratorINSA_10device_ptrItEEEEPS6_PKS6_NS0_5tupleIJNSA_16discard_iteratorINSA_11use_defaultEEES6_EEENSJ_IJSG_SG_EEENS0_18inequality_wrapperINSA_8equal_toItEEEEPmJS6_EEE10hipError_tPvRmT3_T4_T5_T6_T7_T9_mT8_P12ihipStream_tbDpT10_ENKUlT_T0_E_clISt17integral_constantIbLb1EES1D_EEDaS18_S19_EUlS18_E_NS1_11comp_targetILNS1_3genE8ELNS1_11target_archE1030ELNS1_3gpuE2ELNS1_3repE0EEENS1_30default_config_static_selectorELNS0_4arch9wavefront6targetE1EEEvT1_.has_indirect_call, 0
	.section	.AMDGPU.csdata,"",@progbits
; Kernel info:
; codeLenInByte = 0
; TotalNumSgprs: 4
; NumVgprs: 0
; ScratchSize: 0
; MemoryBound: 0
; FloatMode: 240
; IeeeMode: 1
; LDSByteSize: 0 bytes/workgroup (compile time only)
; SGPRBlocks: 0
; VGPRBlocks: 0
; NumSGPRsForWavesPerEU: 4
; NumVGPRsForWavesPerEU: 1
; Occupancy: 10
; WaveLimiterHint : 0
; COMPUTE_PGM_RSRC2:SCRATCH_EN: 0
; COMPUTE_PGM_RSRC2:USER_SGPR: 6
; COMPUTE_PGM_RSRC2:TRAP_HANDLER: 0
; COMPUTE_PGM_RSRC2:TGID_X_EN: 1
; COMPUTE_PGM_RSRC2:TGID_Y_EN: 0
; COMPUTE_PGM_RSRC2:TGID_Z_EN: 0
; COMPUTE_PGM_RSRC2:TIDIG_COMP_CNT: 0
	.section	.text._ZN7rocprim17ROCPRIM_400000_NS6detail17trampoline_kernelINS0_14default_configENS1_25partition_config_selectorILNS1_17partition_subalgoE8EtNS0_10empty_typeEbEEZZNS1_14partition_implILS5_8ELb0ES3_jN6thrust23THRUST_200600_302600_NS6detail15normal_iteratorINSA_10device_ptrItEEEEPS6_PKS6_NS0_5tupleIJNSA_16discard_iteratorINSA_11use_defaultEEES6_EEENSJ_IJSG_SG_EEENS0_18inequality_wrapperINSA_8equal_toItEEEEPmJS6_EEE10hipError_tPvRmT3_T4_T5_T6_T7_T9_mT8_P12ihipStream_tbDpT10_ENKUlT_T0_E_clISt17integral_constantIbLb1EES1C_IbLb0EEEEDaS18_S19_EUlS18_E_NS1_11comp_targetILNS1_3genE0ELNS1_11target_archE4294967295ELNS1_3gpuE0ELNS1_3repE0EEENS1_30default_config_static_selectorELNS0_4arch9wavefront6targetE1EEEvT1_,"axG",@progbits,_ZN7rocprim17ROCPRIM_400000_NS6detail17trampoline_kernelINS0_14default_configENS1_25partition_config_selectorILNS1_17partition_subalgoE8EtNS0_10empty_typeEbEEZZNS1_14partition_implILS5_8ELb0ES3_jN6thrust23THRUST_200600_302600_NS6detail15normal_iteratorINSA_10device_ptrItEEEEPS6_PKS6_NS0_5tupleIJNSA_16discard_iteratorINSA_11use_defaultEEES6_EEENSJ_IJSG_SG_EEENS0_18inequality_wrapperINSA_8equal_toItEEEEPmJS6_EEE10hipError_tPvRmT3_T4_T5_T6_T7_T9_mT8_P12ihipStream_tbDpT10_ENKUlT_T0_E_clISt17integral_constantIbLb1EES1C_IbLb0EEEEDaS18_S19_EUlS18_E_NS1_11comp_targetILNS1_3genE0ELNS1_11target_archE4294967295ELNS1_3gpuE0ELNS1_3repE0EEENS1_30default_config_static_selectorELNS0_4arch9wavefront6targetE1EEEvT1_,comdat
	.protected	_ZN7rocprim17ROCPRIM_400000_NS6detail17trampoline_kernelINS0_14default_configENS1_25partition_config_selectorILNS1_17partition_subalgoE8EtNS0_10empty_typeEbEEZZNS1_14partition_implILS5_8ELb0ES3_jN6thrust23THRUST_200600_302600_NS6detail15normal_iteratorINSA_10device_ptrItEEEEPS6_PKS6_NS0_5tupleIJNSA_16discard_iteratorINSA_11use_defaultEEES6_EEENSJ_IJSG_SG_EEENS0_18inequality_wrapperINSA_8equal_toItEEEEPmJS6_EEE10hipError_tPvRmT3_T4_T5_T6_T7_T9_mT8_P12ihipStream_tbDpT10_ENKUlT_T0_E_clISt17integral_constantIbLb1EES1C_IbLb0EEEEDaS18_S19_EUlS18_E_NS1_11comp_targetILNS1_3genE0ELNS1_11target_archE4294967295ELNS1_3gpuE0ELNS1_3repE0EEENS1_30default_config_static_selectorELNS0_4arch9wavefront6targetE1EEEvT1_ ; -- Begin function _ZN7rocprim17ROCPRIM_400000_NS6detail17trampoline_kernelINS0_14default_configENS1_25partition_config_selectorILNS1_17partition_subalgoE8EtNS0_10empty_typeEbEEZZNS1_14partition_implILS5_8ELb0ES3_jN6thrust23THRUST_200600_302600_NS6detail15normal_iteratorINSA_10device_ptrItEEEEPS6_PKS6_NS0_5tupleIJNSA_16discard_iteratorINSA_11use_defaultEEES6_EEENSJ_IJSG_SG_EEENS0_18inequality_wrapperINSA_8equal_toItEEEEPmJS6_EEE10hipError_tPvRmT3_T4_T5_T6_T7_T9_mT8_P12ihipStream_tbDpT10_ENKUlT_T0_E_clISt17integral_constantIbLb1EES1C_IbLb0EEEEDaS18_S19_EUlS18_E_NS1_11comp_targetILNS1_3genE0ELNS1_11target_archE4294967295ELNS1_3gpuE0ELNS1_3repE0EEENS1_30default_config_static_selectorELNS0_4arch9wavefront6targetE1EEEvT1_
	.globl	_ZN7rocprim17ROCPRIM_400000_NS6detail17trampoline_kernelINS0_14default_configENS1_25partition_config_selectorILNS1_17partition_subalgoE8EtNS0_10empty_typeEbEEZZNS1_14partition_implILS5_8ELb0ES3_jN6thrust23THRUST_200600_302600_NS6detail15normal_iteratorINSA_10device_ptrItEEEEPS6_PKS6_NS0_5tupleIJNSA_16discard_iteratorINSA_11use_defaultEEES6_EEENSJ_IJSG_SG_EEENS0_18inequality_wrapperINSA_8equal_toItEEEEPmJS6_EEE10hipError_tPvRmT3_T4_T5_T6_T7_T9_mT8_P12ihipStream_tbDpT10_ENKUlT_T0_E_clISt17integral_constantIbLb1EES1C_IbLb0EEEEDaS18_S19_EUlS18_E_NS1_11comp_targetILNS1_3genE0ELNS1_11target_archE4294967295ELNS1_3gpuE0ELNS1_3repE0EEENS1_30default_config_static_selectorELNS0_4arch9wavefront6targetE1EEEvT1_
	.p2align	8
	.type	_ZN7rocprim17ROCPRIM_400000_NS6detail17trampoline_kernelINS0_14default_configENS1_25partition_config_selectorILNS1_17partition_subalgoE8EtNS0_10empty_typeEbEEZZNS1_14partition_implILS5_8ELb0ES3_jN6thrust23THRUST_200600_302600_NS6detail15normal_iteratorINSA_10device_ptrItEEEEPS6_PKS6_NS0_5tupleIJNSA_16discard_iteratorINSA_11use_defaultEEES6_EEENSJ_IJSG_SG_EEENS0_18inequality_wrapperINSA_8equal_toItEEEEPmJS6_EEE10hipError_tPvRmT3_T4_T5_T6_T7_T9_mT8_P12ihipStream_tbDpT10_ENKUlT_T0_E_clISt17integral_constantIbLb1EES1C_IbLb0EEEEDaS18_S19_EUlS18_E_NS1_11comp_targetILNS1_3genE0ELNS1_11target_archE4294967295ELNS1_3gpuE0ELNS1_3repE0EEENS1_30default_config_static_selectorELNS0_4arch9wavefront6targetE1EEEvT1_,@function
_ZN7rocprim17ROCPRIM_400000_NS6detail17trampoline_kernelINS0_14default_configENS1_25partition_config_selectorILNS1_17partition_subalgoE8EtNS0_10empty_typeEbEEZZNS1_14partition_implILS5_8ELb0ES3_jN6thrust23THRUST_200600_302600_NS6detail15normal_iteratorINSA_10device_ptrItEEEEPS6_PKS6_NS0_5tupleIJNSA_16discard_iteratorINSA_11use_defaultEEES6_EEENSJ_IJSG_SG_EEENS0_18inequality_wrapperINSA_8equal_toItEEEEPmJS6_EEE10hipError_tPvRmT3_T4_T5_T6_T7_T9_mT8_P12ihipStream_tbDpT10_ENKUlT_T0_E_clISt17integral_constantIbLb1EES1C_IbLb0EEEEDaS18_S19_EUlS18_E_NS1_11comp_targetILNS1_3genE0ELNS1_11target_archE4294967295ELNS1_3gpuE0ELNS1_3repE0EEENS1_30default_config_static_selectorELNS0_4arch9wavefront6targetE1EEEvT1_: ; @_ZN7rocprim17ROCPRIM_400000_NS6detail17trampoline_kernelINS0_14default_configENS1_25partition_config_selectorILNS1_17partition_subalgoE8EtNS0_10empty_typeEbEEZZNS1_14partition_implILS5_8ELb0ES3_jN6thrust23THRUST_200600_302600_NS6detail15normal_iteratorINSA_10device_ptrItEEEEPS6_PKS6_NS0_5tupleIJNSA_16discard_iteratorINSA_11use_defaultEEES6_EEENSJ_IJSG_SG_EEENS0_18inequality_wrapperINSA_8equal_toItEEEEPmJS6_EEE10hipError_tPvRmT3_T4_T5_T6_T7_T9_mT8_P12ihipStream_tbDpT10_ENKUlT_T0_E_clISt17integral_constantIbLb1EES1C_IbLb0EEEEDaS18_S19_EUlS18_E_NS1_11comp_targetILNS1_3genE0ELNS1_11target_archE4294967295ELNS1_3gpuE0ELNS1_3repE0EEENS1_30default_config_static_selectorELNS0_4arch9wavefront6targetE1EEEvT1_
; %bb.0:
	.section	.rodata,"a",@progbits
	.p2align	6, 0x0
	.amdhsa_kernel _ZN7rocprim17ROCPRIM_400000_NS6detail17trampoline_kernelINS0_14default_configENS1_25partition_config_selectorILNS1_17partition_subalgoE8EtNS0_10empty_typeEbEEZZNS1_14partition_implILS5_8ELb0ES3_jN6thrust23THRUST_200600_302600_NS6detail15normal_iteratorINSA_10device_ptrItEEEEPS6_PKS6_NS0_5tupleIJNSA_16discard_iteratorINSA_11use_defaultEEES6_EEENSJ_IJSG_SG_EEENS0_18inequality_wrapperINSA_8equal_toItEEEEPmJS6_EEE10hipError_tPvRmT3_T4_T5_T6_T7_T9_mT8_P12ihipStream_tbDpT10_ENKUlT_T0_E_clISt17integral_constantIbLb1EES1C_IbLb0EEEEDaS18_S19_EUlS18_E_NS1_11comp_targetILNS1_3genE0ELNS1_11target_archE4294967295ELNS1_3gpuE0ELNS1_3repE0EEENS1_30default_config_static_selectorELNS0_4arch9wavefront6targetE1EEEvT1_
		.amdhsa_group_segment_fixed_size 0
		.amdhsa_private_segment_fixed_size 0
		.amdhsa_kernarg_size 120
		.amdhsa_user_sgpr_count 6
		.amdhsa_user_sgpr_private_segment_buffer 1
		.amdhsa_user_sgpr_dispatch_ptr 0
		.amdhsa_user_sgpr_queue_ptr 0
		.amdhsa_user_sgpr_kernarg_segment_ptr 1
		.amdhsa_user_sgpr_dispatch_id 0
		.amdhsa_user_sgpr_flat_scratch_init 0
		.amdhsa_user_sgpr_private_segment_size 0
		.amdhsa_uses_dynamic_stack 0
		.amdhsa_system_sgpr_private_segment_wavefront_offset 0
		.amdhsa_system_sgpr_workgroup_id_x 1
		.amdhsa_system_sgpr_workgroup_id_y 0
		.amdhsa_system_sgpr_workgroup_id_z 0
		.amdhsa_system_sgpr_workgroup_info 0
		.amdhsa_system_vgpr_workitem_id 0
		.amdhsa_next_free_vgpr 1
		.amdhsa_next_free_sgpr 0
		.amdhsa_reserve_vcc 0
		.amdhsa_reserve_flat_scratch 0
		.amdhsa_float_round_mode_32 0
		.amdhsa_float_round_mode_16_64 0
		.amdhsa_float_denorm_mode_32 3
		.amdhsa_float_denorm_mode_16_64 3
		.amdhsa_dx10_clamp 1
		.amdhsa_ieee_mode 1
		.amdhsa_fp16_overflow 0
		.amdhsa_exception_fp_ieee_invalid_op 0
		.amdhsa_exception_fp_denorm_src 0
		.amdhsa_exception_fp_ieee_div_zero 0
		.amdhsa_exception_fp_ieee_overflow 0
		.amdhsa_exception_fp_ieee_underflow 0
		.amdhsa_exception_fp_ieee_inexact 0
		.amdhsa_exception_int_div_zero 0
	.end_amdhsa_kernel
	.section	.text._ZN7rocprim17ROCPRIM_400000_NS6detail17trampoline_kernelINS0_14default_configENS1_25partition_config_selectorILNS1_17partition_subalgoE8EtNS0_10empty_typeEbEEZZNS1_14partition_implILS5_8ELb0ES3_jN6thrust23THRUST_200600_302600_NS6detail15normal_iteratorINSA_10device_ptrItEEEEPS6_PKS6_NS0_5tupleIJNSA_16discard_iteratorINSA_11use_defaultEEES6_EEENSJ_IJSG_SG_EEENS0_18inequality_wrapperINSA_8equal_toItEEEEPmJS6_EEE10hipError_tPvRmT3_T4_T5_T6_T7_T9_mT8_P12ihipStream_tbDpT10_ENKUlT_T0_E_clISt17integral_constantIbLb1EES1C_IbLb0EEEEDaS18_S19_EUlS18_E_NS1_11comp_targetILNS1_3genE0ELNS1_11target_archE4294967295ELNS1_3gpuE0ELNS1_3repE0EEENS1_30default_config_static_selectorELNS0_4arch9wavefront6targetE1EEEvT1_,"axG",@progbits,_ZN7rocprim17ROCPRIM_400000_NS6detail17trampoline_kernelINS0_14default_configENS1_25partition_config_selectorILNS1_17partition_subalgoE8EtNS0_10empty_typeEbEEZZNS1_14partition_implILS5_8ELb0ES3_jN6thrust23THRUST_200600_302600_NS6detail15normal_iteratorINSA_10device_ptrItEEEEPS6_PKS6_NS0_5tupleIJNSA_16discard_iteratorINSA_11use_defaultEEES6_EEENSJ_IJSG_SG_EEENS0_18inequality_wrapperINSA_8equal_toItEEEEPmJS6_EEE10hipError_tPvRmT3_T4_T5_T6_T7_T9_mT8_P12ihipStream_tbDpT10_ENKUlT_T0_E_clISt17integral_constantIbLb1EES1C_IbLb0EEEEDaS18_S19_EUlS18_E_NS1_11comp_targetILNS1_3genE0ELNS1_11target_archE4294967295ELNS1_3gpuE0ELNS1_3repE0EEENS1_30default_config_static_selectorELNS0_4arch9wavefront6targetE1EEEvT1_,comdat
.Lfunc_end613:
	.size	_ZN7rocprim17ROCPRIM_400000_NS6detail17trampoline_kernelINS0_14default_configENS1_25partition_config_selectorILNS1_17partition_subalgoE8EtNS0_10empty_typeEbEEZZNS1_14partition_implILS5_8ELb0ES3_jN6thrust23THRUST_200600_302600_NS6detail15normal_iteratorINSA_10device_ptrItEEEEPS6_PKS6_NS0_5tupleIJNSA_16discard_iteratorINSA_11use_defaultEEES6_EEENSJ_IJSG_SG_EEENS0_18inequality_wrapperINSA_8equal_toItEEEEPmJS6_EEE10hipError_tPvRmT3_T4_T5_T6_T7_T9_mT8_P12ihipStream_tbDpT10_ENKUlT_T0_E_clISt17integral_constantIbLb1EES1C_IbLb0EEEEDaS18_S19_EUlS18_E_NS1_11comp_targetILNS1_3genE0ELNS1_11target_archE4294967295ELNS1_3gpuE0ELNS1_3repE0EEENS1_30default_config_static_selectorELNS0_4arch9wavefront6targetE1EEEvT1_, .Lfunc_end613-_ZN7rocprim17ROCPRIM_400000_NS6detail17trampoline_kernelINS0_14default_configENS1_25partition_config_selectorILNS1_17partition_subalgoE8EtNS0_10empty_typeEbEEZZNS1_14partition_implILS5_8ELb0ES3_jN6thrust23THRUST_200600_302600_NS6detail15normal_iteratorINSA_10device_ptrItEEEEPS6_PKS6_NS0_5tupleIJNSA_16discard_iteratorINSA_11use_defaultEEES6_EEENSJ_IJSG_SG_EEENS0_18inequality_wrapperINSA_8equal_toItEEEEPmJS6_EEE10hipError_tPvRmT3_T4_T5_T6_T7_T9_mT8_P12ihipStream_tbDpT10_ENKUlT_T0_E_clISt17integral_constantIbLb1EES1C_IbLb0EEEEDaS18_S19_EUlS18_E_NS1_11comp_targetILNS1_3genE0ELNS1_11target_archE4294967295ELNS1_3gpuE0ELNS1_3repE0EEENS1_30default_config_static_selectorELNS0_4arch9wavefront6targetE1EEEvT1_
                                        ; -- End function
	.set _ZN7rocprim17ROCPRIM_400000_NS6detail17trampoline_kernelINS0_14default_configENS1_25partition_config_selectorILNS1_17partition_subalgoE8EtNS0_10empty_typeEbEEZZNS1_14partition_implILS5_8ELb0ES3_jN6thrust23THRUST_200600_302600_NS6detail15normal_iteratorINSA_10device_ptrItEEEEPS6_PKS6_NS0_5tupleIJNSA_16discard_iteratorINSA_11use_defaultEEES6_EEENSJ_IJSG_SG_EEENS0_18inequality_wrapperINSA_8equal_toItEEEEPmJS6_EEE10hipError_tPvRmT3_T4_T5_T6_T7_T9_mT8_P12ihipStream_tbDpT10_ENKUlT_T0_E_clISt17integral_constantIbLb1EES1C_IbLb0EEEEDaS18_S19_EUlS18_E_NS1_11comp_targetILNS1_3genE0ELNS1_11target_archE4294967295ELNS1_3gpuE0ELNS1_3repE0EEENS1_30default_config_static_selectorELNS0_4arch9wavefront6targetE1EEEvT1_.num_vgpr, 0
	.set _ZN7rocprim17ROCPRIM_400000_NS6detail17trampoline_kernelINS0_14default_configENS1_25partition_config_selectorILNS1_17partition_subalgoE8EtNS0_10empty_typeEbEEZZNS1_14partition_implILS5_8ELb0ES3_jN6thrust23THRUST_200600_302600_NS6detail15normal_iteratorINSA_10device_ptrItEEEEPS6_PKS6_NS0_5tupleIJNSA_16discard_iteratorINSA_11use_defaultEEES6_EEENSJ_IJSG_SG_EEENS0_18inequality_wrapperINSA_8equal_toItEEEEPmJS6_EEE10hipError_tPvRmT3_T4_T5_T6_T7_T9_mT8_P12ihipStream_tbDpT10_ENKUlT_T0_E_clISt17integral_constantIbLb1EES1C_IbLb0EEEEDaS18_S19_EUlS18_E_NS1_11comp_targetILNS1_3genE0ELNS1_11target_archE4294967295ELNS1_3gpuE0ELNS1_3repE0EEENS1_30default_config_static_selectorELNS0_4arch9wavefront6targetE1EEEvT1_.num_agpr, 0
	.set _ZN7rocprim17ROCPRIM_400000_NS6detail17trampoline_kernelINS0_14default_configENS1_25partition_config_selectorILNS1_17partition_subalgoE8EtNS0_10empty_typeEbEEZZNS1_14partition_implILS5_8ELb0ES3_jN6thrust23THRUST_200600_302600_NS6detail15normal_iteratorINSA_10device_ptrItEEEEPS6_PKS6_NS0_5tupleIJNSA_16discard_iteratorINSA_11use_defaultEEES6_EEENSJ_IJSG_SG_EEENS0_18inequality_wrapperINSA_8equal_toItEEEEPmJS6_EEE10hipError_tPvRmT3_T4_T5_T6_T7_T9_mT8_P12ihipStream_tbDpT10_ENKUlT_T0_E_clISt17integral_constantIbLb1EES1C_IbLb0EEEEDaS18_S19_EUlS18_E_NS1_11comp_targetILNS1_3genE0ELNS1_11target_archE4294967295ELNS1_3gpuE0ELNS1_3repE0EEENS1_30default_config_static_selectorELNS0_4arch9wavefront6targetE1EEEvT1_.numbered_sgpr, 0
	.set _ZN7rocprim17ROCPRIM_400000_NS6detail17trampoline_kernelINS0_14default_configENS1_25partition_config_selectorILNS1_17partition_subalgoE8EtNS0_10empty_typeEbEEZZNS1_14partition_implILS5_8ELb0ES3_jN6thrust23THRUST_200600_302600_NS6detail15normal_iteratorINSA_10device_ptrItEEEEPS6_PKS6_NS0_5tupleIJNSA_16discard_iteratorINSA_11use_defaultEEES6_EEENSJ_IJSG_SG_EEENS0_18inequality_wrapperINSA_8equal_toItEEEEPmJS6_EEE10hipError_tPvRmT3_T4_T5_T6_T7_T9_mT8_P12ihipStream_tbDpT10_ENKUlT_T0_E_clISt17integral_constantIbLb1EES1C_IbLb0EEEEDaS18_S19_EUlS18_E_NS1_11comp_targetILNS1_3genE0ELNS1_11target_archE4294967295ELNS1_3gpuE0ELNS1_3repE0EEENS1_30default_config_static_selectorELNS0_4arch9wavefront6targetE1EEEvT1_.num_named_barrier, 0
	.set _ZN7rocprim17ROCPRIM_400000_NS6detail17trampoline_kernelINS0_14default_configENS1_25partition_config_selectorILNS1_17partition_subalgoE8EtNS0_10empty_typeEbEEZZNS1_14partition_implILS5_8ELb0ES3_jN6thrust23THRUST_200600_302600_NS6detail15normal_iteratorINSA_10device_ptrItEEEEPS6_PKS6_NS0_5tupleIJNSA_16discard_iteratorINSA_11use_defaultEEES6_EEENSJ_IJSG_SG_EEENS0_18inequality_wrapperINSA_8equal_toItEEEEPmJS6_EEE10hipError_tPvRmT3_T4_T5_T6_T7_T9_mT8_P12ihipStream_tbDpT10_ENKUlT_T0_E_clISt17integral_constantIbLb1EES1C_IbLb0EEEEDaS18_S19_EUlS18_E_NS1_11comp_targetILNS1_3genE0ELNS1_11target_archE4294967295ELNS1_3gpuE0ELNS1_3repE0EEENS1_30default_config_static_selectorELNS0_4arch9wavefront6targetE1EEEvT1_.private_seg_size, 0
	.set _ZN7rocprim17ROCPRIM_400000_NS6detail17trampoline_kernelINS0_14default_configENS1_25partition_config_selectorILNS1_17partition_subalgoE8EtNS0_10empty_typeEbEEZZNS1_14partition_implILS5_8ELb0ES3_jN6thrust23THRUST_200600_302600_NS6detail15normal_iteratorINSA_10device_ptrItEEEEPS6_PKS6_NS0_5tupleIJNSA_16discard_iteratorINSA_11use_defaultEEES6_EEENSJ_IJSG_SG_EEENS0_18inequality_wrapperINSA_8equal_toItEEEEPmJS6_EEE10hipError_tPvRmT3_T4_T5_T6_T7_T9_mT8_P12ihipStream_tbDpT10_ENKUlT_T0_E_clISt17integral_constantIbLb1EES1C_IbLb0EEEEDaS18_S19_EUlS18_E_NS1_11comp_targetILNS1_3genE0ELNS1_11target_archE4294967295ELNS1_3gpuE0ELNS1_3repE0EEENS1_30default_config_static_selectorELNS0_4arch9wavefront6targetE1EEEvT1_.uses_vcc, 0
	.set _ZN7rocprim17ROCPRIM_400000_NS6detail17trampoline_kernelINS0_14default_configENS1_25partition_config_selectorILNS1_17partition_subalgoE8EtNS0_10empty_typeEbEEZZNS1_14partition_implILS5_8ELb0ES3_jN6thrust23THRUST_200600_302600_NS6detail15normal_iteratorINSA_10device_ptrItEEEEPS6_PKS6_NS0_5tupleIJNSA_16discard_iteratorINSA_11use_defaultEEES6_EEENSJ_IJSG_SG_EEENS0_18inequality_wrapperINSA_8equal_toItEEEEPmJS6_EEE10hipError_tPvRmT3_T4_T5_T6_T7_T9_mT8_P12ihipStream_tbDpT10_ENKUlT_T0_E_clISt17integral_constantIbLb1EES1C_IbLb0EEEEDaS18_S19_EUlS18_E_NS1_11comp_targetILNS1_3genE0ELNS1_11target_archE4294967295ELNS1_3gpuE0ELNS1_3repE0EEENS1_30default_config_static_selectorELNS0_4arch9wavefront6targetE1EEEvT1_.uses_flat_scratch, 0
	.set _ZN7rocprim17ROCPRIM_400000_NS6detail17trampoline_kernelINS0_14default_configENS1_25partition_config_selectorILNS1_17partition_subalgoE8EtNS0_10empty_typeEbEEZZNS1_14partition_implILS5_8ELb0ES3_jN6thrust23THRUST_200600_302600_NS6detail15normal_iteratorINSA_10device_ptrItEEEEPS6_PKS6_NS0_5tupleIJNSA_16discard_iteratorINSA_11use_defaultEEES6_EEENSJ_IJSG_SG_EEENS0_18inequality_wrapperINSA_8equal_toItEEEEPmJS6_EEE10hipError_tPvRmT3_T4_T5_T6_T7_T9_mT8_P12ihipStream_tbDpT10_ENKUlT_T0_E_clISt17integral_constantIbLb1EES1C_IbLb0EEEEDaS18_S19_EUlS18_E_NS1_11comp_targetILNS1_3genE0ELNS1_11target_archE4294967295ELNS1_3gpuE0ELNS1_3repE0EEENS1_30default_config_static_selectorELNS0_4arch9wavefront6targetE1EEEvT1_.has_dyn_sized_stack, 0
	.set _ZN7rocprim17ROCPRIM_400000_NS6detail17trampoline_kernelINS0_14default_configENS1_25partition_config_selectorILNS1_17partition_subalgoE8EtNS0_10empty_typeEbEEZZNS1_14partition_implILS5_8ELb0ES3_jN6thrust23THRUST_200600_302600_NS6detail15normal_iteratorINSA_10device_ptrItEEEEPS6_PKS6_NS0_5tupleIJNSA_16discard_iteratorINSA_11use_defaultEEES6_EEENSJ_IJSG_SG_EEENS0_18inequality_wrapperINSA_8equal_toItEEEEPmJS6_EEE10hipError_tPvRmT3_T4_T5_T6_T7_T9_mT8_P12ihipStream_tbDpT10_ENKUlT_T0_E_clISt17integral_constantIbLb1EES1C_IbLb0EEEEDaS18_S19_EUlS18_E_NS1_11comp_targetILNS1_3genE0ELNS1_11target_archE4294967295ELNS1_3gpuE0ELNS1_3repE0EEENS1_30default_config_static_selectorELNS0_4arch9wavefront6targetE1EEEvT1_.has_recursion, 0
	.set _ZN7rocprim17ROCPRIM_400000_NS6detail17trampoline_kernelINS0_14default_configENS1_25partition_config_selectorILNS1_17partition_subalgoE8EtNS0_10empty_typeEbEEZZNS1_14partition_implILS5_8ELb0ES3_jN6thrust23THRUST_200600_302600_NS6detail15normal_iteratorINSA_10device_ptrItEEEEPS6_PKS6_NS0_5tupleIJNSA_16discard_iteratorINSA_11use_defaultEEES6_EEENSJ_IJSG_SG_EEENS0_18inequality_wrapperINSA_8equal_toItEEEEPmJS6_EEE10hipError_tPvRmT3_T4_T5_T6_T7_T9_mT8_P12ihipStream_tbDpT10_ENKUlT_T0_E_clISt17integral_constantIbLb1EES1C_IbLb0EEEEDaS18_S19_EUlS18_E_NS1_11comp_targetILNS1_3genE0ELNS1_11target_archE4294967295ELNS1_3gpuE0ELNS1_3repE0EEENS1_30default_config_static_selectorELNS0_4arch9wavefront6targetE1EEEvT1_.has_indirect_call, 0
	.section	.AMDGPU.csdata,"",@progbits
; Kernel info:
; codeLenInByte = 0
; TotalNumSgprs: 4
; NumVgprs: 0
; ScratchSize: 0
; MemoryBound: 0
; FloatMode: 240
; IeeeMode: 1
; LDSByteSize: 0 bytes/workgroup (compile time only)
; SGPRBlocks: 0
; VGPRBlocks: 0
; NumSGPRsForWavesPerEU: 4
; NumVGPRsForWavesPerEU: 1
; Occupancy: 10
; WaveLimiterHint : 0
; COMPUTE_PGM_RSRC2:SCRATCH_EN: 0
; COMPUTE_PGM_RSRC2:USER_SGPR: 6
; COMPUTE_PGM_RSRC2:TRAP_HANDLER: 0
; COMPUTE_PGM_RSRC2:TGID_X_EN: 1
; COMPUTE_PGM_RSRC2:TGID_Y_EN: 0
; COMPUTE_PGM_RSRC2:TGID_Z_EN: 0
; COMPUTE_PGM_RSRC2:TIDIG_COMP_CNT: 0
	.section	.text._ZN7rocprim17ROCPRIM_400000_NS6detail17trampoline_kernelINS0_14default_configENS1_25partition_config_selectorILNS1_17partition_subalgoE8EtNS0_10empty_typeEbEEZZNS1_14partition_implILS5_8ELb0ES3_jN6thrust23THRUST_200600_302600_NS6detail15normal_iteratorINSA_10device_ptrItEEEEPS6_PKS6_NS0_5tupleIJNSA_16discard_iteratorINSA_11use_defaultEEES6_EEENSJ_IJSG_SG_EEENS0_18inequality_wrapperINSA_8equal_toItEEEEPmJS6_EEE10hipError_tPvRmT3_T4_T5_T6_T7_T9_mT8_P12ihipStream_tbDpT10_ENKUlT_T0_E_clISt17integral_constantIbLb1EES1C_IbLb0EEEEDaS18_S19_EUlS18_E_NS1_11comp_targetILNS1_3genE5ELNS1_11target_archE942ELNS1_3gpuE9ELNS1_3repE0EEENS1_30default_config_static_selectorELNS0_4arch9wavefront6targetE1EEEvT1_,"axG",@progbits,_ZN7rocprim17ROCPRIM_400000_NS6detail17trampoline_kernelINS0_14default_configENS1_25partition_config_selectorILNS1_17partition_subalgoE8EtNS0_10empty_typeEbEEZZNS1_14partition_implILS5_8ELb0ES3_jN6thrust23THRUST_200600_302600_NS6detail15normal_iteratorINSA_10device_ptrItEEEEPS6_PKS6_NS0_5tupleIJNSA_16discard_iteratorINSA_11use_defaultEEES6_EEENSJ_IJSG_SG_EEENS0_18inequality_wrapperINSA_8equal_toItEEEEPmJS6_EEE10hipError_tPvRmT3_T4_T5_T6_T7_T9_mT8_P12ihipStream_tbDpT10_ENKUlT_T0_E_clISt17integral_constantIbLb1EES1C_IbLb0EEEEDaS18_S19_EUlS18_E_NS1_11comp_targetILNS1_3genE5ELNS1_11target_archE942ELNS1_3gpuE9ELNS1_3repE0EEENS1_30default_config_static_selectorELNS0_4arch9wavefront6targetE1EEEvT1_,comdat
	.protected	_ZN7rocprim17ROCPRIM_400000_NS6detail17trampoline_kernelINS0_14default_configENS1_25partition_config_selectorILNS1_17partition_subalgoE8EtNS0_10empty_typeEbEEZZNS1_14partition_implILS5_8ELb0ES3_jN6thrust23THRUST_200600_302600_NS6detail15normal_iteratorINSA_10device_ptrItEEEEPS6_PKS6_NS0_5tupleIJNSA_16discard_iteratorINSA_11use_defaultEEES6_EEENSJ_IJSG_SG_EEENS0_18inequality_wrapperINSA_8equal_toItEEEEPmJS6_EEE10hipError_tPvRmT3_T4_T5_T6_T7_T9_mT8_P12ihipStream_tbDpT10_ENKUlT_T0_E_clISt17integral_constantIbLb1EES1C_IbLb0EEEEDaS18_S19_EUlS18_E_NS1_11comp_targetILNS1_3genE5ELNS1_11target_archE942ELNS1_3gpuE9ELNS1_3repE0EEENS1_30default_config_static_selectorELNS0_4arch9wavefront6targetE1EEEvT1_ ; -- Begin function _ZN7rocprim17ROCPRIM_400000_NS6detail17trampoline_kernelINS0_14default_configENS1_25partition_config_selectorILNS1_17partition_subalgoE8EtNS0_10empty_typeEbEEZZNS1_14partition_implILS5_8ELb0ES3_jN6thrust23THRUST_200600_302600_NS6detail15normal_iteratorINSA_10device_ptrItEEEEPS6_PKS6_NS0_5tupleIJNSA_16discard_iteratorINSA_11use_defaultEEES6_EEENSJ_IJSG_SG_EEENS0_18inequality_wrapperINSA_8equal_toItEEEEPmJS6_EEE10hipError_tPvRmT3_T4_T5_T6_T7_T9_mT8_P12ihipStream_tbDpT10_ENKUlT_T0_E_clISt17integral_constantIbLb1EES1C_IbLb0EEEEDaS18_S19_EUlS18_E_NS1_11comp_targetILNS1_3genE5ELNS1_11target_archE942ELNS1_3gpuE9ELNS1_3repE0EEENS1_30default_config_static_selectorELNS0_4arch9wavefront6targetE1EEEvT1_
	.globl	_ZN7rocprim17ROCPRIM_400000_NS6detail17trampoline_kernelINS0_14default_configENS1_25partition_config_selectorILNS1_17partition_subalgoE8EtNS0_10empty_typeEbEEZZNS1_14partition_implILS5_8ELb0ES3_jN6thrust23THRUST_200600_302600_NS6detail15normal_iteratorINSA_10device_ptrItEEEEPS6_PKS6_NS0_5tupleIJNSA_16discard_iteratorINSA_11use_defaultEEES6_EEENSJ_IJSG_SG_EEENS0_18inequality_wrapperINSA_8equal_toItEEEEPmJS6_EEE10hipError_tPvRmT3_T4_T5_T6_T7_T9_mT8_P12ihipStream_tbDpT10_ENKUlT_T0_E_clISt17integral_constantIbLb1EES1C_IbLb0EEEEDaS18_S19_EUlS18_E_NS1_11comp_targetILNS1_3genE5ELNS1_11target_archE942ELNS1_3gpuE9ELNS1_3repE0EEENS1_30default_config_static_selectorELNS0_4arch9wavefront6targetE1EEEvT1_
	.p2align	8
	.type	_ZN7rocprim17ROCPRIM_400000_NS6detail17trampoline_kernelINS0_14default_configENS1_25partition_config_selectorILNS1_17partition_subalgoE8EtNS0_10empty_typeEbEEZZNS1_14partition_implILS5_8ELb0ES3_jN6thrust23THRUST_200600_302600_NS6detail15normal_iteratorINSA_10device_ptrItEEEEPS6_PKS6_NS0_5tupleIJNSA_16discard_iteratorINSA_11use_defaultEEES6_EEENSJ_IJSG_SG_EEENS0_18inequality_wrapperINSA_8equal_toItEEEEPmJS6_EEE10hipError_tPvRmT3_T4_T5_T6_T7_T9_mT8_P12ihipStream_tbDpT10_ENKUlT_T0_E_clISt17integral_constantIbLb1EES1C_IbLb0EEEEDaS18_S19_EUlS18_E_NS1_11comp_targetILNS1_3genE5ELNS1_11target_archE942ELNS1_3gpuE9ELNS1_3repE0EEENS1_30default_config_static_selectorELNS0_4arch9wavefront6targetE1EEEvT1_,@function
_ZN7rocprim17ROCPRIM_400000_NS6detail17trampoline_kernelINS0_14default_configENS1_25partition_config_selectorILNS1_17partition_subalgoE8EtNS0_10empty_typeEbEEZZNS1_14partition_implILS5_8ELb0ES3_jN6thrust23THRUST_200600_302600_NS6detail15normal_iteratorINSA_10device_ptrItEEEEPS6_PKS6_NS0_5tupleIJNSA_16discard_iteratorINSA_11use_defaultEEES6_EEENSJ_IJSG_SG_EEENS0_18inequality_wrapperINSA_8equal_toItEEEEPmJS6_EEE10hipError_tPvRmT3_T4_T5_T6_T7_T9_mT8_P12ihipStream_tbDpT10_ENKUlT_T0_E_clISt17integral_constantIbLb1EES1C_IbLb0EEEEDaS18_S19_EUlS18_E_NS1_11comp_targetILNS1_3genE5ELNS1_11target_archE942ELNS1_3gpuE9ELNS1_3repE0EEENS1_30default_config_static_selectorELNS0_4arch9wavefront6targetE1EEEvT1_: ; @_ZN7rocprim17ROCPRIM_400000_NS6detail17trampoline_kernelINS0_14default_configENS1_25partition_config_selectorILNS1_17partition_subalgoE8EtNS0_10empty_typeEbEEZZNS1_14partition_implILS5_8ELb0ES3_jN6thrust23THRUST_200600_302600_NS6detail15normal_iteratorINSA_10device_ptrItEEEEPS6_PKS6_NS0_5tupleIJNSA_16discard_iteratorINSA_11use_defaultEEES6_EEENSJ_IJSG_SG_EEENS0_18inequality_wrapperINSA_8equal_toItEEEEPmJS6_EEE10hipError_tPvRmT3_T4_T5_T6_T7_T9_mT8_P12ihipStream_tbDpT10_ENKUlT_T0_E_clISt17integral_constantIbLb1EES1C_IbLb0EEEEDaS18_S19_EUlS18_E_NS1_11comp_targetILNS1_3genE5ELNS1_11target_archE942ELNS1_3gpuE9ELNS1_3repE0EEENS1_30default_config_static_selectorELNS0_4arch9wavefront6targetE1EEEvT1_
; %bb.0:
	.section	.rodata,"a",@progbits
	.p2align	6, 0x0
	.amdhsa_kernel _ZN7rocprim17ROCPRIM_400000_NS6detail17trampoline_kernelINS0_14default_configENS1_25partition_config_selectorILNS1_17partition_subalgoE8EtNS0_10empty_typeEbEEZZNS1_14partition_implILS5_8ELb0ES3_jN6thrust23THRUST_200600_302600_NS6detail15normal_iteratorINSA_10device_ptrItEEEEPS6_PKS6_NS0_5tupleIJNSA_16discard_iteratorINSA_11use_defaultEEES6_EEENSJ_IJSG_SG_EEENS0_18inequality_wrapperINSA_8equal_toItEEEEPmJS6_EEE10hipError_tPvRmT3_T4_T5_T6_T7_T9_mT8_P12ihipStream_tbDpT10_ENKUlT_T0_E_clISt17integral_constantIbLb1EES1C_IbLb0EEEEDaS18_S19_EUlS18_E_NS1_11comp_targetILNS1_3genE5ELNS1_11target_archE942ELNS1_3gpuE9ELNS1_3repE0EEENS1_30default_config_static_selectorELNS0_4arch9wavefront6targetE1EEEvT1_
		.amdhsa_group_segment_fixed_size 0
		.amdhsa_private_segment_fixed_size 0
		.amdhsa_kernarg_size 120
		.amdhsa_user_sgpr_count 6
		.amdhsa_user_sgpr_private_segment_buffer 1
		.amdhsa_user_sgpr_dispatch_ptr 0
		.amdhsa_user_sgpr_queue_ptr 0
		.amdhsa_user_sgpr_kernarg_segment_ptr 1
		.amdhsa_user_sgpr_dispatch_id 0
		.amdhsa_user_sgpr_flat_scratch_init 0
		.amdhsa_user_sgpr_private_segment_size 0
		.amdhsa_uses_dynamic_stack 0
		.amdhsa_system_sgpr_private_segment_wavefront_offset 0
		.amdhsa_system_sgpr_workgroup_id_x 1
		.amdhsa_system_sgpr_workgroup_id_y 0
		.amdhsa_system_sgpr_workgroup_id_z 0
		.amdhsa_system_sgpr_workgroup_info 0
		.amdhsa_system_vgpr_workitem_id 0
		.amdhsa_next_free_vgpr 1
		.amdhsa_next_free_sgpr 0
		.amdhsa_reserve_vcc 0
		.amdhsa_reserve_flat_scratch 0
		.amdhsa_float_round_mode_32 0
		.amdhsa_float_round_mode_16_64 0
		.amdhsa_float_denorm_mode_32 3
		.amdhsa_float_denorm_mode_16_64 3
		.amdhsa_dx10_clamp 1
		.amdhsa_ieee_mode 1
		.amdhsa_fp16_overflow 0
		.amdhsa_exception_fp_ieee_invalid_op 0
		.amdhsa_exception_fp_denorm_src 0
		.amdhsa_exception_fp_ieee_div_zero 0
		.amdhsa_exception_fp_ieee_overflow 0
		.amdhsa_exception_fp_ieee_underflow 0
		.amdhsa_exception_fp_ieee_inexact 0
		.amdhsa_exception_int_div_zero 0
	.end_amdhsa_kernel
	.section	.text._ZN7rocprim17ROCPRIM_400000_NS6detail17trampoline_kernelINS0_14default_configENS1_25partition_config_selectorILNS1_17partition_subalgoE8EtNS0_10empty_typeEbEEZZNS1_14partition_implILS5_8ELb0ES3_jN6thrust23THRUST_200600_302600_NS6detail15normal_iteratorINSA_10device_ptrItEEEEPS6_PKS6_NS0_5tupleIJNSA_16discard_iteratorINSA_11use_defaultEEES6_EEENSJ_IJSG_SG_EEENS0_18inequality_wrapperINSA_8equal_toItEEEEPmJS6_EEE10hipError_tPvRmT3_T4_T5_T6_T7_T9_mT8_P12ihipStream_tbDpT10_ENKUlT_T0_E_clISt17integral_constantIbLb1EES1C_IbLb0EEEEDaS18_S19_EUlS18_E_NS1_11comp_targetILNS1_3genE5ELNS1_11target_archE942ELNS1_3gpuE9ELNS1_3repE0EEENS1_30default_config_static_selectorELNS0_4arch9wavefront6targetE1EEEvT1_,"axG",@progbits,_ZN7rocprim17ROCPRIM_400000_NS6detail17trampoline_kernelINS0_14default_configENS1_25partition_config_selectorILNS1_17partition_subalgoE8EtNS0_10empty_typeEbEEZZNS1_14partition_implILS5_8ELb0ES3_jN6thrust23THRUST_200600_302600_NS6detail15normal_iteratorINSA_10device_ptrItEEEEPS6_PKS6_NS0_5tupleIJNSA_16discard_iteratorINSA_11use_defaultEEES6_EEENSJ_IJSG_SG_EEENS0_18inequality_wrapperINSA_8equal_toItEEEEPmJS6_EEE10hipError_tPvRmT3_T4_T5_T6_T7_T9_mT8_P12ihipStream_tbDpT10_ENKUlT_T0_E_clISt17integral_constantIbLb1EES1C_IbLb0EEEEDaS18_S19_EUlS18_E_NS1_11comp_targetILNS1_3genE5ELNS1_11target_archE942ELNS1_3gpuE9ELNS1_3repE0EEENS1_30default_config_static_selectorELNS0_4arch9wavefront6targetE1EEEvT1_,comdat
.Lfunc_end614:
	.size	_ZN7rocprim17ROCPRIM_400000_NS6detail17trampoline_kernelINS0_14default_configENS1_25partition_config_selectorILNS1_17partition_subalgoE8EtNS0_10empty_typeEbEEZZNS1_14partition_implILS5_8ELb0ES3_jN6thrust23THRUST_200600_302600_NS6detail15normal_iteratorINSA_10device_ptrItEEEEPS6_PKS6_NS0_5tupleIJNSA_16discard_iteratorINSA_11use_defaultEEES6_EEENSJ_IJSG_SG_EEENS0_18inequality_wrapperINSA_8equal_toItEEEEPmJS6_EEE10hipError_tPvRmT3_T4_T5_T6_T7_T9_mT8_P12ihipStream_tbDpT10_ENKUlT_T0_E_clISt17integral_constantIbLb1EES1C_IbLb0EEEEDaS18_S19_EUlS18_E_NS1_11comp_targetILNS1_3genE5ELNS1_11target_archE942ELNS1_3gpuE9ELNS1_3repE0EEENS1_30default_config_static_selectorELNS0_4arch9wavefront6targetE1EEEvT1_, .Lfunc_end614-_ZN7rocprim17ROCPRIM_400000_NS6detail17trampoline_kernelINS0_14default_configENS1_25partition_config_selectorILNS1_17partition_subalgoE8EtNS0_10empty_typeEbEEZZNS1_14partition_implILS5_8ELb0ES3_jN6thrust23THRUST_200600_302600_NS6detail15normal_iteratorINSA_10device_ptrItEEEEPS6_PKS6_NS0_5tupleIJNSA_16discard_iteratorINSA_11use_defaultEEES6_EEENSJ_IJSG_SG_EEENS0_18inequality_wrapperINSA_8equal_toItEEEEPmJS6_EEE10hipError_tPvRmT3_T4_T5_T6_T7_T9_mT8_P12ihipStream_tbDpT10_ENKUlT_T0_E_clISt17integral_constantIbLb1EES1C_IbLb0EEEEDaS18_S19_EUlS18_E_NS1_11comp_targetILNS1_3genE5ELNS1_11target_archE942ELNS1_3gpuE9ELNS1_3repE0EEENS1_30default_config_static_selectorELNS0_4arch9wavefront6targetE1EEEvT1_
                                        ; -- End function
	.set _ZN7rocprim17ROCPRIM_400000_NS6detail17trampoline_kernelINS0_14default_configENS1_25partition_config_selectorILNS1_17partition_subalgoE8EtNS0_10empty_typeEbEEZZNS1_14partition_implILS5_8ELb0ES3_jN6thrust23THRUST_200600_302600_NS6detail15normal_iteratorINSA_10device_ptrItEEEEPS6_PKS6_NS0_5tupleIJNSA_16discard_iteratorINSA_11use_defaultEEES6_EEENSJ_IJSG_SG_EEENS0_18inequality_wrapperINSA_8equal_toItEEEEPmJS6_EEE10hipError_tPvRmT3_T4_T5_T6_T7_T9_mT8_P12ihipStream_tbDpT10_ENKUlT_T0_E_clISt17integral_constantIbLb1EES1C_IbLb0EEEEDaS18_S19_EUlS18_E_NS1_11comp_targetILNS1_3genE5ELNS1_11target_archE942ELNS1_3gpuE9ELNS1_3repE0EEENS1_30default_config_static_selectorELNS0_4arch9wavefront6targetE1EEEvT1_.num_vgpr, 0
	.set _ZN7rocprim17ROCPRIM_400000_NS6detail17trampoline_kernelINS0_14default_configENS1_25partition_config_selectorILNS1_17partition_subalgoE8EtNS0_10empty_typeEbEEZZNS1_14partition_implILS5_8ELb0ES3_jN6thrust23THRUST_200600_302600_NS6detail15normal_iteratorINSA_10device_ptrItEEEEPS6_PKS6_NS0_5tupleIJNSA_16discard_iteratorINSA_11use_defaultEEES6_EEENSJ_IJSG_SG_EEENS0_18inequality_wrapperINSA_8equal_toItEEEEPmJS6_EEE10hipError_tPvRmT3_T4_T5_T6_T7_T9_mT8_P12ihipStream_tbDpT10_ENKUlT_T0_E_clISt17integral_constantIbLb1EES1C_IbLb0EEEEDaS18_S19_EUlS18_E_NS1_11comp_targetILNS1_3genE5ELNS1_11target_archE942ELNS1_3gpuE9ELNS1_3repE0EEENS1_30default_config_static_selectorELNS0_4arch9wavefront6targetE1EEEvT1_.num_agpr, 0
	.set _ZN7rocprim17ROCPRIM_400000_NS6detail17trampoline_kernelINS0_14default_configENS1_25partition_config_selectorILNS1_17partition_subalgoE8EtNS0_10empty_typeEbEEZZNS1_14partition_implILS5_8ELb0ES3_jN6thrust23THRUST_200600_302600_NS6detail15normal_iteratorINSA_10device_ptrItEEEEPS6_PKS6_NS0_5tupleIJNSA_16discard_iteratorINSA_11use_defaultEEES6_EEENSJ_IJSG_SG_EEENS0_18inequality_wrapperINSA_8equal_toItEEEEPmJS6_EEE10hipError_tPvRmT3_T4_T5_T6_T7_T9_mT8_P12ihipStream_tbDpT10_ENKUlT_T0_E_clISt17integral_constantIbLb1EES1C_IbLb0EEEEDaS18_S19_EUlS18_E_NS1_11comp_targetILNS1_3genE5ELNS1_11target_archE942ELNS1_3gpuE9ELNS1_3repE0EEENS1_30default_config_static_selectorELNS0_4arch9wavefront6targetE1EEEvT1_.numbered_sgpr, 0
	.set _ZN7rocprim17ROCPRIM_400000_NS6detail17trampoline_kernelINS0_14default_configENS1_25partition_config_selectorILNS1_17partition_subalgoE8EtNS0_10empty_typeEbEEZZNS1_14partition_implILS5_8ELb0ES3_jN6thrust23THRUST_200600_302600_NS6detail15normal_iteratorINSA_10device_ptrItEEEEPS6_PKS6_NS0_5tupleIJNSA_16discard_iteratorINSA_11use_defaultEEES6_EEENSJ_IJSG_SG_EEENS0_18inequality_wrapperINSA_8equal_toItEEEEPmJS6_EEE10hipError_tPvRmT3_T4_T5_T6_T7_T9_mT8_P12ihipStream_tbDpT10_ENKUlT_T0_E_clISt17integral_constantIbLb1EES1C_IbLb0EEEEDaS18_S19_EUlS18_E_NS1_11comp_targetILNS1_3genE5ELNS1_11target_archE942ELNS1_3gpuE9ELNS1_3repE0EEENS1_30default_config_static_selectorELNS0_4arch9wavefront6targetE1EEEvT1_.num_named_barrier, 0
	.set _ZN7rocprim17ROCPRIM_400000_NS6detail17trampoline_kernelINS0_14default_configENS1_25partition_config_selectorILNS1_17partition_subalgoE8EtNS0_10empty_typeEbEEZZNS1_14partition_implILS5_8ELb0ES3_jN6thrust23THRUST_200600_302600_NS6detail15normal_iteratorINSA_10device_ptrItEEEEPS6_PKS6_NS0_5tupleIJNSA_16discard_iteratorINSA_11use_defaultEEES6_EEENSJ_IJSG_SG_EEENS0_18inequality_wrapperINSA_8equal_toItEEEEPmJS6_EEE10hipError_tPvRmT3_T4_T5_T6_T7_T9_mT8_P12ihipStream_tbDpT10_ENKUlT_T0_E_clISt17integral_constantIbLb1EES1C_IbLb0EEEEDaS18_S19_EUlS18_E_NS1_11comp_targetILNS1_3genE5ELNS1_11target_archE942ELNS1_3gpuE9ELNS1_3repE0EEENS1_30default_config_static_selectorELNS0_4arch9wavefront6targetE1EEEvT1_.private_seg_size, 0
	.set _ZN7rocprim17ROCPRIM_400000_NS6detail17trampoline_kernelINS0_14default_configENS1_25partition_config_selectorILNS1_17partition_subalgoE8EtNS0_10empty_typeEbEEZZNS1_14partition_implILS5_8ELb0ES3_jN6thrust23THRUST_200600_302600_NS6detail15normal_iteratorINSA_10device_ptrItEEEEPS6_PKS6_NS0_5tupleIJNSA_16discard_iteratorINSA_11use_defaultEEES6_EEENSJ_IJSG_SG_EEENS0_18inequality_wrapperINSA_8equal_toItEEEEPmJS6_EEE10hipError_tPvRmT3_T4_T5_T6_T7_T9_mT8_P12ihipStream_tbDpT10_ENKUlT_T0_E_clISt17integral_constantIbLb1EES1C_IbLb0EEEEDaS18_S19_EUlS18_E_NS1_11comp_targetILNS1_3genE5ELNS1_11target_archE942ELNS1_3gpuE9ELNS1_3repE0EEENS1_30default_config_static_selectorELNS0_4arch9wavefront6targetE1EEEvT1_.uses_vcc, 0
	.set _ZN7rocprim17ROCPRIM_400000_NS6detail17trampoline_kernelINS0_14default_configENS1_25partition_config_selectorILNS1_17partition_subalgoE8EtNS0_10empty_typeEbEEZZNS1_14partition_implILS5_8ELb0ES3_jN6thrust23THRUST_200600_302600_NS6detail15normal_iteratorINSA_10device_ptrItEEEEPS6_PKS6_NS0_5tupleIJNSA_16discard_iteratorINSA_11use_defaultEEES6_EEENSJ_IJSG_SG_EEENS0_18inequality_wrapperINSA_8equal_toItEEEEPmJS6_EEE10hipError_tPvRmT3_T4_T5_T6_T7_T9_mT8_P12ihipStream_tbDpT10_ENKUlT_T0_E_clISt17integral_constantIbLb1EES1C_IbLb0EEEEDaS18_S19_EUlS18_E_NS1_11comp_targetILNS1_3genE5ELNS1_11target_archE942ELNS1_3gpuE9ELNS1_3repE0EEENS1_30default_config_static_selectorELNS0_4arch9wavefront6targetE1EEEvT1_.uses_flat_scratch, 0
	.set _ZN7rocprim17ROCPRIM_400000_NS6detail17trampoline_kernelINS0_14default_configENS1_25partition_config_selectorILNS1_17partition_subalgoE8EtNS0_10empty_typeEbEEZZNS1_14partition_implILS5_8ELb0ES3_jN6thrust23THRUST_200600_302600_NS6detail15normal_iteratorINSA_10device_ptrItEEEEPS6_PKS6_NS0_5tupleIJNSA_16discard_iteratorINSA_11use_defaultEEES6_EEENSJ_IJSG_SG_EEENS0_18inequality_wrapperINSA_8equal_toItEEEEPmJS6_EEE10hipError_tPvRmT3_T4_T5_T6_T7_T9_mT8_P12ihipStream_tbDpT10_ENKUlT_T0_E_clISt17integral_constantIbLb1EES1C_IbLb0EEEEDaS18_S19_EUlS18_E_NS1_11comp_targetILNS1_3genE5ELNS1_11target_archE942ELNS1_3gpuE9ELNS1_3repE0EEENS1_30default_config_static_selectorELNS0_4arch9wavefront6targetE1EEEvT1_.has_dyn_sized_stack, 0
	.set _ZN7rocprim17ROCPRIM_400000_NS6detail17trampoline_kernelINS0_14default_configENS1_25partition_config_selectorILNS1_17partition_subalgoE8EtNS0_10empty_typeEbEEZZNS1_14partition_implILS5_8ELb0ES3_jN6thrust23THRUST_200600_302600_NS6detail15normal_iteratorINSA_10device_ptrItEEEEPS6_PKS6_NS0_5tupleIJNSA_16discard_iteratorINSA_11use_defaultEEES6_EEENSJ_IJSG_SG_EEENS0_18inequality_wrapperINSA_8equal_toItEEEEPmJS6_EEE10hipError_tPvRmT3_T4_T5_T6_T7_T9_mT8_P12ihipStream_tbDpT10_ENKUlT_T0_E_clISt17integral_constantIbLb1EES1C_IbLb0EEEEDaS18_S19_EUlS18_E_NS1_11comp_targetILNS1_3genE5ELNS1_11target_archE942ELNS1_3gpuE9ELNS1_3repE0EEENS1_30default_config_static_selectorELNS0_4arch9wavefront6targetE1EEEvT1_.has_recursion, 0
	.set _ZN7rocprim17ROCPRIM_400000_NS6detail17trampoline_kernelINS0_14default_configENS1_25partition_config_selectorILNS1_17partition_subalgoE8EtNS0_10empty_typeEbEEZZNS1_14partition_implILS5_8ELb0ES3_jN6thrust23THRUST_200600_302600_NS6detail15normal_iteratorINSA_10device_ptrItEEEEPS6_PKS6_NS0_5tupleIJNSA_16discard_iteratorINSA_11use_defaultEEES6_EEENSJ_IJSG_SG_EEENS0_18inequality_wrapperINSA_8equal_toItEEEEPmJS6_EEE10hipError_tPvRmT3_T4_T5_T6_T7_T9_mT8_P12ihipStream_tbDpT10_ENKUlT_T0_E_clISt17integral_constantIbLb1EES1C_IbLb0EEEEDaS18_S19_EUlS18_E_NS1_11comp_targetILNS1_3genE5ELNS1_11target_archE942ELNS1_3gpuE9ELNS1_3repE0EEENS1_30default_config_static_selectorELNS0_4arch9wavefront6targetE1EEEvT1_.has_indirect_call, 0
	.section	.AMDGPU.csdata,"",@progbits
; Kernel info:
; codeLenInByte = 0
; TotalNumSgprs: 4
; NumVgprs: 0
; ScratchSize: 0
; MemoryBound: 0
; FloatMode: 240
; IeeeMode: 1
; LDSByteSize: 0 bytes/workgroup (compile time only)
; SGPRBlocks: 0
; VGPRBlocks: 0
; NumSGPRsForWavesPerEU: 4
; NumVGPRsForWavesPerEU: 1
; Occupancy: 10
; WaveLimiterHint : 0
; COMPUTE_PGM_RSRC2:SCRATCH_EN: 0
; COMPUTE_PGM_RSRC2:USER_SGPR: 6
; COMPUTE_PGM_RSRC2:TRAP_HANDLER: 0
; COMPUTE_PGM_RSRC2:TGID_X_EN: 1
; COMPUTE_PGM_RSRC2:TGID_Y_EN: 0
; COMPUTE_PGM_RSRC2:TGID_Z_EN: 0
; COMPUTE_PGM_RSRC2:TIDIG_COMP_CNT: 0
	.section	.text._ZN7rocprim17ROCPRIM_400000_NS6detail17trampoline_kernelINS0_14default_configENS1_25partition_config_selectorILNS1_17partition_subalgoE8EtNS0_10empty_typeEbEEZZNS1_14partition_implILS5_8ELb0ES3_jN6thrust23THRUST_200600_302600_NS6detail15normal_iteratorINSA_10device_ptrItEEEEPS6_PKS6_NS0_5tupleIJNSA_16discard_iteratorINSA_11use_defaultEEES6_EEENSJ_IJSG_SG_EEENS0_18inequality_wrapperINSA_8equal_toItEEEEPmJS6_EEE10hipError_tPvRmT3_T4_T5_T6_T7_T9_mT8_P12ihipStream_tbDpT10_ENKUlT_T0_E_clISt17integral_constantIbLb1EES1C_IbLb0EEEEDaS18_S19_EUlS18_E_NS1_11comp_targetILNS1_3genE4ELNS1_11target_archE910ELNS1_3gpuE8ELNS1_3repE0EEENS1_30default_config_static_selectorELNS0_4arch9wavefront6targetE1EEEvT1_,"axG",@progbits,_ZN7rocprim17ROCPRIM_400000_NS6detail17trampoline_kernelINS0_14default_configENS1_25partition_config_selectorILNS1_17partition_subalgoE8EtNS0_10empty_typeEbEEZZNS1_14partition_implILS5_8ELb0ES3_jN6thrust23THRUST_200600_302600_NS6detail15normal_iteratorINSA_10device_ptrItEEEEPS6_PKS6_NS0_5tupleIJNSA_16discard_iteratorINSA_11use_defaultEEES6_EEENSJ_IJSG_SG_EEENS0_18inequality_wrapperINSA_8equal_toItEEEEPmJS6_EEE10hipError_tPvRmT3_T4_T5_T6_T7_T9_mT8_P12ihipStream_tbDpT10_ENKUlT_T0_E_clISt17integral_constantIbLb1EES1C_IbLb0EEEEDaS18_S19_EUlS18_E_NS1_11comp_targetILNS1_3genE4ELNS1_11target_archE910ELNS1_3gpuE8ELNS1_3repE0EEENS1_30default_config_static_selectorELNS0_4arch9wavefront6targetE1EEEvT1_,comdat
	.protected	_ZN7rocprim17ROCPRIM_400000_NS6detail17trampoline_kernelINS0_14default_configENS1_25partition_config_selectorILNS1_17partition_subalgoE8EtNS0_10empty_typeEbEEZZNS1_14partition_implILS5_8ELb0ES3_jN6thrust23THRUST_200600_302600_NS6detail15normal_iteratorINSA_10device_ptrItEEEEPS6_PKS6_NS0_5tupleIJNSA_16discard_iteratorINSA_11use_defaultEEES6_EEENSJ_IJSG_SG_EEENS0_18inequality_wrapperINSA_8equal_toItEEEEPmJS6_EEE10hipError_tPvRmT3_T4_T5_T6_T7_T9_mT8_P12ihipStream_tbDpT10_ENKUlT_T0_E_clISt17integral_constantIbLb1EES1C_IbLb0EEEEDaS18_S19_EUlS18_E_NS1_11comp_targetILNS1_3genE4ELNS1_11target_archE910ELNS1_3gpuE8ELNS1_3repE0EEENS1_30default_config_static_selectorELNS0_4arch9wavefront6targetE1EEEvT1_ ; -- Begin function _ZN7rocprim17ROCPRIM_400000_NS6detail17trampoline_kernelINS0_14default_configENS1_25partition_config_selectorILNS1_17partition_subalgoE8EtNS0_10empty_typeEbEEZZNS1_14partition_implILS5_8ELb0ES3_jN6thrust23THRUST_200600_302600_NS6detail15normal_iteratorINSA_10device_ptrItEEEEPS6_PKS6_NS0_5tupleIJNSA_16discard_iteratorINSA_11use_defaultEEES6_EEENSJ_IJSG_SG_EEENS0_18inequality_wrapperINSA_8equal_toItEEEEPmJS6_EEE10hipError_tPvRmT3_T4_T5_T6_T7_T9_mT8_P12ihipStream_tbDpT10_ENKUlT_T0_E_clISt17integral_constantIbLb1EES1C_IbLb0EEEEDaS18_S19_EUlS18_E_NS1_11comp_targetILNS1_3genE4ELNS1_11target_archE910ELNS1_3gpuE8ELNS1_3repE0EEENS1_30default_config_static_selectorELNS0_4arch9wavefront6targetE1EEEvT1_
	.globl	_ZN7rocprim17ROCPRIM_400000_NS6detail17trampoline_kernelINS0_14default_configENS1_25partition_config_selectorILNS1_17partition_subalgoE8EtNS0_10empty_typeEbEEZZNS1_14partition_implILS5_8ELb0ES3_jN6thrust23THRUST_200600_302600_NS6detail15normal_iteratorINSA_10device_ptrItEEEEPS6_PKS6_NS0_5tupleIJNSA_16discard_iteratorINSA_11use_defaultEEES6_EEENSJ_IJSG_SG_EEENS0_18inequality_wrapperINSA_8equal_toItEEEEPmJS6_EEE10hipError_tPvRmT3_T4_T5_T6_T7_T9_mT8_P12ihipStream_tbDpT10_ENKUlT_T0_E_clISt17integral_constantIbLb1EES1C_IbLb0EEEEDaS18_S19_EUlS18_E_NS1_11comp_targetILNS1_3genE4ELNS1_11target_archE910ELNS1_3gpuE8ELNS1_3repE0EEENS1_30default_config_static_selectorELNS0_4arch9wavefront6targetE1EEEvT1_
	.p2align	8
	.type	_ZN7rocprim17ROCPRIM_400000_NS6detail17trampoline_kernelINS0_14default_configENS1_25partition_config_selectorILNS1_17partition_subalgoE8EtNS0_10empty_typeEbEEZZNS1_14partition_implILS5_8ELb0ES3_jN6thrust23THRUST_200600_302600_NS6detail15normal_iteratorINSA_10device_ptrItEEEEPS6_PKS6_NS0_5tupleIJNSA_16discard_iteratorINSA_11use_defaultEEES6_EEENSJ_IJSG_SG_EEENS0_18inequality_wrapperINSA_8equal_toItEEEEPmJS6_EEE10hipError_tPvRmT3_T4_T5_T6_T7_T9_mT8_P12ihipStream_tbDpT10_ENKUlT_T0_E_clISt17integral_constantIbLb1EES1C_IbLb0EEEEDaS18_S19_EUlS18_E_NS1_11comp_targetILNS1_3genE4ELNS1_11target_archE910ELNS1_3gpuE8ELNS1_3repE0EEENS1_30default_config_static_selectorELNS0_4arch9wavefront6targetE1EEEvT1_,@function
_ZN7rocprim17ROCPRIM_400000_NS6detail17trampoline_kernelINS0_14default_configENS1_25partition_config_selectorILNS1_17partition_subalgoE8EtNS0_10empty_typeEbEEZZNS1_14partition_implILS5_8ELb0ES3_jN6thrust23THRUST_200600_302600_NS6detail15normal_iteratorINSA_10device_ptrItEEEEPS6_PKS6_NS0_5tupleIJNSA_16discard_iteratorINSA_11use_defaultEEES6_EEENSJ_IJSG_SG_EEENS0_18inequality_wrapperINSA_8equal_toItEEEEPmJS6_EEE10hipError_tPvRmT3_T4_T5_T6_T7_T9_mT8_P12ihipStream_tbDpT10_ENKUlT_T0_E_clISt17integral_constantIbLb1EES1C_IbLb0EEEEDaS18_S19_EUlS18_E_NS1_11comp_targetILNS1_3genE4ELNS1_11target_archE910ELNS1_3gpuE8ELNS1_3repE0EEENS1_30default_config_static_selectorELNS0_4arch9wavefront6targetE1EEEvT1_: ; @_ZN7rocprim17ROCPRIM_400000_NS6detail17trampoline_kernelINS0_14default_configENS1_25partition_config_selectorILNS1_17partition_subalgoE8EtNS0_10empty_typeEbEEZZNS1_14partition_implILS5_8ELb0ES3_jN6thrust23THRUST_200600_302600_NS6detail15normal_iteratorINSA_10device_ptrItEEEEPS6_PKS6_NS0_5tupleIJNSA_16discard_iteratorINSA_11use_defaultEEES6_EEENSJ_IJSG_SG_EEENS0_18inequality_wrapperINSA_8equal_toItEEEEPmJS6_EEE10hipError_tPvRmT3_T4_T5_T6_T7_T9_mT8_P12ihipStream_tbDpT10_ENKUlT_T0_E_clISt17integral_constantIbLb1EES1C_IbLb0EEEEDaS18_S19_EUlS18_E_NS1_11comp_targetILNS1_3genE4ELNS1_11target_archE910ELNS1_3gpuE8ELNS1_3repE0EEENS1_30default_config_static_selectorELNS0_4arch9wavefront6targetE1EEEvT1_
; %bb.0:
	.section	.rodata,"a",@progbits
	.p2align	6, 0x0
	.amdhsa_kernel _ZN7rocprim17ROCPRIM_400000_NS6detail17trampoline_kernelINS0_14default_configENS1_25partition_config_selectorILNS1_17partition_subalgoE8EtNS0_10empty_typeEbEEZZNS1_14partition_implILS5_8ELb0ES3_jN6thrust23THRUST_200600_302600_NS6detail15normal_iteratorINSA_10device_ptrItEEEEPS6_PKS6_NS0_5tupleIJNSA_16discard_iteratorINSA_11use_defaultEEES6_EEENSJ_IJSG_SG_EEENS0_18inequality_wrapperINSA_8equal_toItEEEEPmJS6_EEE10hipError_tPvRmT3_T4_T5_T6_T7_T9_mT8_P12ihipStream_tbDpT10_ENKUlT_T0_E_clISt17integral_constantIbLb1EES1C_IbLb0EEEEDaS18_S19_EUlS18_E_NS1_11comp_targetILNS1_3genE4ELNS1_11target_archE910ELNS1_3gpuE8ELNS1_3repE0EEENS1_30default_config_static_selectorELNS0_4arch9wavefront6targetE1EEEvT1_
		.amdhsa_group_segment_fixed_size 0
		.amdhsa_private_segment_fixed_size 0
		.amdhsa_kernarg_size 120
		.amdhsa_user_sgpr_count 6
		.amdhsa_user_sgpr_private_segment_buffer 1
		.amdhsa_user_sgpr_dispatch_ptr 0
		.amdhsa_user_sgpr_queue_ptr 0
		.amdhsa_user_sgpr_kernarg_segment_ptr 1
		.amdhsa_user_sgpr_dispatch_id 0
		.amdhsa_user_sgpr_flat_scratch_init 0
		.amdhsa_user_sgpr_private_segment_size 0
		.amdhsa_uses_dynamic_stack 0
		.amdhsa_system_sgpr_private_segment_wavefront_offset 0
		.amdhsa_system_sgpr_workgroup_id_x 1
		.amdhsa_system_sgpr_workgroup_id_y 0
		.amdhsa_system_sgpr_workgroup_id_z 0
		.amdhsa_system_sgpr_workgroup_info 0
		.amdhsa_system_vgpr_workitem_id 0
		.amdhsa_next_free_vgpr 1
		.amdhsa_next_free_sgpr 0
		.amdhsa_reserve_vcc 0
		.amdhsa_reserve_flat_scratch 0
		.amdhsa_float_round_mode_32 0
		.amdhsa_float_round_mode_16_64 0
		.amdhsa_float_denorm_mode_32 3
		.amdhsa_float_denorm_mode_16_64 3
		.amdhsa_dx10_clamp 1
		.amdhsa_ieee_mode 1
		.amdhsa_fp16_overflow 0
		.amdhsa_exception_fp_ieee_invalid_op 0
		.amdhsa_exception_fp_denorm_src 0
		.amdhsa_exception_fp_ieee_div_zero 0
		.amdhsa_exception_fp_ieee_overflow 0
		.amdhsa_exception_fp_ieee_underflow 0
		.amdhsa_exception_fp_ieee_inexact 0
		.amdhsa_exception_int_div_zero 0
	.end_amdhsa_kernel
	.section	.text._ZN7rocprim17ROCPRIM_400000_NS6detail17trampoline_kernelINS0_14default_configENS1_25partition_config_selectorILNS1_17partition_subalgoE8EtNS0_10empty_typeEbEEZZNS1_14partition_implILS5_8ELb0ES3_jN6thrust23THRUST_200600_302600_NS6detail15normal_iteratorINSA_10device_ptrItEEEEPS6_PKS6_NS0_5tupleIJNSA_16discard_iteratorINSA_11use_defaultEEES6_EEENSJ_IJSG_SG_EEENS0_18inequality_wrapperINSA_8equal_toItEEEEPmJS6_EEE10hipError_tPvRmT3_T4_T5_T6_T7_T9_mT8_P12ihipStream_tbDpT10_ENKUlT_T0_E_clISt17integral_constantIbLb1EES1C_IbLb0EEEEDaS18_S19_EUlS18_E_NS1_11comp_targetILNS1_3genE4ELNS1_11target_archE910ELNS1_3gpuE8ELNS1_3repE0EEENS1_30default_config_static_selectorELNS0_4arch9wavefront6targetE1EEEvT1_,"axG",@progbits,_ZN7rocprim17ROCPRIM_400000_NS6detail17trampoline_kernelINS0_14default_configENS1_25partition_config_selectorILNS1_17partition_subalgoE8EtNS0_10empty_typeEbEEZZNS1_14partition_implILS5_8ELb0ES3_jN6thrust23THRUST_200600_302600_NS6detail15normal_iteratorINSA_10device_ptrItEEEEPS6_PKS6_NS0_5tupleIJNSA_16discard_iteratorINSA_11use_defaultEEES6_EEENSJ_IJSG_SG_EEENS0_18inequality_wrapperINSA_8equal_toItEEEEPmJS6_EEE10hipError_tPvRmT3_T4_T5_T6_T7_T9_mT8_P12ihipStream_tbDpT10_ENKUlT_T0_E_clISt17integral_constantIbLb1EES1C_IbLb0EEEEDaS18_S19_EUlS18_E_NS1_11comp_targetILNS1_3genE4ELNS1_11target_archE910ELNS1_3gpuE8ELNS1_3repE0EEENS1_30default_config_static_selectorELNS0_4arch9wavefront6targetE1EEEvT1_,comdat
.Lfunc_end615:
	.size	_ZN7rocprim17ROCPRIM_400000_NS6detail17trampoline_kernelINS0_14default_configENS1_25partition_config_selectorILNS1_17partition_subalgoE8EtNS0_10empty_typeEbEEZZNS1_14partition_implILS5_8ELb0ES3_jN6thrust23THRUST_200600_302600_NS6detail15normal_iteratorINSA_10device_ptrItEEEEPS6_PKS6_NS0_5tupleIJNSA_16discard_iteratorINSA_11use_defaultEEES6_EEENSJ_IJSG_SG_EEENS0_18inequality_wrapperINSA_8equal_toItEEEEPmJS6_EEE10hipError_tPvRmT3_T4_T5_T6_T7_T9_mT8_P12ihipStream_tbDpT10_ENKUlT_T0_E_clISt17integral_constantIbLb1EES1C_IbLb0EEEEDaS18_S19_EUlS18_E_NS1_11comp_targetILNS1_3genE4ELNS1_11target_archE910ELNS1_3gpuE8ELNS1_3repE0EEENS1_30default_config_static_selectorELNS0_4arch9wavefront6targetE1EEEvT1_, .Lfunc_end615-_ZN7rocprim17ROCPRIM_400000_NS6detail17trampoline_kernelINS0_14default_configENS1_25partition_config_selectorILNS1_17partition_subalgoE8EtNS0_10empty_typeEbEEZZNS1_14partition_implILS5_8ELb0ES3_jN6thrust23THRUST_200600_302600_NS6detail15normal_iteratorINSA_10device_ptrItEEEEPS6_PKS6_NS0_5tupleIJNSA_16discard_iteratorINSA_11use_defaultEEES6_EEENSJ_IJSG_SG_EEENS0_18inequality_wrapperINSA_8equal_toItEEEEPmJS6_EEE10hipError_tPvRmT3_T4_T5_T6_T7_T9_mT8_P12ihipStream_tbDpT10_ENKUlT_T0_E_clISt17integral_constantIbLb1EES1C_IbLb0EEEEDaS18_S19_EUlS18_E_NS1_11comp_targetILNS1_3genE4ELNS1_11target_archE910ELNS1_3gpuE8ELNS1_3repE0EEENS1_30default_config_static_selectorELNS0_4arch9wavefront6targetE1EEEvT1_
                                        ; -- End function
	.set _ZN7rocprim17ROCPRIM_400000_NS6detail17trampoline_kernelINS0_14default_configENS1_25partition_config_selectorILNS1_17partition_subalgoE8EtNS0_10empty_typeEbEEZZNS1_14partition_implILS5_8ELb0ES3_jN6thrust23THRUST_200600_302600_NS6detail15normal_iteratorINSA_10device_ptrItEEEEPS6_PKS6_NS0_5tupleIJNSA_16discard_iteratorINSA_11use_defaultEEES6_EEENSJ_IJSG_SG_EEENS0_18inequality_wrapperINSA_8equal_toItEEEEPmJS6_EEE10hipError_tPvRmT3_T4_T5_T6_T7_T9_mT8_P12ihipStream_tbDpT10_ENKUlT_T0_E_clISt17integral_constantIbLb1EES1C_IbLb0EEEEDaS18_S19_EUlS18_E_NS1_11comp_targetILNS1_3genE4ELNS1_11target_archE910ELNS1_3gpuE8ELNS1_3repE0EEENS1_30default_config_static_selectorELNS0_4arch9wavefront6targetE1EEEvT1_.num_vgpr, 0
	.set _ZN7rocprim17ROCPRIM_400000_NS6detail17trampoline_kernelINS0_14default_configENS1_25partition_config_selectorILNS1_17partition_subalgoE8EtNS0_10empty_typeEbEEZZNS1_14partition_implILS5_8ELb0ES3_jN6thrust23THRUST_200600_302600_NS6detail15normal_iteratorINSA_10device_ptrItEEEEPS6_PKS6_NS0_5tupleIJNSA_16discard_iteratorINSA_11use_defaultEEES6_EEENSJ_IJSG_SG_EEENS0_18inequality_wrapperINSA_8equal_toItEEEEPmJS6_EEE10hipError_tPvRmT3_T4_T5_T6_T7_T9_mT8_P12ihipStream_tbDpT10_ENKUlT_T0_E_clISt17integral_constantIbLb1EES1C_IbLb0EEEEDaS18_S19_EUlS18_E_NS1_11comp_targetILNS1_3genE4ELNS1_11target_archE910ELNS1_3gpuE8ELNS1_3repE0EEENS1_30default_config_static_selectorELNS0_4arch9wavefront6targetE1EEEvT1_.num_agpr, 0
	.set _ZN7rocprim17ROCPRIM_400000_NS6detail17trampoline_kernelINS0_14default_configENS1_25partition_config_selectorILNS1_17partition_subalgoE8EtNS0_10empty_typeEbEEZZNS1_14partition_implILS5_8ELb0ES3_jN6thrust23THRUST_200600_302600_NS6detail15normal_iteratorINSA_10device_ptrItEEEEPS6_PKS6_NS0_5tupleIJNSA_16discard_iteratorINSA_11use_defaultEEES6_EEENSJ_IJSG_SG_EEENS0_18inequality_wrapperINSA_8equal_toItEEEEPmJS6_EEE10hipError_tPvRmT3_T4_T5_T6_T7_T9_mT8_P12ihipStream_tbDpT10_ENKUlT_T0_E_clISt17integral_constantIbLb1EES1C_IbLb0EEEEDaS18_S19_EUlS18_E_NS1_11comp_targetILNS1_3genE4ELNS1_11target_archE910ELNS1_3gpuE8ELNS1_3repE0EEENS1_30default_config_static_selectorELNS0_4arch9wavefront6targetE1EEEvT1_.numbered_sgpr, 0
	.set _ZN7rocprim17ROCPRIM_400000_NS6detail17trampoline_kernelINS0_14default_configENS1_25partition_config_selectorILNS1_17partition_subalgoE8EtNS0_10empty_typeEbEEZZNS1_14partition_implILS5_8ELb0ES3_jN6thrust23THRUST_200600_302600_NS6detail15normal_iteratorINSA_10device_ptrItEEEEPS6_PKS6_NS0_5tupleIJNSA_16discard_iteratorINSA_11use_defaultEEES6_EEENSJ_IJSG_SG_EEENS0_18inequality_wrapperINSA_8equal_toItEEEEPmJS6_EEE10hipError_tPvRmT3_T4_T5_T6_T7_T9_mT8_P12ihipStream_tbDpT10_ENKUlT_T0_E_clISt17integral_constantIbLb1EES1C_IbLb0EEEEDaS18_S19_EUlS18_E_NS1_11comp_targetILNS1_3genE4ELNS1_11target_archE910ELNS1_3gpuE8ELNS1_3repE0EEENS1_30default_config_static_selectorELNS0_4arch9wavefront6targetE1EEEvT1_.num_named_barrier, 0
	.set _ZN7rocprim17ROCPRIM_400000_NS6detail17trampoline_kernelINS0_14default_configENS1_25partition_config_selectorILNS1_17partition_subalgoE8EtNS0_10empty_typeEbEEZZNS1_14partition_implILS5_8ELb0ES3_jN6thrust23THRUST_200600_302600_NS6detail15normal_iteratorINSA_10device_ptrItEEEEPS6_PKS6_NS0_5tupleIJNSA_16discard_iteratorINSA_11use_defaultEEES6_EEENSJ_IJSG_SG_EEENS0_18inequality_wrapperINSA_8equal_toItEEEEPmJS6_EEE10hipError_tPvRmT3_T4_T5_T6_T7_T9_mT8_P12ihipStream_tbDpT10_ENKUlT_T0_E_clISt17integral_constantIbLb1EES1C_IbLb0EEEEDaS18_S19_EUlS18_E_NS1_11comp_targetILNS1_3genE4ELNS1_11target_archE910ELNS1_3gpuE8ELNS1_3repE0EEENS1_30default_config_static_selectorELNS0_4arch9wavefront6targetE1EEEvT1_.private_seg_size, 0
	.set _ZN7rocprim17ROCPRIM_400000_NS6detail17trampoline_kernelINS0_14default_configENS1_25partition_config_selectorILNS1_17partition_subalgoE8EtNS0_10empty_typeEbEEZZNS1_14partition_implILS5_8ELb0ES3_jN6thrust23THRUST_200600_302600_NS6detail15normal_iteratorINSA_10device_ptrItEEEEPS6_PKS6_NS0_5tupleIJNSA_16discard_iteratorINSA_11use_defaultEEES6_EEENSJ_IJSG_SG_EEENS0_18inequality_wrapperINSA_8equal_toItEEEEPmJS6_EEE10hipError_tPvRmT3_T4_T5_T6_T7_T9_mT8_P12ihipStream_tbDpT10_ENKUlT_T0_E_clISt17integral_constantIbLb1EES1C_IbLb0EEEEDaS18_S19_EUlS18_E_NS1_11comp_targetILNS1_3genE4ELNS1_11target_archE910ELNS1_3gpuE8ELNS1_3repE0EEENS1_30default_config_static_selectorELNS0_4arch9wavefront6targetE1EEEvT1_.uses_vcc, 0
	.set _ZN7rocprim17ROCPRIM_400000_NS6detail17trampoline_kernelINS0_14default_configENS1_25partition_config_selectorILNS1_17partition_subalgoE8EtNS0_10empty_typeEbEEZZNS1_14partition_implILS5_8ELb0ES3_jN6thrust23THRUST_200600_302600_NS6detail15normal_iteratorINSA_10device_ptrItEEEEPS6_PKS6_NS0_5tupleIJNSA_16discard_iteratorINSA_11use_defaultEEES6_EEENSJ_IJSG_SG_EEENS0_18inequality_wrapperINSA_8equal_toItEEEEPmJS6_EEE10hipError_tPvRmT3_T4_T5_T6_T7_T9_mT8_P12ihipStream_tbDpT10_ENKUlT_T0_E_clISt17integral_constantIbLb1EES1C_IbLb0EEEEDaS18_S19_EUlS18_E_NS1_11comp_targetILNS1_3genE4ELNS1_11target_archE910ELNS1_3gpuE8ELNS1_3repE0EEENS1_30default_config_static_selectorELNS0_4arch9wavefront6targetE1EEEvT1_.uses_flat_scratch, 0
	.set _ZN7rocprim17ROCPRIM_400000_NS6detail17trampoline_kernelINS0_14default_configENS1_25partition_config_selectorILNS1_17partition_subalgoE8EtNS0_10empty_typeEbEEZZNS1_14partition_implILS5_8ELb0ES3_jN6thrust23THRUST_200600_302600_NS6detail15normal_iteratorINSA_10device_ptrItEEEEPS6_PKS6_NS0_5tupleIJNSA_16discard_iteratorINSA_11use_defaultEEES6_EEENSJ_IJSG_SG_EEENS0_18inequality_wrapperINSA_8equal_toItEEEEPmJS6_EEE10hipError_tPvRmT3_T4_T5_T6_T7_T9_mT8_P12ihipStream_tbDpT10_ENKUlT_T0_E_clISt17integral_constantIbLb1EES1C_IbLb0EEEEDaS18_S19_EUlS18_E_NS1_11comp_targetILNS1_3genE4ELNS1_11target_archE910ELNS1_3gpuE8ELNS1_3repE0EEENS1_30default_config_static_selectorELNS0_4arch9wavefront6targetE1EEEvT1_.has_dyn_sized_stack, 0
	.set _ZN7rocprim17ROCPRIM_400000_NS6detail17trampoline_kernelINS0_14default_configENS1_25partition_config_selectorILNS1_17partition_subalgoE8EtNS0_10empty_typeEbEEZZNS1_14partition_implILS5_8ELb0ES3_jN6thrust23THRUST_200600_302600_NS6detail15normal_iteratorINSA_10device_ptrItEEEEPS6_PKS6_NS0_5tupleIJNSA_16discard_iteratorINSA_11use_defaultEEES6_EEENSJ_IJSG_SG_EEENS0_18inequality_wrapperINSA_8equal_toItEEEEPmJS6_EEE10hipError_tPvRmT3_T4_T5_T6_T7_T9_mT8_P12ihipStream_tbDpT10_ENKUlT_T0_E_clISt17integral_constantIbLb1EES1C_IbLb0EEEEDaS18_S19_EUlS18_E_NS1_11comp_targetILNS1_3genE4ELNS1_11target_archE910ELNS1_3gpuE8ELNS1_3repE0EEENS1_30default_config_static_selectorELNS0_4arch9wavefront6targetE1EEEvT1_.has_recursion, 0
	.set _ZN7rocprim17ROCPRIM_400000_NS6detail17trampoline_kernelINS0_14default_configENS1_25partition_config_selectorILNS1_17partition_subalgoE8EtNS0_10empty_typeEbEEZZNS1_14partition_implILS5_8ELb0ES3_jN6thrust23THRUST_200600_302600_NS6detail15normal_iteratorINSA_10device_ptrItEEEEPS6_PKS6_NS0_5tupleIJNSA_16discard_iteratorINSA_11use_defaultEEES6_EEENSJ_IJSG_SG_EEENS0_18inequality_wrapperINSA_8equal_toItEEEEPmJS6_EEE10hipError_tPvRmT3_T4_T5_T6_T7_T9_mT8_P12ihipStream_tbDpT10_ENKUlT_T0_E_clISt17integral_constantIbLb1EES1C_IbLb0EEEEDaS18_S19_EUlS18_E_NS1_11comp_targetILNS1_3genE4ELNS1_11target_archE910ELNS1_3gpuE8ELNS1_3repE0EEENS1_30default_config_static_selectorELNS0_4arch9wavefront6targetE1EEEvT1_.has_indirect_call, 0
	.section	.AMDGPU.csdata,"",@progbits
; Kernel info:
; codeLenInByte = 0
; TotalNumSgprs: 4
; NumVgprs: 0
; ScratchSize: 0
; MemoryBound: 0
; FloatMode: 240
; IeeeMode: 1
; LDSByteSize: 0 bytes/workgroup (compile time only)
; SGPRBlocks: 0
; VGPRBlocks: 0
; NumSGPRsForWavesPerEU: 4
; NumVGPRsForWavesPerEU: 1
; Occupancy: 10
; WaveLimiterHint : 0
; COMPUTE_PGM_RSRC2:SCRATCH_EN: 0
; COMPUTE_PGM_RSRC2:USER_SGPR: 6
; COMPUTE_PGM_RSRC2:TRAP_HANDLER: 0
; COMPUTE_PGM_RSRC2:TGID_X_EN: 1
; COMPUTE_PGM_RSRC2:TGID_Y_EN: 0
; COMPUTE_PGM_RSRC2:TGID_Z_EN: 0
; COMPUTE_PGM_RSRC2:TIDIG_COMP_CNT: 0
	.section	.text._ZN7rocprim17ROCPRIM_400000_NS6detail17trampoline_kernelINS0_14default_configENS1_25partition_config_selectorILNS1_17partition_subalgoE8EtNS0_10empty_typeEbEEZZNS1_14partition_implILS5_8ELb0ES3_jN6thrust23THRUST_200600_302600_NS6detail15normal_iteratorINSA_10device_ptrItEEEEPS6_PKS6_NS0_5tupleIJNSA_16discard_iteratorINSA_11use_defaultEEES6_EEENSJ_IJSG_SG_EEENS0_18inequality_wrapperINSA_8equal_toItEEEEPmJS6_EEE10hipError_tPvRmT3_T4_T5_T6_T7_T9_mT8_P12ihipStream_tbDpT10_ENKUlT_T0_E_clISt17integral_constantIbLb1EES1C_IbLb0EEEEDaS18_S19_EUlS18_E_NS1_11comp_targetILNS1_3genE3ELNS1_11target_archE908ELNS1_3gpuE7ELNS1_3repE0EEENS1_30default_config_static_selectorELNS0_4arch9wavefront6targetE1EEEvT1_,"axG",@progbits,_ZN7rocprim17ROCPRIM_400000_NS6detail17trampoline_kernelINS0_14default_configENS1_25partition_config_selectorILNS1_17partition_subalgoE8EtNS0_10empty_typeEbEEZZNS1_14partition_implILS5_8ELb0ES3_jN6thrust23THRUST_200600_302600_NS6detail15normal_iteratorINSA_10device_ptrItEEEEPS6_PKS6_NS0_5tupleIJNSA_16discard_iteratorINSA_11use_defaultEEES6_EEENSJ_IJSG_SG_EEENS0_18inequality_wrapperINSA_8equal_toItEEEEPmJS6_EEE10hipError_tPvRmT3_T4_T5_T6_T7_T9_mT8_P12ihipStream_tbDpT10_ENKUlT_T0_E_clISt17integral_constantIbLb1EES1C_IbLb0EEEEDaS18_S19_EUlS18_E_NS1_11comp_targetILNS1_3genE3ELNS1_11target_archE908ELNS1_3gpuE7ELNS1_3repE0EEENS1_30default_config_static_selectorELNS0_4arch9wavefront6targetE1EEEvT1_,comdat
	.protected	_ZN7rocprim17ROCPRIM_400000_NS6detail17trampoline_kernelINS0_14default_configENS1_25partition_config_selectorILNS1_17partition_subalgoE8EtNS0_10empty_typeEbEEZZNS1_14partition_implILS5_8ELb0ES3_jN6thrust23THRUST_200600_302600_NS6detail15normal_iteratorINSA_10device_ptrItEEEEPS6_PKS6_NS0_5tupleIJNSA_16discard_iteratorINSA_11use_defaultEEES6_EEENSJ_IJSG_SG_EEENS0_18inequality_wrapperINSA_8equal_toItEEEEPmJS6_EEE10hipError_tPvRmT3_T4_T5_T6_T7_T9_mT8_P12ihipStream_tbDpT10_ENKUlT_T0_E_clISt17integral_constantIbLb1EES1C_IbLb0EEEEDaS18_S19_EUlS18_E_NS1_11comp_targetILNS1_3genE3ELNS1_11target_archE908ELNS1_3gpuE7ELNS1_3repE0EEENS1_30default_config_static_selectorELNS0_4arch9wavefront6targetE1EEEvT1_ ; -- Begin function _ZN7rocprim17ROCPRIM_400000_NS6detail17trampoline_kernelINS0_14default_configENS1_25partition_config_selectorILNS1_17partition_subalgoE8EtNS0_10empty_typeEbEEZZNS1_14partition_implILS5_8ELb0ES3_jN6thrust23THRUST_200600_302600_NS6detail15normal_iteratorINSA_10device_ptrItEEEEPS6_PKS6_NS0_5tupleIJNSA_16discard_iteratorINSA_11use_defaultEEES6_EEENSJ_IJSG_SG_EEENS0_18inequality_wrapperINSA_8equal_toItEEEEPmJS6_EEE10hipError_tPvRmT3_T4_T5_T6_T7_T9_mT8_P12ihipStream_tbDpT10_ENKUlT_T0_E_clISt17integral_constantIbLb1EES1C_IbLb0EEEEDaS18_S19_EUlS18_E_NS1_11comp_targetILNS1_3genE3ELNS1_11target_archE908ELNS1_3gpuE7ELNS1_3repE0EEENS1_30default_config_static_selectorELNS0_4arch9wavefront6targetE1EEEvT1_
	.globl	_ZN7rocprim17ROCPRIM_400000_NS6detail17trampoline_kernelINS0_14default_configENS1_25partition_config_selectorILNS1_17partition_subalgoE8EtNS0_10empty_typeEbEEZZNS1_14partition_implILS5_8ELb0ES3_jN6thrust23THRUST_200600_302600_NS6detail15normal_iteratorINSA_10device_ptrItEEEEPS6_PKS6_NS0_5tupleIJNSA_16discard_iteratorINSA_11use_defaultEEES6_EEENSJ_IJSG_SG_EEENS0_18inequality_wrapperINSA_8equal_toItEEEEPmJS6_EEE10hipError_tPvRmT3_T4_T5_T6_T7_T9_mT8_P12ihipStream_tbDpT10_ENKUlT_T0_E_clISt17integral_constantIbLb1EES1C_IbLb0EEEEDaS18_S19_EUlS18_E_NS1_11comp_targetILNS1_3genE3ELNS1_11target_archE908ELNS1_3gpuE7ELNS1_3repE0EEENS1_30default_config_static_selectorELNS0_4arch9wavefront6targetE1EEEvT1_
	.p2align	8
	.type	_ZN7rocprim17ROCPRIM_400000_NS6detail17trampoline_kernelINS0_14default_configENS1_25partition_config_selectorILNS1_17partition_subalgoE8EtNS0_10empty_typeEbEEZZNS1_14partition_implILS5_8ELb0ES3_jN6thrust23THRUST_200600_302600_NS6detail15normal_iteratorINSA_10device_ptrItEEEEPS6_PKS6_NS0_5tupleIJNSA_16discard_iteratorINSA_11use_defaultEEES6_EEENSJ_IJSG_SG_EEENS0_18inequality_wrapperINSA_8equal_toItEEEEPmJS6_EEE10hipError_tPvRmT3_T4_T5_T6_T7_T9_mT8_P12ihipStream_tbDpT10_ENKUlT_T0_E_clISt17integral_constantIbLb1EES1C_IbLb0EEEEDaS18_S19_EUlS18_E_NS1_11comp_targetILNS1_3genE3ELNS1_11target_archE908ELNS1_3gpuE7ELNS1_3repE0EEENS1_30default_config_static_selectorELNS0_4arch9wavefront6targetE1EEEvT1_,@function
_ZN7rocprim17ROCPRIM_400000_NS6detail17trampoline_kernelINS0_14default_configENS1_25partition_config_selectorILNS1_17partition_subalgoE8EtNS0_10empty_typeEbEEZZNS1_14partition_implILS5_8ELb0ES3_jN6thrust23THRUST_200600_302600_NS6detail15normal_iteratorINSA_10device_ptrItEEEEPS6_PKS6_NS0_5tupleIJNSA_16discard_iteratorINSA_11use_defaultEEES6_EEENSJ_IJSG_SG_EEENS0_18inequality_wrapperINSA_8equal_toItEEEEPmJS6_EEE10hipError_tPvRmT3_T4_T5_T6_T7_T9_mT8_P12ihipStream_tbDpT10_ENKUlT_T0_E_clISt17integral_constantIbLb1EES1C_IbLb0EEEEDaS18_S19_EUlS18_E_NS1_11comp_targetILNS1_3genE3ELNS1_11target_archE908ELNS1_3gpuE7ELNS1_3repE0EEENS1_30default_config_static_selectorELNS0_4arch9wavefront6targetE1EEEvT1_: ; @_ZN7rocprim17ROCPRIM_400000_NS6detail17trampoline_kernelINS0_14default_configENS1_25partition_config_selectorILNS1_17partition_subalgoE8EtNS0_10empty_typeEbEEZZNS1_14partition_implILS5_8ELb0ES3_jN6thrust23THRUST_200600_302600_NS6detail15normal_iteratorINSA_10device_ptrItEEEEPS6_PKS6_NS0_5tupleIJNSA_16discard_iteratorINSA_11use_defaultEEES6_EEENSJ_IJSG_SG_EEENS0_18inequality_wrapperINSA_8equal_toItEEEEPmJS6_EEE10hipError_tPvRmT3_T4_T5_T6_T7_T9_mT8_P12ihipStream_tbDpT10_ENKUlT_T0_E_clISt17integral_constantIbLb1EES1C_IbLb0EEEEDaS18_S19_EUlS18_E_NS1_11comp_targetILNS1_3genE3ELNS1_11target_archE908ELNS1_3gpuE7ELNS1_3repE0EEENS1_30default_config_static_selectorELNS0_4arch9wavefront6targetE1EEEvT1_
; %bb.0:
	.section	.rodata,"a",@progbits
	.p2align	6, 0x0
	.amdhsa_kernel _ZN7rocprim17ROCPRIM_400000_NS6detail17trampoline_kernelINS0_14default_configENS1_25partition_config_selectorILNS1_17partition_subalgoE8EtNS0_10empty_typeEbEEZZNS1_14partition_implILS5_8ELb0ES3_jN6thrust23THRUST_200600_302600_NS6detail15normal_iteratorINSA_10device_ptrItEEEEPS6_PKS6_NS0_5tupleIJNSA_16discard_iteratorINSA_11use_defaultEEES6_EEENSJ_IJSG_SG_EEENS0_18inequality_wrapperINSA_8equal_toItEEEEPmJS6_EEE10hipError_tPvRmT3_T4_T5_T6_T7_T9_mT8_P12ihipStream_tbDpT10_ENKUlT_T0_E_clISt17integral_constantIbLb1EES1C_IbLb0EEEEDaS18_S19_EUlS18_E_NS1_11comp_targetILNS1_3genE3ELNS1_11target_archE908ELNS1_3gpuE7ELNS1_3repE0EEENS1_30default_config_static_selectorELNS0_4arch9wavefront6targetE1EEEvT1_
		.amdhsa_group_segment_fixed_size 0
		.amdhsa_private_segment_fixed_size 0
		.amdhsa_kernarg_size 120
		.amdhsa_user_sgpr_count 6
		.amdhsa_user_sgpr_private_segment_buffer 1
		.amdhsa_user_sgpr_dispatch_ptr 0
		.amdhsa_user_sgpr_queue_ptr 0
		.amdhsa_user_sgpr_kernarg_segment_ptr 1
		.amdhsa_user_sgpr_dispatch_id 0
		.amdhsa_user_sgpr_flat_scratch_init 0
		.amdhsa_user_sgpr_private_segment_size 0
		.amdhsa_uses_dynamic_stack 0
		.amdhsa_system_sgpr_private_segment_wavefront_offset 0
		.amdhsa_system_sgpr_workgroup_id_x 1
		.amdhsa_system_sgpr_workgroup_id_y 0
		.amdhsa_system_sgpr_workgroup_id_z 0
		.amdhsa_system_sgpr_workgroup_info 0
		.amdhsa_system_vgpr_workitem_id 0
		.amdhsa_next_free_vgpr 1
		.amdhsa_next_free_sgpr 0
		.amdhsa_reserve_vcc 0
		.amdhsa_reserve_flat_scratch 0
		.amdhsa_float_round_mode_32 0
		.amdhsa_float_round_mode_16_64 0
		.amdhsa_float_denorm_mode_32 3
		.amdhsa_float_denorm_mode_16_64 3
		.amdhsa_dx10_clamp 1
		.amdhsa_ieee_mode 1
		.amdhsa_fp16_overflow 0
		.amdhsa_exception_fp_ieee_invalid_op 0
		.amdhsa_exception_fp_denorm_src 0
		.amdhsa_exception_fp_ieee_div_zero 0
		.amdhsa_exception_fp_ieee_overflow 0
		.amdhsa_exception_fp_ieee_underflow 0
		.amdhsa_exception_fp_ieee_inexact 0
		.amdhsa_exception_int_div_zero 0
	.end_amdhsa_kernel
	.section	.text._ZN7rocprim17ROCPRIM_400000_NS6detail17trampoline_kernelINS0_14default_configENS1_25partition_config_selectorILNS1_17partition_subalgoE8EtNS0_10empty_typeEbEEZZNS1_14partition_implILS5_8ELb0ES3_jN6thrust23THRUST_200600_302600_NS6detail15normal_iteratorINSA_10device_ptrItEEEEPS6_PKS6_NS0_5tupleIJNSA_16discard_iteratorINSA_11use_defaultEEES6_EEENSJ_IJSG_SG_EEENS0_18inequality_wrapperINSA_8equal_toItEEEEPmJS6_EEE10hipError_tPvRmT3_T4_T5_T6_T7_T9_mT8_P12ihipStream_tbDpT10_ENKUlT_T0_E_clISt17integral_constantIbLb1EES1C_IbLb0EEEEDaS18_S19_EUlS18_E_NS1_11comp_targetILNS1_3genE3ELNS1_11target_archE908ELNS1_3gpuE7ELNS1_3repE0EEENS1_30default_config_static_selectorELNS0_4arch9wavefront6targetE1EEEvT1_,"axG",@progbits,_ZN7rocprim17ROCPRIM_400000_NS6detail17trampoline_kernelINS0_14default_configENS1_25partition_config_selectorILNS1_17partition_subalgoE8EtNS0_10empty_typeEbEEZZNS1_14partition_implILS5_8ELb0ES3_jN6thrust23THRUST_200600_302600_NS6detail15normal_iteratorINSA_10device_ptrItEEEEPS6_PKS6_NS0_5tupleIJNSA_16discard_iteratorINSA_11use_defaultEEES6_EEENSJ_IJSG_SG_EEENS0_18inequality_wrapperINSA_8equal_toItEEEEPmJS6_EEE10hipError_tPvRmT3_T4_T5_T6_T7_T9_mT8_P12ihipStream_tbDpT10_ENKUlT_T0_E_clISt17integral_constantIbLb1EES1C_IbLb0EEEEDaS18_S19_EUlS18_E_NS1_11comp_targetILNS1_3genE3ELNS1_11target_archE908ELNS1_3gpuE7ELNS1_3repE0EEENS1_30default_config_static_selectorELNS0_4arch9wavefront6targetE1EEEvT1_,comdat
.Lfunc_end616:
	.size	_ZN7rocprim17ROCPRIM_400000_NS6detail17trampoline_kernelINS0_14default_configENS1_25partition_config_selectorILNS1_17partition_subalgoE8EtNS0_10empty_typeEbEEZZNS1_14partition_implILS5_8ELb0ES3_jN6thrust23THRUST_200600_302600_NS6detail15normal_iteratorINSA_10device_ptrItEEEEPS6_PKS6_NS0_5tupleIJNSA_16discard_iteratorINSA_11use_defaultEEES6_EEENSJ_IJSG_SG_EEENS0_18inequality_wrapperINSA_8equal_toItEEEEPmJS6_EEE10hipError_tPvRmT3_T4_T5_T6_T7_T9_mT8_P12ihipStream_tbDpT10_ENKUlT_T0_E_clISt17integral_constantIbLb1EES1C_IbLb0EEEEDaS18_S19_EUlS18_E_NS1_11comp_targetILNS1_3genE3ELNS1_11target_archE908ELNS1_3gpuE7ELNS1_3repE0EEENS1_30default_config_static_selectorELNS0_4arch9wavefront6targetE1EEEvT1_, .Lfunc_end616-_ZN7rocprim17ROCPRIM_400000_NS6detail17trampoline_kernelINS0_14default_configENS1_25partition_config_selectorILNS1_17partition_subalgoE8EtNS0_10empty_typeEbEEZZNS1_14partition_implILS5_8ELb0ES3_jN6thrust23THRUST_200600_302600_NS6detail15normal_iteratorINSA_10device_ptrItEEEEPS6_PKS6_NS0_5tupleIJNSA_16discard_iteratorINSA_11use_defaultEEES6_EEENSJ_IJSG_SG_EEENS0_18inequality_wrapperINSA_8equal_toItEEEEPmJS6_EEE10hipError_tPvRmT3_T4_T5_T6_T7_T9_mT8_P12ihipStream_tbDpT10_ENKUlT_T0_E_clISt17integral_constantIbLb1EES1C_IbLb0EEEEDaS18_S19_EUlS18_E_NS1_11comp_targetILNS1_3genE3ELNS1_11target_archE908ELNS1_3gpuE7ELNS1_3repE0EEENS1_30default_config_static_selectorELNS0_4arch9wavefront6targetE1EEEvT1_
                                        ; -- End function
	.set _ZN7rocprim17ROCPRIM_400000_NS6detail17trampoline_kernelINS0_14default_configENS1_25partition_config_selectorILNS1_17partition_subalgoE8EtNS0_10empty_typeEbEEZZNS1_14partition_implILS5_8ELb0ES3_jN6thrust23THRUST_200600_302600_NS6detail15normal_iteratorINSA_10device_ptrItEEEEPS6_PKS6_NS0_5tupleIJNSA_16discard_iteratorINSA_11use_defaultEEES6_EEENSJ_IJSG_SG_EEENS0_18inequality_wrapperINSA_8equal_toItEEEEPmJS6_EEE10hipError_tPvRmT3_T4_T5_T6_T7_T9_mT8_P12ihipStream_tbDpT10_ENKUlT_T0_E_clISt17integral_constantIbLb1EES1C_IbLb0EEEEDaS18_S19_EUlS18_E_NS1_11comp_targetILNS1_3genE3ELNS1_11target_archE908ELNS1_3gpuE7ELNS1_3repE0EEENS1_30default_config_static_selectorELNS0_4arch9wavefront6targetE1EEEvT1_.num_vgpr, 0
	.set _ZN7rocprim17ROCPRIM_400000_NS6detail17trampoline_kernelINS0_14default_configENS1_25partition_config_selectorILNS1_17partition_subalgoE8EtNS0_10empty_typeEbEEZZNS1_14partition_implILS5_8ELb0ES3_jN6thrust23THRUST_200600_302600_NS6detail15normal_iteratorINSA_10device_ptrItEEEEPS6_PKS6_NS0_5tupleIJNSA_16discard_iteratorINSA_11use_defaultEEES6_EEENSJ_IJSG_SG_EEENS0_18inequality_wrapperINSA_8equal_toItEEEEPmJS6_EEE10hipError_tPvRmT3_T4_T5_T6_T7_T9_mT8_P12ihipStream_tbDpT10_ENKUlT_T0_E_clISt17integral_constantIbLb1EES1C_IbLb0EEEEDaS18_S19_EUlS18_E_NS1_11comp_targetILNS1_3genE3ELNS1_11target_archE908ELNS1_3gpuE7ELNS1_3repE0EEENS1_30default_config_static_selectorELNS0_4arch9wavefront6targetE1EEEvT1_.num_agpr, 0
	.set _ZN7rocprim17ROCPRIM_400000_NS6detail17trampoline_kernelINS0_14default_configENS1_25partition_config_selectorILNS1_17partition_subalgoE8EtNS0_10empty_typeEbEEZZNS1_14partition_implILS5_8ELb0ES3_jN6thrust23THRUST_200600_302600_NS6detail15normal_iteratorINSA_10device_ptrItEEEEPS6_PKS6_NS0_5tupleIJNSA_16discard_iteratorINSA_11use_defaultEEES6_EEENSJ_IJSG_SG_EEENS0_18inequality_wrapperINSA_8equal_toItEEEEPmJS6_EEE10hipError_tPvRmT3_T4_T5_T6_T7_T9_mT8_P12ihipStream_tbDpT10_ENKUlT_T0_E_clISt17integral_constantIbLb1EES1C_IbLb0EEEEDaS18_S19_EUlS18_E_NS1_11comp_targetILNS1_3genE3ELNS1_11target_archE908ELNS1_3gpuE7ELNS1_3repE0EEENS1_30default_config_static_selectorELNS0_4arch9wavefront6targetE1EEEvT1_.numbered_sgpr, 0
	.set _ZN7rocprim17ROCPRIM_400000_NS6detail17trampoline_kernelINS0_14default_configENS1_25partition_config_selectorILNS1_17partition_subalgoE8EtNS0_10empty_typeEbEEZZNS1_14partition_implILS5_8ELb0ES3_jN6thrust23THRUST_200600_302600_NS6detail15normal_iteratorINSA_10device_ptrItEEEEPS6_PKS6_NS0_5tupleIJNSA_16discard_iteratorINSA_11use_defaultEEES6_EEENSJ_IJSG_SG_EEENS0_18inequality_wrapperINSA_8equal_toItEEEEPmJS6_EEE10hipError_tPvRmT3_T4_T5_T6_T7_T9_mT8_P12ihipStream_tbDpT10_ENKUlT_T0_E_clISt17integral_constantIbLb1EES1C_IbLb0EEEEDaS18_S19_EUlS18_E_NS1_11comp_targetILNS1_3genE3ELNS1_11target_archE908ELNS1_3gpuE7ELNS1_3repE0EEENS1_30default_config_static_selectorELNS0_4arch9wavefront6targetE1EEEvT1_.num_named_barrier, 0
	.set _ZN7rocprim17ROCPRIM_400000_NS6detail17trampoline_kernelINS0_14default_configENS1_25partition_config_selectorILNS1_17partition_subalgoE8EtNS0_10empty_typeEbEEZZNS1_14partition_implILS5_8ELb0ES3_jN6thrust23THRUST_200600_302600_NS6detail15normal_iteratorINSA_10device_ptrItEEEEPS6_PKS6_NS0_5tupleIJNSA_16discard_iteratorINSA_11use_defaultEEES6_EEENSJ_IJSG_SG_EEENS0_18inequality_wrapperINSA_8equal_toItEEEEPmJS6_EEE10hipError_tPvRmT3_T4_T5_T6_T7_T9_mT8_P12ihipStream_tbDpT10_ENKUlT_T0_E_clISt17integral_constantIbLb1EES1C_IbLb0EEEEDaS18_S19_EUlS18_E_NS1_11comp_targetILNS1_3genE3ELNS1_11target_archE908ELNS1_3gpuE7ELNS1_3repE0EEENS1_30default_config_static_selectorELNS0_4arch9wavefront6targetE1EEEvT1_.private_seg_size, 0
	.set _ZN7rocprim17ROCPRIM_400000_NS6detail17trampoline_kernelINS0_14default_configENS1_25partition_config_selectorILNS1_17partition_subalgoE8EtNS0_10empty_typeEbEEZZNS1_14partition_implILS5_8ELb0ES3_jN6thrust23THRUST_200600_302600_NS6detail15normal_iteratorINSA_10device_ptrItEEEEPS6_PKS6_NS0_5tupleIJNSA_16discard_iteratorINSA_11use_defaultEEES6_EEENSJ_IJSG_SG_EEENS0_18inequality_wrapperINSA_8equal_toItEEEEPmJS6_EEE10hipError_tPvRmT3_T4_T5_T6_T7_T9_mT8_P12ihipStream_tbDpT10_ENKUlT_T0_E_clISt17integral_constantIbLb1EES1C_IbLb0EEEEDaS18_S19_EUlS18_E_NS1_11comp_targetILNS1_3genE3ELNS1_11target_archE908ELNS1_3gpuE7ELNS1_3repE0EEENS1_30default_config_static_selectorELNS0_4arch9wavefront6targetE1EEEvT1_.uses_vcc, 0
	.set _ZN7rocprim17ROCPRIM_400000_NS6detail17trampoline_kernelINS0_14default_configENS1_25partition_config_selectorILNS1_17partition_subalgoE8EtNS0_10empty_typeEbEEZZNS1_14partition_implILS5_8ELb0ES3_jN6thrust23THRUST_200600_302600_NS6detail15normal_iteratorINSA_10device_ptrItEEEEPS6_PKS6_NS0_5tupleIJNSA_16discard_iteratorINSA_11use_defaultEEES6_EEENSJ_IJSG_SG_EEENS0_18inequality_wrapperINSA_8equal_toItEEEEPmJS6_EEE10hipError_tPvRmT3_T4_T5_T6_T7_T9_mT8_P12ihipStream_tbDpT10_ENKUlT_T0_E_clISt17integral_constantIbLb1EES1C_IbLb0EEEEDaS18_S19_EUlS18_E_NS1_11comp_targetILNS1_3genE3ELNS1_11target_archE908ELNS1_3gpuE7ELNS1_3repE0EEENS1_30default_config_static_selectorELNS0_4arch9wavefront6targetE1EEEvT1_.uses_flat_scratch, 0
	.set _ZN7rocprim17ROCPRIM_400000_NS6detail17trampoline_kernelINS0_14default_configENS1_25partition_config_selectorILNS1_17partition_subalgoE8EtNS0_10empty_typeEbEEZZNS1_14partition_implILS5_8ELb0ES3_jN6thrust23THRUST_200600_302600_NS6detail15normal_iteratorINSA_10device_ptrItEEEEPS6_PKS6_NS0_5tupleIJNSA_16discard_iteratorINSA_11use_defaultEEES6_EEENSJ_IJSG_SG_EEENS0_18inequality_wrapperINSA_8equal_toItEEEEPmJS6_EEE10hipError_tPvRmT3_T4_T5_T6_T7_T9_mT8_P12ihipStream_tbDpT10_ENKUlT_T0_E_clISt17integral_constantIbLb1EES1C_IbLb0EEEEDaS18_S19_EUlS18_E_NS1_11comp_targetILNS1_3genE3ELNS1_11target_archE908ELNS1_3gpuE7ELNS1_3repE0EEENS1_30default_config_static_selectorELNS0_4arch9wavefront6targetE1EEEvT1_.has_dyn_sized_stack, 0
	.set _ZN7rocprim17ROCPRIM_400000_NS6detail17trampoline_kernelINS0_14default_configENS1_25partition_config_selectorILNS1_17partition_subalgoE8EtNS0_10empty_typeEbEEZZNS1_14partition_implILS5_8ELb0ES3_jN6thrust23THRUST_200600_302600_NS6detail15normal_iteratorINSA_10device_ptrItEEEEPS6_PKS6_NS0_5tupleIJNSA_16discard_iteratorINSA_11use_defaultEEES6_EEENSJ_IJSG_SG_EEENS0_18inequality_wrapperINSA_8equal_toItEEEEPmJS6_EEE10hipError_tPvRmT3_T4_T5_T6_T7_T9_mT8_P12ihipStream_tbDpT10_ENKUlT_T0_E_clISt17integral_constantIbLb1EES1C_IbLb0EEEEDaS18_S19_EUlS18_E_NS1_11comp_targetILNS1_3genE3ELNS1_11target_archE908ELNS1_3gpuE7ELNS1_3repE0EEENS1_30default_config_static_selectorELNS0_4arch9wavefront6targetE1EEEvT1_.has_recursion, 0
	.set _ZN7rocprim17ROCPRIM_400000_NS6detail17trampoline_kernelINS0_14default_configENS1_25partition_config_selectorILNS1_17partition_subalgoE8EtNS0_10empty_typeEbEEZZNS1_14partition_implILS5_8ELb0ES3_jN6thrust23THRUST_200600_302600_NS6detail15normal_iteratorINSA_10device_ptrItEEEEPS6_PKS6_NS0_5tupleIJNSA_16discard_iteratorINSA_11use_defaultEEES6_EEENSJ_IJSG_SG_EEENS0_18inequality_wrapperINSA_8equal_toItEEEEPmJS6_EEE10hipError_tPvRmT3_T4_T5_T6_T7_T9_mT8_P12ihipStream_tbDpT10_ENKUlT_T0_E_clISt17integral_constantIbLb1EES1C_IbLb0EEEEDaS18_S19_EUlS18_E_NS1_11comp_targetILNS1_3genE3ELNS1_11target_archE908ELNS1_3gpuE7ELNS1_3repE0EEENS1_30default_config_static_selectorELNS0_4arch9wavefront6targetE1EEEvT1_.has_indirect_call, 0
	.section	.AMDGPU.csdata,"",@progbits
; Kernel info:
; codeLenInByte = 0
; TotalNumSgprs: 4
; NumVgprs: 0
; ScratchSize: 0
; MemoryBound: 0
; FloatMode: 240
; IeeeMode: 1
; LDSByteSize: 0 bytes/workgroup (compile time only)
; SGPRBlocks: 0
; VGPRBlocks: 0
; NumSGPRsForWavesPerEU: 4
; NumVGPRsForWavesPerEU: 1
; Occupancy: 10
; WaveLimiterHint : 0
; COMPUTE_PGM_RSRC2:SCRATCH_EN: 0
; COMPUTE_PGM_RSRC2:USER_SGPR: 6
; COMPUTE_PGM_RSRC2:TRAP_HANDLER: 0
; COMPUTE_PGM_RSRC2:TGID_X_EN: 1
; COMPUTE_PGM_RSRC2:TGID_Y_EN: 0
; COMPUTE_PGM_RSRC2:TGID_Z_EN: 0
; COMPUTE_PGM_RSRC2:TIDIG_COMP_CNT: 0
	.section	.text._ZN7rocprim17ROCPRIM_400000_NS6detail17trampoline_kernelINS0_14default_configENS1_25partition_config_selectorILNS1_17partition_subalgoE8EtNS0_10empty_typeEbEEZZNS1_14partition_implILS5_8ELb0ES3_jN6thrust23THRUST_200600_302600_NS6detail15normal_iteratorINSA_10device_ptrItEEEEPS6_PKS6_NS0_5tupleIJNSA_16discard_iteratorINSA_11use_defaultEEES6_EEENSJ_IJSG_SG_EEENS0_18inequality_wrapperINSA_8equal_toItEEEEPmJS6_EEE10hipError_tPvRmT3_T4_T5_T6_T7_T9_mT8_P12ihipStream_tbDpT10_ENKUlT_T0_E_clISt17integral_constantIbLb1EES1C_IbLb0EEEEDaS18_S19_EUlS18_E_NS1_11comp_targetILNS1_3genE2ELNS1_11target_archE906ELNS1_3gpuE6ELNS1_3repE0EEENS1_30default_config_static_selectorELNS0_4arch9wavefront6targetE1EEEvT1_,"axG",@progbits,_ZN7rocprim17ROCPRIM_400000_NS6detail17trampoline_kernelINS0_14default_configENS1_25partition_config_selectorILNS1_17partition_subalgoE8EtNS0_10empty_typeEbEEZZNS1_14partition_implILS5_8ELb0ES3_jN6thrust23THRUST_200600_302600_NS6detail15normal_iteratorINSA_10device_ptrItEEEEPS6_PKS6_NS0_5tupleIJNSA_16discard_iteratorINSA_11use_defaultEEES6_EEENSJ_IJSG_SG_EEENS0_18inequality_wrapperINSA_8equal_toItEEEEPmJS6_EEE10hipError_tPvRmT3_T4_T5_T6_T7_T9_mT8_P12ihipStream_tbDpT10_ENKUlT_T0_E_clISt17integral_constantIbLb1EES1C_IbLb0EEEEDaS18_S19_EUlS18_E_NS1_11comp_targetILNS1_3genE2ELNS1_11target_archE906ELNS1_3gpuE6ELNS1_3repE0EEENS1_30default_config_static_selectorELNS0_4arch9wavefront6targetE1EEEvT1_,comdat
	.protected	_ZN7rocprim17ROCPRIM_400000_NS6detail17trampoline_kernelINS0_14default_configENS1_25partition_config_selectorILNS1_17partition_subalgoE8EtNS0_10empty_typeEbEEZZNS1_14partition_implILS5_8ELb0ES3_jN6thrust23THRUST_200600_302600_NS6detail15normal_iteratorINSA_10device_ptrItEEEEPS6_PKS6_NS0_5tupleIJNSA_16discard_iteratorINSA_11use_defaultEEES6_EEENSJ_IJSG_SG_EEENS0_18inequality_wrapperINSA_8equal_toItEEEEPmJS6_EEE10hipError_tPvRmT3_T4_T5_T6_T7_T9_mT8_P12ihipStream_tbDpT10_ENKUlT_T0_E_clISt17integral_constantIbLb1EES1C_IbLb0EEEEDaS18_S19_EUlS18_E_NS1_11comp_targetILNS1_3genE2ELNS1_11target_archE906ELNS1_3gpuE6ELNS1_3repE0EEENS1_30default_config_static_selectorELNS0_4arch9wavefront6targetE1EEEvT1_ ; -- Begin function _ZN7rocprim17ROCPRIM_400000_NS6detail17trampoline_kernelINS0_14default_configENS1_25partition_config_selectorILNS1_17partition_subalgoE8EtNS0_10empty_typeEbEEZZNS1_14partition_implILS5_8ELb0ES3_jN6thrust23THRUST_200600_302600_NS6detail15normal_iteratorINSA_10device_ptrItEEEEPS6_PKS6_NS0_5tupleIJNSA_16discard_iteratorINSA_11use_defaultEEES6_EEENSJ_IJSG_SG_EEENS0_18inequality_wrapperINSA_8equal_toItEEEEPmJS6_EEE10hipError_tPvRmT3_T4_T5_T6_T7_T9_mT8_P12ihipStream_tbDpT10_ENKUlT_T0_E_clISt17integral_constantIbLb1EES1C_IbLb0EEEEDaS18_S19_EUlS18_E_NS1_11comp_targetILNS1_3genE2ELNS1_11target_archE906ELNS1_3gpuE6ELNS1_3repE0EEENS1_30default_config_static_selectorELNS0_4arch9wavefront6targetE1EEEvT1_
	.globl	_ZN7rocprim17ROCPRIM_400000_NS6detail17trampoline_kernelINS0_14default_configENS1_25partition_config_selectorILNS1_17partition_subalgoE8EtNS0_10empty_typeEbEEZZNS1_14partition_implILS5_8ELb0ES3_jN6thrust23THRUST_200600_302600_NS6detail15normal_iteratorINSA_10device_ptrItEEEEPS6_PKS6_NS0_5tupleIJNSA_16discard_iteratorINSA_11use_defaultEEES6_EEENSJ_IJSG_SG_EEENS0_18inequality_wrapperINSA_8equal_toItEEEEPmJS6_EEE10hipError_tPvRmT3_T4_T5_T6_T7_T9_mT8_P12ihipStream_tbDpT10_ENKUlT_T0_E_clISt17integral_constantIbLb1EES1C_IbLb0EEEEDaS18_S19_EUlS18_E_NS1_11comp_targetILNS1_3genE2ELNS1_11target_archE906ELNS1_3gpuE6ELNS1_3repE0EEENS1_30default_config_static_selectorELNS0_4arch9wavefront6targetE1EEEvT1_
	.p2align	8
	.type	_ZN7rocprim17ROCPRIM_400000_NS6detail17trampoline_kernelINS0_14default_configENS1_25partition_config_selectorILNS1_17partition_subalgoE8EtNS0_10empty_typeEbEEZZNS1_14partition_implILS5_8ELb0ES3_jN6thrust23THRUST_200600_302600_NS6detail15normal_iteratorINSA_10device_ptrItEEEEPS6_PKS6_NS0_5tupleIJNSA_16discard_iteratorINSA_11use_defaultEEES6_EEENSJ_IJSG_SG_EEENS0_18inequality_wrapperINSA_8equal_toItEEEEPmJS6_EEE10hipError_tPvRmT3_T4_T5_T6_T7_T9_mT8_P12ihipStream_tbDpT10_ENKUlT_T0_E_clISt17integral_constantIbLb1EES1C_IbLb0EEEEDaS18_S19_EUlS18_E_NS1_11comp_targetILNS1_3genE2ELNS1_11target_archE906ELNS1_3gpuE6ELNS1_3repE0EEENS1_30default_config_static_selectorELNS0_4arch9wavefront6targetE1EEEvT1_,@function
_ZN7rocprim17ROCPRIM_400000_NS6detail17trampoline_kernelINS0_14default_configENS1_25partition_config_selectorILNS1_17partition_subalgoE8EtNS0_10empty_typeEbEEZZNS1_14partition_implILS5_8ELb0ES3_jN6thrust23THRUST_200600_302600_NS6detail15normal_iteratorINSA_10device_ptrItEEEEPS6_PKS6_NS0_5tupleIJNSA_16discard_iteratorINSA_11use_defaultEEES6_EEENSJ_IJSG_SG_EEENS0_18inequality_wrapperINSA_8equal_toItEEEEPmJS6_EEE10hipError_tPvRmT3_T4_T5_T6_T7_T9_mT8_P12ihipStream_tbDpT10_ENKUlT_T0_E_clISt17integral_constantIbLb1EES1C_IbLb0EEEEDaS18_S19_EUlS18_E_NS1_11comp_targetILNS1_3genE2ELNS1_11target_archE906ELNS1_3gpuE6ELNS1_3repE0EEENS1_30default_config_static_selectorELNS0_4arch9wavefront6targetE1EEEvT1_: ; @_ZN7rocprim17ROCPRIM_400000_NS6detail17trampoline_kernelINS0_14default_configENS1_25partition_config_selectorILNS1_17partition_subalgoE8EtNS0_10empty_typeEbEEZZNS1_14partition_implILS5_8ELb0ES3_jN6thrust23THRUST_200600_302600_NS6detail15normal_iteratorINSA_10device_ptrItEEEEPS6_PKS6_NS0_5tupleIJNSA_16discard_iteratorINSA_11use_defaultEEES6_EEENSJ_IJSG_SG_EEENS0_18inequality_wrapperINSA_8equal_toItEEEEPmJS6_EEE10hipError_tPvRmT3_T4_T5_T6_T7_T9_mT8_P12ihipStream_tbDpT10_ENKUlT_T0_E_clISt17integral_constantIbLb1EES1C_IbLb0EEEEDaS18_S19_EUlS18_E_NS1_11comp_targetILNS1_3genE2ELNS1_11target_archE906ELNS1_3gpuE6ELNS1_3repE0EEENS1_30default_config_static_selectorELNS0_4arch9wavefront6targetE1EEEvT1_
; %bb.0:
	s_endpgm
	.section	.rodata,"a",@progbits
	.p2align	6, 0x0
	.amdhsa_kernel _ZN7rocprim17ROCPRIM_400000_NS6detail17trampoline_kernelINS0_14default_configENS1_25partition_config_selectorILNS1_17partition_subalgoE8EtNS0_10empty_typeEbEEZZNS1_14partition_implILS5_8ELb0ES3_jN6thrust23THRUST_200600_302600_NS6detail15normal_iteratorINSA_10device_ptrItEEEEPS6_PKS6_NS0_5tupleIJNSA_16discard_iteratorINSA_11use_defaultEEES6_EEENSJ_IJSG_SG_EEENS0_18inequality_wrapperINSA_8equal_toItEEEEPmJS6_EEE10hipError_tPvRmT3_T4_T5_T6_T7_T9_mT8_P12ihipStream_tbDpT10_ENKUlT_T0_E_clISt17integral_constantIbLb1EES1C_IbLb0EEEEDaS18_S19_EUlS18_E_NS1_11comp_targetILNS1_3genE2ELNS1_11target_archE906ELNS1_3gpuE6ELNS1_3repE0EEENS1_30default_config_static_selectorELNS0_4arch9wavefront6targetE1EEEvT1_
		.amdhsa_group_segment_fixed_size 0
		.amdhsa_private_segment_fixed_size 0
		.amdhsa_kernarg_size 120
		.amdhsa_user_sgpr_count 6
		.amdhsa_user_sgpr_private_segment_buffer 1
		.amdhsa_user_sgpr_dispatch_ptr 0
		.amdhsa_user_sgpr_queue_ptr 0
		.amdhsa_user_sgpr_kernarg_segment_ptr 1
		.amdhsa_user_sgpr_dispatch_id 0
		.amdhsa_user_sgpr_flat_scratch_init 0
		.amdhsa_user_sgpr_private_segment_size 0
		.amdhsa_uses_dynamic_stack 0
		.amdhsa_system_sgpr_private_segment_wavefront_offset 0
		.amdhsa_system_sgpr_workgroup_id_x 1
		.amdhsa_system_sgpr_workgroup_id_y 0
		.amdhsa_system_sgpr_workgroup_id_z 0
		.amdhsa_system_sgpr_workgroup_info 0
		.amdhsa_system_vgpr_workitem_id 0
		.amdhsa_next_free_vgpr 1
		.amdhsa_next_free_sgpr 0
		.amdhsa_reserve_vcc 0
		.amdhsa_reserve_flat_scratch 0
		.amdhsa_float_round_mode_32 0
		.amdhsa_float_round_mode_16_64 0
		.amdhsa_float_denorm_mode_32 3
		.amdhsa_float_denorm_mode_16_64 3
		.amdhsa_dx10_clamp 1
		.amdhsa_ieee_mode 1
		.amdhsa_fp16_overflow 0
		.amdhsa_exception_fp_ieee_invalid_op 0
		.amdhsa_exception_fp_denorm_src 0
		.amdhsa_exception_fp_ieee_div_zero 0
		.amdhsa_exception_fp_ieee_overflow 0
		.amdhsa_exception_fp_ieee_underflow 0
		.amdhsa_exception_fp_ieee_inexact 0
		.amdhsa_exception_int_div_zero 0
	.end_amdhsa_kernel
	.section	.text._ZN7rocprim17ROCPRIM_400000_NS6detail17trampoline_kernelINS0_14default_configENS1_25partition_config_selectorILNS1_17partition_subalgoE8EtNS0_10empty_typeEbEEZZNS1_14partition_implILS5_8ELb0ES3_jN6thrust23THRUST_200600_302600_NS6detail15normal_iteratorINSA_10device_ptrItEEEEPS6_PKS6_NS0_5tupleIJNSA_16discard_iteratorINSA_11use_defaultEEES6_EEENSJ_IJSG_SG_EEENS0_18inequality_wrapperINSA_8equal_toItEEEEPmJS6_EEE10hipError_tPvRmT3_T4_T5_T6_T7_T9_mT8_P12ihipStream_tbDpT10_ENKUlT_T0_E_clISt17integral_constantIbLb1EES1C_IbLb0EEEEDaS18_S19_EUlS18_E_NS1_11comp_targetILNS1_3genE2ELNS1_11target_archE906ELNS1_3gpuE6ELNS1_3repE0EEENS1_30default_config_static_selectorELNS0_4arch9wavefront6targetE1EEEvT1_,"axG",@progbits,_ZN7rocprim17ROCPRIM_400000_NS6detail17trampoline_kernelINS0_14default_configENS1_25partition_config_selectorILNS1_17partition_subalgoE8EtNS0_10empty_typeEbEEZZNS1_14partition_implILS5_8ELb0ES3_jN6thrust23THRUST_200600_302600_NS6detail15normal_iteratorINSA_10device_ptrItEEEEPS6_PKS6_NS0_5tupleIJNSA_16discard_iteratorINSA_11use_defaultEEES6_EEENSJ_IJSG_SG_EEENS0_18inequality_wrapperINSA_8equal_toItEEEEPmJS6_EEE10hipError_tPvRmT3_T4_T5_T6_T7_T9_mT8_P12ihipStream_tbDpT10_ENKUlT_T0_E_clISt17integral_constantIbLb1EES1C_IbLb0EEEEDaS18_S19_EUlS18_E_NS1_11comp_targetILNS1_3genE2ELNS1_11target_archE906ELNS1_3gpuE6ELNS1_3repE0EEENS1_30default_config_static_selectorELNS0_4arch9wavefront6targetE1EEEvT1_,comdat
.Lfunc_end617:
	.size	_ZN7rocprim17ROCPRIM_400000_NS6detail17trampoline_kernelINS0_14default_configENS1_25partition_config_selectorILNS1_17partition_subalgoE8EtNS0_10empty_typeEbEEZZNS1_14partition_implILS5_8ELb0ES3_jN6thrust23THRUST_200600_302600_NS6detail15normal_iteratorINSA_10device_ptrItEEEEPS6_PKS6_NS0_5tupleIJNSA_16discard_iteratorINSA_11use_defaultEEES6_EEENSJ_IJSG_SG_EEENS0_18inequality_wrapperINSA_8equal_toItEEEEPmJS6_EEE10hipError_tPvRmT3_T4_T5_T6_T7_T9_mT8_P12ihipStream_tbDpT10_ENKUlT_T0_E_clISt17integral_constantIbLb1EES1C_IbLb0EEEEDaS18_S19_EUlS18_E_NS1_11comp_targetILNS1_3genE2ELNS1_11target_archE906ELNS1_3gpuE6ELNS1_3repE0EEENS1_30default_config_static_selectorELNS0_4arch9wavefront6targetE1EEEvT1_, .Lfunc_end617-_ZN7rocprim17ROCPRIM_400000_NS6detail17trampoline_kernelINS0_14default_configENS1_25partition_config_selectorILNS1_17partition_subalgoE8EtNS0_10empty_typeEbEEZZNS1_14partition_implILS5_8ELb0ES3_jN6thrust23THRUST_200600_302600_NS6detail15normal_iteratorINSA_10device_ptrItEEEEPS6_PKS6_NS0_5tupleIJNSA_16discard_iteratorINSA_11use_defaultEEES6_EEENSJ_IJSG_SG_EEENS0_18inequality_wrapperINSA_8equal_toItEEEEPmJS6_EEE10hipError_tPvRmT3_T4_T5_T6_T7_T9_mT8_P12ihipStream_tbDpT10_ENKUlT_T0_E_clISt17integral_constantIbLb1EES1C_IbLb0EEEEDaS18_S19_EUlS18_E_NS1_11comp_targetILNS1_3genE2ELNS1_11target_archE906ELNS1_3gpuE6ELNS1_3repE0EEENS1_30default_config_static_selectorELNS0_4arch9wavefront6targetE1EEEvT1_
                                        ; -- End function
	.set _ZN7rocprim17ROCPRIM_400000_NS6detail17trampoline_kernelINS0_14default_configENS1_25partition_config_selectorILNS1_17partition_subalgoE8EtNS0_10empty_typeEbEEZZNS1_14partition_implILS5_8ELb0ES3_jN6thrust23THRUST_200600_302600_NS6detail15normal_iteratorINSA_10device_ptrItEEEEPS6_PKS6_NS0_5tupleIJNSA_16discard_iteratorINSA_11use_defaultEEES6_EEENSJ_IJSG_SG_EEENS0_18inequality_wrapperINSA_8equal_toItEEEEPmJS6_EEE10hipError_tPvRmT3_T4_T5_T6_T7_T9_mT8_P12ihipStream_tbDpT10_ENKUlT_T0_E_clISt17integral_constantIbLb1EES1C_IbLb0EEEEDaS18_S19_EUlS18_E_NS1_11comp_targetILNS1_3genE2ELNS1_11target_archE906ELNS1_3gpuE6ELNS1_3repE0EEENS1_30default_config_static_selectorELNS0_4arch9wavefront6targetE1EEEvT1_.num_vgpr, 0
	.set _ZN7rocprim17ROCPRIM_400000_NS6detail17trampoline_kernelINS0_14default_configENS1_25partition_config_selectorILNS1_17partition_subalgoE8EtNS0_10empty_typeEbEEZZNS1_14partition_implILS5_8ELb0ES3_jN6thrust23THRUST_200600_302600_NS6detail15normal_iteratorINSA_10device_ptrItEEEEPS6_PKS6_NS0_5tupleIJNSA_16discard_iteratorINSA_11use_defaultEEES6_EEENSJ_IJSG_SG_EEENS0_18inequality_wrapperINSA_8equal_toItEEEEPmJS6_EEE10hipError_tPvRmT3_T4_T5_T6_T7_T9_mT8_P12ihipStream_tbDpT10_ENKUlT_T0_E_clISt17integral_constantIbLb1EES1C_IbLb0EEEEDaS18_S19_EUlS18_E_NS1_11comp_targetILNS1_3genE2ELNS1_11target_archE906ELNS1_3gpuE6ELNS1_3repE0EEENS1_30default_config_static_selectorELNS0_4arch9wavefront6targetE1EEEvT1_.num_agpr, 0
	.set _ZN7rocprim17ROCPRIM_400000_NS6detail17trampoline_kernelINS0_14default_configENS1_25partition_config_selectorILNS1_17partition_subalgoE8EtNS0_10empty_typeEbEEZZNS1_14partition_implILS5_8ELb0ES3_jN6thrust23THRUST_200600_302600_NS6detail15normal_iteratorINSA_10device_ptrItEEEEPS6_PKS6_NS0_5tupleIJNSA_16discard_iteratorINSA_11use_defaultEEES6_EEENSJ_IJSG_SG_EEENS0_18inequality_wrapperINSA_8equal_toItEEEEPmJS6_EEE10hipError_tPvRmT3_T4_T5_T6_T7_T9_mT8_P12ihipStream_tbDpT10_ENKUlT_T0_E_clISt17integral_constantIbLb1EES1C_IbLb0EEEEDaS18_S19_EUlS18_E_NS1_11comp_targetILNS1_3genE2ELNS1_11target_archE906ELNS1_3gpuE6ELNS1_3repE0EEENS1_30default_config_static_selectorELNS0_4arch9wavefront6targetE1EEEvT1_.numbered_sgpr, 0
	.set _ZN7rocprim17ROCPRIM_400000_NS6detail17trampoline_kernelINS0_14default_configENS1_25partition_config_selectorILNS1_17partition_subalgoE8EtNS0_10empty_typeEbEEZZNS1_14partition_implILS5_8ELb0ES3_jN6thrust23THRUST_200600_302600_NS6detail15normal_iteratorINSA_10device_ptrItEEEEPS6_PKS6_NS0_5tupleIJNSA_16discard_iteratorINSA_11use_defaultEEES6_EEENSJ_IJSG_SG_EEENS0_18inequality_wrapperINSA_8equal_toItEEEEPmJS6_EEE10hipError_tPvRmT3_T4_T5_T6_T7_T9_mT8_P12ihipStream_tbDpT10_ENKUlT_T0_E_clISt17integral_constantIbLb1EES1C_IbLb0EEEEDaS18_S19_EUlS18_E_NS1_11comp_targetILNS1_3genE2ELNS1_11target_archE906ELNS1_3gpuE6ELNS1_3repE0EEENS1_30default_config_static_selectorELNS0_4arch9wavefront6targetE1EEEvT1_.num_named_barrier, 0
	.set _ZN7rocprim17ROCPRIM_400000_NS6detail17trampoline_kernelINS0_14default_configENS1_25partition_config_selectorILNS1_17partition_subalgoE8EtNS0_10empty_typeEbEEZZNS1_14partition_implILS5_8ELb0ES3_jN6thrust23THRUST_200600_302600_NS6detail15normal_iteratorINSA_10device_ptrItEEEEPS6_PKS6_NS0_5tupleIJNSA_16discard_iteratorINSA_11use_defaultEEES6_EEENSJ_IJSG_SG_EEENS0_18inequality_wrapperINSA_8equal_toItEEEEPmJS6_EEE10hipError_tPvRmT3_T4_T5_T6_T7_T9_mT8_P12ihipStream_tbDpT10_ENKUlT_T0_E_clISt17integral_constantIbLb1EES1C_IbLb0EEEEDaS18_S19_EUlS18_E_NS1_11comp_targetILNS1_3genE2ELNS1_11target_archE906ELNS1_3gpuE6ELNS1_3repE0EEENS1_30default_config_static_selectorELNS0_4arch9wavefront6targetE1EEEvT1_.private_seg_size, 0
	.set _ZN7rocprim17ROCPRIM_400000_NS6detail17trampoline_kernelINS0_14default_configENS1_25partition_config_selectorILNS1_17partition_subalgoE8EtNS0_10empty_typeEbEEZZNS1_14partition_implILS5_8ELb0ES3_jN6thrust23THRUST_200600_302600_NS6detail15normal_iteratorINSA_10device_ptrItEEEEPS6_PKS6_NS0_5tupleIJNSA_16discard_iteratorINSA_11use_defaultEEES6_EEENSJ_IJSG_SG_EEENS0_18inequality_wrapperINSA_8equal_toItEEEEPmJS6_EEE10hipError_tPvRmT3_T4_T5_T6_T7_T9_mT8_P12ihipStream_tbDpT10_ENKUlT_T0_E_clISt17integral_constantIbLb1EES1C_IbLb0EEEEDaS18_S19_EUlS18_E_NS1_11comp_targetILNS1_3genE2ELNS1_11target_archE906ELNS1_3gpuE6ELNS1_3repE0EEENS1_30default_config_static_selectorELNS0_4arch9wavefront6targetE1EEEvT1_.uses_vcc, 0
	.set _ZN7rocprim17ROCPRIM_400000_NS6detail17trampoline_kernelINS0_14default_configENS1_25partition_config_selectorILNS1_17partition_subalgoE8EtNS0_10empty_typeEbEEZZNS1_14partition_implILS5_8ELb0ES3_jN6thrust23THRUST_200600_302600_NS6detail15normal_iteratorINSA_10device_ptrItEEEEPS6_PKS6_NS0_5tupleIJNSA_16discard_iteratorINSA_11use_defaultEEES6_EEENSJ_IJSG_SG_EEENS0_18inequality_wrapperINSA_8equal_toItEEEEPmJS6_EEE10hipError_tPvRmT3_T4_T5_T6_T7_T9_mT8_P12ihipStream_tbDpT10_ENKUlT_T0_E_clISt17integral_constantIbLb1EES1C_IbLb0EEEEDaS18_S19_EUlS18_E_NS1_11comp_targetILNS1_3genE2ELNS1_11target_archE906ELNS1_3gpuE6ELNS1_3repE0EEENS1_30default_config_static_selectorELNS0_4arch9wavefront6targetE1EEEvT1_.uses_flat_scratch, 0
	.set _ZN7rocprim17ROCPRIM_400000_NS6detail17trampoline_kernelINS0_14default_configENS1_25partition_config_selectorILNS1_17partition_subalgoE8EtNS0_10empty_typeEbEEZZNS1_14partition_implILS5_8ELb0ES3_jN6thrust23THRUST_200600_302600_NS6detail15normal_iteratorINSA_10device_ptrItEEEEPS6_PKS6_NS0_5tupleIJNSA_16discard_iteratorINSA_11use_defaultEEES6_EEENSJ_IJSG_SG_EEENS0_18inequality_wrapperINSA_8equal_toItEEEEPmJS6_EEE10hipError_tPvRmT3_T4_T5_T6_T7_T9_mT8_P12ihipStream_tbDpT10_ENKUlT_T0_E_clISt17integral_constantIbLb1EES1C_IbLb0EEEEDaS18_S19_EUlS18_E_NS1_11comp_targetILNS1_3genE2ELNS1_11target_archE906ELNS1_3gpuE6ELNS1_3repE0EEENS1_30default_config_static_selectorELNS0_4arch9wavefront6targetE1EEEvT1_.has_dyn_sized_stack, 0
	.set _ZN7rocprim17ROCPRIM_400000_NS6detail17trampoline_kernelINS0_14default_configENS1_25partition_config_selectorILNS1_17partition_subalgoE8EtNS0_10empty_typeEbEEZZNS1_14partition_implILS5_8ELb0ES3_jN6thrust23THRUST_200600_302600_NS6detail15normal_iteratorINSA_10device_ptrItEEEEPS6_PKS6_NS0_5tupleIJNSA_16discard_iteratorINSA_11use_defaultEEES6_EEENSJ_IJSG_SG_EEENS0_18inequality_wrapperINSA_8equal_toItEEEEPmJS6_EEE10hipError_tPvRmT3_T4_T5_T6_T7_T9_mT8_P12ihipStream_tbDpT10_ENKUlT_T0_E_clISt17integral_constantIbLb1EES1C_IbLb0EEEEDaS18_S19_EUlS18_E_NS1_11comp_targetILNS1_3genE2ELNS1_11target_archE906ELNS1_3gpuE6ELNS1_3repE0EEENS1_30default_config_static_selectorELNS0_4arch9wavefront6targetE1EEEvT1_.has_recursion, 0
	.set _ZN7rocprim17ROCPRIM_400000_NS6detail17trampoline_kernelINS0_14default_configENS1_25partition_config_selectorILNS1_17partition_subalgoE8EtNS0_10empty_typeEbEEZZNS1_14partition_implILS5_8ELb0ES3_jN6thrust23THRUST_200600_302600_NS6detail15normal_iteratorINSA_10device_ptrItEEEEPS6_PKS6_NS0_5tupleIJNSA_16discard_iteratorINSA_11use_defaultEEES6_EEENSJ_IJSG_SG_EEENS0_18inequality_wrapperINSA_8equal_toItEEEEPmJS6_EEE10hipError_tPvRmT3_T4_T5_T6_T7_T9_mT8_P12ihipStream_tbDpT10_ENKUlT_T0_E_clISt17integral_constantIbLb1EES1C_IbLb0EEEEDaS18_S19_EUlS18_E_NS1_11comp_targetILNS1_3genE2ELNS1_11target_archE906ELNS1_3gpuE6ELNS1_3repE0EEENS1_30default_config_static_selectorELNS0_4arch9wavefront6targetE1EEEvT1_.has_indirect_call, 0
	.section	.AMDGPU.csdata,"",@progbits
; Kernel info:
; codeLenInByte = 4
; TotalNumSgprs: 4
; NumVgprs: 0
; ScratchSize: 0
; MemoryBound: 0
; FloatMode: 240
; IeeeMode: 1
; LDSByteSize: 0 bytes/workgroup (compile time only)
; SGPRBlocks: 0
; VGPRBlocks: 0
; NumSGPRsForWavesPerEU: 4
; NumVGPRsForWavesPerEU: 1
; Occupancy: 10
; WaveLimiterHint : 0
; COMPUTE_PGM_RSRC2:SCRATCH_EN: 0
; COMPUTE_PGM_RSRC2:USER_SGPR: 6
; COMPUTE_PGM_RSRC2:TRAP_HANDLER: 0
; COMPUTE_PGM_RSRC2:TGID_X_EN: 1
; COMPUTE_PGM_RSRC2:TGID_Y_EN: 0
; COMPUTE_PGM_RSRC2:TGID_Z_EN: 0
; COMPUTE_PGM_RSRC2:TIDIG_COMP_CNT: 0
	.section	.text._ZN7rocprim17ROCPRIM_400000_NS6detail17trampoline_kernelINS0_14default_configENS1_25partition_config_selectorILNS1_17partition_subalgoE8EtNS0_10empty_typeEbEEZZNS1_14partition_implILS5_8ELb0ES3_jN6thrust23THRUST_200600_302600_NS6detail15normal_iteratorINSA_10device_ptrItEEEEPS6_PKS6_NS0_5tupleIJNSA_16discard_iteratorINSA_11use_defaultEEES6_EEENSJ_IJSG_SG_EEENS0_18inequality_wrapperINSA_8equal_toItEEEEPmJS6_EEE10hipError_tPvRmT3_T4_T5_T6_T7_T9_mT8_P12ihipStream_tbDpT10_ENKUlT_T0_E_clISt17integral_constantIbLb1EES1C_IbLb0EEEEDaS18_S19_EUlS18_E_NS1_11comp_targetILNS1_3genE10ELNS1_11target_archE1200ELNS1_3gpuE4ELNS1_3repE0EEENS1_30default_config_static_selectorELNS0_4arch9wavefront6targetE1EEEvT1_,"axG",@progbits,_ZN7rocprim17ROCPRIM_400000_NS6detail17trampoline_kernelINS0_14default_configENS1_25partition_config_selectorILNS1_17partition_subalgoE8EtNS0_10empty_typeEbEEZZNS1_14partition_implILS5_8ELb0ES3_jN6thrust23THRUST_200600_302600_NS6detail15normal_iteratorINSA_10device_ptrItEEEEPS6_PKS6_NS0_5tupleIJNSA_16discard_iteratorINSA_11use_defaultEEES6_EEENSJ_IJSG_SG_EEENS0_18inequality_wrapperINSA_8equal_toItEEEEPmJS6_EEE10hipError_tPvRmT3_T4_T5_T6_T7_T9_mT8_P12ihipStream_tbDpT10_ENKUlT_T0_E_clISt17integral_constantIbLb1EES1C_IbLb0EEEEDaS18_S19_EUlS18_E_NS1_11comp_targetILNS1_3genE10ELNS1_11target_archE1200ELNS1_3gpuE4ELNS1_3repE0EEENS1_30default_config_static_selectorELNS0_4arch9wavefront6targetE1EEEvT1_,comdat
	.protected	_ZN7rocprim17ROCPRIM_400000_NS6detail17trampoline_kernelINS0_14default_configENS1_25partition_config_selectorILNS1_17partition_subalgoE8EtNS0_10empty_typeEbEEZZNS1_14partition_implILS5_8ELb0ES3_jN6thrust23THRUST_200600_302600_NS6detail15normal_iteratorINSA_10device_ptrItEEEEPS6_PKS6_NS0_5tupleIJNSA_16discard_iteratorINSA_11use_defaultEEES6_EEENSJ_IJSG_SG_EEENS0_18inequality_wrapperINSA_8equal_toItEEEEPmJS6_EEE10hipError_tPvRmT3_T4_T5_T6_T7_T9_mT8_P12ihipStream_tbDpT10_ENKUlT_T0_E_clISt17integral_constantIbLb1EES1C_IbLb0EEEEDaS18_S19_EUlS18_E_NS1_11comp_targetILNS1_3genE10ELNS1_11target_archE1200ELNS1_3gpuE4ELNS1_3repE0EEENS1_30default_config_static_selectorELNS0_4arch9wavefront6targetE1EEEvT1_ ; -- Begin function _ZN7rocprim17ROCPRIM_400000_NS6detail17trampoline_kernelINS0_14default_configENS1_25partition_config_selectorILNS1_17partition_subalgoE8EtNS0_10empty_typeEbEEZZNS1_14partition_implILS5_8ELb0ES3_jN6thrust23THRUST_200600_302600_NS6detail15normal_iteratorINSA_10device_ptrItEEEEPS6_PKS6_NS0_5tupleIJNSA_16discard_iteratorINSA_11use_defaultEEES6_EEENSJ_IJSG_SG_EEENS0_18inequality_wrapperINSA_8equal_toItEEEEPmJS6_EEE10hipError_tPvRmT3_T4_T5_T6_T7_T9_mT8_P12ihipStream_tbDpT10_ENKUlT_T0_E_clISt17integral_constantIbLb1EES1C_IbLb0EEEEDaS18_S19_EUlS18_E_NS1_11comp_targetILNS1_3genE10ELNS1_11target_archE1200ELNS1_3gpuE4ELNS1_3repE0EEENS1_30default_config_static_selectorELNS0_4arch9wavefront6targetE1EEEvT1_
	.globl	_ZN7rocprim17ROCPRIM_400000_NS6detail17trampoline_kernelINS0_14default_configENS1_25partition_config_selectorILNS1_17partition_subalgoE8EtNS0_10empty_typeEbEEZZNS1_14partition_implILS5_8ELb0ES3_jN6thrust23THRUST_200600_302600_NS6detail15normal_iteratorINSA_10device_ptrItEEEEPS6_PKS6_NS0_5tupleIJNSA_16discard_iteratorINSA_11use_defaultEEES6_EEENSJ_IJSG_SG_EEENS0_18inequality_wrapperINSA_8equal_toItEEEEPmJS6_EEE10hipError_tPvRmT3_T4_T5_T6_T7_T9_mT8_P12ihipStream_tbDpT10_ENKUlT_T0_E_clISt17integral_constantIbLb1EES1C_IbLb0EEEEDaS18_S19_EUlS18_E_NS1_11comp_targetILNS1_3genE10ELNS1_11target_archE1200ELNS1_3gpuE4ELNS1_3repE0EEENS1_30default_config_static_selectorELNS0_4arch9wavefront6targetE1EEEvT1_
	.p2align	8
	.type	_ZN7rocprim17ROCPRIM_400000_NS6detail17trampoline_kernelINS0_14default_configENS1_25partition_config_selectorILNS1_17partition_subalgoE8EtNS0_10empty_typeEbEEZZNS1_14partition_implILS5_8ELb0ES3_jN6thrust23THRUST_200600_302600_NS6detail15normal_iteratorINSA_10device_ptrItEEEEPS6_PKS6_NS0_5tupleIJNSA_16discard_iteratorINSA_11use_defaultEEES6_EEENSJ_IJSG_SG_EEENS0_18inequality_wrapperINSA_8equal_toItEEEEPmJS6_EEE10hipError_tPvRmT3_T4_T5_T6_T7_T9_mT8_P12ihipStream_tbDpT10_ENKUlT_T0_E_clISt17integral_constantIbLb1EES1C_IbLb0EEEEDaS18_S19_EUlS18_E_NS1_11comp_targetILNS1_3genE10ELNS1_11target_archE1200ELNS1_3gpuE4ELNS1_3repE0EEENS1_30default_config_static_selectorELNS0_4arch9wavefront6targetE1EEEvT1_,@function
_ZN7rocprim17ROCPRIM_400000_NS6detail17trampoline_kernelINS0_14default_configENS1_25partition_config_selectorILNS1_17partition_subalgoE8EtNS0_10empty_typeEbEEZZNS1_14partition_implILS5_8ELb0ES3_jN6thrust23THRUST_200600_302600_NS6detail15normal_iteratorINSA_10device_ptrItEEEEPS6_PKS6_NS0_5tupleIJNSA_16discard_iteratorINSA_11use_defaultEEES6_EEENSJ_IJSG_SG_EEENS0_18inequality_wrapperINSA_8equal_toItEEEEPmJS6_EEE10hipError_tPvRmT3_T4_T5_T6_T7_T9_mT8_P12ihipStream_tbDpT10_ENKUlT_T0_E_clISt17integral_constantIbLb1EES1C_IbLb0EEEEDaS18_S19_EUlS18_E_NS1_11comp_targetILNS1_3genE10ELNS1_11target_archE1200ELNS1_3gpuE4ELNS1_3repE0EEENS1_30default_config_static_selectorELNS0_4arch9wavefront6targetE1EEEvT1_: ; @_ZN7rocprim17ROCPRIM_400000_NS6detail17trampoline_kernelINS0_14default_configENS1_25partition_config_selectorILNS1_17partition_subalgoE8EtNS0_10empty_typeEbEEZZNS1_14partition_implILS5_8ELb0ES3_jN6thrust23THRUST_200600_302600_NS6detail15normal_iteratorINSA_10device_ptrItEEEEPS6_PKS6_NS0_5tupleIJNSA_16discard_iteratorINSA_11use_defaultEEES6_EEENSJ_IJSG_SG_EEENS0_18inequality_wrapperINSA_8equal_toItEEEEPmJS6_EEE10hipError_tPvRmT3_T4_T5_T6_T7_T9_mT8_P12ihipStream_tbDpT10_ENKUlT_T0_E_clISt17integral_constantIbLb1EES1C_IbLb0EEEEDaS18_S19_EUlS18_E_NS1_11comp_targetILNS1_3genE10ELNS1_11target_archE1200ELNS1_3gpuE4ELNS1_3repE0EEENS1_30default_config_static_selectorELNS0_4arch9wavefront6targetE1EEEvT1_
; %bb.0:
	.section	.rodata,"a",@progbits
	.p2align	6, 0x0
	.amdhsa_kernel _ZN7rocprim17ROCPRIM_400000_NS6detail17trampoline_kernelINS0_14default_configENS1_25partition_config_selectorILNS1_17partition_subalgoE8EtNS0_10empty_typeEbEEZZNS1_14partition_implILS5_8ELb0ES3_jN6thrust23THRUST_200600_302600_NS6detail15normal_iteratorINSA_10device_ptrItEEEEPS6_PKS6_NS0_5tupleIJNSA_16discard_iteratorINSA_11use_defaultEEES6_EEENSJ_IJSG_SG_EEENS0_18inequality_wrapperINSA_8equal_toItEEEEPmJS6_EEE10hipError_tPvRmT3_T4_T5_T6_T7_T9_mT8_P12ihipStream_tbDpT10_ENKUlT_T0_E_clISt17integral_constantIbLb1EES1C_IbLb0EEEEDaS18_S19_EUlS18_E_NS1_11comp_targetILNS1_3genE10ELNS1_11target_archE1200ELNS1_3gpuE4ELNS1_3repE0EEENS1_30default_config_static_selectorELNS0_4arch9wavefront6targetE1EEEvT1_
		.amdhsa_group_segment_fixed_size 0
		.amdhsa_private_segment_fixed_size 0
		.amdhsa_kernarg_size 120
		.amdhsa_user_sgpr_count 6
		.amdhsa_user_sgpr_private_segment_buffer 1
		.amdhsa_user_sgpr_dispatch_ptr 0
		.amdhsa_user_sgpr_queue_ptr 0
		.amdhsa_user_sgpr_kernarg_segment_ptr 1
		.amdhsa_user_sgpr_dispatch_id 0
		.amdhsa_user_sgpr_flat_scratch_init 0
		.amdhsa_user_sgpr_private_segment_size 0
		.amdhsa_uses_dynamic_stack 0
		.amdhsa_system_sgpr_private_segment_wavefront_offset 0
		.amdhsa_system_sgpr_workgroup_id_x 1
		.amdhsa_system_sgpr_workgroup_id_y 0
		.amdhsa_system_sgpr_workgroup_id_z 0
		.amdhsa_system_sgpr_workgroup_info 0
		.amdhsa_system_vgpr_workitem_id 0
		.amdhsa_next_free_vgpr 1
		.amdhsa_next_free_sgpr 0
		.amdhsa_reserve_vcc 0
		.amdhsa_reserve_flat_scratch 0
		.amdhsa_float_round_mode_32 0
		.amdhsa_float_round_mode_16_64 0
		.amdhsa_float_denorm_mode_32 3
		.amdhsa_float_denorm_mode_16_64 3
		.amdhsa_dx10_clamp 1
		.amdhsa_ieee_mode 1
		.amdhsa_fp16_overflow 0
		.amdhsa_exception_fp_ieee_invalid_op 0
		.amdhsa_exception_fp_denorm_src 0
		.amdhsa_exception_fp_ieee_div_zero 0
		.amdhsa_exception_fp_ieee_overflow 0
		.amdhsa_exception_fp_ieee_underflow 0
		.amdhsa_exception_fp_ieee_inexact 0
		.amdhsa_exception_int_div_zero 0
	.end_amdhsa_kernel
	.section	.text._ZN7rocprim17ROCPRIM_400000_NS6detail17trampoline_kernelINS0_14default_configENS1_25partition_config_selectorILNS1_17partition_subalgoE8EtNS0_10empty_typeEbEEZZNS1_14partition_implILS5_8ELb0ES3_jN6thrust23THRUST_200600_302600_NS6detail15normal_iteratorINSA_10device_ptrItEEEEPS6_PKS6_NS0_5tupleIJNSA_16discard_iteratorINSA_11use_defaultEEES6_EEENSJ_IJSG_SG_EEENS0_18inequality_wrapperINSA_8equal_toItEEEEPmJS6_EEE10hipError_tPvRmT3_T4_T5_T6_T7_T9_mT8_P12ihipStream_tbDpT10_ENKUlT_T0_E_clISt17integral_constantIbLb1EES1C_IbLb0EEEEDaS18_S19_EUlS18_E_NS1_11comp_targetILNS1_3genE10ELNS1_11target_archE1200ELNS1_3gpuE4ELNS1_3repE0EEENS1_30default_config_static_selectorELNS0_4arch9wavefront6targetE1EEEvT1_,"axG",@progbits,_ZN7rocprim17ROCPRIM_400000_NS6detail17trampoline_kernelINS0_14default_configENS1_25partition_config_selectorILNS1_17partition_subalgoE8EtNS0_10empty_typeEbEEZZNS1_14partition_implILS5_8ELb0ES3_jN6thrust23THRUST_200600_302600_NS6detail15normal_iteratorINSA_10device_ptrItEEEEPS6_PKS6_NS0_5tupleIJNSA_16discard_iteratorINSA_11use_defaultEEES6_EEENSJ_IJSG_SG_EEENS0_18inequality_wrapperINSA_8equal_toItEEEEPmJS6_EEE10hipError_tPvRmT3_T4_T5_T6_T7_T9_mT8_P12ihipStream_tbDpT10_ENKUlT_T0_E_clISt17integral_constantIbLb1EES1C_IbLb0EEEEDaS18_S19_EUlS18_E_NS1_11comp_targetILNS1_3genE10ELNS1_11target_archE1200ELNS1_3gpuE4ELNS1_3repE0EEENS1_30default_config_static_selectorELNS0_4arch9wavefront6targetE1EEEvT1_,comdat
.Lfunc_end618:
	.size	_ZN7rocprim17ROCPRIM_400000_NS6detail17trampoline_kernelINS0_14default_configENS1_25partition_config_selectorILNS1_17partition_subalgoE8EtNS0_10empty_typeEbEEZZNS1_14partition_implILS5_8ELb0ES3_jN6thrust23THRUST_200600_302600_NS6detail15normal_iteratorINSA_10device_ptrItEEEEPS6_PKS6_NS0_5tupleIJNSA_16discard_iteratorINSA_11use_defaultEEES6_EEENSJ_IJSG_SG_EEENS0_18inequality_wrapperINSA_8equal_toItEEEEPmJS6_EEE10hipError_tPvRmT3_T4_T5_T6_T7_T9_mT8_P12ihipStream_tbDpT10_ENKUlT_T0_E_clISt17integral_constantIbLb1EES1C_IbLb0EEEEDaS18_S19_EUlS18_E_NS1_11comp_targetILNS1_3genE10ELNS1_11target_archE1200ELNS1_3gpuE4ELNS1_3repE0EEENS1_30default_config_static_selectorELNS0_4arch9wavefront6targetE1EEEvT1_, .Lfunc_end618-_ZN7rocprim17ROCPRIM_400000_NS6detail17trampoline_kernelINS0_14default_configENS1_25partition_config_selectorILNS1_17partition_subalgoE8EtNS0_10empty_typeEbEEZZNS1_14partition_implILS5_8ELb0ES3_jN6thrust23THRUST_200600_302600_NS6detail15normal_iteratorINSA_10device_ptrItEEEEPS6_PKS6_NS0_5tupleIJNSA_16discard_iteratorINSA_11use_defaultEEES6_EEENSJ_IJSG_SG_EEENS0_18inequality_wrapperINSA_8equal_toItEEEEPmJS6_EEE10hipError_tPvRmT3_T4_T5_T6_T7_T9_mT8_P12ihipStream_tbDpT10_ENKUlT_T0_E_clISt17integral_constantIbLb1EES1C_IbLb0EEEEDaS18_S19_EUlS18_E_NS1_11comp_targetILNS1_3genE10ELNS1_11target_archE1200ELNS1_3gpuE4ELNS1_3repE0EEENS1_30default_config_static_selectorELNS0_4arch9wavefront6targetE1EEEvT1_
                                        ; -- End function
	.set _ZN7rocprim17ROCPRIM_400000_NS6detail17trampoline_kernelINS0_14default_configENS1_25partition_config_selectorILNS1_17partition_subalgoE8EtNS0_10empty_typeEbEEZZNS1_14partition_implILS5_8ELb0ES3_jN6thrust23THRUST_200600_302600_NS6detail15normal_iteratorINSA_10device_ptrItEEEEPS6_PKS6_NS0_5tupleIJNSA_16discard_iteratorINSA_11use_defaultEEES6_EEENSJ_IJSG_SG_EEENS0_18inequality_wrapperINSA_8equal_toItEEEEPmJS6_EEE10hipError_tPvRmT3_T4_T5_T6_T7_T9_mT8_P12ihipStream_tbDpT10_ENKUlT_T0_E_clISt17integral_constantIbLb1EES1C_IbLb0EEEEDaS18_S19_EUlS18_E_NS1_11comp_targetILNS1_3genE10ELNS1_11target_archE1200ELNS1_3gpuE4ELNS1_3repE0EEENS1_30default_config_static_selectorELNS0_4arch9wavefront6targetE1EEEvT1_.num_vgpr, 0
	.set _ZN7rocprim17ROCPRIM_400000_NS6detail17trampoline_kernelINS0_14default_configENS1_25partition_config_selectorILNS1_17partition_subalgoE8EtNS0_10empty_typeEbEEZZNS1_14partition_implILS5_8ELb0ES3_jN6thrust23THRUST_200600_302600_NS6detail15normal_iteratorINSA_10device_ptrItEEEEPS6_PKS6_NS0_5tupleIJNSA_16discard_iteratorINSA_11use_defaultEEES6_EEENSJ_IJSG_SG_EEENS0_18inequality_wrapperINSA_8equal_toItEEEEPmJS6_EEE10hipError_tPvRmT3_T4_T5_T6_T7_T9_mT8_P12ihipStream_tbDpT10_ENKUlT_T0_E_clISt17integral_constantIbLb1EES1C_IbLb0EEEEDaS18_S19_EUlS18_E_NS1_11comp_targetILNS1_3genE10ELNS1_11target_archE1200ELNS1_3gpuE4ELNS1_3repE0EEENS1_30default_config_static_selectorELNS0_4arch9wavefront6targetE1EEEvT1_.num_agpr, 0
	.set _ZN7rocprim17ROCPRIM_400000_NS6detail17trampoline_kernelINS0_14default_configENS1_25partition_config_selectorILNS1_17partition_subalgoE8EtNS0_10empty_typeEbEEZZNS1_14partition_implILS5_8ELb0ES3_jN6thrust23THRUST_200600_302600_NS6detail15normal_iteratorINSA_10device_ptrItEEEEPS6_PKS6_NS0_5tupleIJNSA_16discard_iteratorINSA_11use_defaultEEES6_EEENSJ_IJSG_SG_EEENS0_18inequality_wrapperINSA_8equal_toItEEEEPmJS6_EEE10hipError_tPvRmT3_T4_T5_T6_T7_T9_mT8_P12ihipStream_tbDpT10_ENKUlT_T0_E_clISt17integral_constantIbLb1EES1C_IbLb0EEEEDaS18_S19_EUlS18_E_NS1_11comp_targetILNS1_3genE10ELNS1_11target_archE1200ELNS1_3gpuE4ELNS1_3repE0EEENS1_30default_config_static_selectorELNS0_4arch9wavefront6targetE1EEEvT1_.numbered_sgpr, 0
	.set _ZN7rocprim17ROCPRIM_400000_NS6detail17trampoline_kernelINS0_14default_configENS1_25partition_config_selectorILNS1_17partition_subalgoE8EtNS0_10empty_typeEbEEZZNS1_14partition_implILS5_8ELb0ES3_jN6thrust23THRUST_200600_302600_NS6detail15normal_iteratorINSA_10device_ptrItEEEEPS6_PKS6_NS0_5tupleIJNSA_16discard_iteratorINSA_11use_defaultEEES6_EEENSJ_IJSG_SG_EEENS0_18inequality_wrapperINSA_8equal_toItEEEEPmJS6_EEE10hipError_tPvRmT3_T4_T5_T6_T7_T9_mT8_P12ihipStream_tbDpT10_ENKUlT_T0_E_clISt17integral_constantIbLb1EES1C_IbLb0EEEEDaS18_S19_EUlS18_E_NS1_11comp_targetILNS1_3genE10ELNS1_11target_archE1200ELNS1_3gpuE4ELNS1_3repE0EEENS1_30default_config_static_selectorELNS0_4arch9wavefront6targetE1EEEvT1_.num_named_barrier, 0
	.set _ZN7rocprim17ROCPRIM_400000_NS6detail17trampoline_kernelINS0_14default_configENS1_25partition_config_selectorILNS1_17partition_subalgoE8EtNS0_10empty_typeEbEEZZNS1_14partition_implILS5_8ELb0ES3_jN6thrust23THRUST_200600_302600_NS6detail15normal_iteratorINSA_10device_ptrItEEEEPS6_PKS6_NS0_5tupleIJNSA_16discard_iteratorINSA_11use_defaultEEES6_EEENSJ_IJSG_SG_EEENS0_18inequality_wrapperINSA_8equal_toItEEEEPmJS6_EEE10hipError_tPvRmT3_T4_T5_T6_T7_T9_mT8_P12ihipStream_tbDpT10_ENKUlT_T0_E_clISt17integral_constantIbLb1EES1C_IbLb0EEEEDaS18_S19_EUlS18_E_NS1_11comp_targetILNS1_3genE10ELNS1_11target_archE1200ELNS1_3gpuE4ELNS1_3repE0EEENS1_30default_config_static_selectorELNS0_4arch9wavefront6targetE1EEEvT1_.private_seg_size, 0
	.set _ZN7rocprim17ROCPRIM_400000_NS6detail17trampoline_kernelINS0_14default_configENS1_25partition_config_selectorILNS1_17partition_subalgoE8EtNS0_10empty_typeEbEEZZNS1_14partition_implILS5_8ELb0ES3_jN6thrust23THRUST_200600_302600_NS6detail15normal_iteratorINSA_10device_ptrItEEEEPS6_PKS6_NS0_5tupleIJNSA_16discard_iteratorINSA_11use_defaultEEES6_EEENSJ_IJSG_SG_EEENS0_18inequality_wrapperINSA_8equal_toItEEEEPmJS6_EEE10hipError_tPvRmT3_T4_T5_T6_T7_T9_mT8_P12ihipStream_tbDpT10_ENKUlT_T0_E_clISt17integral_constantIbLb1EES1C_IbLb0EEEEDaS18_S19_EUlS18_E_NS1_11comp_targetILNS1_3genE10ELNS1_11target_archE1200ELNS1_3gpuE4ELNS1_3repE0EEENS1_30default_config_static_selectorELNS0_4arch9wavefront6targetE1EEEvT1_.uses_vcc, 0
	.set _ZN7rocprim17ROCPRIM_400000_NS6detail17trampoline_kernelINS0_14default_configENS1_25partition_config_selectorILNS1_17partition_subalgoE8EtNS0_10empty_typeEbEEZZNS1_14partition_implILS5_8ELb0ES3_jN6thrust23THRUST_200600_302600_NS6detail15normal_iteratorINSA_10device_ptrItEEEEPS6_PKS6_NS0_5tupleIJNSA_16discard_iteratorINSA_11use_defaultEEES6_EEENSJ_IJSG_SG_EEENS0_18inequality_wrapperINSA_8equal_toItEEEEPmJS6_EEE10hipError_tPvRmT3_T4_T5_T6_T7_T9_mT8_P12ihipStream_tbDpT10_ENKUlT_T0_E_clISt17integral_constantIbLb1EES1C_IbLb0EEEEDaS18_S19_EUlS18_E_NS1_11comp_targetILNS1_3genE10ELNS1_11target_archE1200ELNS1_3gpuE4ELNS1_3repE0EEENS1_30default_config_static_selectorELNS0_4arch9wavefront6targetE1EEEvT1_.uses_flat_scratch, 0
	.set _ZN7rocprim17ROCPRIM_400000_NS6detail17trampoline_kernelINS0_14default_configENS1_25partition_config_selectorILNS1_17partition_subalgoE8EtNS0_10empty_typeEbEEZZNS1_14partition_implILS5_8ELb0ES3_jN6thrust23THRUST_200600_302600_NS6detail15normal_iteratorINSA_10device_ptrItEEEEPS6_PKS6_NS0_5tupleIJNSA_16discard_iteratorINSA_11use_defaultEEES6_EEENSJ_IJSG_SG_EEENS0_18inequality_wrapperINSA_8equal_toItEEEEPmJS6_EEE10hipError_tPvRmT3_T4_T5_T6_T7_T9_mT8_P12ihipStream_tbDpT10_ENKUlT_T0_E_clISt17integral_constantIbLb1EES1C_IbLb0EEEEDaS18_S19_EUlS18_E_NS1_11comp_targetILNS1_3genE10ELNS1_11target_archE1200ELNS1_3gpuE4ELNS1_3repE0EEENS1_30default_config_static_selectorELNS0_4arch9wavefront6targetE1EEEvT1_.has_dyn_sized_stack, 0
	.set _ZN7rocprim17ROCPRIM_400000_NS6detail17trampoline_kernelINS0_14default_configENS1_25partition_config_selectorILNS1_17partition_subalgoE8EtNS0_10empty_typeEbEEZZNS1_14partition_implILS5_8ELb0ES3_jN6thrust23THRUST_200600_302600_NS6detail15normal_iteratorINSA_10device_ptrItEEEEPS6_PKS6_NS0_5tupleIJNSA_16discard_iteratorINSA_11use_defaultEEES6_EEENSJ_IJSG_SG_EEENS0_18inequality_wrapperINSA_8equal_toItEEEEPmJS6_EEE10hipError_tPvRmT3_T4_T5_T6_T7_T9_mT8_P12ihipStream_tbDpT10_ENKUlT_T0_E_clISt17integral_constantIbLb1EES1C_IbLb0EEEEDaS18_S19_EUlS18_E_NS1_11comp_targetILNS1_3genE10ELNS1_11target_archE1200ELNS1_3gpuE4ELNS1_3repE0EEENS1_30default_config_static_selectorELNS0_4arch9wavefront6targetE1EEEvT1_.has_recursion, 0
	.set _ZN7rocprim17ROCPRIM_400000_NS6detail17trampoline_kernelINS0_14default_configENS1_25partition_config_selectorILNS1_17partition_subalgoE8EtNS0_10empty_typeEbEEZZNS1_14partition_implILS5_8ELb0ES3_jN6thrust23THRUST_200600_302600_NS6detail15normal_iteratorINSA_10device_ptrItEEEEPS6_PKS6_NS0_5tupleIJNSA_16discard_iteratorINSA_11use_defaultEEES6_EEENSJ_IJSG_SG_EEENS0_18inequality_wrapperINSA_8equal_toItEEEEPmJS6_EEE10hipError_tPvRmT3_T4_T5_T6_T7_T9_mT8_P12ihipStream_tbDpT10_ENKUlT_T0_E_clISt17integral_constantIbLb1EES1C_IbLb0EEEEDaS18_S19_EUlS18_E_NS1_11comp_targetILNS1_3genE10ELNS1_11target_archE1200ELNS1_3gpuE4ELNS1_3repE0EEENS1_30default_config_static_selectorELNS0_4arch9wavefront6targetE1EEEvT1_.has_indirect_call, 0
	.section	.AMDGPU.csdata,"",@progbits
; Kernel info:
; codeLenInByte = 0
; TotalNumSgprs: 4
; NumVgprs: 0
; ScratchSize: 0
; MemoryBound: 0
; FloatMode: 240
; IeeeMode: 1
; LDSByteSize: 0 bytes/workgroup (compile time only)
; SGPRBlocks: 0
; VGPRBlocks: 0
; NumSGPRsForWavesPerEU: 4
; NumVGPRsForWavesPerEU: 1
; Occupancy: 10
; WaveLimiterHint : 0
; COMPUTE_PGM_RSRC2:SCRATCH_EN: 0
; COMPUTE_PGM_RSRC2:USER_SGPR: 6
; COMPUTE_PGM_RSRC2:TRAP_HANDLER: 0
; COMPUTE_PGM_RSRC2:TGID_X_EN: 1
; COMPUTE_PGM_RSRC2:TGID_Y_EN: 0
; COMPUTE_PGM_RSRC2:TGID_Z_EN: 0
; COMPUTE_PGM_RSRC2:TIDIG_COMP_CNT: 0
	.section	.text._ZN7rocprim17ROCPRIM_400000_NS6detail17trampoline_kernelINS0_14default_configENS1_25partition_config_selectorILNS1_17partition_subalgoE8EtNS0_10empty_typeEbEEZZNS1_14partition_implILS5_8ELb0ES3_jN6thrust23THRUST_200600_302600_NS6detail15normal_iteratorINSA_10device_ptrItEEEEPS6_PKS6_NS0_5tupleIJNSA_16discard_iteratorINSA_11use_defaultEEES6_EEENSJ_IJSG_SG_EEENS0_18inequality_wrapperINSA_8equal_toItEEEEPmJS6_EEE10hipError_tPvRmT3_T4_T5_T6_T7_T9_mT8_P12ihipStream_tbDpT10_ENKUlT_T0_E_clISt17integral_constantIbLb1EES1C_IbLb0EEEEDaS18_S19_EUlS18_E_NS1_11comp_targetILNS1_3genE9ELNS1_11target_archE1100ELNS1_3gpuE3ELNS1_3repE0EEENS1_30default_config_static_selectorELNS0_4arch9wavefront6targetE1EEEvT1_,"axG",@progbits,_ZN7rocprim17ROCPRIM_400000_NS6detail17trampoline_kernelINS0_14default_configENS1_25partition_config_selectorILNS1_17partition_subalgoE8EtNS0_10empty_typeEbEEZZNS1_14partition_implILS5_8ELb0ES3_jN6thrust23THRUST_200600_302600_NS6detail15normal_iteratorINSA_10device_ptrItEEEEPS6_PKS6_NS0_5tupleIJNSA_16discard_iteratorINSA_11use_defaultEEES6_EEENSJ_IJSG_SG_EEENS0_18inequality_wrapperINSA_8equal_toItEEEEPmJS6_EEE10hipError_tPvRmT3_T4_T5_T6_T7_T9_mT8_P12ihipStream_tbDpT10_ENKUlT_T0_E_clISt17integral_constantIbLb1EES1C_IbLb0EEEEDaS18_S19_EUlS18_E_NS1_11comp_targetILNS1_3genE9ELNS1_11target_archE1100ELNS1_3gpuE3ELNS1_3repE0EEENS1_30default_config_static_selectorELNS0_4arch9wavefront6targetE1EEEvT1_,comdat
	.protected	_ZN7rocprim17ROCPRIM_400000_NS6detail17trampoline_kernelINS0_14default_configENS1_25partition_config_selectorILNS1_17partition_subalgoE8EtNS0_10empty_typeEbEEZZNS1_14partition_implILS5_8ELb0ES3_jN6thrust23THRUST_200600_302600_NS6detail15normal_iteratorINSA_10device_ptrItEEEEPS6_PKS6_NS0_5tupleIJNSA_16discard_iteratorINSA_11use_defaultEEES6_EEENSJ_IJSG_SG_EEENS0_18inequality_wrapperINSA_8equal_toItEEEEPmJS6_EEE10hipError_tPvRmT3_T4_T5_T6_T7_T9_mT8_P12ihipStream_tbDpT10_ENKUlT_T0_E_clISt17integral_constantIbLb1EES1C_IbLb0EEEEDaS18_S19_EUlS18_E_NS1_11comp_targetILNS1_3genE9ELNS1_11target_archE1100ELNS1_3gpuE3ELNS1_3repE0EEENS1_30default_config_static_selectorELNS0_4arch9wavefront6targetE1EEEvT1_ ; -- Begin function _ZN7rocprim17ROCPRIM_400000_NS6detail17trampoline_kernelINS0_14default_configENS1_25partition_config_selectorILNS1_17partition_subalgoE8EtNS0_10empty_typeEbEEZZNS1_14partition_implILS5_8ELb0ES3_jN6thrust23THRUST_200600_302600_NS6detail15normal_iteratorINSA_10device_ptrItEEEEPS6_PKS6_NS0_5tupleIJNSA_16discard_iteratorINSA_11use_defaultEEES6_EEENSJ_IJSG_SG_EEENS0_18inequality_wrapperINSA_8equal_toItEEEEPmJS6_EEE10hipError_tPvRmT3_T4_T5_T6_T7_T9_mT8_P12ihipStream_tbDpT10_ENKUlT_T0_E_clISt17integral_constantIbLb1EES1C_IbLb0EEEEDaS18_S19_EUlS18_E_NS1_11comp_targetILNS1_3genE9ELNS1_11target_archE1100ELNS1_3gpuE3ELNS1_3repE0EEENS1_30default_config_static_selectorELNS0_4arch9wavefront6targetE1EEEvT1_
	.globl	_ZN7rocprim17ROCPRIM_400000_NS6detail17trampoline_kernelINS0_14default_configENS1_25partition_config_selectorILNS1_17partition_subalgoE8EtNS0_10empty_typeEbEEZZNS1_14partition_implILS5_8ELb0ES3_jN6thrust23THRUST_200600_302600_NS6detail15normal_iteratorINSA_10device_ptrItEEEEPS6_PKS6_NS0_5tupleIJNSA_16discard_iteratorINSA_11use_defaultEEES6_EEENSJ_IJSG_SG_EEENS0_18inequality_wrapperINSA_8equal_toItEEEEPmJS6_EEE10hipError_tPvRmT3_T4_T5_T6_T7_T9_mT8_P12ihipStream_tbDpT10_ENKUlT_T0_E_clISt17integral_constantIbLb1EES1C_IbLb0EEEEDaS18_S19_EUlS18_E_NS1_11comp_targetILNS1_3genE9ELNS1_11target_archE1100ELNS1_3gpuE3ELNS1_3repE0EEENS1_30default_config_static_selectorELNS0_4arch9wavefront6targetE1EEEvT1_
	.p2align	8
	.type	_ZN7rocprim17ROCPRIM_400000_NS6detail17trampoline_kernelINS0_14default_configENS1_25partition_config_selectorILNS1_17partition_subalgoE8EtNS0_10empty_typeEbEEZZNS1_14partition_implILS5_8ELb0ES3_jN6thrust23THRUST_200600_302600_NS6detail15normal_iteratorINSA_10device_ptrItEEEEPS6_PKS6_NS0_5tupleIJNSA_16discard_iteratorINSA_11use_defaultEEES6_EEENSJ_IJSG_SG_EEENS0_18inequality_wrapperINSA_8equal_toItEEEEPmJS6_EEE10hipError_tPvRmT3_T4_T5_T6_T7_T9_mT8_P12ihipStream_tbDpT10_ENKUlT_T0_E_clISt17integral_constantIbLb1EES1C_IbLb0EEEEDaS18_S19_EUlS18_E_NS1_11comp_targetILNS1_3genE9ELNS1_11target_archE1100ELNS1_3gpuE3ELNS1_3repE0EEENS1_30default_config_static_selectorELNS0_4arch9wavefront6targetE1EEEvT1_,@function
_ZN7rocprim17ROCPRIM_400000_NS6detail17trampoline_kernelINS0_14default_configENS1_25partition_config_selectorILNS1_17partition_subalgoE8EtNS0_10empty_typeEbEEZZNS1_14partition_implILS5_8ELb0ES3_jN6thrust23THRUST_200600_302600_NS6detail15normal_iteratorINSA_10device_ptrItEEEEPS6_PKS6_NS0_5tupleIJNSA_16discard_iteratorINSA_11use_defaultEEES6_EEENSJ_IJSG_SG_EEENS0_18inequality_wrapperINSA_8equal_toItEEEEPmJS6_EEE10hipError_tPvRmT3_T4_T5_T6_T7_T9_mT8_P12ihipStream_tbDpT10_ENKUlT_T0_E_clISt17integral_constantIbLb1EES1C_IbLb0EEEEDaS18_S19_EUlS18_E_NS1_11comp_targetILNS1_3genE9ELNS1_11target_archE1100ELNS1_3gpuE3ELNS1_3repE0EEENS1_30default_config_static_selectorELNS0_4arch9wavefront6targetE1EEEvT1_: ; @_ZN7rocprim17ROCPRIM_400000_NS6detail17trampoline_kernelINS0_14default_configENS1_25partition_config_selectorILNS1_17partition_subalgoE8EtNS0_10empty_typeEbEEZZNS1_14partition_implILS5_8ELb0ES3_jN6thrust23THRUST_200600_302600_NS6detail15normal_iteratorINSA_10device_ptrItEEEEPS6_PKS6_NS0_5tupleIJNSA_16discard_iteratorINSA_11use_defaultEEES6_EEENSJ_IJSG_SG_EEENS0_18inequality_wrapperINSA_8equal_toItEEEEPmJS6_EEE10hipError_tPvRmT3_T4_T5_T6_T7_T9_mT8_P12ihipStream_tbDpT10_ENKUlT_T0_E_clISt17integral_constantIbLb1EES1C_IbLb0EEEEDaS18_S19_EUlS18_E_NS1_11comp_targetILNS1_3genE9ELNS1_11target_archE1100ELNS1_3gpuE3ELNS1_3repE0EEENS1_30default_config_static_selectorELNS0_4arch9wavefront6targetE1EEEvT1_
; %bb.0:
	.section	.rodata,"a",@progbits
	.p2align	6, 0x0
	.amdhsa_kernel _ZN7rocprim17ROCPRIM_400000_NS6detail17trampoline_kernelINS0_14default_configENS1_25partition_config_selectorILNS1_17partition_subalgoE8EtNS0_10empty_typeEbEEZZNS1_14partition_implILS5_8ELb0ES3_jN6thrust23THRUST_200600_302600_NS6detail15normal_iteratorINSA_10device_ptrItEEEEPS6_PKS6_NS0_5tupleIJNSA_16discard_iteratorINSA_11use_defaultEEES6_EEENSJ_IJSG_SG_EEENS0_18inequality_wrapperINSA_8equal_toItEEEEPmJS6_EEE10hipError_tPvRmT3_T4_T5_T6_T7_T9_mT8_P12ihipStream_tbDpT10_ENKUlT_T0_E_clISt17integral_constantIbLb1EES1C_IbLb0EEEEDaS18_S19_EUlS18_E_NS1_11comp_targetILNS1_3genE9ELNS1_11target_archE1100ELNS1_3gpuE3ELNS1_3repE0EEENS1_30default_config_static_selectorELNS0_4arch9wavefront6targetE1EEEvT1_
		.amdhsa_group_segment_fixed_size 0
		.amdhsa_private_segment_fixed_size 0
		.amdhsa_kernarg_size 120
		.amdhsa_user_sgpr_count 6
		.amdhsa_user_sgpr_private_segment_buffer 1
		.amdhsa_user_sgpr_dispatch_ptr 0
		.amdhsa_user_sgpr_queue_ptr 0
		.amdhsa_user_sgpr_kernarg_segment_ptr 1
		.amdhsa_user_sgpr_dispatch_id 0
		.amdhsa_user_sgpr_flat_scratch_init 0
		.amdhsa_user_sgpr_private_segment_size 0
		.amdhsa_uses_dynamic_stack 0
		.amdhsa_system_sgpr_private_segment_wavefront_offset 0
		.amdhsa_system_sgpr_workgroup_id_x 1
		.amdhsa_system_sgpr_workgroup_id_y 0
		.amdhsa_system_sgpr_workgroup_id_z 0
		.amdhsa_system_sgpr_workgroup_info 0
		.amdhsa_system_vgpr_workitem_id 0
		.amdhsa_next_free_vgpr 1
		.amdhsa_next_free_sgpr 0
		.amdhsa_reserve_vcc 0
		.amdhsa_reserve_flat_scratch 0
		.amdhsa_float_round_mode_32 0
		.amdhsa_float_round_mode_16_64 0
		.amdhsa_float_denorm_mode_32 3
		.amdhsa_float_denorm_mode_16_64 3
		.amdhsa_dx10_clamp 1
		.amdhsa_ieee_mode 1
		.amdhsa_fp16_overflow 0
		.amdhsa_exception_fp_ieee_invalid_op 0
		.amdhsa_exception_fp_denorm_src 0
		.amdhsa_exception_fp_ieee_div_zero 0
		.amdhsa_exception_fp_ieee_overflow 0
		.amdhsa_exception_fp_ieee_underflow 0
		.amdhsa_exception_fp_ieee_inexact 0
		.amdhsa_exception_int_div_zero 0
	.end_amdhsa_kernel
	.section	.text._ZN7rocprim17ROCPRIM_400000_NS6detail17trampoline_kernelINS0_14default_configENS1_25partition_config_selectorILNS1_17partition_subalgoE8EtNS0_10empty_typeEbEEZZNS1_14partition_implILS5_8ELb0ES3_jN6thrust23THRUST_200600_302600_NS6detail15normal_iteratorINSA_10device_ptrItEEEEPS6_PKS6_NS0_5tupleIJNSA_16discard_iteratorINSA_11use_defaultEEES6_EEENSJ_IJSG_SG_EEENS0_18inequality_wrapperINSA_8equal_toItEEEEPmJS6_EEE10hipError_tPvRmT3_T4_T5_T6_T7_T9_mT8_P12ihipStream_tbDpT10_ENKUlT_T0_E_clISt17integral_constantIbLb1EES1C_IbLb0EEEEDaS18_S19_EUlS18_E_NS1_11comp_targetILNS1_3genE9ELNS1_11target_archE1100ELNS1_3gpuE3ELNS1_3repE0EEENS1_30default_config_static_selectorELNS0_4arch9wavefront6targetE1EEEvT1_,"axG",@progbits,_ZN7rocprim17ROCPRIM_400000_NS6detail17trampoline_kernelINS0_14default_configENS1_25partition_config_selectorILNS1_17partition_subalgoE8EtNS0_10empty_typeEbEEZZNS1_14partition_implILS5_8ELb0ES3_jN6thrust23THRUST_200600_302600_NS6detail15normal_iteratorINSA_10device_ptrItEEEEPS6_PKS6_NS0_5tupleIJNSA_16discard_iteratorINSA_11use_defaultEEES6_EEENSJ_IJSG_SG_EEENS0_18inequality_wrapperINSA_8equal_toItEEEEPmJS6_EEE10hipError_tPvRmT3_T4_T5_T6_T7_T9_mT8_P12ihipStream_tbDpT10_ENKUlT_T0_E_clISt17integral_constantIbLb1EES1C_IbLb0EEEEDaS18_S19_EUlS18_E_NS1_11comp_targetILNS1_3genE9ELNS1_11target_archE1100ELNS1_3gpuE3ELNS1_3repE0EEENS1_30default_config_static_selectorELNS0_4arch9wavefront6targetE1EEEvT1_,comdat
.Lfunc_end619:
	.size	_ZN7rocprim17ROCPRIM_400000_NS6detail17trampoline_kernelINS0_14default_configENS1_25partition_config_selectorILNS1_17partition_subalgoE8EtNS0_10empty_typeEbEEZZNS1_14partition_implILS5_8ELb0ES3_jN6thrust23THRUST_200600_302600_NS6detail15normal_iteratorINSA_10device_ptrItEEEEPS6_PKS6_NS0_5tupleIJNSA_16discard_iteratorINSA_11use_defaultEEES6_EEENSJ_IJSG_SG_EEENS0_18inequality_wrapperINSA_8equal_toItEEEEPmJS6_EEE10hipError_tPvRmT3_T4_T5_T6_T7_T9_mT8_P12ihipStream_tbDpT10_ENKUlT_T0_E_clISt17integral_constantIbLb1EES1C_IbLb0EEEEDaS18_S19_EUlS18_E_NS1_11comp_targetILNS1_3genE9ELNS1_11target_archE1100ELNS1_3gpuE3ELNS1_3repE0EEENS1_30default_config_static_selectorELNS0_4arch9wavefront6targetE1EEEvT1_, .Lfunc_end619-_ZN7rocprim17ROCPRIM_400000_NS6detail17trampoline_kernelINS0_14default_configENS1_25partition_config_selectorILNS1_17partition_subalgoE8EtNS0_10empty_typeEbEEZZNS1_14partition_implILS5_8ELb0ES3_jN6thrust23THRUST_200600_302600_NS6detail15normal_iteratorINSA_10device_ptrItEEEEPS6_PKS6_NS0_5tupleIJNSA_16discard_iteratorINSA_11use_defaultEEES6_EEENSJ_IJSG_SG_EEENS0_18inequality_wrapperINSA_8equal_toItEEEEPmJS6_EEE10hipError_tPvRmT3_T4_T5_T6_T7_T9_mT8_P12ihipStream_tbDpT10_ENKUlT_T0_E_clISt17integral_constantIbLb1EES1C_IbLb0EEEEDaS18_S19_EUlS18_E_NS1_11comp_targetILNS1_3genE9ELNS1_11target_archE1100ELNS1_3gpuE3ELNS1_3repE0EEENS1_30default_config_static_selectorELNS0_4arch9wavefront6targetE1EEEvT1_
                                        ; -- End function
	.set _ZN7rocprim17ROCPRIM_400000_NS6detail17trampoline_kernelINS0_14default_configENS1_25partition_config_selectorILNS1_17partition_subalgoE8EtNS0_10empty_typeEbEEZZNS1_14partition_implILS5_8ELb0ES3_jN6thrust23THRUST_200600_302600_NS6detail15normal_iteratorINSA_10device_ptrItEEEEPS6_PKS6_NS0_5tupleIJNSA_16discard_iteratorINSA_11use_defaultEEES6_EEENSJ_IJSG_SG_EEENS0_18inequality_wrapperINSA_8equal_toItEEEEPmJS6_EEE10hipError_tPvRmT3_T4_T5_T6_T7_T9_mT8_P12ihipStream_tbDpT10_ENKUlT_T0_E_clISt17integral_constantIbLb1EES1C_IbLb0EEEEDaS18_S19_EUlS18_E_NS1_11comp_targetILNS1_3genE9ELNS1_11target_archE1100ELNS1_3gpuE3ELNS1_3repE0EEENS1_30default_config_static_selectorELNS0_4arch9wavefront6targetE1EEEvT1_.num_vgpr, 0
	.set _ZN7rocprim17ROCPRIM_400000_NS6detail17trampoline_kernelINS0_14default_configENS1_25partition_config_selectorILNS1_17partition_subalgoE8EtNS0_10empty_typeEbEEZZNS1_14partition_implILS5_8ELb0ES3_jN6thrust23THRUST_200600_302600_NS6detail15normal_iteratorINSA_10device_ptrItEEEEPS6_PKS6_NS0_5tupleIJNSA_16discard_iteratorINSA_11use_defaultEEES6_EEENSJ_IJSG_SG_EEENS0_18inequality_wrapperINSA_8equal_toItEEEEPmJS6_EEE10hipError_tPvRmT3_T4_T5_T6_T7_T9_mT8_P12ihipStream_tbDpT10_ENKUlT_T0_E_clISt17integral_constantIbLb1EES1C_IbLb0EEEEDaS18_S19_EUlS18_E_NS1_11comp_targetILNS1_3genE9ELNS1_11target_archE1100ELNS1_3gpuE3ELNS1_3repE0EEENS1_30default_config_static_selectorELNS0_4arch9wavefront6targetE1EEEvT1_.num_agpr, 0
	.set _ZN7rocprim17ROCPRIM_400000_NS6detail17trampoline_kernelINS0_14default_configENS1_25partition_config_selectorILNS1_17partition_subalgoE8EtNS0_10empty_typeEbEEZZNS1_14partition_implILS5_8ELb0ES3_jN6thrust23THRUST_200600_302600_NS6detail15normal_iteratorINSA_10device_ptrItEEEEPS6_PKS6_NS0_5tupleIJNSA_16discard_iteratorINSA_11use_defaultEEES6_EEENSJ_IJSG_SG_EEENS0_18inequality_wrapperINSA_8equal_toItEEEEPmJS6_EEE10hipError_tPvRmT3_T4_T5_T6_T7_T9_mT8_P12ihipStream_tbDpT10_ENKUlT_T0_E_clISt17integral_constantIbLb1EES1C_IbLb0EEEEDaS18_S19_EUlS18_E_NS1_11comp_targetILNS1_3genE9ELNS1_11target_archE1100ELNS1_3gpuE3ELNS1_3repE0EEENS1_30default_config_static_selectorELNS0_4arch9wavefront6targetE1EEEvT1_.numbered_sgpr, 0
	.set _ZN7rocprim17ROCPRIM_400000_NS6detail17trampoline_kernelINS0_14default_configENS1_25partition_config_selectorILNS1_17partition_subalgoE8EtNS0_10empty_typeEbEEZZNS1_14partition_implILS5_8ELb0ES3_jN6thrust23THRUST_200600_302600_NS6detail15normal_iteratorINSA_10device_ptrItEEEEPS6_PKS6_NS0_5tupleIJNSA_16discard_iteratorINSA_11use_defaultEEES6_EEENSJ_IJSG_SG_EEENS0_18inequality_wrapperINSA_8equal_toItEEEEPmJS6_EEE10hipError_tPvRmT3_T4_T5_T6_T7_T9_mT8_P12ihipStream_tbDpT10_ENKUlT_T0_E_clISt17integral_constantIbLb1EES1C_IbLb0EEEEDaS18_S19_EUlS18_E_NS1_11comp_targetILNS1_3genE9ELNS1_11target_archE1100ELNS1_3gpuE3ELNS1_3repE0EEENS1_30default_config_static_selectorELNS0_4arch9wavefront6targetE1EEEvT1_.num_named_barrier, 0
	.set _ZN7rocprim17ROCPRIM_400000_NS6detail17trampoline_kernelINS0_14default_configENS1_25partition_config_selectorILNS1_17partition_subalgoE8EtNS0_10empty_typeEbEEZZNS1_14partition_implILS5_8ELb0ES3_jN6thrust23THRUST_200600_302600_NS6detail15normal_iteratorINSA_10device_ptrItEEEEPS6_PKS6_NS0_5tupleIJNSA_16discard_iteratorINSA_11use_defaultEEES6_EEENSJ_IJSG_SG_EEENS0_18inequality_wrapperINSA_8equal_toItEEEEPmJS6_EEE10hipError_tPvRmT3_T4_T5_T6_T7_T9_mT8_P12ihipStream_tbDpT10_ENKUlT_T0_E_clISt17integral_constantIbLb1EES1C_IbLb0EEEEDaS18_S19_EUlS18_E_NS1_11comp_targetILNS1_3genE9ELNS1_11target_archE1100ELNS1_3gpuE3ELNS1_3repE0EEENS1_30default_config_static_selectorELNS0_4arch9wavefront6targetE1EEEvT1_.private_seg_size, 0
	.set _ZN7rocprim17ROCPRIM_400000_NS6detail17trampoline_kernelINS0_14default_configENS1_25partition_config_selectorILNS1_17partition_subalgoE8EtNS0_10empty_typeEbEEZZNS1_14partition_implILS5_8ELb0ES3_jN6thrust23THRUST_200600_302600_NS6detail15normal_iteratorINSA_10device_ptrItEEEEPS6_PKS6_NS0_5tupleIJNSA_16discard_iteratorINSA_11use_defaultEEES6_EEENSJ_IJSG_SG_EEENS0_18inequality_wrapperINSA_8equal_toItEEEEPmJS6_EEE10hipError_tPvRmT3_T4_T5_T6_T7_T9_mT8_P12ihipStream_tbDpT10_ENKUlT_T0_E_clISt17integral_constantIbLb1EES1C_IbLb0EEEEDaS18_S19_EUlS18_E_NS1_11comp_targetILNS1_3genE9ELNS1_11target_archE1100ELNS1_3gpuE3ELNS1_3repE0EEENS1_30default_config_static_selectorELNS0_4arch9wavefront6targetE1EEEvT1_.uses_vcc, 0
	.set _ZN7rocprim17ROCPRIM_400000_NS6detail17trampoline_kernelINS0_14default_configENS1_25partition_config_selectorILNS1_17partition_subalgoE8EtNS0_10empty_typeEbEEZZNS1_14partition_implILS5_8ELb0ES3_jN6thrust23THRUST_200600_302600_NS6detail15normal_iteratorINSA_10device_ptrItEEEEPS6_PKS6_NS0_5tupleIJNSA_16discard_iteratorINSA_11use_defaultEEES6_EEENSJ_IJSG_SG_EEENS0_18inequality_wrapperINSA_8equal_toItEEEEPmJS6_EEE10hipError_tPvRmT3_T4_T5_T6_T7_T9_mT8_P12ihipStream_tbDpT10_ENKUlT_T0_E_clISt17integral_constantIbLb1EES1C_IbLb0EEEEDaS18_S19_EUlS18_E_NS1_11comp_targetILNS1_3genE9ELNS1_11target_archE1100ELNS1_3gpuE3ELNS1_3repE0EEENS1_30default_config_static_selectorELNS0_4arch9wavefront6targetE1EEEvT1_.uses_flat_scratch, 0
	.set _ZN7rocprim17ROCPRIM_400000_NS6detail17trampoline_kernelINS0_14default_configENS1_25partition_config_selectorILNS1_17partition_subalgoE8EtNS0_10empty_typeEbEEZZNS1_14partition_implILS5_8ELb0ES3_jN6thrust23THRUST_200600_302600_NS6detail15normal_iteratorINSA_10device_ptrItEEEEPS6_PKS6_NS0_5tupleIJNSA_16discard_iteratorINSA_11use_defaultEEES6_EEENSJ_IJSG_SG_EEENS0_18inequality_wrapperINSA_8equal_toItEEEEPmJS6_EEE10hipError_tPvRmT3_T4_T5_T6_T7_T9_mT8_P12ihipStream_tbDpT10_ENKUlT_T0_E_clISt17integral_constantIbLb1EES1C_IbLb0EEEEDaS18_S19_EUlS18_E_NS1_11comp_targetILNS1_3genE9ELNS1_11target_archE1100ELNS1_3gpuE3ELNS1_3repE0EEENS1_30default_config_static_selectorELNS0_4arch9wavefront6targetE1EEEvT1_.has_dyn_sized_stack, 0
	.set _ZN7rocprim17ROCPRIM_400000_NS6detail17trampoline_kernelINS0_14default_configENS1_25partition_config_selectorILNS1_17partition_subalgoE8EtNS0_10empty_typeEbEEZZNS1_14partition_implILS5_8ELb0ES3_jN6thrust23THRUST_200600_302600_NS6detail15normal_iteratorINSA_10device_ptrItEEEEPS6_PKS6_NS0_5tupleIJNSA_16discard_iteratorINSA_11use_defaultEEES6_EEENSJ_IJSG_SG_EEENS0_18inequality_wrapperINSA_8equal_toItEEEEPmJS6_EEE10hipError_tPvRmT3_T4_T5_T6_T7_T9_mT8_P12ihipStream_tbDpT10_ENKUlT_T0_E_clISt17integral_constantIbLb1EES1C_IbLb0EEEEDaS18_S19_EUlS18_E_NS1_11comp_targetILNS1_3genE9ELNS1_11target_archE1100ELNS1_3gpuE3ELNS1_3repE0EEENS1_30default_config_static_selectorELNS0_4arch9wavefront6targetE1EEEvT1_.has_recursion, 0
	.set _ZN7rocprim17ROCPRIM_400000_NS6detail17trampoline_kernelINS0_14default_configENS1_25partition_config_selectorILNS1_17partition_subalgoE8EtNS0_10empty_typeEbEEZZNS1_14partition_implILS5_8ELb0ES3_jN6thrust23THRUST_200600_302600_NS6detail15normal_iteratorINSA_10device_ptrItEEEEPS6_PKS6_NS0_5tupleIJNSA_16discard_iteratorINSA_11use_defaultEEES6_EEENSJ_IJSG_SG_EEENS0_18inequality_wrapperINSA_8equal_toItEEEEPmJS6_EEE10hipError_tPvRmT3_T4_T5_T6_T7_T9_mT8_P12ihipStream_tbDpT10_ENKUlT_T0_E_clISt17integral_constantIbLb1EES1C_IbLb0EEEEDaS18_S19_EUlS18_E_NS1_11comp_targetILNS1_3genE9ELNS1_11target_archE1100ELNS1_3gpuE3ELNS1_3repE0EEENS1_30default_config_static_selectorELNS0_4arch9wavefront6targetE1EEEvT1_.has_indirect_call, 0
	.section	.AMDGPU.csdata,"",@progbits
; Kernel info:
; codeLenInByte = 0
; TotalNumSgprs: 4
; NumVgprs: 0
; ScratchSize: 0
; MemoryBound: 0
; FloatMode: 240
; IeeeMode: 1
; LDSByteSize: 0 bytes/workgroup (compile time only)
; SGPRBlocks: 0
; VGPRBlocks: 0
; NumSGPRsForWavesPerEU: 4
; NumVGPRsForWavesPerEU: 1
; Occupancy: 10
; WaveLimiterHint : 0
; COMPUTE_PGM_RSRC2:SCRATCH_EN: 0
; COMPUTE_PGM_RSRC2:USER_SGPR: 6
; COMPUTE_PGM_RSRC2:TRAP_HANDLER: 0
; COMPUTE_PGM_RSRC2:TGID_X_EN: 1
; COMPUTE_PGM_RSRC2:TGID_Y_EN: 0
; COMPUTE_PGM_RSRC2:TGID_Z_EN: 0
; COMPUTE_PGM_RSRC2:TIDIG_COMP_CNT: 0
	.section	.text._ZN7rocprim17ROCPRIM_400000_NS6detail17trampoline_kernelINS0_14default_configENS1_25partition_config_selectorILNS1_17partition_subalgoE8EtNS0_10empty_typeEbEEZZNS1_14partition_implILS5_8ELb0ES3_jN6thrust23THRUST_200600_302600_NS6detail15normal_iteratorINSA_10device_ptrItEEEEPS6_PKS6_NS0_5tupleIJNSA_16discard_iteratorINSA_11use_defaultEEES6_EEENSJ_IJSG_SG_EEENS0_18inequality_wrapperINSA_8equal_toItEEEEPmJS6_EEE10hipError_tPvRmT3_T4_T5_T6_T7_T9_mT8_P12ihipStream_tbDpT10_ENKUlT_T0_E_clISt17integral_constantIbLb1EES1C_IbLb0EEEEDaS18_S19_EUlS18_E_NS1_11comp_targetILNS1_3genE8ELNS1_11target_archE1030ELNS1_3gpuE2ELNS1_3repE0EEENS1_30default_config_static_selectorELNS0_4arch9wavefront6targetE1EEEvT1_,"axG",@progbits,_ZN7rocprim17ROCPRIM_400000_NS6detail17trampoline_kernelINS0_14default_configENS1_25partition_config_selectorILNS1_17partition_subalgoE8EtNS0_10empty_typeEbEEZZNS1_14partition_implILS5_8ELb0ES3_jN6thrust23THRUST_200600_302600_NS6detail15normal_iteratorINSA_10device_ptrItEEEEPS6_PKS6_NS0_5tupleIJNSA_16discard_iteratorINSA_11use_defaultEEES6_EEENSJ_IJSG_SG_EEENS0_18inequality_wrapperINSA_8equal_toItEEEEPmJS6_EEE10hipError_tPvRmT3_T4_T5_T6_T7_T9_mT8_P12ihipStream_tbDpT10_ENKUlT_T0_E_clISt17integral_constantIbLb1EES1C_IbLb0EEEEDaS18_S19_EUlS18_E_NS1_11comp_targetILNS1_3genE8ELNS1_11target_archE1030ELNS1_3gpuE2ELNS1_3repE0EEENS1_30default_config_static_selectorELNS0_4arch9wavefront6targetE1EEEvT1_,comdat
	.protected	_ZN7rocprim17ROCPRIM_400000_NS6detail17trampoline_kernelINS0_14default_configENS1_25partition_config_selectorILNS1_17partition_subalgoE8EtNS0_10empty_typeEbEEZZNS1_14partition_implILS5_8ELb0ES3_jN6thrust23THRUST_200600_302600_NS6detail15normal_iteratorINSA_10device_ptrItEEEEPS6_PKS6_NS0_5tupleIJNSA_16discard_iteratorINSA_11use_defaultEEES6_EEENSJ_IJSG_SG_EEENS0_18inequality_wrapperINSA_8equal_toItEEEEPmJS6_EEE10hipError_tPvRmT3_T4_T5_T6_T7_T9_mT8_P12ihipStream_tbDpT10_ENKUlT_T0_E_clISt17integral_constantIbLb1EES1C_IbLb0EEEEDaS18_S19_EUlS18_E_NS1_11comp_targetILNS1_3genE8ELNS1_11target_archE1030ELNS1_3gpuE2ELNS1_3repE0EEENS1_30default_config_static_selectorELNS0_4arch9wavefront6targetE1EEEvT1_ ; -- Begin function _ZN7rocprim17ROCPRIM_400000_NS6detail17trampoline_kernelINS0_14default_configENS1_25partition_config_selectorILNS1_17partition_subalgoE8EtNS0_10empty_typeEbEEZZNS1_14partition_implILS5_8ELb0ES3_jN6thrust23THRUST_200600_302600_NS6detail15normal_iteratorINSA_10device_ptrItEEEEPS6_PKS6_NS0_5tupleIJNSA_16discard_iteratorINSA_11use_defaultEEES6_EEENSJ_IJSG_SG_EEENS0_18inequality_wrapperINSA_8equal_toItEEEEPmJS6_EEE10hipError_tPvRmT3_T4_T5_T6_T7_T9_mT8_P12ihipStream_tbDpT10_ENKUlT_T0_E_clISt17integral_constantIbLb1EES1C_IbLb0EEEEDaS18_S19_EUlS18_E_NS1_11comp_targetILNS1_3genE8ELNS1_11target_archE1030ELNS1_3gpuE2ELNS1_3repE0EEENS1_30default_config_static_selectorELNS0_4arch9wavefront6targetE1EEEvT1_
	.globl	_ZN7rocprim17ROCPRIM_400000_NS6detail17trampoline_kernelINS0_14default_configENS1_25partition_config_selectorILNS1_17partition_subalgoE8EtNS0_10empty_typeEbEEZZNS1_14partition_implILS5_8ELb0ES3_jN6thrust23THRUST_200600_302600_NS6detail15normal_iteratorINSA_10device_ptrItEEEEPS6_PKS6_NS0_5tupleIJNSA_16discard_iteratorINSA_11use_defaultEEES6_EEENSJ_IJSG_SG_EEENS0_18inequality_wrapperINSA_8equal_toItEEEEPmJS6_EEE10hipError_tPvRmT3_T4_T5_T6_T7_T9_mT8_P12ihipStream_tbDpT10_ENKUlT_T0_E_clISt17integral_constantIbLb1EES1C_IbLb0EEEEDaS18_S19_EUlS18_E_NS1_11comp_targetILNS1_3genE8ELNS1_11target_archE1030ELNS1_3gpuE2ELNS1_3repE0EEENS1_30default_config_static_selectorELNS0_4arch9wavefront6targetE1EEEvT1_
	.p2align	8
	.type	_ZN7rocprim17ROCPRIM_400000_NS6detail17trampoline_kernelINS0_14default_configENS1_25partition_config_selectorILNS1_17partition_subalgoE8EtNS0_10empty_typeEbEEZZNS1_14partition_implILS5_8ELb0ES3_jN6thrust23THRUST_200600_302600_NS6detail15normal_iteratorINSA_10device_ptrItEEEEPS6_PKS6_NS0_5tupleIJNSA_16discard_iteratorINSA_11use_defaultEEES6_EEENSJ_IJSG_SG_EEENS0_18inequality_wrapperINSA_8equal_toItEEEEPmJS6_EEE10hipError_tPvRmT3_T4_T5_T6_T7_T9_mT8_P12ihipStream_tbDpT10_ENKUlT_T0_E_clISt17integral_constantIbLb1EES1C_IbLb0EEEEDaS18_S19_EUlS18_E_NS1_11comp_targetILNS1_3genE8ELNS1_11target_archE1030ELNS1_3gpuE2ELNS1_3repE0EEENS1_30default_config_static_selectorELNS0_4arch9wavefront6targetE1EEEvT1_,@function
_ZN7rocprim17ROCPRIM_400000_NS6detail17trampoline_kernelINS0_14default_configENS1_25partition_config_selectorILNS1_17partition_subalgoE8EtNS0_10empty_typeEbEEZZNS1_14partition_implILS5_8ELb0ES3_jN6thrust23THRUST_200600_302600_NS6detail15normal_iteratorINSA_10device_ptrItEEEEPS6_PKS6_NS0_5tupleIJNSA_16discard_iteratorINSA_11use_defaultEEES6_EEENSJ_IJSG_SG_EEENS0_18inequality_wrapperINSA_8equal_toItEEEEPmJS6_EEE10hipError_tPvRmT3_T4_T5_T6_T7_T9_mT8_P12ihipStream_tbDpT10_ENKUlT_T0_E_clISt17integral_constantIbLb1EES1C_IbLb0EEEEDaS18_S19_EUlS18_E_NS1_11comp_targetILNS1_3genE8ELNS1_11target_archE1030ELNS1_3gpuE2ELNS1_3repE0EEENS1_30default_config_static_selectorELNS0_4arch9wavefront6targetE1EEEvT1_: ; @_ZN7rocprim17ROCPRIM_400000_NS6detail17trampoline_kernelINS0_14default_configENS1_25partition_config_selectorILNS1_17partition_subalgoE8EtNS0_10empty_typeEbEEZZNS1_14partition_implILS5_8ELb0ES3_jN6thrust23THRUST_200600_302600_NS6detail15normal_iteratorINSA_10device_ptrItEEEEPS6_PKS6_NS0_5tupleIJNSA_16discard_iteratorINSA_11use_defaultEEES6_EEENSJ_IJSG_SG_EEENS0_18inequality_wrapperINSA_8equal_toItEEEEPmJS6_EEE10hipError_tPvRmT3_T4_T5_T6_T7_T9_mT8_P12ihipStream_tbDpT10_ENKUlT_T0_E_clISt17integral_constantIbLb1EES1C_IbLb0EEEEDaS18_S19_EUlS18_E_NS1_11comp_targetILNS1_3genE8ELNS1_11target_archE1030ELNS1_3gpuE2ELNS1_3repE0EEENS1_30default_config_static_selectorELNS0_4arch9wavefront6targetE1EEEvT1_
; %bb.0:
	.section	.rodata,"a",@progbits
	.p2align	6, 0x0
	.amdhsa_kernel _ZN7rocprim17ROCPRIM_400000_NS6detail17trampoline_kernelINS0_14default_configENS1_25partition_config_selectorILNS1_17partition_subalgoE8EtNS0_10empty_typeEbEEZZNS1_14partition_implILS5_8ELb0ES3_jN6thrust23THRUST_200600_302600_NS6detail15normal_iteratorINSA_10device_ptrItEEEEPS6_PKS6_NS0_5tupleIJNSA_16discard_iteratorINSA_11use_defaultEEES6_EEENSJ_IJSG_SG_EEENS0_18inequality_wrapperINSA_8equal_toItEEEEPmJS6_EEE10hipError_tPvRmT3_T4_T5_T6_T7_T9_mT8_P12ihipStream_tbDpT10_ENKUlT_T0_E_clISt17integral_constantIbLb1EES1C_IbLb0EEEEDaS18_S19_EUlS18_E_NS1_11comp_targetILNS1_3genE8ELNS1_11target_archE1030ELNS1_3gpuE2ELNS1_3repE0EEENS1_30default_config_static_selectorELNS0_4arch9wavefront6targetE1EEEvT1_
		.amdhsa_group_segment_fixed_size 0
		.amdhsa_private_segment_fixed_size 0
		.amdhsa_kernarg_size 120
		.amdhsa_user_sgpr_count 6
		.amdhsa_user_sgpr_private_segment_buffer 1
		.amdhsa_user_sgpr_dispatch_ptr 0
		.amdhsa_user_sgpr_queue_ptr 0
		.amdhsa_user_sgpr_kernarg_segment_ptr 1
		.amdhsa_user_sgpr_dispatch_id 0
		.amdhsa_user_sgpr_flat_scratch_init 0
		.amdhsa_user_sgpr_private_segment_size 0
		.amdhsa_uses_dynamic_stack 0
		.amdhsa_system_sgpr_private_segment_wavefront_offset 0
		.amdhsa_system_sgpr_workgroup_id_x 1
		.amdhsa_system_sgpr_workgroup_id_y 0
		.amdhsa_system_sgpr_workgroup_id_z 0
		.amdhsa_system_sgpr_workgroup_info 0
		.amdhsa_system_vgpr_workitem_id 0
		.amdhsa_next_free_vgpr 1
		.amdhsa_next_free_sgpr 0
		.amdhsa_reserve_vcc 0
		.amdhsa_reserve_flat_scratch 0
		.amdhsa_float_round_mode_32 0
		.amdhsa_float_round_mode_16_64 0
		.amdhsa_float_denorm_mode_32 3
		.amdhsa_float_denorm_mode_16_64 3
		.amdhsa_dx10_clamp 1
		.amdhsa_ieee_mode 1
		.amdhsa_fp16_overflow 0
		.amdhsa_exception_fp_ieee_invalid_op 0
		.amdhsa_exception_fp_denorm_src 0
		.amdhsa_exception_fp_ieee_div_zero 0
		.amdhsa_exception_fp_ieee_overflow 0
		.amdhsa_exception_fp_ieee_underflow 0
		.amdhsa_exception_fp_ieee_inexact 0
		.amdhsa_exception_int_div_zero 0
	.end_amdhsa_kernel
	.section	.text._ZN7rocprim17ROCPRIM_400000_NS6detail17trampoline_kernelINS0_14default_configENS1_25partition_config_selectorILNS1_17partition_subalgoE8EtNS0_10empty_typeEbEEZZNS1_14partition_implILS5_8ELb0ES3_jN6thrust23THRUST_200600_302600_NS6detail15normal_iteratorINSA_10device_ptrItEEEEPS6_PKS6_NS0_5tupleIJNSA_16discard_iteratorINSA_11use_defaultEEES6_EEENSJ_IJSG_SG_EEENS0_18inequality_wrapperINSA_8equal_toItEEEEPmJS6_EEE10hipError_tPvRmT3_T4_T5_T6_T7_T9_mT8_P12ihipStream_tbDpT10_ENKUlT_T0_E_clISt17integral_constantIbLb1EES1C_IbLb0EEEEDaS18_S19_EUlS18_E_NS1_11comp_targetILNS1_3genE8ELNS1_11target_archE1030ELNS1_3gpuE2ELNS1_3repE0EEENS1_30default_config_static_selectorELNS0_4arch9wavefront6targetE1EEEvT1_,"axG",@progbits,_ZN7rocprim17ROCPRIM_400000_NS6detail17trampoline_kernelINS0_14default_configENS1_25partition_config_selectorILNS1_17partition_subalgoE8EtNS0_10empty_typeEbEEZZNS1_14partition_implILS5_8ELb0ES3_jN6thrust23THRUST_200600_302600_NS6detail15normal_iteratorINSA_10device_ptrItEEEEPS6_PKS6_NS0_5tupleIJNSA_16discard_iteratorINSA_11use_defaultEEES6_EEENSJ_IJSG_SG_EEENS0_18inequality_wrapperINSA_8equal_toItEEEEPmJS6_EEE10hipError_tPvRmT3_T4_T5_T6_T7_T9_mT8_P12ihipStream_tbDpT10_ENKUlT_T0_E_clISt17integral_constantIbLb1EES1C_IbLb0EEEEDaS18_S19_EUlS18_E_NS1_11comp_targetILNS1_3genE8ELNS1_11target_archE1030ELNS1_3gpuE2ELNS1_3repE0EEENS1_30default_config_static_selectorELNS0_4arch9wavefront6targetE1EEEvT1_,comdat
.Lfunc_end620:
	.size	_ZN7rocprim17ROCPRIM_400000_NS6detail17trampoline_kernelINS0_14default_configENS1_25partition_config_selectorILNS1_17partition_subalgoE8EtNS0_10empty_typeEbEEZZNS1_14partition_implILS5_8ELb0ES3_jN6thrust23THRUST_200600_302600_NS6detail15normal_iteratorINSA_10device_ptrItEEEEPS6_PKS6_NS0_5tupleIJNSA_16discard_iteratorINSA_11use_defaultEEES6_EEENSJ_IJSG_SG_EEENS0_18inequality_wrapperINSA_8equal_toItEEEEPmJS6_EEE10hipError_tPvRmT3_T4_T5_T6_T7_T9_mT8_P12ihipStream_tbDpT10_ENKUlT_T0_E_clISt17integral_constantIbLb1EES1C_IbLb0EEEEDaS18_S19_EUlS18_E_NS1_11comp_targetILNS1_3genE8ELNS1_11target_archE1030ELNS1_3gpuE2ELNS1_3repE0EEENS1_30default_config_static_selectorELNS0_4arch9wavefront6targetE1EEEvT1_, .Lfunc_end620-_ZN7rocprim17ROCPRIM_400000_NS6detail17trampoline_kernelINS0_14default_configENS1_25partition_config_selectorILNS1_17partition_subalgoE8EtNS0_10empty_typeEbEEZZNS1_14partition_implILS5_8ELb0ES3_jN6thrust23THRUST_200600_302600_NS6detail15normal_iteratorINSA_10device_ptrItEEEEPS6_PKS6_NS0_5tupleIJNSA_16discard_iteratorINSA_11use_defaultEEES6_EEENSJ_IJSG_SG_EEENS0_18inequality_wrapperINSA_8equal_toItEEEEPmJS6_EEE10hipError_tPvRmT3_T4_T5_T6_T7_T9_mT8_P12ihipStream_tbDpT10_ENKUlT_T0_E_clISt17integral_constantIbLb1EES1C_IbLb0EEEEDaS18_S19_EUlS18_E_NS1_11comp_targetILNS1_3genE8ELNS1_11target_archE1030ELNS1_3gpuE2ELNS1_3repE0EEENS1_30default_config_static_selectorELNS0_4arch9wavefront6targetE1EEEvT1_
                                        ; -- End function
	.set _ZN7rocprim17ROCPRIM_400000_NS6detail17trampoline_kernelINS0_14default_configENS1_25partition_config_selectorILNS1_17partition_subalgoE8EtNS0_10empty_typeEbEEZZNS1_14partition_implILS5_8ELb0ES3_jN6thrust23THRUST_200600_302600_NS6detail15normal_iteratorINSA_10device_ptrItEEEEPS6_PKS6_NS0_5tupleIJNSA_16discard_iteratorINSA_11use_defaultEEES6_EEENSJ_IJSG_SG_EEENS0_18inequality_wrapperINSA_8equal_toItEEEEPmJS6_EEE10hipError_tPvRmT3_T4_T5_T6_T7_T9_mT8_P12ihipStream_tbDpT10_ENKUlT_T0_E_clISt17integral_constantIbLb1EES1C_IbLb0EEEEDaS18_S19_EUlS18_E_NS1_11comp_targetILNS1_3genE8ELNS1_11target_archE1030ELNS1_3gpuE2ELNS1_3repE0EEENS1_30default_config_static_selectorELNS0_4arch9wavefront6targetE1EEEvT1_.num_vgpr, 0
	.set _ZN7rocprim17ROCPRIM_400000_NS6detail17trampoline_kernelINS0_14default_configENS1_25partition_config_selectorILNS1_17partition_subalgoE8EtNS0_10empty_typeEbEEZZNS1_14partition_implILS5_8ELb0ES3_jN6thrust23THRUST_200600_302600_NS6detail15normal_iteratorINSA_10device_ptrItEEEEPS6_PKS6_NS0_5tupleIJNSA_16discard_iteratorINSA_11use_defaultEEES6_EEENSJ_IJSG_SG_EEENS0_18inequality_wrapperINSA_8equal_toItEEEEPmJS6_EEE10hipError_tPvRmT3_T4_T5_T6_T7_T9_mT8_P12ihipStream_tbDpT10_ENKUlT_T0_E_clISt17integral_constantIbLb1EES1C_IbLb0EEEEDaS18_S19_EUlS18_E_NS1_11comp_targetILNS1_3genE8ELNS1_11target_archE1030ELNS1_3gpuE2ELNS1_3repE0EEENS1_30default_config_static_selectorELNS0_4arch9wavefront6targetE1EEEvT1_.num_agpr, 0
	.set _ZN7rocprim17ROCPRIM_400000_NS6detail17trampoline_kernelINS0_14default_configENS1_25partition_config_selectorILNS1_17partition_subalgoE8EtNS0_10empty_typeEbEEZZNS1_14partition_implILS5_8ELb0ES3_jN6thrust23THRUST_200600_302600_NS6detail15normal_iteratorINSA_10device_ptrItEEEEPS6_PKS6_NS0_5tupleIJNSA_16discard_iteratorINSA_11use_defaultEEES6_EEENSJ_IJSG_SG_EEENS0_18inequality_wrapperINSA_8equal_toItEEEEPmJS6_EEE10hipError_tPvRmT3_T4_T5_T6_T7_T9_mT8_P12ihipStream_tbDpT10_ENKUlT_T0_E_clISt17integral_constantIbLb1EES1C_IbLb0EEEEDaS18_S19_EUlS18_E_NS1_11comp_targetILNS1_3genE8ELNS1_11target_archE1030ELNS1_3gpuE2ELNS1_3repE0EEENS1_30default_config_static_selectorELNS0_4arch9wavefront6targetE1EEEvT1_.numbered_sgpr, 0
	.set _ZN7rocprim17ROCPRIM_400000_NS6detail17trampoline_kernelINS0_14default_configENS1_25partition_config_selectorILNS1_17partition_subalgoE8EtNS0_10empty_typeEbEEZZNS1_14partition_implILS5_8ELb0ES3_jN6thrust23THRUST_200600_302600_NS6detail15normal_iteratorINSA_10device_ptrItEEEEPS6_PKS6_NS0_5tupleIJNSA_16discard_iteratorINSA_11use_defaultEEES6_EEENSJ_IJSG_SG_EEENS0_18inequality_wrapperINSA_8equal_toItEEEEPmJS6_EEE10hipError_tPvRmT3_T4_T5_T6_T7_T9_mT8_P12ihipStream_tbDpT10_ENKUlT_T0_E_clISt17integral_constantIbLb1EES1C_IbLb0EEEEDaS18_S19_EUlS18_E_NS1_11comp_targetILNS1_3genE8ELNS1_11target_archE1030ELNS1_3gpuE2ELNS1_3repE0EEENS1_30default_config_static_selectorELNS0_4arch9wavefront6targetE1EEEvT1_.num_named_barrier, 0
	.set _ZN7rocprim17ROCPRIM_400000_NS6detail17trampoline_kernelINS0_14default_configENS1_25partition_config_selectorILNS1_17partition_subalgoE8EtNS0_10empty_typeEbEEZZNS1_14partition_implILS5_8ELb0ES3_jN6thrust23THRUST_200600_302600_NS6detail15normal_iteratorINSA_10device_ptrItEEEEPS6_PKS6_NS0_5tupleIJNSA_16discard_iteratorINSA_11use_defaultEEES6_EEENSJ_IJSG_SG_EEENS0_18inequality_wrapperINSA_8equal_toItEEEEPmJS6_EEE10hipError_tPvRmT3_T4_T5_T6_T7_T9_mT8_P12ihipStream_tbDpT10_ENKUlT_T0_E_clISt17integral_constantIbLb1EES1C_IbLb0EEEEDaS18_S19_EUlS18_E_NS1_11comp_targetILNS1_3genE8ELNS1_11target_archE1030ELNS1_3gpuE2ELNS1_3repE0EEENS1_30default_config_static_selectorELNS0_4arch9wavefront6targetE1EEEvT1_.private_seg_size, 0
	.set _ZN7rocprim17ROCPRIM_400000_NS6detail17trampoline_kernelINS0_14default_configENS1_25partition_config_selectorILNS1_17partition_subalgoE8EtNS0_10empty_typeEbEEZZNS1_14partition_implILS5_8ELb0ES3_jN6thrust23THRUST_200600_302600_NS6detail15normal_iteratorINSA_10device_ptrItEEEEPS6_PKS6_NS0_5tupleIJNSA_16discard_iteratorINSA_11use_defaultEEES6_EEENSJ_IJSG_SG_EEENS0_18inequality_wrapperINSA_8equal_toItEEEEPmJS6_EEE10hipError_tPvRmT3_T4_T5_T6_T7_T9_mT8_P12ihipStream_tbDpT10_ENKUlT_T0_E_clISt17integral_constantIbLb1EES1C_IbLb0EEEEDaS18_S19_EUlS18_E_NS1_11comp_targetILNS1_3genE8ELNS1_11target_archE1030ELNS1_3gpuE2ELNS1_3repE0EEENS1_30default_config_static_selectorELNS0_4arch9wavefront6targetE1EEEvT1_.uses_vcc, 0
	.set _ZN7rocprim17ROCPRIM_400000_NS6detail17trampoline_kernelINS0_14default_configENS1_25partition_config_selectorILNS1_17partition_subalgoE8EtNS0_10empty_typeEbEEZZNS1_14partition_implILS5_8ELb0ES3_jN6thrust23THRUST_200600_302600_NS6detail15normal_iteratorINSA_10device_ptrItEEEEPS6_PKS6_NS0_5tupleIJNSA_16discard_iteratorINSA_11use_defaultEEES6_EEENSJ_IJSG_SG_EEENS0_18inequality_wrapperINSA_8equal_toItEEEEPmJS6_EEE10hipError_tPvRmT3_T4_T5_T6_T7_T9_mT8_P12ihipStream_tbDpT10_ENKUlT_T0_E_clISt17integral_constantIbLb1EES1C_IbLb0EEEEDaS18_S19_EUlS18_E_NS1_11comp_targetILNS1_3genE8ELNS1_11target_archE1030ELNS1_3gpuE2ELNS1_3repE0EEENS1_30default_config_static_selectorELNS0_4arch9wavefront6targetE1EEEvT1_.uses_flat_scratch, 0
	.set _ZN7rocprim17ROCPRIM_400000_NS6detail17trampoline_kernelINS0_14default_configENS1_25partition_config_selectorILNS1_17partition_subalgoE8EtNS0_10empty_typeEbEEZZNS1_14partition_implILS5_8ELb0ES3_jN6thrust23THRUST_200600_302600_NS6detail15normal_iteratorINSA_10device_ptrItEEEEPS6_PKS6_NS0_5tupleIJNSA_16discard_iteratorINSA_11use_defaultEEES6_EEENSJ_IJSG_SG_EEENS0_18inequality_wrapperINSA_8equal_toItEEEEPmJS6_EEE10hipError_tPvRmT3_T4_T5_T6_T7_T9_mT8_P12ihipStream_tbDpT10_ENKUlT_T0_E_clISt17integral_constantIbLb1EES1C_IbLb0EEEEDaS18_S19_EUlS18_E_NS1_11comp_targetILNS1_3genE8ELNS1_11target_archE1030ELNS1_3gpuE2ELNS1_3repE0EEENS1_30default_config_static_selectorELNS0_4arch9wavefront6targetE1EEEvT1_.has_dyn_sized_stack, 0
	.set _ZN7rocprim17ROCPRIM_400000_NS6detail17trampoline_kernelINS0_14default_configENS1_25partition_config_selectorILNS1_17partition_subalgoE8EtNS0_10empty_typeEbEEZZNS1_14partition_implILS5_8ELb0ES3_jN6thrust23THRUST_200600_302600_NS6detail15normal_iteratorINSA_10device_ptrItEEEEPS6_PKS6_NS0_5tupleIJNSA_16discard_iteratorINSA_11use_defaultEEES6_EEENSJ_IJSG_SG_EEENS0_18inequality_wrapperINSA_8equal_toItEEEEPmJS6_EEE10hipError_tPvRmT3_T4_T5_T6_T7_T9_mT8_P12ihipStream_tbDpT10_ENKUlT_T0_E_clISt17integral_constantIbLb1EES1C_IbLb0EEEEDaS18_S19_EUlS18_E_NS1_11comp_targetILNS1_3genE8ELNS1_11target_archE1030ELNS1_3gpuE2ELNS1_3repE0EEENS1_30default_config_static_selectorELNS0_4arch9wavefront6targetE1EEEvT1_.has_recursion, 0
	.set _ZN7rocprim17ROCPRIM_400000_NS6detail17trampoline_kernelINS0_14default_configENS1_25partition_config_selectorILNS1_17partition_subalgoE8EtNS0_10empty_typeEbEEZZNS1_14partition_implILS5_8ELb0ES3_jN6thrust23THRUST_200600_302600_NS6detail15normal_iteratorINSA_10device_ptrItEEEEPS6_PKS6_NS0_5tupleIJNSA_16discard_iteratorINSA_11use_defaultEEES6_EEENSJ_IJSG_SG_EEENS0_18inequality_wrapperINSA_8equal_toItEEEEPmJS6_EEE10hipError_tPvRmT3_T4_T5_T6_T7_T9_mT8_P12ihipStream_tbDpT10_ENKUlT_T0_E_clISt17integral_constantIbLb1EES1C_IbLb0EEEEDaS18_S19_EUlS18_E_NS1_11comp_targetILNS1_3genE8ELNS1_11target_archE1030ELNS1_3gpuE2ELNS1_3repE0EEENS1_30default_config_static_selectorELNS0_4arch9wavefront6targetE1EEEvT1_.has_indirect_call, 0
	.section	.AMDGPU.csdata,"",@progbits
; Kernel info:
; codeLenInByte = 0
; TotalNumSgprs: 4
; NumVgprs: 0
; ScratchSize: 0
; MemoryBound: 0
; FloatMode: 240
; IeeeMode: 1
; LDSByteSize: 0 bytes/workgroup (compile time only)
; SGPRBlocks: 0
; VGPRBlocks: 0
; NumSGPRsForWavesPerEU: 4
; NumVGPRsForWavesPerEU: 1
; Occupancy: 10
; WaveLimiterHint : 0
; COMPUTE_PGM_RSRC2:SCRATCH_EN: 0
; COMPUTE_PGM_RSRC2:USER_SGPR: 6
; COMPUTE_PGM_RSRC2:TRAP_HANDLER: 0
; COMPUTE_PGM_RSRC2:TGID_X_EN: 1
; COMPUTE_PGM_RSRC2:TGID_Y_EN: 0
; COMPUTE_PGM_RSRC2:TGID_Z_EN: 0
; COMPUTE_PGM_RSRC2:TIDIG_COMP_CNT: 0
	.section	.text._ZN7rocprim17ROCPRIM_400000_NS6detail17trampoline_kernelINS0_14default_configENS1_25partition_config_selectorILNS1_17partition_subalgoE8EtNS0_10empty_typeEbEEZZNS1_14partition_implILS5_8ELb0ES3_jN6thrust23THRUST_200600_302600_NS6detail15normal_iteratorINSA_10device_ptrItEEEEPS6_PKS6_NS0_5tupleIJNSA_16discard_iteratorINSA_11use_defaultEEES6_EEENSJ_IJSG_SG_EEENS0_18inequality_wrapperINSA_8equal_toItEEEEPmJS6_EEE10hipError_tPvRmT3_T4_T5_T6_T7_T9_mT8_P12ihipStream_tbDpT10_ENKUlT_T0_E_clISt17integral_constantIbLb0EES1C_IbLb1EEEEDaS18_S19_EUlS18_E_NS1_11comp_targetILNS1_3genE0ELNS1_11target_archE4294967295ELNS1_3gpuE0ELNS1_3repE0EEENS1_30default_config_static_selectorELNS0_4arch9wavefront6targetE1EEEvT1_,"axG",@progbits,_ZN7rocprim17ROCPRIM_400000_NS6detail17trampoline_kernelINS0_14default_configENS1_25partition_config_selectorILNS1_17partition_subalgoE8EtNS0_10empty_typeEbEEZZNS1_14partition_implILS5_8ELb0ES3_jN6thrust23THRUST_200600_302600_NS6detail15normal_iteratorINSA_10device_ptrItEEEEPS6_PKS6_NS0_5tupleIJNSA_16discard_iteratorINSA_11use_defaultEEES6_EEENSJ_IJSG_SG_EEENS0_18inequality_wrapperINSA_8equal_toItEEEEPmJS6_EEE10hipError_tPvRmT3_T4_T5_T6_T7_T9_mT8_P12ihipStream_tbDpT10_ENKUlT_T0_E_clISt17integral_constantIbLb0EES1C_IbLb1EEEEDaS18_S19_EUlS18_E_NS1_11comp_targetILNS1_3genE0ELNS1_11target_archE4294967295ELNS1_3gpuE0ELNS1_3repE0EEENS1_30default_config_static_selectorELNS0_4arch9wavefront6targetE1EEEvT1_,comdat
	.protected	_ZN7rocprim17ROCPRIM_400000_NS6detail17trampoline_kernelINS0_14default_configENS1_25partition_config_selectorILNS1_17partition_subalgoE8EtNS0_10empty_typeEbEEZZNS1_14partition_implILS5_8ELb0ES3_jN6thrust23THRUST_200600_302600_NS6detail15normal_iteratorINSA_10device_ptrItEEEEPS6_PKS6_NS0_5tupleIJNSA_16discard_iteratorINSA_11use_defaultEEES6_EEENSJ_IJSG_SG_EEENS0_18inequality_wrapperINSA_8equal_toItEEEEPmJS6_EEE10hipError_tPvRmT3_T4_T5_T6_T7_T9_mT8_P12ihipStream_tbDpT10_ENKUlT_T0_E_clISt17integral_constantIbLb0EES1C_IbLb1EEEEDaS18_S19_EUlS18_E_NS1_11comp_targetILNS1_3genE0ELNS1_11target_archE4294967295ELNS1_3gpuE0ELNS1_3repE0EEENS1_30default_config_static_selectorELNS0_4arch9wavefront6targetE1EEEvT1_ ; -- Begin function _ZN7rocprim17ROCPRIM_400000_NS6detail17trampoline_kernelINS0_14default_configENS1_25partition_config_selectorILNS1_17partition_subalgoE8EtNS0_10empty_typeEbEEZZNS1_14partition_implILS5_8ELb0ES3_jN6thrust23THRUST_200600_302600_NS6detail15normal_iteratorINSA_10device_ptrItEEEEPS6_PKS6_NS0_5tupleIJNSA_16discard_iteratorINSA_11use_defaultEEES6_EEENSJ_IJSG_SG_EEENS0_18inequality_wrapperINSA_8equal_toItEEEEPmJS6_EEE10hipError_tPvRmT3_T4_T5_T6_T7_T9_mT8_P12ihipStream_tbDpT10_ENKUlT_T0_E_clISt17integral_constantIbLb0EES1C_IbLb1EEEEDaS18_S19_EUlS18_E_NS1_11comp_targetILNS1_3genE0ELNS1_11target_archE4294967295ELNS1_3gpuE0ELNS1_3repE0EEENS1_30default_config_static_selectorELNS0_4arch9wavefront6targetE1EEEvT1_
	.globl	_ZN7rocprim17ROCPRIM_400000_NS6detail17trampoline_kernelINS0_14default_configENS1_25partition_config_selectorILNS1_17partition_subalgoE8EtNS0_10empty_typeEbEEZZNS1_14partition_implILS5_8ELb0ES3_jN6thrust23THRUST_200600_302600_NS6detail15normal_iteratorINSA_10device_ptrItEEEEPS6_PKS6_NS0_5tupleIJNSA_16discard_iteratorINSA_11use_defaultEEES6_EEENSJ_IJSG_SG_EEENS0_18inequality_wrapperINSA_8equal_toItEEEEPmJS6_EEE10hipError_tPvRmT3_T4_T5_T6_T7_T9_mT8_P12ihipStream_tbDpT10_ENKUlT_T0_E_clISt17integral_constantIbLb0EES1C_IbLb1EEEEDaS18_S19_EUlS18_E_NS1_11comp_targetILNS1_3genE0ELNS1_11target_archE4294967295ELNS1_3gpuE0ELNS1_3repE0EEENS1_30default_config_static_selectorELNS0_4arch9wavefront6targetE1EEEvT1_
	.p2align	8
	.type	_ZN7rocprim17ROCPRIM_400000_NS6detail17trampoline_kernelINS0_14default_configENS1_25partition_config_selectorILNS1_17partition_subalgoE8EtNS0_10empty_typeEbEEZZNS1_14partition_implILS5_8ELb0ES3_jN6thrust23THRUST_200600_302600_NS6detail15normal_iteratorINSA_10device_ptrItEEEEPS6_PKS6_NS0_5tupleIJNSA_16discard_iteratorINSA_11use_defaultEEES6_EEENSJ_IJSG_SG_EEENS0_18inequality_wrapperINSA_8equal_toItEEEEPmJS6_EEE10hipError_tPvRmT3_T4_T5_T6_T7_T9_mT8_P12ihipStream_tbDpT10_ENKUlT_T0_E_clISt17integral_constantIbLb0EES1C_IbLb1EEEEDaS18_S19_EUlS18_E_NS1_11comp_targetILNS1_3genE0ELNS1_11target_archE4294967295ELNS1_3gpuE0ELNS1_3repE0EEENS1_30default_config_static_selectorELNS0_4arch9wavefront6targetE1EEEvT1_,@function
_ZN7rocprim17ROCPRIM_400000_NS6detail17trampoline_kernelINS0_14default_configENS1_25partition_config_selectorILNS1_17partition_subalgoE8EtNS0_10empty_typeEbEEZZNS1_14partition_implILS5_8ELb0ES3_jN6thrust23THRUST_200600_302600_NS6detail15normal_iteratorINSA_10device_ptrItEEEEPS6_PKS6_NS0_5tupleIJNSA_16discard_iteratorINSA_11use_defaultEEES6_EEENSJ_IJSG_SG_EEENS0_18inequality_wrapperINSA_8equal_toItEEEEPmJS6_EEE10hipError_tPvRmT3_T4_T5_T6_T7_T9_mT8_P12ihipStream_tbDpT10_ENKUlT_T0_E_clISt17integral_constantIbLb0EES1C_IbLb1EEEEDaS18_S19_EUlS18_E_NS1_11comp_targetILNS1_3genE0ELNS1_11target_archE4294967295ELNS1_3gpuE0ELNS1_3repE0EEENS1_30default_config_static_selectorELNS0_4arch9wavefront6targetE1EEEvT1_: ; @_ZN7rocprim17ROCPRIM_400000_NS6detail17trampoline_kernelINS0_14default_configENS1_25partition_config_selectorILNS1_17partition_subalgoE8EtNS0_10empty_typeEbEEZZNS1_14partition_implILS5_8ELb0ES3_jN6thrust23THRUST_200600_302600_NS6detail15normal_iteratorINSA_10device_ptrItEEEEPS6_PKS6_NS0_5tupleIJNSA_16discard_iteratorINSA_11use_defaultEEES6_EEENSJ_IJSG_SG_EEENS0_18inequality_wrapperINSA_8equal_toItEEEEPmJS6_EEE10hipError_tPvRmT3_T4_T5_T6_T7_T9_mT8_P12ihipStream_tbDpT10_ENKUlT_T0_E_clISt17integral_constantIbLb0EES1C_IbLb1EEEEDaS18_S19_EUlS18_E_NS1_11comp_targetILNS1_3genE0ELNS1_11target_archE4294967295ELNS1_3gpuE0ELNS1_3repE0EEENS1_30default_config_static_selectorELNS0_4arch9wavefront6targetE1EEEvT1_
; %bb.0:
	.section	.rodata,"a",@progbits
	.p2align	6, 0x0
	.amdhsa_kernel _ZN7rocprim17ROCPRIM_400000_NS6detail17trampoline_kernelINS0_14default_configENS1_25partition_config_selectorILNS1_17partition_subalgoE8EtNS0_10empty_typeEbEEZZNS1_14partition_implILS5_8ELb0ES3_jN6thrust23THRUST_200600_302600_NS6detail15normal_iteratorINSA_10device_ptrItEEEEPS6_PKS6_NS0_5tupleIJNSA_16discard_iteratorINSA_11use_defaultEEES6_EEENSJ_IJSG_SG_EEENS0_18inequality_wrapperINSA_8equal_toItEEEEPmJS6_EEE10hipError_tPvRmT3_T4_T5_T6_T7_T9_mT8_P12ihipStream_tbDpT10_ENKUlT_T0_E_clISt17integral_constantIbLb0EES1C_IbLb1EEEEDaS18_S19_EUlS18_E_NS1_11comp_targetILNS1_3genE0ELNS1_11target_archE4294967295ELNS1_3gpuE0ELNS1_3repE0EEENS1_30default_config_static_selectorELNS0_4arch9wavefront6targetE1EEEvT1_
		.amdhsa_group_segment_fixed_size 0
		.amdhsa_private_segment_fixed_size 0
		.amdhsa_kernarg_size 136
		.amdhsa_user_sgpr_count 6
		.amdhsa_user_sgpr_private_segment_buffer 1
		.amdhsa_user_sgpr_dispatch_ptr 0
		.amdhsa_user_sgpr_queue_ptr 0
		.amdhsa_user_sgpr_kernarg_segment_ptr 1
		.amdhsa_user_sgpr_dispatch_id 0
		.amdhsa_user_sgpr_flat_scratch_init 0
		.amdhsa_user_sgpr_private_segment_size 0
		.amdhsa_uses_dynamic_stack 0
		.amdhsa_system_sgpr_private_segment_wavefront_offset 0
		.amdhsa_system_sgpr_workgroup_id_x 1
		.amdhsa_system_sgpr_workgroup_id_y 0
		.amdhsa_system_sgpr_workgroup_id_z 0
		.amdhsa_system_sgpr_workgroup_info 0
		.amdhsa_system_vgpr_workitem_id 0
		.amdhsa_next_free_vgpr 1
		.amdhsa_next_free_sgpr 0
		.amdhsa_reserve_vcc 0
		.amdhsa_reserve_flat_scratch 0
		.amdhsa_float_round_mode_32 0
		.amdhsa_float_round_mode_16_64 0
		.amdhsa_float_denorm_mode_32 3
		.amdhsa_float_denorm_mode_16_64 3
		.amdhsa_dx10_clamp 1
		.amdhsa_ieee_mode 1
		.amdhsa_fp16_overflow 0
		.amdhsa_exception_fp_ieee_invalid_op 0
		.amdhsa_exception_fp_denorm_src 0
		.amdhsa_exception_fp_ieee_div_zero 0
		.amdhsa_exception_fp_ieee_overflow 0
		.amdhsa_exception_fp_ieee_underflow 0
		.amdhsa_exception_fp_ieee_inexact 0
		.amdhsa_exception_int_div_zero 0
	.end_amdhsa_kernel
	.section	.text._ZN7rocprim17ROCPRIM_400000_NS6detail17trampoline_kernelINS0_14default_configENS1_25partition_config_selectorILNS1_17partition_subalgoE8EtNS0_10empty_typeEbEEZZNS1_14partition_implILS5_8ELb0ES3_jN6thrust23THRUST_200600_302600_NS6detail15normal_iteratorINSA_10device_ptrItEEEEPS6_PKS6_NS0_5tupleIJNSA_16discard_iteratorINSA_11use_defaultEEES6_EEENSJ_IJSG_SG_EEENS0_18inequality_wrapperINSA_8equal_toItEEEEPmJS6_EEE10hipError_tPvRmT3_T4_T5_T6_T7_T9_mT8_P12ihipStream_tbDpT10_ENKUlT_T0_E_clISt17integral_constantIbLb0EES1C_IbLb1EEEEDaS18_S19_EUlS18_E_NS1_11comp_targetILNS1_3genE0ELNS1_11target_archE4294967295ELNS1_3gpuE0ELNS1_3repE0EEENS1_30default_config_static_selectorELNS0_4arch9wavefront6targetE1EEEvT1_,"axG",@progbits,_ZN7rocprim17ROCPRIM_400000_NS6detail17trampoline_kernelINS0_14default_configENS1_25partition_config_selectorILNS1_17partition_subalgoE8EtNS0_10empty_typeEbEEZZNS1_14partition_implILS5_8ELb0ES3_jN6thrust23THRUST_200600_302600_NS6detail15normal_iteratorINSA_10device_ptrItEEEEPS6_PKS6_NS0_5tupleIJNSA_16discard_iteratorINSA_11use_defaultEEES6_EEENSJ_IJSG_SG_EEENS0_18inequality_wrapperINSA_8equal_toItEEEEPmJS6_EEE10hipError_tPvRmT3_T4_T5_T6_T7_T9_mT8_P12ihipStream_tbDpT10_ENKUlT_T0_E_clISt17integral_constantIbLb0EES1C_IbLb1EEEEDaS18_S19_EUlS18_E_NS1_11comp_targetILNS1_3genE0ELNS1_11target_archE4294967295ELNS1_3gpuE0ELNS1_3repE0EEENS1_30default_config_static_selectorELNS0_4arch9wavefront6targetE1EEEvT1_,comdat
.Lfunc_end621:
	.size	_ZN7rocprim17ROCPRIM_400000_NS6detail17trampoline_kernelINS0_14default_configENS1_25partition_config_selectorILNS1_17partition_subalgoE8EtNS0_10empty_typeEbEEZZNS1_14partition_implILS5_8ELb0ES3_jN6thrust23THRUST_200600_302600_NS6detail15normal_iteratorINSA_10device_ptrItEEEEPS6_PKS6_NS0_5tupleIJNSA_16discard_iteratorINSA_11use_defaultEEES6_EEENSJ_IJSG_SG_EEENS0_18inequality_wrapperINSA_8equal_toItEEEEPmJS6_EEE10hipError_tPvRmT3_T4_T5_T6_T7_T9_mT8_P12ihipStream_tbDpT10_ENKUlT_T0_E_clISt17integral_constantIbLb0EES1C_IbLb1EEEEDaS18_S19_EUlS18_E_NS1_11comp_targetILNS1_3genE0ELNS1_11target_archE4294967295ELNS1_3gpuE0ELNS1_3repE0EEENS1_30default_config_static_selectorELNS0_4arch9wavefront6targetE1EEEvT1_, .Lfunc_end621-_ZN7rocprim17ROCPRIM_400000_NS6detail17trampoline_kernelINS0_14default_configENS1_25partition_config_selectorILNS1_17partition_subalgoE8EtNS0_10empty_typeEbEEZZNS1_14partition_implILS5_8ELb0ES3_jN6thrust23THRUST_200600_302600_NS6detail15normal_iteratorINSA_10device_ptrItEEEEPS6_PKS6_NS0_5tupleIJNSA_16discard_iteratorINSA_11use_defaultEEES6_EEENSJ_IJSG_SG_EEENS0_18inequality_wrapperINSA_8equal_toItEEEEPmJS6_EEE10hipError_tPvRmT3_T4_T5_T6_T7_T9_mT8_P12ihipStream_tbDpT10_ENKUlT_T0_E_clISt17integral_constantIbLb0EES1C_IbLb1EEEEDaS18_S19_EUlS18_E_NS1_11comp_targetILNS1_3genE0ELNS1_11target_archE4294967295ELNS1_3gpuE0ELNS1_3repE0EEENS1_30default_config_static_selectorELNS0_4arch9wavefront6targetE1EEEvT1_
                                        ; -- End function
	.set _ZN7rocprim17ROCPRIM_400000_NS6detail17trampoline_kernelINS0_14default_configENS1_25partition_config_selectorILNS1_17partition_subalgoE8EtNS0_10empty_typeEbEEZZNS1_14partition_implILS5_8ELb0ES3_jN6thrust23THRUST_200600_302600_NS6detail15normal_iteratorINSA_10device_ptrItEEEEPS6_PKS6_NS0_5tupleIJNSA_16discard_iteratorINSA_11use_defaultEEES6_EEENSJ_IJSG_SG_EEENS0_18inequality_wrapperINSA_8equal_toItEEEEPmJS6_EEE10hipError_tPvRmT3_T4_T5_T6_T7_T9_mT8_P12ihipStream_tbDpT10_ENKUlT_T0_E_clISt17integral_constantIbLb0EES1C_IbLb1EEEEDaS18_S19_EUlS18_E_NS1_11comp_targetILNS1_3genE0ELNS1_11target_archE4294967295ELNS1_3gpuE0ELNS1_3repE0EEENS1_30default_config_static_selectorELNS0_4arch9wavefront6targetE1EEEvT1_.num_vgpr, 0
	.set _ZN7rocprim17ROCPRIM_400000_NS6detail17trampoline_kernelINS0_14default_configENS1_25partition_config_selectorILNS1_17partition_subalgoE8EtNS0_10empty_typeEbEEZZNS1_14partition_implILS5_8ELb0ES3_jN6thrust23THRUST_200600_302600_NS6detail15normal_iteratorINSA_10device_ptrItEEEEPS6_PKS6_NS0_5tupleIJNSA_16discard_iteratorINSA_11use_defaultEEES6_EEENSJ_IJSG_SG_EEENS0_18inequality_wrapperINSA_8equal_toItEEEEPmJS6_EEE10hipError_tPvRmT3_T4_T5_T6_T7_T9_mT8_P12ihipStream_tbDpT10_ENKUlT_T0_E_clISt17integral_constantIbLb0EES1C_IbLb1EEEEDaS18_S19_EUlS18_E_NS1_11comp_targetILNS1_3genE0ELNS1_11target_archE4294967295ELNS1_3gpuE0ELNS1_3repE0EEENS1_30default_config_static_selectorELNS0_4arch9wavefront6targetE1EEEvT1_.num_agpr, 0
	.set _ZN7rocprim17ROCPRIM_400000_NS6detail17trampoline_kernelINS0_14default_configENS1_25partition_config_selectorILNS1_17partition_subalgoE8EtNS0_10empty_typeEbEEZZNS1_14partition_implILS5_8ELb0ES3_jN6thrust23THRUST_200600_302600_NS6detail15normal_iteratorINSA_10device_ptrItEEEEPS6_PKS6_NS0_5tupleIJNSA_16discard_iteratorINSA_11use_defaultEEES6_EEENSJ_IJSG_SG_EEENS0_18inequality_wrapperINSA_8equal_toItEEEEPmJS6_EEE10hipError_tPvRmT3_T4_T5_T6_T7_T9_mT8_P12ihipStream_tbDpT10_ENKUlT_T0_E_clISt17integral_constantIbLb0EES1C_IbLb1EEEEDaS18_S19_EUlS18_E_NS1_11comp_targetILNS1_3genE0ELNS1_11target_archE4294967295ELNS1_3gpuE0ELNS1_3repE0EEENS1_30default_config_static_selectorELNS0_4arch9wavefront6targetE1EEEvT1_.numbered_sgpr, 0
	.set _ZN7rocprim17ROCPRIM_400000_NS6detail17trampoline_kernelINS0_14default_configENS1_25partition_config_selectorILNS1_17partition_subalgoE8EtNS0_10empty_typeEbEEZZNS1_14partition_implILS5_8ELb0ES3_jN6thrust23THRUST_200600_302600_NS6detail15normal_iteratorINSA_10device_ptrItEEEEPS6_PKS6_NS0_5tupleIJNSA_16discard_iteratorINSA_11use_defaultEEES6_EEENSJ_IJSG_SG_EEENS0_18inequality_wrapperINSA_8equal_toItEEEEPmJS6_EEE10hipError_tPvRmT3_T4_T5_T6_T7_T9_mT8_P12ihipStream_tbDpT10_ENKUlT_T0_E_clISt17integral_constantIbLb0EES1C_IbLb1EEEEDaS18_S19_EUlS18_E_NS1_11comp_targetILNS1_3genE0ELNS1_11target_archE4294967295ELNS1_3gpuE0ELNS1_3repE0EEENS1_30default_config_static_selectorELNS0_4arch9wavefront6targetE1EEEvT1_.num_named_barrier, 0
	.set _ZN7rocprim17ROCPRIM_400000_NS6detail17trampoline_kernelINS0_14default_configENS1_25partition_config_selectorILNS1_17partition_subalgoE8EtNS0_10empty_typeEbEEZZNS1_14partition_implILS5_8ELb0ES3_jN6thrust23THRUST_200600_302600_NS6detail15normal_iteratorINSA_10device_ptrItEEEEPS6_PKS6_NS0_5tupleIJNSA_16discard_iteratorINSA_11use_defaultEEES6_EEENSJ_IJSG_SG_EEENS0_18inequality_wrapperINSA_8equal_toItEEEEPmJS6_EEE10hipError_tPvRmT3_T4_T5_T6_T7_T9_mT8_P12ihipStream_tbDpT10_ENKUlT_T0_E_clISt17integral_constantIbLb0EES1C_IbLb1EEEEDaS18_S19_EUlS18_E_NS1_11comp_targetILNS1_3genE0ELNS1_11target_archE4294967295ELNS1_3gpuE0ELNS1_3repE0EEENS1_30default_config_static_selectorELNS0_4arch9wavefront6targetE1EEEvT1_.private_seg_size, 0
	.set _ZN7rocprim17ROCPRIM_400000_NS6detail17trampoline_kernelINS0_14default_configENS1_25partition_config_selectorILNS1_17partition_subalgoE8EtNS0_10empty_typeEbEEZZNS1_14partition_implILS5_8ELb0ES3_jN6thrust23THRUST_200600_302600_NS6detail15normal_iteratorINSA_10device_ptrItEEEEPS6_PKS6_NS0_5tupleIJNSA_16discard_iteratorINSA_11use_defaultEEES6_EEENSJ_IJSG_SG_EEENS0_18inequality_wrapperINSA_8equal_toItEEEEPmJS6_EEE10hipError_tPvRmT3_T4_T5_T6_T7_T9_mT8_P12ihipStream_tbDpT10_ENKUlT_T0_E_clISt17integral_constantIbLb0EES1C_IbLb1EEEEDaS18_S19_EUlS18_E_NS1_11comp_targetILNS1_3genE0ELNS1_11target_archE4294967295ELNS1_3gpuE0ELNS1_3repE0EEENS1_30default_config_static_selectorELNS0_4arch9wavefront6targetE1EEEvT1_.uses_vcc, 0
	.set _ZN7rocprim17ROCPRIM_400000_NS6detail17trampoline_kernelINS0_14default_configENS1_25partition_config_selectorILNS1_17partition_subalgoE8EtNS0_10empty_typeEbEEZZNS1_14partition_implILS5_8ELb0ES3_jN6thrust23THRUST_200600_302600_NS6detail15normal_iteratorINSA_10device_ptrItEEEEPS6_PKS6_NS0_5tupleIJNSA_16discard_iteratorINSA_11use_defaultEEES6_EEENSJ_IJSG_SG_EEENS0_18inequality_wrapperINSA_8equal_toItEEEEPmJS6_EEE10hipError_tPvRmT3_T4_T5_T6_T7_T9_mT8_P12ihipStream_tbDpT10_ENKUlT_T0_E_clISt17integral_constantIbLb0EES1C_IbLb1EEEEDaS18_S19_EUlS18_E_NS1_11comp_targetILNS1_3genE0ELNS1_11target_archE4294967295ELNS1_3gpuE0ELNS1_3repE0EEENS1_30default_config_static_selectorELNS0_4arch9wavefront6targetE1EEEvT1_.uses_flat_scratch, 0
	.set _ZN7rocprim17ROCPRIM_400000_NS6detail17trampoline_kernelINS0_14default_configENS1_25partition_config_selectorILNS1_17partition_subalgoE8EtNS0_10empty_typeEbEEZZNS1_14partition_implILS5_8ELb0ES3_jN6thrust23THRUST_200600_302600_NS6detail15normal_iteratorINSA_10device_ptrItEEEEPS6_PKS6_NS0_5tupleIJNSA_16discard_iteratorINSA_11use_defaultEEES6_EEENSJ_IJSG_SG_EEENS0_18inequality_wrapperINSA_8equal_toItEEEEPmJS6_EEE10hipError_tPvRmT3_T4_T5_T6_T7_T9_mT8_P12ihipStream_tbDpT10_ENKUlT_T0_E_clISt17integral_constantIbLb0EES1C_IbLb1EEEEDaS18_S19_EUlS18_E_NS1_11comp_targetILNS1_3genE0ELNS1_11target_archE4294967295ELNS1_3gpuE0ELNS1_3repE0EEENS1_30default_config_static_selectorELNS0_4arch9wavefront6targetE1EEEvT1_.has_dyn_sized_stack, 0
	.set _ZN7rocprim17ROCPRIM_400000_NS6detail17trampoline_kernelINS0_14default_configENS1_25partition_config_selectorILNS1_17partition_subalgoE8EtNS0_10empty_typeEbEEZZNS1_14partition_implILS5_8ELb0ES3_jN6thrust23THRUST_200600_302600_NS6detail15normal_iteratorINSA_10device_ptrItEEEEPS6_PKS6_NS0_5tupleIJNSA_16discard_iteratorINSA_11use_defaultEEES6_EEENSJ_IJSG_SG_EEENS0_18inequality_wrapperINSA_8equal_toItEEEEPmJS6_EEE10hipError_tPvRmT3_T4_T5_T6_T7_T9_mT8_P12ihipStream_tbDpT10_ENKUlT_T0_E_clISt17integral_constantIbLb0EES1C_IbLb1EEEEDaS18_S19_EUlS18_E_NS1_11comp_targetILNS1_3genE0ELNS1_11target_archE4294967295ELNS1_3gpuE0ELNS1_3repE0EEENS1_30default_config_static_selectorELNS0_4arch9wavefront6targetE1EEEvT1_.has_recursion, 0
	.set _ZN7rocprim17ROCPRIM_400000_NS6detail17trampoline_kernelINS0_14default_configENS1_25partition_config_selectorILNS1_17partition_subalgoE8EtNS0_10empty_typeEbEEZZNS1_14partition_implILS5_8ELb0ES3_jN6thrust23THRUST_200600_302600_NS6detail15normal_iteratorINSA_10device_ptrItEEEEPS6_PKS6_NS0_5tupleIJNSA_16discard_iteratorINSA_11use_defaultEEES6_EEENSJ_IJSG_SG_EEENS0_18inequality_wrapperINSA_8equal_toItEEEEPmJS6_EEE10hipError_tPvRmT3_T4_T5_T6_T7_T9_mT8_P12ihipStream_tbDpT10_ENKUlT_T0_E_clISt17integral_constantIbLb0EES1C_IbLb1EEEEDaS18_S19_EUlS18_E_NS1_11comp_targetILNS1_3genE0ELNS1_11target_archE4294967295ELNS1_3gpuE0ELNS1_3repE0EEENS1_30default_config_static_selectorELNS0_4arch9wavefront6targetE1EEEvT1_.has_indirect_call, 0
	.section	.AMDGPU.csdata,"",@progbits
; Kernel info:
; codeLenInByte = 0
; TotalNumSgprs: 4
; NumVgprs: 0
; ScratchSize: 0
; MemoryBound: 0
; FloatMode: 240
; IeeeMode: 1
; LDSByteSize: 0 bytes/workgroup (compile time only)
; SGPRBlocks: 0
; VGPRBlocks: 0
; NumSGPRsForWavesPerEU: 4
; NumVGPRsForWavesPerEU: 1
; Occupancy: 10
; WaveLimiterHint : 0
; COMPUTE_PGM_RSRC2:SCRATCH_EN: 0
; COMPUTE_PGM_RSRC2:USER_SGPR: 6
; COMPUTE_PGM_RSRC2:TRAP_HANDLER: 0
; COMPUTE_PGM_RSRC2:TGID_X_EN: 1
; COMPUTE_PGM_RSRC2:TGID_Y_EN: 0
; COMPUTE_PGM_RSRC2:TGID_Z_EN: 0
; COMPUTE_PGM_RSRC2:TIDIG_COMP_CNT: 0
	.section	.text._ZN7rocprim17ROCPRIM_400000_NS6detail17trampoline_kernelINS0_14default_configENS1_25partition_config_selectorILNS1_17partition_subalgoE8EtNS0_10empty_typeEbEEZZNS1_14partition_implILS5_8ELb0ES3_jN6thrust23THRUST_200600_302600_NS6detail15normal_iteratorINSA_10device_ptrItEEEEPS6_PKS6_NS0_5tupleIJNSA_16discard_iteratorINSA_11use_defaultEEES6_EEENSJ_IJSG_SG_EEENS0_18inequality_wrapperINSA_8equal_toItEEEEPmJS6_EEE10hipError_tPvRmT3_T4_T5_T6_T7_T9_mT8_P12ihipStream_tbDpT10_ENKUlT_T0_E_clISt17integral_constantIbLb0EES1C_IbLb1EEEEDaS18_S19_EUlS18_E_NS1_11comp_targetILNS1_3genE5ELNS1_11target_archE942ELNS1_3gpuE9ELNS1_3repE0EEENS1_30default_config_static_selectorELNS0_4arch9wavefront6targetE1EEEvT1_,"axG",@progbits,_ZN7rocprim17ROCPRIM_400000_NS6detail17trampoline_kernelINS0_14default_configENS1_25partition_config_selectorILNS1_17partition_subalgoE8EtNS0_10empty_typeEbEEZZNS1_14partition_implILS5_8ELb0ES3_jN6thrust23THRUST_200600_302600_NS6detail15normal_iteratorINSA_10device_ptrItEEEEPS6_PKS6_NS0_5tupleIJNSA_16discard_iteratorINSA_11use_defaultEEES6_EEENSJ_IJSG_SG_EEENS0_18inequality_wrapperINSA_8equal_toItEEEEPmJS6_EEE10hipError_tPvRmT3_T4_T5_T6_T7_T9_mT8_P12ihipStream_tbDpT10_ENKUlT_T0_E_clISt17integral_constantIbLb0EES1C_IbLb1EEEEDaS18_S19_EUlS18_E_NS1_11comp_targetILNS1_3genE5ELNS1_11target_archE942ELNS1_3gpuE9ELNS1_3repE0EEENS1_30default_config_static_selectorELNS0_4arch9wavefront6targetE1EEEvT1_,comdat
	.protected	_ZN7rocprim17ROCPRIM_400000_NS6detail17trampoline_kernelINS0_14default_configENS1_25partition_config_selectorILNS1_17partition_subalgoE8EtNS0_10empty_typeEbEEZZNS1_14partition_implILS5_8ELb0ES3_jN6thrust23THRUST_200600_302600_NS6detail15normal_iteratorINSA_10device_ptrItEEEEPS6_PKS6_NS0_5tupleIJNSA_16discard_iteratorINSA_11use_defaultEEES6_EEENSJ_IJSG_SG_EEENS0_18inequality_wrapperINSA_8equal_toItEEEEPmJS6_EEE10hipError_tPvRmT3_T4_T5_T6_T7_T9_mT8_P12ihipStream_tbDpT10_ENKUlT_T0_E_clISt17integral_constantIbLb0EES1C_IbLb1EEEEDaS18_S19_EUlS18_E_NS1_11comp_targetILNS1_3genE5ELNS1_11target_archE942ELNS1_3gpuE9ELNS1_3repE0EEENS1_30default_config_static_selectorELNS0_4arch9wavefront6targetE1EEEvT1_ ; -- Begin function _ZN7rocprim17ROCPRIM_400000_NS6detail17trampoline_kernelINS0_14default_configENS1_25partition_config_selectorILNS1_17partition_subalgoE8EtNS0_10empty_typeEbEEZZNS1_14partition_implILS5_8ELb0ES3_jN6thrust23THRUST_200600_302600_NS6detail15normal_iteratorINSA_10device_ptrItEEEEPS6_PKS6_NS0_5tupleIJNSA_16discard_iteratorINSA_11use_defaultEEES6_EEENSJ_IJSG_SG_EEENS0_18inequality_wrapperINSA_8equal_toItEEEEPmJS6_EEE10hipError_tPvRmT3_T4_T5_T6_T7_T9_mT8_P12ihipStream_tbDpT10_ENKUlT_T0_E_clISt17integral_constantIbLb0EES1C_IbLb1EEEEDaS18_S19_EUlS18_E_NS1_11comp_targetILNS1_3genE5ELNS1_11target_archE942ELNS1_3gpuE9ELNS1_3repE0EEENS1_30default_config_static_selectorELNS0_4arch9wavefront6targetE1EEEvT1_
	.globl	_ZN7rocprim17ROCPRIM_400000_NS6detail17trampoline_kernelINS0_14default_configENS1_25partition_config_selectorILNS1_17partition_subalgoE8EtNS0_10empty_typeEbEEZZNS1_14partition_implILS5_8ELb0ES3_jN6thrust23THRUST_200600_302600_NS6detail15normal_iteratorINSA_10device_ptrItEEEEPS6_PKS6_NS0_5tupleIJNSA_16discard_iteratorINSA_11use_defaultEEES6_EEENSJ_IJSG_SG_EEENS0_18inequality_wrapperINSA_8equal_toItEEEEPmJS6_EEE10hipError_tPvRmT3_T4_T5_T6_T7_T9_mT8_P12ihipStream_tbDpT10_ENKUlT_T0_E_clISt17integral_constantIbLb0EES1C_IbLb1EEEEDaS18_S19_EUlS18_E_NS1_11comp_targetILNS1_3genE5ELNS1_11target_archE942ELNS1_3gpuE9ELNS1_3repE0EEENS1_30default_config_static_selectorELNS0_4arch9wavefront6targetE1EEEvT1_
	.p2align	8
	.type	_ZN7rocprim17ROCPRIM_400000_NS6detail17trampoline_kernelINS0_14default_configENS1_25partition_config_selectorILNS1_17partition_subalgoE8EtNS0_10empty_typeEbEEZZNS1_14partition_implILS5_8ELb0ES3_jN6thrust23THRUST_200600_302600_NS6detail15normal_iteratorINSA_10device_ptrItEEEEPS6_PKS6_NS0_5tupleIJNSA_16discard_iteratorINSA_11use_defaultEEES6_EEENSJ_IJSG_SG_EEENS0_18inequality_wrapperINSA_8equal_toItEEEEPmJS6_EEE10hipError_tPvRmT3_T4_T5_T6_T7_T9_mT8_P12ihipStream_tbDpT10_ENKUlT_T0_E_clISt17integral_constantIbLb0EES1C_IbLb1EEEEDaS18_S19_EUlS18_E_NS1_11comp_targetILNS1_3genE5ELNS1_11target_archE942ELNS1_3gpuE9ELNS1_3repE0EEENS1_30default_config_static_selectorELNS0_4arch9wavefront6targetE1EEEvT1_,@function
_ZN7rocprim17ROCPRIM_400000_NS6detail17trampoline_kernelINS0_14default_configENS1_25partition_config_selectorILNS1_17partition_subalgoE8EtNS0_10empty_typeEbEEZZNS1_14partition_implILS5_8ELb0ES3_jN6thrust23THRUST_200600_302600_NS6detail15normal_iteratorINSA_10device_ptrItEEEEPS6_PKS6_NS0_5tupleIJNSA_16discard_iteratorINSA_11use_defaultEEES6_EEENSJ_IJSG_SG_EEENS0_18inequality_wrapperINSA_8equal_toItEEEEPmJS6_EEE10hipError_tPvRmT3_T4_T5_T6_T7_T9_mT8_P12ihipStream_tbDpT10_ENKUlT_T0_E_clISt17integral_constantIbLb0EES1C_IbLb1EEEEDaS18_S19_EUlS18_E_NS1_11comp_targetILNS1_3genE5ELNS1_11target_archE942ELNS1_3gpuE9ELNS1_3repE0EEENS1_30default_config_static_selectorELNS0_4arch9wavefront6targetE1EEEvT1_: ; @_ZN7rocprim17ROCPRIM_400000_NS6detail17trampoline_kernelINS0_14default_configENS1_25partition_config_selectorILNS1_17partition_subalgoE8EtNS0_10empty_typeEbEEZZNS1_14partition_implILS5_8ELb0ES3_jN6thrust23THRUST_200600_302600_NS6detail15normal_iteratorINSA_10device_ptrItEEEEPS6_PKS6_NS0_5tupleIJNSA_16discard_iteratorINSA_11use_defaultEEES6_EEENSJ_IJSG_SG_EEENS0_18inequality_wrapperINSA_8equal_toItEEEEPmJS6_EEE10hipError_tPvRmT3_T4_T5_T6_T7_T9_mT8_P12ihipStream_tbDpT10_ENKUlT_T0_E_clISt17integral_constantIbLb0EES1C_IbLb1EEEEDaS18_S19_EUlS18_E_NS1_11comp_targetILNS1_3genE5ELNS1_11target_archE942ELNS1_3gpuE9ELNS1_3repE0EEENS1_30default_config_static_selectorELNS0_4arch9wavefront6targetE1EEEvT1_
; %bb.0:
	.section	.rodata,"a",@progbits
	.p2align	6, 0x0
	.amdhsa_kernel _ZN7rocprim17ROCPRIM_400000_NS6detail17trampoline_kernelINS0_14default_configENS1_25partition_config_selectorILNS1_17partition_subalgoE8EtNS0_10empty_typeEbEEZZNS1_14partition_implILS5_8ELb0ES3_jN6thrust23THRUST_200600_302600_NS6detail15normal_iteratorINSA_10device_ptrItEEEEPS6_PKS6_NS0_5tupleIJNSA_16discard_iteratorINSA_11use_defaultEEES6_EEENSJ_IJSG_SG_EEENS0_18inequality_wrapperINSA_8equal_toItEEEEPmJS6_EEE10hipError_tPvRmT3_T4_T5_T6_T7_T9_mT8_P12ihipStream_tbDpT10_ENKUlT_T0_E_clISt17integral_constantIbLb0EES1C_IbLb1EEEEDaS18_S19_EUlS18_E_NS1_11comp_targetILNS1_3genE5ELNS1_11target_archE942ELNS1_3gpuE9ELNS1_3repE0EEENS1_30default_config_static_selectorELNS0_4arch9wavefront6targetE1EEEvT1_
		.amdhsa_group_segment_fixed_size 0
		.amdhsa_private_segment_fixed_size 0
		.amdhsa_kernarg_size 136
		.amdhsa_user_sgpr_count 6
		.amdhsa_user_sgpr_private_segment_buffer 1
		.amdhsa_user_sgpr_dispatch_ptr 0
		.amdhsa_user_sgpr_queue_ptr 0
		.amdhsa_user_sgpr_kernarg_segment_ptr 1
		.amdhsa_user_sgpr_dispatch_id 0
		.amdhsa_user_sgpr_flat_scratch_init 0
		.amdhsa_user_sgpr_private_segment_size 0
		.amdhsa_uses_dynamic_stack 0
		.amdhsa_system_sgpr_private_segment_wavefront_offset 0
		.amdhsa_system_sgpr_workgroup_id_x 1
		.amdhsa_system_sgpr_workgroup_id_y 0
		.amdhsa_system_sgpr_workgroup_id_z 0
		.amdhsa_system_sgpr_workgroup_info 0
		.amdhsa_system_vgpr_workitem_id 0
		.amdhsa_next_free_vgpr 1
		.amdhsa_next_free_sgpr 0
		.amdhsa_reserve_vcc 0
		.amdhsa_reserve_flat_scratch 0
		.amdhsa_float_round_mode_32 0
		.amdhsa_float_round_mode_16_64 0
		.amdhsa_float_denorm_mode_32 3
		.amdhsa_float_denorm_mode_16_64 3
		.amdhsa_dx10_clamp 1
		.amdhsa_ieee_mode 1
		.amdhsa_fp16_overflow 0
		.amdhsa_exception_fp_ieee_invalid_op 0
		.amdhsa_exception_fp_denorm_src 0
		.amdhsa_exception_fp_ieee_div_zero 0
		.amdhsa_exception_fp_ieee_overflow 0
		.amdhsa_exception_fp_ieee_underflow 0
		.amdhsa_exception_fp_ieee_inexact 0
		.amdhsa_exception_int_div_zero 0
	.end_amdhsa_kernel
	.section	.text._ZN7rocprim17ROCPRIM_400000_NS6detail17trampoline_kernelINS0_14default_configENS1_25partition_config_selectorILNS1_17partition_subalgoE8EtNS0_10empty_typeEbEEZZNS1_14partition_implILS5_8ELb0ES3_jN6thrust23THRUST_200600_302600_NS6detail15normal_iteratorINSA_10device_ptrItEEEEPS6_PKS6_NS0_5tupleIJNSA_16discard_iteratorINSA_11use_defaultEEES6_EEENSJ_IJSG_SG_EEENS0_18inequality_wrapperINSA_8equal_toItEEEEPmJS6_EEE10hipError_tPvRmT3_T4_T5_T6_T7_T9_mT8_P12ihipStream_tbDpT10_ENKUlT_T0_E_clISt17integral_constantIbLb0EES1C_IbLb1EEEEDaS18_S19_EUlS18_E_NS1_11comp_targetILNS1_3genE5ELNS1_11target_archE942ELNS1_3gpuE9ELNS1_3repE0EEENS1_30default_config_static_selectorELNS0_4arch9wavefront6targetE1EEEvT1_,"axG",@progbits,_ZN7rocprim17ROCPRIM_400000_NS6detail17trampoline_kernelINS0_14default_configENS1_25partition_config_selectorILNS1_17partition_subalgoE8EtNS0_10empty_typeEbEEZZNS1_14partition_implILS5_8ELb0ES3_jN6thrust23THRUST_200600_302600_NS6detail15normal_iteratorINSA_10device_ptrItEEEEPS6_PKS6_NS0_5tupleIJNSA_16discard_iteratorINSA_11use_defaultEEES6_EEENSJ_IJSG_SG_EEENS0_18inequality_wrapperINSA_8equal_toItEEEEPmJS6_EEE10hipError_tPvRmT3_T4_T5_T6_T7_T9_mT8_P12ihipStream_tbDpT10_ENKUlT_T0_E_clISt17integral_constantIbLb0EES1C_IbLb1EEEEDaS18_S19_EUlS18_E_NS1_11comp_targetILNS1_3genE5ELNS1_11target_archE942ELNS1_3gpuE9ELNS1_3repE0EEENS1_30default_config_static_selectorELNS0_4arch9wavefront6targetE1EEEvT1_,comdat
.Lfunc_end622:
	.size	_ZN7rocprim17ROCPRIM_400000_NS6detail17trampoline_kernelINS0_14default_configENS1_25partition_config_selectorILNS1_17partition_subalgoE8EtNS0_10empty_typeEbEEZZNS1_14partition_implILS5_8ELb0ES3_jN6thrust23THRUST_200600_302600_NS6detail15normal_iteratorINSA_10device_ptrItEEEEPS6_PKS6_NS0_5tupleIJNSA_16discard_iteratorINSA_11use_defaultEEES6_EEENSJ_IJSG_SG_EEENS0_18inequality_wrapperINSA_8equal_toItEEEEPmJS6_EEE10hipError_tPvRmT3_T4_T5_T6_T7_T9_mT8_P12ihipStream_tbDpT10_ENKUlT_T0_E_clISt17integral_constantIbLb0EES1C_IbLb1EEEEDaS18_S19_EUlS18_E_NS1_11comp_targetILNS1_3genE5ELNS1_11target_archE942ELNS1_3gpuE9ELNS1_3repE0EEENS1_30default_config_static_selectorELNS0_4arch9wavefront6targetE1EEEvT1_, .Lfunc_end622-_ZN7rocprim17ROCPRIM_400000_NS6detail17trampoline_kernelINS0_14default_configENS1_25partition_config_selectorILNS1_17partition_subalgoE8EtNS0_10empty_typeEbEEZZNS1_14partition_implILS5_8ELb0ES3_jN6thrust23THRUST_200600_302600_NS6detail15normal_iteratorINSA_10device_ptrItEEEEPS6_PKS6_NS0_5tupleIJNSA_16discard_iteratorINSA_11use_defaultEEES6_EEENSJ_IJSG_SG_EEENS0_18inequality_wrapperINSA_8equal_toItEEEEPmJS6_EEE10hipError_tPvRmT3_T4_T5_T6_T7_T9_mT8_P12ihipStream_tbDpT10_ENKUlT_T0_E_clISt17integral_constantIbLb0EES1C_IbLb1EEEEDaS18_S19_EUlS18_E_NS1_11comp_targetILNS1_3genE5ELNS1_11target_archE942ELNS1_3gpuE9ELNS1_3repE0EEENS1_30default_config_static_selectorELNS0_4arch9wavefront6targetE1EEEvT1_
                                        ; -- End function
	.set _ZN7rocprim17ROCPRIM_400000_NS6detail17trampoline_kernelINS0_14default_configENS1_25partition_config_selectorILNS1_17partition_subalgoE8EtNS0_10empty_typeEbEEZZNS1_14partition_implILS5_8ELb0ES3_jN6thrust23THRUST_200600_302600_NS6detail15normal_iteratorINSA_10device_ptrItEEEEPS6_PKS6_NS0_5tupleIJNSA_16discard_iteratorINSA_11use_defaultEEES6_EEENSJ_IJSG_SG_EEENS0_18inequality_wrapperINSA_8equal_toItEEEEPmJS6_EEE10hipError_tPvRmT3_T4_T5_T6_T7_T9_mT8_P12ihipStream_tbDpT10_ENKUlT_T0_E_clISt17integral_constantIbLb0EES1C_IbLb1EEEEDaS18_S19_EUlS18_E_NS1_11comp_targetILNS1_3genE5ELNS1_11target_archE942ELNS1_3gpuE9ELNS1_3repE0EEENS1_30default_config_static_selectorELNS0_4arch9wavefront6targetE1EEEvT1_.num_vgpr, 0
	.set _ZN7rocprim17ROCPRIM_400000_NS6detail17trampoline_kernelINS0_14default_configENS1_25partition_config_selectorILNS1_17partition_subalgoE8EtNS0_10empty_typeEbEEZZNS1_14partition_implILS5_8ELb0ES3_jN6thrust23THRUST_200600_302600_NS6detail15normal_iteratorINSA_10device_ptrItEEEEPS6_PKS6_NS0_5tupleIJNSA_16discard_iteratorINSA_11use_defaultEEES6_EEENSJ_IJSG_SG_EEENS0_18inequality_wrapperINSA_8equal_toItEEEEPmJS6_EEE10hipError_tPvRmT3_T4_T5_T6_T7_T9_mT8_P12ihipStream_tbDpT10_ENKUlT_T0_E_clISt17integral_constantIbLb0EES1C_IbLb1EEEEDaS18_S19_EUlS18_E_NS1_11comp_targetILNS1_3genE5ELNS1_11target_archE942ELNS1_3gpuE9ELNS1_3repE0EEENS1_30default_config_static_selectorELNS0_4arch9wavefront6targetE1EEEvT1_.num_agpr, 0
	.set _ZN7rocprim17ROCPRIM_400000_NS6detail17trampoline_kernelINS0_14default_configENS1_25partition_config_selectorILNS1_17partition_subalgoE8EtNS0_10empty_typeEbEEZZNS1_14partition_implILS5_8ELb0ES3_jN6thrust23THRUST_200600_302600_NS6detail15normal_iteratorINSA_10device_ptrItEEEEPS6_PKS6_NS0_5tupleIJNSA_16discard_iteratorINSA_11use_defaultEEES6_EEENSJ_IJSG_SG_EEENS0_18inequality_wrapperINSA_8equal_toItEEEEPmJS6_EEE10hipError_tPvRmT3_T4_T5_T6_T7_T9_mT8_P12ihipStream_tbDpT10_ENKUlT_T0_E_clISt17integral_constantIbLb0EES1C_IbLb1EEEEDaS18_S19_EUlS18_E_NS1_11comp_targetILNS1_3genE5ELNS1_11target_archE942ELNS1_3gpuE9ELNS1_3repE0EEENS1_30default_config_static_selectorELNS0_4arch9wavefront6targetE1EEEvT1_.numbered_sgpr, 0
	.set _ZN7rocprim17ROCPRIM_400000_NS6detail17trampoline_kernelINS0_14default_configENS1_25partition_config_selectorILNS1_17partition_subalgoE8EtNS0_10empty_typeEbEEZZNS1_14partition_implILS5_8ELb0ES3_jN6thrust23THRUST_200600_302600_NS6detail15normal_iteratorINSA_10device_ptrItEEEEPS6_PKS6_NS0_5tupleIJNSA_16discard_iteratorINSA_11use_defaultEEES6_EEENSJ_IJSG_SG_EEENS0_18inequality_wrapperINSA_8equal_toItEEEEPmJS6_EEE10hipError_tPvRmT3_T4_T5_T6_T7_T9_mT8_P12ihipStream_tbDpT10_ENKUlT_T0_E_clISt17integral_constantIbLb0EES1C_IbLb1EEEEDaS18_S19_EUlS18_E_NS1_11comp_targetILNS1_3genE5ELNS1_11target_archE942ELNS1_3gpuE9ELNS1_3repE0EEENS1_30default_config_static_selectorELNS0_4arch9wavefront6targetE1EEEvT1_.num_named_barrier, 0
	.set _ZN7rocprim17ROCPRIM_400000_NS6detail17trampoline_kernelINS0_14default_configENS1_25partition_config_selectorILNS1_17partition_subalgoE8EtNS0_10empty_typeEbEEZZNS1_14partition_implILS5_8ELb0ES3_jN6thrust23THRUST_200600_302600_NS6detail15normal_iteratorINSA_10device_ptrItEEEEPS6_PKS6_NS0_5tupleIJNSA_16discard_iteratorINSA_11use_defaultEEES6_EEENSJ_IJSG_SG_EEENS0_18inequality_wrapperINSA_8equal_toItEEEEPmJS6_EEE10hipError_tPvRmT3_T4_T5_T6_T7_T9_mT8_P12ihipStream_tbDpT10_ENKUlT_T0_E_clISt17integral_constantIbLb0EES1C_IbLb1EEEEDaS18_S19_EUlS18_E_NS1_11comp_targetILNS1_3genE5ELNS1_11target_archE942ELNS1_3gpuE9ELNS1_3repE0EEENS1_30default_config_static_selectorELNS0_4arch9wavefront6targetE1EEEvT1_.private_seg_size, 0
	.set _ZN7rocprim17ROCPRIM_400000_NS6detail17trampoline_kernelINS0_14default_configENS1_25partition_config_selectorILNS1_17partition_subalgoE8EtNS0_10empty_typeEbEEZZNS1_14partition_implILS5_8ELb0ES3_jN6thrust23THRUST_200600_302600_NS6detail15normal_iteratorINSA_10device_ptrItEEEEPS6_PKS6_NS0_5tupleIJNSA_16discard_iteratorINSA_11use_defaultEEES6_EEENSJ_IJSG_SG_EEENS0_18inequality_wrapperINSA_8equal_toItEEEEPmJS6_EEE10hipError_tPvRmT3_T4_T5_T6_T7_T9_mT8_P12ihipStream_tbDpT10_ENKUlT_T0_E_clISt17integral_constantIbLb0EES1C_IbLb1EEEEDaS18_S19_EUlS18_E_NS1_11comp_targetILNS1_3genE5ELNS1_11target_archE942ELNS1_3gpuE9ELNS1_3repE0EEENS1_30default_config_static_selectorELNS0_4arch9wavefront6targetE1EEEvT1_.uses_vcc, 0
	.set _ZN7rocprim17ROCPRIM_400000_NS6detail17trampoline_kernelINS0_14default_configENS1_25partition_config_selectorILNS1_17partition_subalgoE8EtNS0_10empty_typeEbEEZZNS1_14partition_implILS5_8ELb0ES3_jN6thrust23THRUST_200600_302600_NS6detail15normal_iteratorINSA_10device_ptrItEEEEPS6_PKS6_NS0_5tupleIJNSA_16discard_iteratorINSA_11use_defaultEEES6_EEENSJ_IJSG_SG_EEENS0_18inequality_wrapperINSA_8equal_toItEEEEPmJS6_EEE10hipError_tPvRmT3_T4_T5_T6_T7_T9_mT8_P12ihipStream_tbDpT10_ENKUlT_T0_E_clISt17integral_constantIbLb0EES1C_IbLb1EEEEDaS18_S19_EUlS18_E_NS1_11comp_targetILNS1_3genE5ELNS1_11target_archE942ELNS1_3gpuE9ELNS1_3repE0EEENS1_30default_config_static_selectorELNS0_4arch9wavefront6targetE1EEEvT1_.uses_flat_scratch, 0
	.set _ZN7rocprim17ROCPRIM_400000_NS6detail17trampoline_kernelINS0_14default_configENS1_25partition_config_selectorILNS1_17partition_subalgoE8EtNS0_10empty_typeEbEEZZNS1_14partition_implILS5_8ELb0ES3_jN6thrust23THRUST_200600_302600_NS6detail15normal_iteratorINSA_10device_ptrItEEEEPS6_PKS6_NS0_5tupleIJNSA_16discard_iteratorINSA_11use_defaultEEES6_EEENSJ_IJSG_SG_EEENS0_18inequality_wrapperINSA_8equal_toItEEEEPmJS6_EEE10hipError_tPvRmT3_T4_T5_T6_T7_T9_mT8_P12ihipStream_tbDpT10_ENKUlT_T0_E_clISt17integral_constantIbLb0EES1C_IbLb1EEEEDaS18_S19_EUlS18_E_NS1_11comp_targetILNS1_3genE5ELNS1_11target_archE942ELNS1_3gpuE9ELNS1_3repE0EEENS1_30default_config_static_selectorELNS0_4arch9wavefront6targetE1EEEvT1_.has_dyn_sized_stack, 0
	.set _ZN7rocprim17ROCPRIM_400000_NS6detail17trampoline_kernelINS0_14default_configENS1_25partition_config_selectorILNS1_17partition_subalgoE8EtNS0_10empty_typeEbEEZZNS1_14partition_implILS5_8ELb0ES3_jN6thrust23THRUST_200600_302600_NS6detail15normal_iteratorINSA_10device_ptrItEEEEPS6_PKS6_NS0_5tupleIJNSA_16discard_iteratorINSA_11use_defaultEEES6_EEENSJ_IJSG_SG_EEENS0_18inequality_wrapperINSA_8equal_toItEEEEPmJS6_EEE10hipError_tPvRmT3_T4_T5_T6_T7_T9_mT8_P12ihipStream_tbDpT10_ENKUlT_T0_E_clISt17integral_constantIbLb0EES1C_IbLb1EEEEDaS18_S19_EUlS18_E_NS1_11comp_targetILNS1_3genE5ELNS1_11target_archE942ELNS1_3gpuE9ELNS1_3repE0EEENS1_30default_config_static_selectorELNS0_4arch9wavefront6targetE1EEEvT1_.has_recursion, 0
	.set _ZN7rocprim17ROCPRIM_400000_NS6detail17trampoline_kernelINS0_14default_configENS1_25partition_config_selectorILNS1_17partition_subalgoE8EtNS0_10empty_typeEbEEZZNS1_14partition_implILS5_8ELb0ES3_jN6thrust23THRUST_200600_302600_NS6detail15normal_iteratorINSA_10device_ptrItEEEEPS6_PKS6_NS0_5tupleIJNSA_16discard_iteratorINSA_11use_defaultEEES6_EEENSJ_IJSG_SG_EEENS0_18inequality_wrapperINSA_8equal_toItEEEEPmJS6_EEE10hipError_tPvRmT3_T4_T5_T6_T7_T9_mT8_P12ihipStream_tbDpT10_ENKUlT_T0_E_clISt17integral_constantIbLb0EES1C_IbLb1EEEEDaS18_S19_EUlS18_E_NS1_11comp_targetILNS1_3genE5ELNS1_11target_archE942ELNS1_3gpuE9ELNS1_3repE0EEENS1_30default_config_static_selectorELNS0_4arch9wavefront6targetE1EEEvT1_.has_indirect_call, 0
	.section	.AMDGPU.csdata,"",@progbits
; Kernel info:
; codeLenInByte = 0
; TotalNumSgprs: 4
; NumVgprs: 0
; ScratchSize: 0
; MemoryBound: 0
; FloatMode: 240
; IeeeMode: 1
; LDSByteSize: 0 bytes/workgroup (compile time only)
; SGPRBlocks: 0
; VGPRBlocks: 0
; NumSGPRsForWavesPerEU: 4
; NumVGPRsForWavesPerEU: 1
; Occupancy: 10
; WaveLimiterHint : 0
; COMPUTE_PGM_RSRC2:SCRATCH_EN: 0
; COMPUTE_PGM_RSRC2:USER_SGPR: 6
; COMPUTE_PGM_RSRC2:TRAP_HANDLER: 0
; COMPUTE_PGM_RSRC2:TGID_X_EN: 1
; COMPUTE_PGM_RSRC2:TGID_Y_EN: 0
; COMPUTE_PGM_RSRC2:TGID_Z_EN: 0
; COMPUTE_PGM_RSRC2:TIDIG_COMP_CNT: 0
	.section	.text._ZN7rocprim17ROCPRIM_400000_NS6detail17trampoline_kernelINS0_14default_configENS1_25partition_config_selectorILNS1_17partition_subalgoE8EtNS0_10empty_typeEbEEZZNS1_14partition_implILS5_8ELb0ES3_jN6thrust23THRUST_200600_302600_NS6detail15normal_iteratorINSA_10device_ptrItEEEEPS6_PKS6_NS0_5tupleIJNSA_16discard_iteratorINSA_11use_defaultEEES6_EEENSJ_IJSG_SG_EEENS0_18inequality_wrapperINSA_8equal_toItEEEEPmJS6_EEE10hipError_tPvRmT3_T4_T5_T6_T7_T9_mT8_P12ihipStream_tbDpT10_ENKUlT_T0_E_clISt17integral_constantIbLb0EES1C_IbLb1EEEEDaS18_S19_EUlS18_E_NS1_11comp_targetILNS1_3genE4ELNS1_11target_archE910ELNS1_3gpuE8ELNS1_3repE0EEENS1_30default_config_static_selectorELNS0_4arch9wavefront6targetE1EEEvT1_,"axG",@progbits,_ZN7rocprim17ROCPRIM_400000_NS6detail17trampoline_kernelINS0_14default_configENS1_25partition_config_selectorILNS1_17partition_subalgoE8EtNS0_10empty_typeEbEEZZNS1_14partition_implILS5_8ELb0ES3_jN6thrust23THRUST_200600_302600_NS6detail15normal_iteratorINSA_10device_ptrItEEEEPS6_PKS6_NS0_5tupleIJNSA_16discard_iteratorINSA_11use_defaultEEES6_EEENSJ_IJSG_SG_EEENS0_18inequality_wrapperINSA_8equal_toItEEEEPmJS6_EEE10hipError_tPvRmT3_T4_T5_T6_T7_T9_mT8_P12ihipStream_tbDpT10_ENKUlT_T0_E_clISt17integral_constantIbLb0EES1C_IbLb1EEEEDaS18_S19_EUlS18_E_NS1_11comp_targetILNS1_3genE4ELNS1_11target_archE910ELNS1_3gpuE8ELNS1_3repE0EEENS1_30default_config_static_selectorELNS0_4arch9wavefront6targetE1EEEvT1_,comdat
	.protected	_ZN7rocprim17ROCPRIM_400000_NS6detail17trampoline_kernelINS0_14default_configENS1_25partition_config_selectorILNS1_17partition_subalgoE8EtNS0_10empty_typeEbEEZZNS1_14partition_implILS5_8ELb0ES3_jN6thrust23THRUST_200600_302600_NS6detail15normal_iteratorINSA_10device_ptrItEEEEPS6_PKS6_NS0_5tupleIJNSA_16discard_iteratorINSA_11use_defaultEEES6_EEENSJ_IJSG_SG_EEENS0_18inequality_wrapperINSA_8equal_toItEEEEPmJS6_EEE10hipError_tPvRmT3_T4_T5_T6_T7_T9_mT8_P12ihipStream_tbDpT10_ENKUlT_T0_E_clISt17integral_constantIbLb0EES1C_IbLb1EEEEDaS18_S19_EUlS18_E_NS1_11comp_targetILNS1_3genE4ELNS1_11target_archE910ELNS1_3gpuE8ELNS1_3repE0EEENS1_30default_config_static_selectorELNS0_4arch9wavefront6targetE1EEEvT1_ ; -- Begin function _ZN7rocprim17ROCPRIM_400000_NS6detail17trampoline_kernelINS0_14default_configENS1_25partition_config_selectorILNS1_17partition_subalgoE8EtNS0_10empty_typeEbEEZZNS1_14partition_implILS5_8ELb0ES3_jN6thrust23THRUST_200600_302600_NS6detail15normal_iteratorINSA_10device_ptrItEEEEPS6_PKS6_NS0_5tupleIJNSA_16discard_iteratorINSA_11use_defaultEEES6_EEENSJ_IJSG_SG_EEENS0_18inequality_wrapperINSA_8equal_toItEEEEPmJS6_EEE10hipError_tPvRmT3_T4_T5_T6_T7_T9_mT8_P12ihipStream_tbDpT10_ENKUlT_T0_E_clISt17integral_constantIbLb0EES1C_IbLb1EEEEDaS18_S19_EUlS18_E_NS1_11comp_targetILNS1_3genE4ELNS1_11target_archE910ELNS1_3gpuE8ELNS1_3repE0EEENS1_30default_config_static_selectorELNS0_4arch9wavefront6targetE1EEEvT1_
	.globl	_ZN7rocprim17ROCPRIM_400000_NS6detail17trampoline_kernelINS0_14default_configENS1_25partition_config_selectorILNS1_17partition_subalgoE8EtNS0_10empty_typeEbEEZZNS1_14partition_implILS5_8ELb0ES3_jN6thrust23THRUST_200600_302600_NS6detail15normal_iteratorINSA_10device_ptrItEEEEPS6_PKS6_NS0_5tupleIJNSA_16discard_iteratorINSA_11use_defaultEEES6_EEENSJ_IJSG_SG_EEENS0_18inequality_wrapperINSA_8equal_toItEEEEPmJS6_EEE10hipError_tPvRmT3_T4_T5_T6_T7_T9_mT8_P12ihipStream_tbDpT10_ENKUlT_T0_E_clISt17integral_constantIbLb0EES1C_IbLb1EEEEDaS18_S19_EUlS18_E_NS1_11comp_targetILNS1_3genE4ELNS1_11target_archE910ELNS1_3gpuE8ELNS1_3repE0EEENS1_30default_config_static_selectorELNS0_4arch9wavefront6targetE1EEEvT1_
	.p2align	8
	.type	_ZN7rocprim17ROCPRIM_400000_NS6detail17trampoline_kernelINS0_14default_configENS1_25partition_config_selectorILNS1_17partition_subalgoE8EtNS0_10empty_typeEbEEZZNS1_14partition_implILS5_8ELb0ES3_jN6thrust23THRUST_200600_302600_NS6detail15normal_iteratorINSA_10device_ptrItEEEEPS6_PKS6_NS0_5tupleIJNSA_16discard_iteratorINSA_11use_defaultEEES6_EEENSJ_IJSG_SG_EEENS0_18inequality_wrapperINSA_8equal_toItEEEEPmJS6_EEE10hipError_tPvRmT3_T4_T5_T6_T7_T9_mT8_P12ihipStream_tbDpT10_ENKUlT_T0_E_clISt17integral_constantIbLb0EES1C_IbLb1EEEEDaS18_S19_EUlS18_E_NS1_11comp_targetILNS1_3genE4ELNS1_11target_archE910ELNS1_3gpuE8ELNS1_3repE0EEENS1_30default_config_static_selectorELNS0_4arch9wavefront6targetE1EEEvT1_,@function
_ZN7rocprim17ROCPRIM_400000_NS6detail17trampoline_kernelINS0_14default_configENS1_25partition_config_selectorILNS1_17partition_subalgoE8EtNS0_10empty_typeEbEEZZNS1_14partition_implILS5_8ELb0ES3_jN6thrust23THRUST_200600_302600_NS6detail15normal_iteratorINSA_10device_ptrItEEEEPS6_PKS6_NS0_5tupleIJNSA_16discard_iteratorINSA_11use_defaultEEES6_EEENSJ_IJSG_SG_EEENS0_18inequality_wrapperINSA_8equal_toItEEEEPmJS6_EEE10hipError_tPvRmT3_T4_T5_T6_T7_T9_mT8_P12ihipStream_tbDpT10_ENKUlT_T0_E_clISt17integral_constantIbLb0EES1C_IbLb1EEEEDaS18_S19_EUlS18_E_NS1_11comp_targetILNS1_3genE4ELNS1_11target_archE910ELNS1_3gpuE8ELNS1_3repE0EEENS1_30default_config_static_selectorELNS0_4arch9wavefront6targetE1EEEvT1_: ; @_ZN7rocprim17ROCPRIM_400000_NS6detail17trampoline_kernelINS0_14default_configENS1_25partition_config_selectorILNS1_17partition_subalgoE8EtNS0_10empty_typeEbEEZZNS1_14partition_implILS5_8ELb0ES3_jN6thrust23THRUST_200600_302600_NS6detail15normal_iteratorINSA_10device_ptrItEEEEPS6_PKS6_NS0_5tupleIJNSA_16discard_iteratorINSA_11use_defaultEEES6_EEENSJ_IJSG_SG_EEENS0_18inequality_wrapperINSA_8equal_toItEEEEPmJS6_EEE10hipError_tPvRmT3_T4_T5_T6_T7_T9_mT8_P12ihipStream_tbDpT10_ENKUlT_T0_E_clISt17integral_constantIbLb0EES1C_IbLb1EEEEDaS18_S19_EUlS18_E_NS1_11comp_targetILNS1_3genE4ELNS1_11target_archE910ELNS1_3gpuE8ELNS1_3repE0EEENS1_30default_config_static_selectorELNS0_4arch9wavefront6targetE1EEEvT1_
; %bb.0:
	.section	.rodata,"a",@progbits
	.p2align	6, 0x0
	.amdhsa_kernel _ZN7rocprim17ROCPRIM_400000_NS6detail17trampoline_kernelINS0_14default_configENS1_25partition_config_selectorILNS1_17partition_subalgoE8EtNS0_10empty_typeEbEEZZNS1_14partition_implILS5_8ELb0ES3_jN6thrust23THRUST_200600_302600_NS6detail15normal_iteratorINSA_10device_ptrItEEEEPS6_PKS6_NS0_5tupleIJNSA_16discard_iteratorINSA_11use_defaultEEES6_EEENSJ_IJSG_SG_EEENS0_18inequality_wrapperINSA_8equal_toItEEEEPmJS6_EEE10hipError_tPvRmT3_T4_T5_T6_T7_T9_mT8_P12ihipStream_tbDpT10_ENKUlT_T0_E_clISt17integral_constantIbLb0EES1C_IbLb1EEEEDaS18_S19_EUlS18_E_NS1_11comp_targetILNS1_3genE4ELNS1_11target_archE910ELNS1_3gpuE8ELNS1_3repE0EEENS1_30default_config_static_selectorELNS0_4arch9wavefront6targetE1EEEvT1_
		.amdhsa_group_segment_fixed_size 0
		.amdhsa_private_segment_fixed_size 0
		.amdhsa_kernarg_size 136
		.amdhsa_user_sgpr_count 6
		.amdhsa_user_sgpr_private_segment_buffer 1
		.amdhsa_user_sgpr_dispatch_ptr 0
		.amdhsa_user_sgpr_queue_ptr 0
		.amdhsa_user_sgpr_kernarg_segment_ptr 1
		.amdhsa_user_sgpr_dispatch_id 0
		.amdhsa_user_sgpr_flat_scratch_init 0
		.amdhsa_user_sgpr_private_segment_size 0
		.amdhsa_uses_dynamic_stack 0
		.amdhsa_system_sgpr_private_segment_wavefront_offset 0
		.amdhsa_system_sgpr_workgroup_id_x 1
		.amdhsa_system_sgpr_workgroup_id_y 0
		.amdhsa_system_sgpr_workgroup_id_z 0
		.amdhsa_system_sgpr_workgroup_info 0
		.amdhsa_system_vgpr_workitem_id 0
		.amdhsa_next_free_vgpr 1
		.amdhsa_next_free_sgpr 0
		.amdhsa_reserve_vcc 0
		.amdhsa_reserve_flat_scratch 0
		.amdhsa_float_round_mode_32 0
		.amdhsa_float_round_mode_16_64 0
		.amdhsa_float_denorm_mode_32 3
		.amdhsa_float_denorm_mode_16_64 3
		.amdhsa_dx10_clamp 1
		.amdhsa_ieee_mode 1
		.amdhsa_fp16_overflow 0
		.amdhsa_exception_fp_ieee_invalid_op 0
		.amdhsa_exception_fp_denorm_src 0
		.amdhsa_exception_fp_ieee_div_zero 0
		.amdhsa_exception_fp_ieee_overflow 0
		.amdhsa_exception_fp_ieee_underflow 0
		.amdhsa_exception_fp_ieee_inexact 0
		.amdhsa_exception_int_div_zero 0
	.end_amdhsa_kernel
	.section	.text._ZN7rocprim17ROCPRIM_400000_NS6detail17trampoline_kernelINS0_14default_configENS1_25partition_config_selectorILNS1_17partition_subalgoE8EtNS0_10empty_typeEbEEZZNS1_14partition_implILS5_8ELb0ES3_jN6thrust23THRUST_200600_302600_NS6detail15normal_iteratorINSA_10device_ptrItEEEEPS6_PKS6_NS0_5tupleIJNSA_16discard_iteratorINSA_11use_defaultEEES6_EEENSJ_IJSG_SG_EEENS0_18inequality_wrapperINSA_8equal_toItEEEEPmJS6_EEE10hipError_tPvRmT3_T4_T5_T6_T7_T9_mT8_P12ihipStream_tbDpT10_ENKUlT_T0_E_clISt17integral_constantIbLb0EES1C_IbLb1EEEEDaS18_S19_EUlS18_E_NS1_11comp_targetILNS1_3genE4ELNS1_11target_archE910ELNS1_3gpuE8ELNS1_3repE0EEENS1_30default_config_static_selectorELNS0_4arch9wavefront6targetE1EEEvT1_,"axG",@progbits,_ZN7rocprim17ROCPRIM_400000_NS6detail17trampoline_kernelINS0_14default_configENS1_25partition_config_selectorILNS1_17partition_subalgoE8EtNS0_10empty_typeEbEEZZNS1_14partition_implILS5_8ELb0ES3_jN6thrust23THRUST_200600_302600_NS6detail15normal_iteratorINSA_10device_ptrItEEEEPS6_PKS6_NS0_5tupleIJNSA_16discard_iteratorINSA_11use_defaultEEES6_EEENSJ_IJSG_SG_EEENS0_18inequality_wrapperINSA_8equal_toItEEEEPmJS6_EEE10hipError_tPvRmT3_T4_T5_T6_T7_T9_mT8_P12ihipStream_tbDpT10_ENKUlT_T0_E_clISt17integral_constantIbLb0EES1C_IbLb1EEEEDaS18_S19_EUlS18_E_NS1_11comp_targetILNS1_3genE4ELNS1_11target_archE910ELNS1_3gpuE8ELNS1_3repE0EEENS1_30default_config_static_selectorELNS0_4arch9wavefront6targetE1EEEvT1_,comdat
.Lfunc_end623:
	.size	_ZN7rocprim17ROCPRIM_400000_NS6detail17trampoline_kernelINS0_14default_configENS1_25partition_config_selectorILNS1_17partition_subalgoE8EtNS0_10empty_typeEbEEZZNS1_14partition_implILS5_8ELb0ES3_jN6thrust23THRUST_200600_302600_NS6detail15normal_iteratorINSA_10device_ptrItEEEEPS6_PKS6_NS0_5tupleIJNSA_16discard_iteratorINSA_11use_defaultEEES6_EEENSJ_IJSG_SG_EEENS0_18inequality_wrapperINSA_8equal_toItEEEEPmJS6_EEE10hipError_tPvRmT3_T4_T5_T6_T7_T9_mT8_P12ihipStream_tbDpT10_ENKUlT_T0_E_clISt17integral_constantIbLb0EES1C_IbLb1EEEEDaS18_S19_EUlS18_E_NS1_11comp_targetILNS1_3genE4ELNS1_11target_archE910ELNS1_3gpuE8ELNS1_3repE0EEENS1_30default_config_static_selectorELNS0_4arch9wavefront6targetE1EEEvT1_, .Lfunc_end623-_ZN7rocprim17ROCPRIM_400000_NS6detail17trampoline_kernelINS0_14default_configENS1_25partition_config_selectorILNS1_17partition_subalgoE8EtNS0_10empty_typeEbEEZZNS1_14partition_implILS5_8ELb0ES3_jN6thrust23THRUST_200600_302600_NS6detail15normal_iteratorINSA_10device_ptrItEEEEPS6_PKS6_NS0_5tupleIJNSA_16discard_iteratorINSA_11use_defaultEEES6_EEENSJ_IJSG_SG_EEENS0_18inequality_wrapperINSA_8equal_toItEEEEPmJS6_EEE10hipError_tPvRmT3_T4_T5_T6_T7_T9_mT8_P12ihipStream_tbDpT10_ENKUlT_T0_E_clISt17integral_constantIbLb0EES1C_IbLb1EEEEDaS18_S19_EUlS18_E_NS1_11comp_targetILNS1_3genE4ELNS1_11target_archE910ELNS1_3gpuE8ELNS1_3repE0EEENS1_30default_config_static_selectorELNS0_4arch9wavefront6targetE1EEEvT1_
                                        ; -- End function
	.set _ZN7rocprim17ROCPRIM_400000_NS6detail17trampoline_kernelINS0_14default_configENS1_25partition_config_selectorILNS1_17partition_subalgoE8EtNS0_10empty_typeEbEEZZNS1_14partition_implILS5_8ELb0ES3_jN6thrust23THRUST_200600_302600_NS6detail15normal_iteratorINSA_10device_ptrItEEEEPS6_PKS6_NS0_5tupleIJNSA_16discard_iteratorINSA_11use_defaultEEES6_EEENSJ_IJSG_SG_EEENS0_18inequality_wrapperINSA_8equal_toItEEEEPmJS6_EEE10hipError_tPvRmT3_T4_T5_T6_T7_T9_mT8_P12ihipStream_tbDpT10_ENKUlT_T0_E_clISt17integral_constantIbLb0EES1C_IbLb1EEEEDaS18_S19_EUlS18_E_NS1_11comp_targetILNS1_3genE4ELNS1_11target_archE910ELNS1_3gpuE8ELNS1_3repE0EEENS1_30default_config_static_selectorELNS0_4arch9wavefront6targetE1EEEvT1_.num_vgpr, 0
	.set _ZN7rocprim17ROCPRIM_400000_NS6detail17trampoline_kernelINS0_14default_configENS1_25partition_config_selectorILNS1_17partition_subalgoE8EtNS0_10empty_typeEbEEZZNS1_14partition_implILS5_8ELb0ES3_jN6thrust23THRUST_200600_302600_NS6detail15normal_iteratorINSA_10device_ptrItEEEEPS6_PKS6_NS0_5tupleIJNSA_16discard_iteratorINSA_11use_defaultEEES6_EEENSJ_IJSG_SG_EEENS0_18inequality_wrapperINSA_8equal_toItEEEEPmJS6_EEE10hipError_tPvRmT3_T4_T5_T6_T7_T9_mT8_P12ihipStream_tbDpT10_ENKUlT_T0_E_clISt17integral_constantIbLb0EES1C_IbLb1EEEEDaS18_S19_EUlS18_E_NS1_11comp_targetILNS1_3genE4ELNS1_11target_archE910ELNS1_3gpuE8ELNS1_3repE0EEENS1_30default_config_static_selectorELNS0_4arch9wavefront6targetE1EEEvT1_.num_agpr, 0
	.set _ZN7rocprim17ROCPRIM_400000_NS6detail17trampoline_kernelINS0_14default_configENS1_25partition_config_selectorILNS1_17partition_subalgoE8EtNS0_10empty_typeEbEEZZNS1_14partition_implILS5_8ELb0ES3_jN6thrust23THRUST_200600_302600_NS6detail15normal_iteratorINSA_10device_ptrItEEEEPS6_PKS6_NS0_5tupleIJNSA_16discard_iteratorINSA_11use_defaultEEES6_EEENSJ_IJSG_SG_EEENS0_18inequality_wrapperINSA_8equal_toItEEEEPmJS6_EEE10hipError_tPvRmT3_T4_T5_T6_T7_T9_mT8_P12ihipStream_tbDpT10_ENKUlT_T0_E_clISt17integral_constantIbLb0EES1C_IbLb1EEEEDaS18_S19_EUlS18_E_NS1_11comp_targetILNS1_3genE4ELNS1_11target_archE910ELNS1_3gpuE8ELNS1_3repE0EEENS1_30default_config_static_selectorELNS0_4arch9wavefront6targetE1EEEvT1_.numbered_sgpr, 0
	.set _ZN7rocprim17ROCPRIM_400000_NS6detail17trampoline_kernelINS0_14default_configENS1_25partition_config_selectorILNS1_17partition_subalgoE8EtNS0_10empty_typeEbEEZZNS1_14partition_implILS5_8ELb0ES3_jN6thrust23THRUST_200600_302600_NS6detail15normal_iteratorINSA_10device_ptrItEEEEPS6_PKS6_NS0_5tupleIJNSA_16discard_iteratorINSA_11use_defaultEEES6_EEENSJ_IJSG_SG_EEENS0_18inequality_wrapperINSA_8equal_toItEEEEPmJS6_EEE10hipError_tPvRmT3_T4_T5_T6_T7_T9_mT8_P12ihipStream_tbDpT10_ENKUlT_T0_E_clISt17integral_constantIbLb0EES1C_IbLb1EEEEDaS18_S19_EUlS18_E_NS1_11comp_targetILNS1_3genE4ELNS1_11target_archE910ELNS1_3gpuE8ELNS1_3repE0EEENS1_30default_config_static_selectorELNS0_4arch9wavefront6targetE1EEEvT1_.num_named_barrier, 0
	.set _ZN7rocprim17ROCPRIM_400000_NS6detail17trampoline_kernelINS0_14default_configENS1_25partition_config_selectorILNS1_17partition_subalgoE8EtNS0_10empty_typeEbEEZZNS1_14partition_implILS5_8ELb0ES3_jN6thrust23THRUST_200600_302600_NS6detail15normal_iteratorINSA_10device_ptrItEEEEPS6_PKS6_NS0_5tupleIJNSA_16discard_iteratorINSA_11use_defaultEEES6_EEENSJ_IJSG_SG_EEENS0_18inequality_wrapperINSA_8equal_toItEEEEPmJS6_EEE10hipError_tPvRmT3_T4_T5_T6_T7_T9_mT8_P12ihipStream_tbDpT10_ENKUlT_T0_E_clISt17integral_constantIbLb0EES1C_IbLb1EEEEDaS18_S19_EUlS18_E_NS1_11comp_targetILNS1_3genE4ELNS1_11target_archE910ELNS1_3gpuE8ELNS1_3repE0EEENS1_30default_config_static_selectorELNS0_4arch9wavefront6targetE1EEEvT1_.private_seg_size, 0
	.set _ZN7rocprim17ROCPRIM_400000_NS6detail17trampoline_kernelINS0_14default_configENS1_25partition_config_selectorILNS1_17partition_subalgoE8EtNS0_10empty_typeEbEEZZNS1_14partition_implILS5_8ELb0ES3_jN6thrust23THRUST_200600_302600_NS6detail15normal_iteratorINSA_10device_ptrItEEEEPS6_PKS6_NS0_5tupleIJNSA_16discard_iteratorINSA_11use_defaultEEES6_EEENSJ_IJSG_SG_EEENS0_18inequality_wrapperINSA_8equal_toItEEEEPmJS6_EEE10hipError_tPvRmT3_T4_T5_T6_T7_T9_mT8_P12ihipStream_tbDpT10_ENKUlT_T0_E_clISt17integral_constantIbLb0EES1C_IbLb1EEEEDaS18_S19_EUlS18_E_NS1_11comp_targetILNS1_3genE4ELNS1_11target_archE910ELNS1_3gpuE8ELNS1_3repE0EEENS1_30default_config_static_selectorELNS0_4arch9wavefront6targetE1EEEvT1_.uses_vcc, 0
	.set _ZN7rocprim17ROCPRIM_400000_NS6detail17trampoline_kernelINS0_14default_configENS1_25partition_config_selectorILNS1_17partition_subalgoE8EtNS0_10empty_typeEbEEZZNS1_14partition_implILS5_8ELb0ES3_jN6thrust23THRUST_200600_302600_NS6detail15normal_iteratorINSA_10device_ptrItEEEEPS6_PKS6_NS0_5tupleIJNSA_16discard_iteratorINSA_11use_defaultEEES6_EEENSJ_IJSG_SG_EEENS0_18inequality_wrapperINSA_8equal_toItEEEEPmJS6_EEE10hipError_tPvRmT3_T4_T5_T6_T7_T9_mT8_P12ihipStream_tbDpT10_ENKUlT_T0_E_clISt17integral_constantIbLb0EES1C_IbLb1EEEEDaS18_S19_EUlS18_E_NS1_11comp_targetILNS1_3genE4ELNS1_11target_archE910ELNS1_3gpuE8ELNS1_3repE0EEENS1_30default_config_static_selectorELNS0_4arch9wavefront6targetE1EEEvT1_.uses_flat_scratch, 0
	.set _ZN7rocprim17ROCPRIM_400000_NS6detail17trampoline_kernelINS0_14default_configENS1_25partition_config_selectorILNS1_17partition_subalgoE8EtNS0_10empty_typeEbEEZZNS1_14partition_implILS5_8ELb0ES3_jN6thrust23THRUST_200600_302600_NS6detail15normal_iteratorINSA_10device_ptrItEEEEPS6_PKS6_NS0_5tupleIJNSA_16discard_iteratorINSA_11use_defaultEEES6_EEENSJ_IJSG_SG_EEENS0_18inequality_wrapperINSA_8equal_toItEEEEPmJS6_EEE10hipError_tPvRmT3_T4_T5_T6_T7_T9_mT8_P12ihipStream_tbDpT10_ENKUlT_T0_E_clISt17integral_constantIbLb0EES1C_IbLb1EEEEDaS18_S19_EUlS18_E_NS1_11comp_targetILNS1_3genE4ELNS1_11target_archE910ELNS1_3gpuE8ELNS1_3repE0EEENS1_30default_config_static_selectorELNS0_4arch9wavefront6targetE1EEEvT1_.has_dyn_sized_stack, 0
	.set _ZN7rocprim17ROCPRIM_400000_NS6detail17trampoline_kernelINS0_14default_configENS1_25partition_config_selectorILNS1_17partition_subalgoE8EtNS0_10empty_typeEbEEZZNS1_14partition_implILS5_8ELb0ES3_jN6thrust23THRUST_200600_302600_NS6detail15normal_iteratorINSA_10device_ptrItEEEEPS6_PKS6_NS0_5tupleIJNSA_16discard_iteratorINSA_11use_defaultEEES6_EEENSJ_IJSG_SG_EEENS0_18inequality_wrapperINSA_8equal_toItEEEEPmJS6_EEE10hipError_tPvRmT3_T4_T5_T6_T7_T9_mT8_P12ihipStream_tbDpT10_ENKUlT_T0_E_clISt17integral_constantIbLb0EES1C_IbLb1EEEEDaS18_S19_EUlS18_E_NS1_11comp_targetILNS1_3genE4ELNS1_11target_archE910ELNS1_3gpuE8ELNS1_3repE0EEENS1_30default_config_static_selectorELNS0_4arch9wavefront6targetE1EEEvT1_.has_recursion, 0
	.set _ZN7rocprim17ROCPRIM_400000_NS6detail17trampoline_kernelINS0_14default_configENS1_25partition_config_selectorILNS1_17partition_subalgoE8EtNS0_10empty_typeEbEEZZNS1_14partition_implILS5_8ELb0ES3_jN6thrust23THRUST_200600_302600_NS6detail15normal_iteratorINSA_10device_ptrItEEEEPS6_PKS6_NS0_5tupleIJNSA_16discard_iteratorINSA_11use_defaultEEES6_EEENSJ_IJSG_SG_EEENS0_18inequality_wrapperINSA_8equal_toItEEEEPmJS6_EEE10hipError_tPvRmT3_T4_T5_T6_T7_T9_mT8_P12ihipStream_tbDpT10_ENKUlT_T0_E_clISt17integral_constantIbLb0EES1C_IbLb1EEEEDaS18_S19_EUlS18_E_NS1_11comp_targetILNS1_3genE4ELNS1_11target_archE910ELNS1_3gpuE8ELNS1_3repE0EEENS1_30default_config_static_selectorELNS0_4arch9wavefront6targetE1EEEvT1_.has_indirect_call, 0
	.section	.AMDGPU.csdata,"",@progbits
; Kernel info:
; codeLenInByte = 0
; TotalNumSgprs: 4
; NumVgprs: 0
; ScratchSize: 0
; MemoryBound: 0
; FloatMode: 240
; IeeeMode: 1
; LDSByteSize: 0 bytes/workgroup (compile time only)
; SGPRBlocks: 0
; VGPRBlocks: 0
; NumSGPRsForWavesPerEU: 4
; NumVGPRsForWavesPerEU: 1
; Occupancy: 10
; WaveLimiterHint : 0
; COMPUTE_PGM_RSRC2:SCRATCH_EN: 0
; COMPUTE_PGM_RSRC2:USER_SGPR: 6
; COMPUTE_PGM_RSRC2:TRAP_HANDLER: 0
; COMPUTE_PGM_RSRC2:TGID_X_EN: 1
; COMPUTE_PGM_RSRC2:TGID_Y_EN: 0
; COMPUTE_PGM_RSRC2:TGID_Z_EN: 0
; COMPUTE_PGM_RSRC2:TIDIG_COMP_CNT: 0
	.section	.text._ZN7rocprim17ROCPRIM_400000_NS6detail17trampoline_kernelINS0_14default_configENS1_25partition_config_selectorILNS1_17partition_subalgoE8EtNS0_10empty_typeEbEEZZNS1_14partition_implILS5_8ELb0ES3_jN6thrust23THRUST_200600_302600_NS6detail15normal_iteratorINSA_10device_ptrItEEEEPS6_PKS6_NS0_5tupleIJNSA_16discard_iteratorINSA_11use_defaultEEES6_EEENSJ_IJSG_SG_EEENS0_18inequality_wrapperINSA_8equal_toItEEEEPmJS6_EEE10hipError_tPvRmT3_T4_T5_T6_T7_T9_mT8_P12ihipStream_tbDpT10_ENKUlT_T0_E_clISt17integral_constantIbLb0EES1C_IbLb1EEEEDaS18_S19_EUlS18_E_NS1_11comp_targetILNS1_3genE3ELNS1_11target_archE908ELNS1_3gpuE7ELNS1_3repE0EEENS1_30default_config_static_selectorELNS0_4arch9wavefront6targetE1EEEvT1_,"axG",@progbits,_ZN7rocprim17ROCPRIM_400000_NS6detail17trampoline_kernelINS0_14default_configENS1_25partition_config_selectorILNS1_17partition_subalgoE8EtNS0_10empty_typeEbEEZZNS1_14partition_implILS5_8ELb0ES3_jN6thrust23THRUST_200600_302600_NS6detail15normal_iteratorINSA_10device_ptrItEEEEPS6_PKS6_NS0_5tupleIJNSA_16discard_iteratorINSA_11use_defaultEEES6_EEENSJ_IJSG_SG_EEENS0_18inequality_wrapperINSA_8equal_toItEEEEPmJS6_EEE10hipError_tPvRmT3_T4_T5_T6_T7_T9_mT8_P12ihipStream_tbDpT10_ENKUlT_T0_E_clISt17integral_constantIbLb0EES1C_IbLb1EEEEDaS18_S19_EUlS18_E_NS1_11comp_targetILNS1_3genE3ELNS1_11target_archE908ELNS1_3gpuE7ELNS1_3repE0EEENS1_30default_config_static_selectorELNS0_4arch9wavefront6targetE1EEEvT1_,comdat
	.protected	_ZN7rocprim17ROCPRIM_400000_NS6detail17trampoline_kernelINS0_14default_configENS1_25partition_config_selectorILNS1_17partition_subalgoE8EtNS0_10empty_typeEbEEZZNS1_14partition_implILS5_8ELb0ES3_jN6thrust23THRUST_200600_302600_NS6detail15normal_iteratorINSA_10device_ptrItEEEEPS6_PKS6_NS0_5tupleIJNSA_16discard_iteratorINSA_11use_defaultEEES6_EEENSJ_IJSG_SG_EEENS0_18inequality_wrapperINSA_8equal_toItEEEEPmJS6_EEE10hipError_tPvRmT3_T4_T5_T6_T7_T9_mT8_P12ihipStream_tbDpT10_ENKUlT_T0_E_clISt17integral_constantIbLb0EES1C_IbLb1EEEEDaS18_S19_EUlS18_E_NS1_11comp_targetILNS1_3genE3ELNS1_11target_archE908ELNS1_3gpuE7ELNS1_3repE0EEENS1_30default_config_static_selectorELNS0_4arch9wavefront6targetE1EEEvT1_ ; -- Begin function _ZN7rocprim17ROCPRIM_400000_NS6detail17trampoline_kernelINS0_14default_configENS1_25partition_config_selectorILNS1_17partition_subalgoE8EtNS0_10empty_typeEbEEZZNS1_14partition_implILS5_8ELb0ES3_jN6thrust23THRUST_200600_302600_NS6detail15normal_iteratorINSA_10device_ptrItEEEEPS6_PKS6_NS0_5tupleIJNSA_16discard_iteratorINSA_11use_defaultEEES6_EEENSJ_IJSG_SG_EEENS0_18inequality_wrapperINSA_8equal_toItEEEEPmJS6_EEE10hipError_tPvRmT3_T4_T5_T6_T7_T9_mT8_P12ihipStream_tbDpT10_ENKUlT_T0_E_clISt17integral_constantIbLb0EES1C_IbLb1EEEEDaS18_S19_EUlS18_E_NS1_11comp_targetILNS1_3genE3ELNS1_11target_archE908ELNS1_3gpuE7ELNS1_3repE0EEENS1_30default_config_static_selectorELNS0_4arch9wavefront6targetE1EEEvT1_
	.globl	_ZN7rocprim17ROCPRIM_400000_NS6detail17trampoline_kernelINS0_14default_configENS1_25partition_config_selectorILNS1_17partition_subalgoE8EtNS0_10empty_typeEbEEZZNS1_14partition_implILS5_8ELb0ES3_jN6thrust23THRUST_200600_302600_NS6detail15normal_iteratorINSA_10device_ptrItEEEEPS6_PKS6_NS0_5tupleIJNSA_16discard_iteratorINSA_11use_defaultEEES6_EEENSJ_IJSG_SG_EEENS0_18inequality_wrapperINSA_8equal_toItEEEEPmJS6_EEE10hipError_tPvRmT3_T4_T5_T6_T7_T9_mT8_P12ihipStream_tbDpT10_ENKUlT_T0_E_clISt17integral_constantIbLb0EES1C_IbLb1EEEEDaS18_S19_EUlS18_E_NS1_11comp_targetILNS1_3genE3ELNS1_11target_archE908ELNS1_3gpuE7ELNS1_3repE0EEENS1_30default_config_static_selectorELNS0_4arch9wavefront6targetE1EEEvT1_
	.p2align	8
	.type	_ZN7rocprim17ROCPRIM_400000_NS6detail17trampoline_kernelINS0_14default_configENS1_25partition_config_selectorILNS1_17partition_subalgoE8EtNS0_10empty_typeEbEEZZNS1_14partition_implILS5_8ELb0ES3_jN6thrust23THRUST_200600_302600_NS6detail15normal_iteratorINSA_10device_ptrItEEEEPS6_PKS6_NS0_5tupleIJNSA_16discard_iteratorINSA_11use_defaultEEES6_EEENSJ_IJSG_SG_EEENS0_18inequality_wrapperINSA_8equal_toItEEEEPmJS6_EEE10hipError_tPvRmT3_T4_T5_T6_T7_T9_mT8_P12ihipStream_tbDpT10_ENKUlT_T0_E_clISt17integral_constantIbLb0EES1C_IbLb1EEEEDaS18_S19_EUlS18_E_NS1_11comp_targetILNS1_3genE3ELNS1_11target_archE908ELNS1_3gpuE7ELNS1_3repE0EEENS1_30default_config_static_selectorELNS0_4arch9wavefront6targetE1EEEvT1_,@function
_ZN7rocprim17ROCPRIM_400000_NS6detail17trampoline_kernelINS0_14default_configENS1_25partition_config_selectorILNS1_17partition_subalgoE8EtNS0_10empty_typeEbEEZZNS1_14partition_implILS5_8ELb0ES3_jN6thrust23THRUST_200600_302600_NS6detail15normal_iteratorINSA_10device_ptrItEEEEPS6_PKS6_NS0_5tupleIJNSA_16discard_iteratorINSA_11use_defaultEEES6_EEENSJ_IJSG_SG_EEENS0_18inequality_wrapperINSA_8equal_toItEEEEPmJS6_EEE10hipError_tPvRmT3_T4_T5_T6_T7_T9_mT8_P12ihipStream_tbDpT10_ENKUlT_T0_E_clISt17integral_constantIbLb0EES1C_IbLb1EEEEDaS18_S19_EUlS18_E_NS1_11comp_targetILNS1_3genE3ELNS1_11target_archE908ELNS1_3gpuE7ELNS1_3repE0EEENS1_30default_config_static_selectorELNS0_4arch9wavefront6targetE1EEEvT1_: ; @_ZN7rocprim17ROCPRIM_400000_NS6detail17trampoline_kernelINS0_14default_configENS1_25partition_config_selectorILNS1_17partition_subalgoE8EtNS0_10empty_typeEbEEZZNS1_14partition_implILS5_8ELb0ES3_jN6thrust23THRUST_200600_302600_NS6detail15normal_iteratorINSA_10device_ptrItEEEEPS6_PKS6_NS0_5tupleIJNSA_16discard_iteratorINSA_11use_defaultEEES6_EEENSJ_IJSG_SG_EEENS0_18inequality_wrapperINSA_8equal_toItEEEEPmJS6_EEE10hipError_tPvRmT3_T4_T5_T6_T7_T9_mT8_P12ihipStream_tbDpT10_ENKUlT_T0_E_clISt17integral_constantIbLb0EES1C_IbLb1EEEEDaS18_S19_EUlS18_E_NS1_11comp_targetILNS1_3genE3ELNS1_11target_archE908ELNS1_3gpuE7ELNS1_3repE0EEENS1_30default_config_static_selectorELNS0_4arch9wavefront6targetE1EEEvT1_
; %bb.0:
	.section	.rodata,"a",@progbits
	.p2align	6, 0x0
	.amdhsa_kernel _ZN7rocprim17ROCPRIM_400000_NS6detail17trampoline_kernelINS0_14default_configENS1_25partition_config_selectorILNS1_17partition_subalgoE8EtNS0_10empty_typeEbEEZZNS1_14partition_implILS5_8ELb0ES3_jN6thrust23THRUST_200600_302600_NS6detail15normal_iteratorINSA_10device_ptrItEEEEPS6_PKS6_NS0_5tupleIJNSA_16discard_iteratorINSA_11use_defaultEEES6_EEENSJ_IJSG_SG_EEENS0_18inequality_wrapperINSA_8equal_toItEEEEPmJS6_EEE10hipError_tPvRmT3_T4_T5_T6_T7_T9_mT8_P12ihipStream_tbDpT10_ENKUlT_T0_E_clISt17integral_constantIbLb0EES1C_IbLb1EEEEDaS18_S19_EUlS18_E_NS1_11comp_targetILNS1_3genE3ELNS1_11target_archE908ELNS1_3gpuE7ELNS1_3repE0EEENS1_30default_config_static_selectorELNS0_4arch9wavefront6targetE1EEEvT1_
		.amdhsa_group_segment_fixed_size 0
		.amdhsa_private_segment_fixed_size 0
		.amdhsa_kernarg_size 136
		.amdhsa_user_sgpr_count 6
		.amdhsa_user_sgpr_private_segment_buffer 1
		.amdhsa_user_sgpr_dispatch_ptr 0
		.amdhsa_user_sgpr_queue_ptr 0
		.amdhsa_user_sgpr_kernarg_segment_ptr 1
		.amdhsa_user_sgpr_dispatch_id 0
		.amdhsa_user_sgpr_flat_scratch_init 0
		.amdhsa_user_sgpr_private_segment_size 0
		.amdhsa_uses_dynamic_stack 0
		.amdhsa_system_sgpr_private_segment_wavefront_offset 0
		.amdhsa_system_sgpr_workgroup_id_x 1
		.amdhsa_system_sgpr_workgroup_id_y 0
		.amdhsa_system_sgpr_workgroup_id_z 0
		.amdhsa_system_sgpr_workgroup_info 0
		.amdhsa_system_vgpr_workitem_id 0
		.amdhsa_next_free_vgpr 1
		.amdhsa_next_free_sgpr 0
		.amdhsa_reserve_vcc 0
		.amdhsa_reserve_flat_scratch 0
		.amdhsa_float_round_mode_32 0
		.amdhsa_float_round_mode_16_64 0
		.amdhsa_float_denorm_mode_32 3
		.amdhsa_float_denorm_mode_16_64 3
		.amdhsa_dx10_clamp 1
		.amdhsa_ieee_mode 1
		.amdhsa_fp16_overflow 0
		.amdhsa_exception_fp_ieee_invalid_op 0
		.amdhsa_exception_fp_denorm_src 0
		.amdhsa_exception_fp_ieee_div_zero 0
		.amdhsa_exception_fp_ieee_overflow 0
		.amdhsa_exception_fp_ieee_underflow 0
		.amdhsa_exception_fp_ieee_inexact 0
		.amdhsa_exception_int_div_zero 0
	.end_amdhsa_kernel
	.section	.text._ZN7rocprim17ROCPRIM_400000_NS6detail17trampoline_kernelINS0_14default_configENS1_25partition_config_selectorILNS1_17partition_subalgoE8EtNS0_10empty_typeEbEEZZNS1_14partition_implILS5_8ELb0ES3_jN6thrust23THRUST_200600_302600_NS6detail15normal_iteratorINSA_10device_ptrItEEEEPS6_PKS6_NS0_5tupleIJNSA_16discard_iteratorINSA_11use_defaultEEES6_EEENSJ_IJSG_SG_EEENS0_18inequality_wrapperINSA_8equal_toItEEEEPmJS6_EEE10hipError_tPvRmT3_T4_T5_T6_T7_T9_mT8_P12ihipStream_tbDpT10_ENKUlT_T0_E_clISt17integral_constantIbLb0EES1C_IbLb1EEEEDaS18_S19_EUlS18_E_NS1_11comp_targetILNS1_3genE3ELNS1_11target_archE908ELNS1_3gpuE7ELNS1_3repE0EEENS1_30default_config_static_selectorELNS0_4arch9wavefront6targetE1EEEvT1_,"axG",@progbits,_ZN7rocprim17ROCPRIM_400000_NS6detail17trampoline_kernelINS0_14default_configENS1_25partition_config_selectorILNS1_17partition_subalgoE8EtNS0_10empty_typeEbEEZZNS1_14partition_implILS5_8ELb0ES3_jN6thrust23THRUST_200600_302600_NS6detail15normal_iteratorINSA_10device_ptrItEEEEPS6_PKS6_NS0_5tupleIJNSA_16discard_iteratorINSA_11use_defaultEEES6_EEENSJ_IJSG_SG_EEENS0_18inequality_wrapperINSA_8equal_toItEEEEPmJS6_EEE10hipError_tPvRmT3_T4_T5_T6_T7_T9_mT8_P12ihipStream_tbDpT10_ENKUlT_T0_E_clISt17integral_constantIbLb0EES1C_IbLb1EEEEDaS18_S19_EUlS18_E_NS1_11comp_targetILNS1_3genE3ELNS1_11target_archE908ELNS1_3gpuE7ELNS1_3repE0EEENS1_30default_config_static_selectorELNS0_4arch9wavefront6targetE1EEEvT1_,comdat
.Lfunc_end624:
	.size	_ZN7rocprim17ROCPRIM_400000_NS6detail17trampoline_kernelINS0_14default_configENS1_25partition_config_selectorILNS1_17partition_subalgoE8EtNS0_10empty_typeEbEEZZNS1_14partition_implILS5_8ELb0ES3_jN6thrust23THRUST_200600_302600_NS6detail15normal_iteratorINSA_10device_ptrItEEEEPS6_PKS6_NS0_5tupleIJNSA_16discard_iteratorINSA_11use_defaultEEES6_EEENSJ_IJSG_SG_EEENS0_18inequality_wrapperINSA_8equal_toItEEEEPmJS6_EEE10hipError_tPvRmT3_T4_T5_T6_T7_T9_mT8_P12ihipStream_tbDpT10_ENKUlT_T0_E_clISt17integral_constantIbLb0EES1C_IbLb1EEEEDaS18_S19_EUlS18_E_NS1_11comp_targetILNS1_3genE3ELNS1_11target_archE908ELNS1_3gpuE7ELNS1_3repE0EEENS1_30default_config_static_selectorELNS0_4arch9wavefront6targetE1EEEvT1_, .Lfunc_end624-_ZN7rocprim17ROCPRIM_400000_NS6detail17trampoline_kernelINS0_14default_configENS1_25partition_config_selectorILNS1_17partition_subalgoE8EtNS0_10empty_typeEbEEZZNS1_14partition_implILS5_8ELb0ES3_jN6thrust23THRUST_200600_302600_NS6detail15normal_iteratorINSA_10device_ptrItEEEEPS6_PKS6_NS0_5tupleIJNSA_16discard_iteratorINSA_11use_defaultEEES6_EEENSJ_IJSG_SG_EEENS0_18inequality_wrapperINSA_8equal_toItEEEEPmJS6_EEE10hipError_tPvRmT3_T4_T5_T6_T7_T9_mT8_P12ihipStream_tbDpT10_ENKUlT_T0_E_clISt17integral_constantIbLb0EES1C_IbLb1EEEEDaS18_S19_EUlS18_E_NS1_11comp_targetILNS1_3genE3ELNS1_11target_archE908ELNS1_3gpuE7ELNS1_3repE0EEENS1_30default_config_static_selectorELNS0_4arch9wavefront6targetE1EEEvT1_
                                        ; -- End function
	.set _ZN7rocprim17ROCPRIM_400000_NS6detail17trampoline_kernelINS0_14default_configENS1_25partition_config_selectorILNS1_17partition_subalgoE8EtNS0_10empty_typeEbEEZZNS1_14partition_implILS5_8ELb0ES3_jN6thrust23THRUST_200600_302600_NS6detail15normal_iteratorINSA_10device_ptrItEEEEPS6_PKS6_NS0_5tupleIJNSA_16discard_iteratorINSA_11use_defaultEEES6_EEENSJ_IJSG_SG_EEENS0_18inequality_wrapperINSA_8equal_toItEEEEPmJS6_EEE10hipError_tPvRmT3_T4_T5_T6_T7_T9_mT8_P12ihipStream_tbDpT10_ENKUlT_T0_E_clISt17integral_constantIbLb0EES1C_IbLb1EEEEDaS18_S19_EUlS18_E_NS1_11comp_targetILNS1_3genE3ELNS1_11target_archE908ELNS1_3gpuE7ELNS1_3repE0EEENS1_30default_config_static_selectorELNS0_4arch9wavefront6targetE1EEEvT1_.num_vgpr, 0
	.set _ZN7rocprim17ROCPRIM_400000_NS6detail17trampoline_kernelINS0_14default_configENS1_25partition_config_selectorILNS1_17partition_subalgoE8EtNS0_10empty_typeEbEEZZNS1_14partition_implILS5_8ELb0ES3_jN6thrust23THRUST_200600_302600_NS6detail15normal_iteratorINSA_10device_ptrItEEEEPS6_PKS6_NS0_5tupleIJNSA_16discard_iteratorINSA_11use_defaultEEES6_EEENSJ_IJSG_SG_EEENS0_18inequality_wrapperINSA_8equal_toItEEEEPmJS6_EEE10hipError_tPvRmT3_T4_T5_T6_T7_T9_mT8_P12ihipStream_tbDpT10_ENKUlT_T0_E_clISt17integral_constantIbLb0EES1C_IbLb1EEEEDaS18_S19_EUlS18_E_NS1_11comp_targetILNS1_3genE3ELNS1_11target_archE908ELNS1_3gpuE7ELNS1_3repE0EEENS1_30default_config_static_selectorELNS0_4arch9wavefront6targetE1EEEvT1_.num_agpr, 0
	.set _ZN7rocprim17ROCPRIM_400000_NS6detail17trampoline_kernelINS0_14default_configENS1_25partition_config_selectorILNS1_17partition_subalgoE8EtNS0_10empty_typeEbEEZZNS1_14partition_implILS5_8ELb0ES3_jN6thrust23THRUST_200600_302600_NS6detail15normal_iteratorINSA_10device_ptrItEEEEPS6_PKS6_NS0_5tupleIJNSA_16discard_iteratorINSA_11use_defaultEEES6_EEENSJ_IJSG_SG_EEENS0_18inequality_wrapperINSA_8equal_toItEEEEPmJS6_EEE10hipError_tPvRmT3_T4_T5_T6_T7_T9_mT8_P12ihipStream_tbDpT10_ENKUlT_T0_E_clISt17integral_constantIbLb0EES1C_IbLb1EEEEDaS18_S19_EUlS18_E_NS1_11comp_targetILNS1_3genE3ELNS1_11target_archE908ELNS1_3gpuE7ELNS1_3repE0EEENS1_30default_config_static_selectorELNS0_4arch9wavefront6targetE1EEEvT1_.numbered_sgpr, 0
	.set _ZN7rocprim17ROCPRIM_400000_NS6detail17trampoline_kernelINS0_14default_configENS1_25partition_config_selectorILNS1_17partition_subalgoE8EtNS0_10empty_typeEbEEZZNS1_14partition_implILS5_8ELb0ES3_jN6thrust23THRUST_200600_302600_NS6detail15normal_iteratorINSA_10device_ptrItEEEEPS6_PKS6_NS0_5tupleIJNSA_16discard_iteratorINSA_11use_defaultEEES6_EEENSJ_IJSG_SG_EEENS0_18inequality_wrapperINSA_8equal_toItEEEEPmJS6_EEE10hipError_tPvRmT3_T4_T5_T6_T7_T9_mT8_P12ihipStream_tbDpT10_ENKUlT_T0_E_clISt17integral_constantIbLb0EES1C_IbLb1EEEEDaS18_S19_EUlS18_E_NS1_11comp_targetILNS1_3genE3ELNS1_11target_archE908ELNS1_3gpuE7ELNS1_3repE0EEENS1_30default_config_static_selectorELNS0_4arch9wavefront6targetE1EEEvT1_.num_named_barrier, 0
	.set _ZN7rocprim17ROCPRIM_400000_NS6detail17trampoline_kernelINS0_14default_configENS1_25partition_config_selectorILNS1_17partition_subalgoE8EtNS0_10empty_typeEbEEZZNS1_14partition_implILS5_8ELb0ES3_jN6thrust23THRUST_200600_302600_NS6detail15normal_iteratorINSA_10device_ptrItEEEEPS6_PKS6_NS0_5tupleIJNSA_16discard_iteratorINSA_11use_defaultEEES6_EEENSJ_IJSG_SG_EEENS0_18inequality_wrapperINSA_8equal_toItEEEEPmJS6_EEE10hipError_tPvRmT3_T4_T5_T6_T7_T9_mT8_P12ihipStream_tbDpT10_ENKUlT_T0_E_clISt17integral_constantIbLb0EES1C_IbLb1EEEEDaS18_S19_EUlS18_E_NS1_11comp_targetILNS1_3genE3ELNS1_11target_archE908ELNS1_3gpuE7ELNS1_3repE0EEENS1_30default_config_static_selectorELNS0_4arch9wavefront6targetE1EEEvT1_.private_seg_size, 0
	.set _ZN7rocprim17ROCPRIM_400000_NS6detail17trampoline_kernelINS0_14default_configENS1_25partition_config_selectorILNS1_17partition_subalgoE8EtNS0_10empty_typeEbEEZZNS1_14partition_implILS5_8ELb0ES3_jN6thrust23THRUST_200600_302600_NS6detail15normal_iteratorINSA_10device_ptrItEEEEPS6_PKS6_NS0_5tupleIJNSA_16discard_iteratorINSA_11use_defaultEEES6_EEENSJ_IJSG_SG_EEENS0_18inequality_wrapperINSA_8equal_toItEEEEPmJS6_EEE10hipError_tPvRmT3_T4_T5_T6_T7_T9_mT8_P12ihipStream_tbDpT10_ENKUlT_T0_E_clISt17integral_constantIbLb0EES1C_IbLb1EEEEDaS18_S19_EUlS18_E_NS1_11comp_targetILNS1_3genE3ELNS1_11target_archE908ELNS1_3gpuE7ELNS1_3repE0EEENS1_30default_config_static_selectorELNS0_4arch9wavefront6targetE1EEEvT1_.uses_vcc, 0
	.set _ZN7rocprim17ROCPRIM_400000_NS6detail17trampoline_kernelINS0_14default_configENS1_25partition_config_selectorILNS1_17partition_subalgoE8EtNS0_10empty_typeEbEEZZNS1_14partition_implILS5_8ELb0ES3_jN6thrust23THRUST_200600_302600_NS6detail15normal_iteratorINSA_10device_ptrItEEEEPS6_PKS6_NS0_5tupleIJNSA_16discard_iteratorINSA_11use_defaultEEES6_EEENSJ_IJSG_SG_EEENS0_18inequality_wrapperINSA_8equal_toItEEEEPmJS6_EEE10hipError_tPvRmT3_T4_T5_T6_T7_T9_mT8_P12ihipStream_tbDpT10_ENKUlT_T0_E_clISt17integral_constantIbLb0EES1C_IbLb1EEEEDaS18_S19_EUlS18_E_NS1_11comp_targetILNS1_3genE3ELNS1_11target_archE908ELNS1_3gpuE7ELNS1_3repE0EEENS1_30default_config_static_selectorELNS0_4arch9wavefront6targetE1EEEvT1_.uses_flat_scratch, 0
	.set _ZN7rocprim17ROCPRIM_400000_NS6detail17trampoline_kernelINS0_14default_configENS1_25partition_config_selectorILNS1_17partition_subalgoE8EtNS0_10empty_typeEbEEZZNS1_14partition_implILS5_8ELb0ES3_jN6thrust23THRUST_200600_302600_NS6detail15normal_iteratorINSA_10device_ptrItEEEEPS6_PKS6_NS0_5tupleIJNSA_16discard_iteratorINSA_11use_defaultEEES6_EEENSJ_IJSG_SG_EEENS0_18inequality_wrapperINSA_8equal_toItEEEEPmJS6_EEE10hipError_tPvRmT3_T4_T5_T6_T7_T9_mT8_P12ihipStream_tbDpT10_ENKUlT_T0_E_clISt17integral_constantIbLb0EES1C_IbLb1EEEEDaS18_S19_EUlS18_E_NS1_11comp_targetILNS1_3genE3ELNS1_11target_archE908ELNS1_3gpuE7ELNS1_3repE0EEENS1_30default_config_static_selectorELNS0_4arch9wavefront6targetE1EEEvT1_.has_dyn_sized_stack, 0
	.set _ZN7rocprim17ROCPRIM_400000_NS6detail17trampoline_kernelINS0_14default_configENS1_25partition_config_selectorILNS1_17partition_subalgoE8EtNS0_10empty_typeEbEEZZNS1_14partition_implILS5_8ELb0ES3_jN6thrust23THRUST_200600_302600_NS6detail15normal_iteratorINSA_10device_ptrItEEEEPS6_PKS6_NS0_5tupleIJNSA_16discard_iteratorINSA_11use_defaultEEES6_EEENSJ_IJSG_SG_EEENS0_18inequality_wrapperINSA_8equal_toItEEEEPmJS6_EEE10hipError_tPvRmT3_T4_T5_T6_T7_T9_mT8_P12ihipStream_tbDpT10_ENKUlT_T0_E_clISt17integral_constantIbLb0EES1C_IbLb1EEEEDaS18_S19_EUlS18_E_NS1_11comp_targetILNS1_3genE3ELNS1_11target_archE908ELNS1_3gpuE7ELNS1_3repE0EEENS1_30default_config_static_selectorELNS0_4arch9wavefront6targetE1EEEvT1_.has_recursion, 0
	.set _ZN7rocprim17ROCPRIM_400000_NS6detail17trampoline_kernelINS0_14default_configENS1_25partition_config_selectorILNS1_17partition_subalgoE8EtNS0_10empty_typeEbEEZZNS1_14partition_implILS5_8ELb0ES3_jN6thrust23THRUST_200600_302600_NS6detail15normal_iteratorINSA_10device_ptrItEEEEPS6_PKS6_NS0_5tupleIJNSA_16discard_iteratorINSA_11use_defaultEEES6_EEENSJ_IJSG_SG_EEENS0_18inequality_wrapperINSA_8equal_toItEEEEPmJS6_EEE10hipError_tPvRmT3_T4_T5_T6_T7_T9_mT8_P12ihipStream_tbDpT10_ENKUlT_T0_E_clISt17integral_constantIbLb0EES1C_IbLb1EEEEDaS18_S19_EUlS18_E_NS1_11comp_targetILNS1_3genE3ELNS1_11target_archE908ELNS1_3gpuE7ELNS1_3repE0EEENS1_30default_config_static_selectorELNS0_4arch9wavefront6targetE1EEEvT1_.has_indirect_call, 0
	.section	.AMDGPU.csdata,"",@progbits
; Kernel info:
; codeLenInByte = 0
; TotalNumSgprs: 4
; NumVgprs: 0
; ScratchSize: 0
; MemoryBound: 0
; FloatMode: 240
; IeeeMode: 1
; LDSByteSize: 0 bytes/workgroup (compile time only)
; SGPRBlocks: 0
; VGPRBlocks: 0
; NumSGPRsForWavesPerEU: 4
; NumVGPRsForWavesPerEU: 1
; Occupancy: 10
; WaveLimiterHint : 0
; COMPUTE_PGM_RSRC2:SCRATCH_EN: 0
; COMPUTE_PGM_RSRC2:USER_SGPR: 6
; COMPUTE_PGM_RSRC2:TRAP_HANDLER: 0
; COMPUTE_PGM_RSRC2:TGID_X_EN: 1
; COMPUTE_PGM_RSRC2:TGID_Y_EN: 0
; COMPUTE_PGM_RSRC2:TGID_Z_EN: 0
; COMPUTE_PGM_RSRC2:TIDIG_COMP_CNT: 0
	.section	.text._ZN7rocprim17ROCPRIM_400000_NS6detail17trampoline_kernelINS0_14default_configENS1_25partition_config_selectorILNS1_17partition_subalgoE8EtNS0_10empty_typeEbEEZZNS1_14partition_implILS5_8ELb0ES3_jN6thrust23THRUST_200600_302600_NS6detail15normal_iteratorINSA_10device_ptrItEEEEPS6_PKS6_NS0_5tupleIJNSA_16discard_iteratorINSA_11use_defaultEEES6_EEENSJ_IJSG_SG_EEENS0_18inequality_wrapperINSA_8equal_toItEEEEPmJS6_EEE10hipError_tPvRmT3_T4_T5_T6_T7_T9_mT8_P12ihipStream_tbDpT10_ENKUlT_T0_E_clISt17integral_constantIbLb0EES1C_IbLb1EEEEDaS18_S19_EUlS18_E_NS1_11comp_targetILNS1_3genE2ELNS1_11target_archE906ELNS1_3gpuE6ELNS1_3repE0EEENS1_30default_config_static_selectorELNS0_4arch9wavefront6targetE1EEEvT1_,"axG",@progbits,_ZN7rocprim17ROCPRIM_400000_NS6detail17trampoline_kernelINS0_14default_configENS1_25partition_config_selectorILNS1_17partition_subalgoE8EtNS0_10empty_typeEbEEZZNS1_14partition_implILS5_8ELb0ES3_jN6thrust23THRUST_200600_302600_NS6detail15normal_iteratorINSA_10device_ptrItEEEEPS6_PKS6_NS0_5tupleIJNSA_16discard_iteratorINSA_11use_defaultEEES6_EEENSJ_IJSG_SG_EEENS0_18inequality_wrapperINSA_8equal_toItEEEEPmJS6_EEE10hipError_tPvRmT3_T4_T5_T6_T7_T9_mT8_P12ihipStream_tbDpT10_ENKUlT_T0_E_clISt17integral_constantIbLb0EES1C_IbLb1EEEEDaS18_S19_EUlS18_E_NS1_11comp_targetILNS1_3genE2ELNS1_11target_archE906ELNS1_3gpuE6ELNS1_3repE0EEENS1_30default_config_static_selectorELNS0_4arch9wavefront6targetE1EEEvT1_,comdat
	.protected	_ZN7rocprim17ROCPRIM_400000_NS6detail17trampoline_kernelINS0_14default_configENS1_25partition_config_selectorILNS1_17partition_subalgoE8EtNS0_10empty_typeEbEEZZNS1_14partition_implILS5_8ELb0ES3_jN6thrust23THRUST_200600_302600_NS6detail15normal_iteratorINSA_10device_ptrItEEEEPS6_PKS6_NS0_5tupleIJNSA_16discard_iteratorINSA_11use_defaultEEES6_EEENSJ_IJSG_SG_EEENS0_18inequality_wrapperINSA_8equal_toItEEEEPmJS6_EEE10hipError_tPvRmT3_T4_T5_T6_T7_T9_mT8_P12ihipStream_tbDpT10_ENKUlT_T0_E_clISt17integral_constantIbLb0EES1C_IbLb1EEEEDaS18_S19_EUlS18_E_NS1_11comp_targetILNS1_3genE2ELNS1_11target_archE906ELNS1_3gpuE6ELNS1_3repE0EEENS1_30default_config_static_selectorELNS0_4arch9wavefront6targetE1EEEvT1_ ; -- Begin function _ZN7rocprim17ROCPRIM_400000_NS6detail17trampoline_kernelINS0_14default_configENS1_25partition_config_selectorILNS1_17partition_subalgoE8EtNS0_10empty_typeEbEEZZNS1_14partition_implILS5_8ELb0ES3_jN6thrust23THRUST_200600_302600_NS6detail15normal_iteratorINSA_10device_ptrItEEEEPS6_PKS6_NS0_5tupleIJNSA_16discard_iteratorINSA_11use_defaultEEES6_EEENSJ_IJSG_SG_EEENS0_18inequality_wrapperINSA_8equal_toItEEEEPmJS6_EEE10hipError_tPvRmT3_T4_T5_T6_T7_T9_mT8_P12ihipStream_tbDpT10_ENKUlT_T0_E_clISt17integral_constantIbLb0EES1C_IbLb1EEEEDaS18_S19_EUlS18_E_NS1_11comp_targetILNS1_3genE2ELNS1_11target_archE906ELNS1_3gpuE6ELNS1_3repE0EEENS1_30default_config_static_selectorELNS0_4arch9wavefront6targetE1EEEvT1_
	.globl	_ZN7rocprim17ROCPRIM_400000_NS6detail17trampoline_kernelINS0_14default_configENS1_25partition_config_selectorILNS1_17partition_subalgoE8EtNS0_10empty_typeEbEEZZNS1_14partition_implILS5_8ELb0ES3_jN6thrust23THRUST_200600_302600_NS6detail15normal_iteratorINSA_10device_ptrItEEEEPS6_PKS6_NS0_5tupleIJNSA_16discard_iteratorINSA_11use_defaultEEES6_EEENSJ_IJSG_SG_EEENS0_18inequality_wrapperINSA_8equal_toItEEEEPmJS6_EEE10hipError_tPvRmT3_T4_T5_T6_T7_T9_mT8_P12ihipStream_tbDpT10_ENKUlT_T0_E_clISt17integral_constantIbLb0EES1C_IbLb1EEEEDaS18_S19_EUlS18_E_NS1_11comp_targetILNS1_3genE2ELNS1_11target_archE906ELNS1_3gpuE6ELNS1_3repE0EEENS1_30default_config_static_selectorELNS0_4arch9wavefront6targetE1EEEvT1_
	.p2align	8
	.type	_ZN7rocprim17ROCPRIM_400000_NS6detail17trampoline_kernelINS0_14default_configENS1_25partition_config_selectorILNS1_17partition_subalgoE8EtNS0_10empty_typeEbEEZZNS1_14partition_implILS5_8ELb0ES3_jN6thrust23THRUST_200600_302600_NS6detail15normal_iteratorINSA_10device_ptrItEEEEPS6_PKS6_NS0_5tupleIJNSA_16discard_iteratorINSA_11use_defaultEEES6_EEENSJ_IJSG_SG_EEENS0_18inequality_wrapperINSA_8equal_toItEEEEPmJS6_EEE10hipError_tPvRmT3_T4_T5_T6_T7_T9_mT8_P12ihipStream_tbDpT10_ENKUlT_T0_E_clISt17integral_constantIbLb0EES1C_IbLb1EEEEDaS18_S19_EUlS18_E_NS1_11comp_targetILNS1_3genE2ELNS1_11target_archE906ELNS1_3gpuE6ELNS1_3repE0EEENS1_30default_config_static_selectorELNS0_4arch9wavefront6targetE1EEEvT1_,@function
_ZN7rocprim17ROCPRIM_400000_NS6detail17trampoline_kernelINS0_14default_configENS1_25partition_config_selectorILNS1_17partition_subalgoE8EtNS0_10empty_typeEbEEZZNS1_14partition_implILS5_8ELb0ES3_jN6thrust23THRUST_200600_302600_NS6detail15normal_iteratorINSA_10device_ptrItEEEEPS6_PKS6_NS0_5tupleIJNSA_16discard_iteratorINSA_11use_defaultEEES6_EEENSJ_IJSG_SG_EEENS0_18inequality_wrapperINSA_8equal_toItEEEEPmJS6_EEE10hipError_tPvRmT3_T4_T5_T6_T7_T9_mT8_P12ihipStream_tbDpT10_ENKUlT_T0_E_clISt17integral_constantIbLb0EES1C_IbLb1EEEEDaS18_S19_EUlS18_E_NS1_11comp_targetILNS1_3genE2ELNS1_11target_archE906ELNS1_3gpuE6ELNS1_3repE0EEENS1_30default_config_static_selectorELNS0_4arch9wavefront6targetE1EEEvT1_: ; @_ZN7rocprim17ROCPRIM_400000_NS6detail17trampoline_kernelINS0_14default_configENS1_25partition_config_selectorILNS1_17partition_subalgoE8EtNS0_10empty_typeEbEEZZNS1_14partition_implILS5_8ELb0ES3_jN6thrust23THRUST_200600_302600_NS6detail15normal_iteratorINSA_10device_ptrItEEEEPS6_PKS6_NS0_5tupleIJNSA_16discard_iteratorINSA_11use_defaultEEES6_EEENSJ_IJSG_SG_EEENS0_18inequality_wrapperINSA_8equal_toItEEEEPmJS6_EEE10hipError_tPvRmT3_T4_T5_T6_T7_T9_mT8_P12ihipStream_tbDpT10_ENKUlT_T0_E_clISt17integral_constantIbLb0EES1C_IbLb1EEEEDaS18_S19_EUlS18_E_NS1_11comp_targetILNS1_3genE2ELNS1_11target_archE906ELNS1_3gpuE6ELNS1_3repE0EEENS1_30default_config_static_selectorELNS0_4arch9wavefront6targetE1EEEvT1_
; %bb.0:
	s_load_dwordx2 s[6:7], s[4:5], 0x58
	s_load_dwordx4 s[40:43], s[4:5], 0x48
	s_load_dwordx2 s[44:45], s[4:5], 0x68
	v_cmp_ne_u32_e64 s[2:3], 0, v0
	v_cmp_eq_u32_e64 s[0:1], 0, v0
	s_and_saveexec_b64 s[8:9], s[0:1]
	s_cbranch_execz .LBB625_4
; %bb.1:
	s_mov_b64 s[12:13], exec
	v_mbcnt_lo_u32_b32 v1, s12, 0
	v_mbcnt_hi_u32_b32 v1, s13, v1
	v_cmp_eq_u32_e32 vcc, 0, v1
                                        ; implicit-def: $vgpr2
	s_and_saveexec_b64 s[10:11], vcc
	s_cbranch_execz .LBB625_3
; %bb.2:
	s_load_dwordx2 s[14:15], s[4:5], 0x78
	s_bcnt1_i32_b64 s12, s[12:13]
	v_mov_b32_e32 v2, 0
	v_mov_b32_e32 v3, s12
	s_waitcnt lgkmcnt(0)
	global_atomic_add v2, v2, v3, s[14:15] glc
.LBB625_3:
	s_or_b64 exec, exec, s[10:11]
	s_waitcnt vmcnt(0)
	v_readfirstlane_b32 s10, v2
	v_add_u32_e32 v1, s10, v1
	v_mov_b32_e32 v2, 0
	ds_write_b32 v2, v1
.LBB625_4:
	s_or_b64 exec, exec, s[8:9]
	v_mov_b32_e32 v2, 0
	s_load_dwordx4 s[8:11], s[4:5], 0x8
	s_load_dword s12, s[4:5], 0x70
	s_waitcnt lgkmcnt(0)
	s_barrier
	ds_read_b32 v1, v2
	s_waitcnt lgkmcnt(0)
	s_barrier
	global_load_dwordx2 v[17:18], v2, s[42:43]
	s_lshl_b64 s[4:5], s[10:11], 1
	s_add_u32 s8, s8, s4
	s_movk_i32 s4, 0xd80
	v_readfirstlane_b32 s33, v1
	v_mul_lo_u32 v1, v1, s4
	s_mul_i32 s4, s12, 0xd80
	s_addc_u32 s9, s9, s5
	s_add_i32 s5, s4, s10
	s_add_i32 s13, s12, -1
	s_sub_i32 s56, s6, s5
	s_add_u32 s4, s10, s4
	s_addc_u32 s5, s11, 0
	v_mov_b32_e32 v3, s4
	v_mov_b32_e32 v4, s5
	v_cmp_le_u64_e32 vcc, s[6:7], v[3:4]
	s_cmp_eq_u32 s33, s13
	v_lshlrev_b64 v[1:2], 1, v[1:2]
	s_cselect_b64 s[42:43], -1, 0
	s_and_b64 s[46:47], vcc, s[42:43]
	v_mov_b32_e32 v3, s9
	v_add_co_u32_e32 v20, vcc, s8, v1
	s_xor_b64 s[6:7], s[46:47], -1
	v_addc_co_u32_e32 v31, vcc, v3, v2, vcc
	s_mov_b64 s[4:5], -1
	s_and_b64 vcc, exec, s[6:7]
	v_lshlrev_b32_e32 v19, 1, v0
	s_cbranch_vccz .LBB625_6
; %bb.5:
	v_add_co_u32_e32 v1, vcc, v20, v19
	v_addc_co_u32_e32 v2, vcc, 0, v31, vcc
	v_add_co_u32_e32 v3, vcc, 0x1000, v1
	flat_load_ushort v5, v[1:2]
	flat_load_ushort v6, v[1:2] offset:384
	flat_load_ushort v7, v[1:2] offset:768
	;; [unrolled: 1-line block ×7, first 2 shown]
	v_addc_co_u32_e32 v4, vcc, 0, v2, vcc
	flat_load_ushort v13, v[1:2] offset:3072
	flat_load_ushort v14, v[1:2] offset:3456
	;; [unrolled: 1-line block ×10, first 2 shown]
	s_mov_b64 s[4:5], 0
	s_waitcnt vmcnt(0) lgkmcnt(0)
	ds_write_b16 v19, v5
	ds_write_b16 v19, v6 offset:384
	ds_write_b16 v19, v7 offset:768
	;; [unrolled: 1-line block ×17, first 2 shown]
	s_waitcnt lgkmcnt(0)
	s_barrier
.LBB625_6:
	s_andn2_b64 vcc, exec, s[4:5]
	s_addk_i32 s56, 0xd80
	s_cbranch_vccnz .LBB625_44
; %bb.7:
	v_mov_b32_e32 v1, 0
	v_cmp_gt_u32_e32 vcc, s56, v0
	v_mov_b32_e32 v2, v1
	v_mov_b32_e32 v3, v1
	;; [unrolled: 1-line block ×8, first 2 shown]
	s_and_saveexec_b64 s[4:5], vcc
	s_cbranch_execz .LBB625_9
; %bb.8:
	v_add_co_u32_e32 v2, vcc, v20, v19
	v_addc_co_u32_e32 v3, vcc, 0, v31, vcc
	flat_load_ushort v10, v[2:3]
	v_mov_b32_e32 v2, v1
	v_mov_b32_e32 v3, v1
	;; [unrolled: 1-line block ×8, first 2 shown]
	s_waitcnt vmcnt(0) lgkmcnt(0)
	v_and_b32_e32 v1, 0xffff, v10
.LBB625_9:
	s_or_b64 exec, exec, s[4:5]
	v_add_u32_e32 v10, 0xc0, v0
	v_cmp_gt_u32_e32 vcc, s56, v10
	s_and_saveexec_b64 s[4:5], vcc
	s_cbranch_execz .LBB625_11
; %bb.10:
	v_add_co_u32_e32 v10, vcc, v20, v19
	v_addc_co_u32_e32 v11, vcc, 0, v31, vcc
	flat_load_ushort v10, v[10:11] offset:384
	s_mov_b32 s8, 0x5040100
	s_waitcnt vmcnt(0) lgkmcnt(0)
	v_perm_b32 v1, v10, v1, s8
.LBB625_11:
	s_or_b64 exec, exec, s[4:5]
	v_add_u32_e32 v10, 0x180, v0
	v_cmp_gt_u32_e32 vcc, s56, v10
	s_and_saveexec_b64 s[4:5], vcc
	s_cbranch_execz .LBB625_13
; %bb.12:
	v_add_co_u32_e32 v10, vcc, v20, v19
	v_addc_co_u32_e32 v11, vcc, 0, v31, vcc
	flat_load_ushort v10, v[10:11] offset:768
	s_mov_b32 s8, 0xffff
	s_waitcnt vmcnt(0) lgkmcnt(0)
	v_bfi_b32 v2, s8, v10, v2
.LBB625_13:
	s_or_b64 exec, exec, s[4:5]
	v_add_u32_e32 v10, 0x240, v0
	v_cmp_gt_u32_e32 vcc, s56, v10
	s_and_saveexec_b64 s[4:5], vcc
	s_cbranch_execz .LBB625_15
; %bb.14:
	v_add_co_u32_e32 v10, vcc, v20, v19
	v_addc_co_u32_e32 v11, vcc, 0, v31, vcc
	flat_load_ushort v10, v[10:11] offset:1152
	s_mov_b32 s8, 0x5040100
	s_waitcnt vmcnt(0) lgkmcnt(0)
	v_perm_b32 v2, v10, v2, s8
.LBB625_15:
	s_or_b64 exec, exec, s[4:5]
	v_or_b32_e32 v10, 0x300, v0
	v_cmp_gt_u32_e32 vcc, s56, v10
	s_and_saveexec_b64 s[4:5], vcc
	s_cbranch_execz .LBB625_17
; %bb.16:
	v_add_co_u32_e32 v10, vcc, v20, v19
	v_addc_co_u32_e32 v11, vcc, 0, v31, vcc
	flat_load_ushort v10, v[10:11] offset:1536
	s_mov_b32 s8, 0xffff
	s_waitcnt vmcnt(0) lgkmcnt(0)
	v_bfi_b32 v3, s8, v10, v3
.LBB625_17:
	s_or_b64 exec, exec, s[4:5]
	v_add_u32_e32 v10, 0x3c0, v0
	v_cmp_gt_u32_e32 vcc, s56, v10
	s_and_saveexec_b64 s[4:5], vcc
	s_cbranch_execz .LBB625_19
; %bb.18:
	v_add_co_u32_e32 v10, vcc, v20, v19
	v_addc_co_u32_e32 v11, vcc, 0, v31, vcc
	flat_load_ushort v10, v[10:11] offset:1920
	s_mov_b32 s8, 0x5040100
	s_waitcnt vmcnt(0) lgkmcnt(0)
	v_perm_b32 v3, v10, v3, s8
.LBB625_19:
	s_or_b64 exec, exec, s[4:5]
	v_add_u32_e32 v10, 0x480, v0
	v_cmp_gt_u32_e32 vcc, s56, v10
	s_and_saveexec_b64 s[4:5], vcc
	s_cbranch_execz .LBB625_21
; %bb.20:
	v_add_co_u32_e32 v10, vcc, v20, v19
	v_addc_co_u32_e32 v11, vcc, 0, v31, vcc
	flat_load_ushort v10, v[10:11] offset:2304
	s_mov_b32 s8, 0xffff
	s_waitcnt vmcnt(0) lgkmcnt(0)
	v_bfi_b32 v4, s8, v10, v4
.LBB625_21:
	s_or_b64 exec, exec, s[4:5]
	v_add_u32_e32 v10, 0x540, v0
	v_cmp_gt_u32_e32 vcc, s56, v10
	s_and_saveexec_b64 s[4:5], vcc
	s_cbranch_execz .LBB625_23
; %bb.22:
	v_add_co_u32_e32 v10, vcc, v20, v19
	v_addc_co_u32_e32 v11, vcc, 0, v31, vcc
	flat_load_ushort v10, v[10:11] offset:2688
	s_mov_b32 s8, 0x5040100
	s_waitcnt vmcnt(0) lgkmcnt(0)
	v_perm_b32 v4, v10, v4, s8
.LBB625_23:
	s_or_b64 exec, exec, s[4:5]
	v_or_b32_e32 v10, 0x600, v0
	v_cmp_gt_u32_e32 vcc, s56, v10
	s_and_saveexec_b64 s[4:5], vcc
	s_cbranch_execz .LBB625_25
; %bb.24:
	v_add_co_u32_e32 v10, vcc, v20, v19
	v_addc_co_u32_e32 v11, vcc, 0, v31, vcc
	flat_load_ushort v10, v[10:11] offset:3072
	s_mov_b32 s8, 0xffff
	s_waitcnt vmcnt(0) lgkmcnt(0)
	v_bfi_b32 v5, s8, v10, v5
.LBB625_25:
	s_or_b64 exec, exec, s[4:5]
	v_add_u32_e32 v10, 0x6c0, v0
	v_cmp_gt_u32_e32 vcc, s56, v10
	s_and_saveexec_b64 s[4:5], vcc
	s_cbranch_execz .LBB625_27
; %bb.26:
	v_add_co_u32_e32 v10, vcc, v20, v19
	v_addc_co_u32_e32 v11, vcc, 0, v31, vcc
	flat_load_ushort v10, v[10:11] offset:3456
	s_mov_b32 s8, 0x5040100
	s_waitcnt vmcnt(0) lgkmcnt(0)
	v_perm_b32 v5, v10, v5, s8
.LBB625_27:
	s_or_b64 exec, exec, s[4:5]
	v_add_u32_e32 v10, 0x780, v0
	v_cmp_gt_u32_e32 vcc, s56, v10
	s_and_saveexec_b64 s[4:5], vcc
	s_cbranch_execz .LBB625_29
; %bb.28:
	v_add_co_u32_e32 v10, vcc, v20, v19
	v_addc_co_u32_e32 v11, vcc, 0, v31, vcc
	flat_load_ushort v10, v[10:11] offset:3840
	s_mov_b32 s8, 0xffff
	s_waitcnt vmcnt(0) lgkmcnt(0)
	v_bfi_b32 v6, s8, v10, v6
.LBB625_29:
	s_or_b64 exec, exec, s[4:5]
	v_add_u32_e32 v10, 0x840, v0
	v_cmp_gt_u32_e32 vcc, s56, v10
	s_and_saveexec_b64 s[4:5], vcc
	s_cbranch_execz .LBB625_31
; %bb.30:
	v_lshlrev_b32_e32 v10, 1, v10
	v_add_co_u32_e32 v10, vcc, v20, v10
	v_addc_co_u32_e32 v11, vcc, 0, v31, vcc
	flat_load_ushort v10, v[10:11]
	s_mov_b32 s8, 0x5040100
	s_waitcnt vmcnt(0) lgkmcnt(0)
	v_perm_b32 v6, v10, v6, s8
.LBB625_31:
	s_or_b64 exec, exec, s[4:5]
	v_or_b32_e32 v10, 0x900, v0
	v_cmp_gt_u32_e32 vcc, s56, v10
	s_and_saveexec_b64 s[4:5], vcc
	s_cbranch_execz .LBB625_33
; %bb.32:
	v_lshlrev_b32_e32 v10, 1, v10
	v_add_co_u32_e32 v10, vcc, v20, v10
	v_addc_co_u32_e32 v11, vcc, 0, v31, vcc
	flat_load_ushort v10, v[10:11]
	s_mov_b32 s8, 0xffff
	s_waitcnt vmcnt(0) lgkmcnt(0)
	v_bfi_b32 v7, s8, v10, v7
.LBB625_33:
	s_or_b64 exec, exec, s[4:5]
	v_add_u32_e32 v10, 0x9c0, v0
	v_cmp_gt_u32_e32 vcc, s56, v10
	s_and_saveexec_b64 s[4:5], vcc
	s_cbranch_execz .LBB625_35
; %bb.34:
	v_lshlrev_b32_e32 v10, 1, v10
	v_add_co_u32_e32 v10, vcc, v20, v10
	v_addc_co_u32_e32 v11, vcc, 0, v31, vcc
	flat_load_ushort v10, v[10:11]
	s_mov_b32 s8, 0x5040100
	s_waitcnt vmcnt(0) lgkmcnt(0)
	v_perm_b32 v7, v10, v7, s8
.LBB625_35:
	s_or_b64 exec, exec, s[4:5]
	v_add_u32_e32 v10, 0xa80, v0
	v_cmp_gt_u32_e32 vcc, s56, v10
	s_and_saveexec_b64 s[4:5], vcc
	s_cbranch_execz .LBB625_37
; %bb.36:
	v_lshlrev_b32_e32 v10, 1, v10
	v_add_co_u32_e32 v10, vcc, v20, v10
	v_addc_co_u32_e32 v11, vcc, 0, v31, vcc
	flat_load_ushort v10, v[10:11]
	s_mov_b32 s8, 0xffff
	s_waitcnt vmcnt(0) lgkmcnt(0)
	v_bfi_b32 v8, s8, v10, v8
.LBB625_37:
	s_or_b64 exec, exec, s[4:5]
	v_add_u32_e32 v10, 0xb40, v0
	v_cmp_gt_u32_e32 vcc, s56, v10
	s_and_saveexec_b64 s[4:5], vcc
	s_cbranch_execz .LBB625_39
; %bb.38:
	v_lshlrev_b32_e32 v10, 1, v10
	v_add_co_u32_e32 v10, vcc, v20, v10
	v_addc_co_u32_e32 v11, vcc, 0, v31, vcc
	flat_load_ushort v10, v[10:11]
	s_mov_b32 s8, 0x5040100
	s_waitcnt vmcnt(0) lgkmcnt(0)
	v_perm_b32 v8, v10, v8, s8
.LBB625_39:
	s_or_b64 exec, exec, s[4:5]
	v_or_b32_e32 v10, 0xc00, v0
	v_cmp_gt_u32_e32 vcc, s56, v10
	s_and_saveexec_b64 s[4:5], vcc
	s_cbranch_execz .LBB625_41
; %bb.40:
	v_lshlrev_b32_e32 v10, 1, v10
	v_add_co_u32_e32 v10, vcc, v20, v10
	v_addc_co_u32_e32 v11, vcc, 0, v31, vcc
	flat_load_ushort v10, v[10:11]
	s_mov_b32 s8, 0xffff
	s_waitcnt vmcnt(0) lgkmcnt(0)
	v_bfi_b32 v9, s8, v10, v9
.LBB625_41:
	s_or_b64 exec, exec, s[4:5]
	v_add_u32_e32 v10, 0xcc0, v0
	v_cmp_gt_u32_e32 vcc, s56, v10
	s_and_saveexec_b64 s[4:5], vcc
	s_cbranch_execz .LBB625_43
; %bb.42:
	v_lshlrev_b32_e32 v10, 1, v10
	v_add_co_u32_e32 v10, vcc, v20, v10
	v_addc_co_u32_e32 v11, vcc, 0, v31, vcc
	flat_load_ushort v10, v[10:11]
	s_mov_b32 s8, 0x5040100
	s_waitcnt vmcnt(0) lgkmcnt(0)
	v_perm_b32 v9, v10, v9, s8
.LBB625_43:
	s_or_b64 exec, exec, s[4:5]
	ds_write_b16 v19, v1
	ds_write_b16_d16_hi v19, v1 offset:384
	ds_write_b16 v19, v2 offset:768
	ds_write_b16_d16_hi v19, v2 offset:1152
	ds_write_b16 v19, v3 offset:1536
	;; [unrolled: 2-line block ×8, first 2 shown]
	ds_write_b16_d16_hi v19, v9 offset:6528
	s_waitcnt vmcnt(0) lgkmcnt(0)
	s_barrier
.LBB625_44:
	v_mul_u32_u24_e32 v9, 18, v0
	v_lshlrev_b32_e32 v10, 1, v9
	ds_read2_b32 v[7:8], v10 offset1:1
	ds_read2_b32 v[5:6], v10 offset0:2 offset1:3
	ds_read2_b32 v[3:4], v10 offset0:4 offset1:5
	;; [unrolled: 1-line block ×3, first 2 shown]
	ds_read_b32 v22, v10 offset:32
	s_cmp_lg_u32 s33, 0
	s_cselect_b64 s[48:49], -1, 0
	s_cmp_lg_u64 s[10:11], 0
	s_cselect_b64 s[4:5], -1, 0
	s_or_b64 s[4:5], s[4:5], s[48:49]
	s_waitcnt lgkmcnt(4)
	v_lshrrev_b32_e32 v30, 16, v7
	v_lshrrev_b32_e32 v29, 16, v8
	s_waitcnt lgkmcnt(3)
	v_lshrrev_b32_e32 v28, 16, v5
	v_lshrrev_b32_e32 v27, 16, v6
	;; [unrolled: 3-line block ×4, first 2 shown]
	s_waitcnt lgkmcnt(0)
	v_lshrrev_b32_e32 v21, 16, v22
	s_mov_b64 s[52:53], 0
	s_and_b64 vcc, exec, s[4:5]
	s_waitcnt vmcnt(0)
	s_barrier
	s_cbranch_vccz .LBB625_49
; %bb.45:
	v_add_co_u32_e32 v11, vcc, -2, v20
	v_addc_co_u32_e32 v12, vcc, -1, v31, vcc
	flat_load_ushort v11, v[11:12]
	s_and_b64 vcc, exec, s[6:7]
	ds_write_b16 v19, v21
	s_cbranch_vccz .LBB625_50
; %bb.46:
	s_waitcnt vmcnt(0) lgkmcnt(0)
	v_mov_b32_e32 v12, v11
	s_barrier
	s_and_saveexec_b64 s[4:5], s[2:3]
; %bb.47:
	v_add_u32_e32 v12, -2, v19
	ds_read_u16 v12, v12
; %bb.48:
	s_or_b64 exec, exec, s[4:5]
	v_cmp_ne_u16_e32 vcc, v22, v21
	v_cndmask_b32_e64 v31, 0, 1, vcc
	v_cmp_ne_u16_e32 vcc, v23, v22
	v_cndmask_b32_e64 v32, 0, 1, vcc
	v_cmp_ne_u16_e32 vcc, v2, v23
	v_cndmask_b32_e64 v33, 0, 1, vcc
	v_cmp_ne_u16_e32 vcc, v24, v2
	v_cndmask_b32_e64 v34, 0, 1, vcc
	v_cmp_ne_u16_e32 vcc, v1, v24
	v_cndmask_b32_e64 v35, 0, 1, vcc
	v_cmp_ne_u16_e32 vcc, v25, v1
	v_cndmask_b32_e64 v36, 0, 1, vcc
	v_cmp_ne_u16_e32 vcc, v4, v25
	v_cndmask_b32_e64 v37, 0, 1, vcc
	v_cmp_ne_u16_e32 vcc, v26, v4
	v_cndmask_b32_e64 v38, 0, 1, vcc
	v_cmp_ne_u16_e32 vcc, v3, v26
	v_cndmask_b32_e64 v39, 0, 1, vcc
	v_cmp_ne_u16_e32 vcc, v27, v3
	v_cndmask_b32_e64 v40, 0, 1, vcc
	v_cmp_ne_u16_e32 vcc, v6, v27
	v_cndmask_b32_e64 v41, 0, 1, vcc
	v_cmp_ne_u16_e32 vcc, v28, v6
	v_cndmask_b32_e64 v42, 0, 1, vcc
	v_cmp_ne_u16_e32 vcc, v5, v28
	v_cndmask_b32_e64 v43, 0, 1, vcc
	v_cmp_ne_u16_e32 vcc, v29, v5
	v_cndmask_b32_e64 v44, 0, 1, vcc
	v_cmp_ne_u16_e32 vcc, v8, v29
	v_cndmask_b32_e64 v45, 0, 1, vcc
	v_cmp_ne_u16_e32 vcc, v30, v8
	v_cndmask_b32_e64 v46, 0, 1, vcc
	v_cmp_ne_u16_e32 vcc, v7, v30
	v_cndmask_b32_e64 v47, 0, 1, vcc
	s_waitcnt lgkmcnt(0)
	v_cmp_ne_u16_e64 s[50:51], v12, v7
	s_branch .LBB625_54
.LBB625_49:
                                        ; implicit-def: $sgpr50_sgpr51
                                        ; implicit-def: $vgpr31
                                        ; implicit-def: $vgpr32
                                        ; implicit-def: $vgpr33
                                        ; implicit-def: $vgpr34
                                        ; implicit-def: $vgpr35
                                        ; implicit-def: $vgpr36
                                        ; implicit-def: $vgpr37
                                        ; implicit-def: $vgpr38
                                        ; implicit-def: $vgpr39
                                        ; implicit-def: $vgpr47
                                        ; implicit-def: $vgpr46
                                        ; implicit-def: $vgpr45
                                        ; implicit-def: $vgpr44
                                        ; implicit-def: $vgpr43
                                        ; implicit-def: $vgpr42
                                        ; implicit-def: $vgpr41
                                        ; implicit-def: $vgpr40
	s_branch .LBB625_55
.LBB625_50:
                                        ; implicit-def: $sgpr50_sgpr51
                                        ; implicit-def: $vgpr31
                                        ; implicit-def: $vgpr32
                                        ; implicit-def: $vgpr33
                                        ; implicit-def: $vgpr34
                                        ; implicit-def: $vgpr35
                                        ; implicit-def: $vgpr36
                                        ; implicit-def: $vgpr37
                                        ; implicit-def: $vgpr38
                                        ; implicit-def: $vgpr39
                                        ; implicit-def: $vgpr47
                                        ; implicit-def: $vgpr46
                                        ; implicit-def: $vgpr45
                                        ; implicit-def: $vgpr44
                                        ; implicit-def: $vgpr43
                                        ; implicit-def: $vgpr42
                                        ; implicit-def: $vgpr41
                                        ; implicit-def: $vgpr40
	s_cbranch_execz .LBB625_54
; %bb.51:
	s_waitcnt vmcnt(0) lgkmcnt(0)
	s_barrier
	s_and_saveexec_b64 s[4:5], s[2:3]
; %bb.52:
	v_add_u32_e32 v11, -2, v19
	ds_read_u16 v11, v11
; %bb.53:
	s_or_b64 exec, exec, s[4:5]
	v_add_u32_e32 v12, 17, v9
	v_cmp_gt_u32_e32 vcc, s56, v12
	v_cmp_ne_u16_e64 s[4:5], v22, v21
	s_and_b64 s[4:5], vcc, s[4:5]
	v_add_u32_e32 v12, 16, v9
	v_cndmask_b32_e64 v31, 0, 1, s[4:5]
	v_cmp_gt_u32_e32 vcc, s56, v12
	v_cmp_ne_u16_e64 s[4:5], v23, v22
	s_and_b64 s[4:5], vcc, s[4:5]
	v_add_u32_e32 v12, 15, v9
	v_cndmask_b32_e64 v32, 0, 1, s[4:5]
	;; [unrolled: 5-line block ×15, first 2 shown]
	v_cmp_gt_u32_e32 vcc, s56, v12
	v_cmp_ne_u16_e64 s[4:5], v30, v8
	s_and_b64 s[4:5], vcc, s[4:5]
	v_or_b32_e32 v12, 1, v9
	v_cndmask_b32_e64 v46, 0, 1, s[4:5]
	v_cmp_gt_u32_e32 vcc, s56, v12
	v_cmp_ne_u16_e64 s[4:5], v7, v30
	s_and_b64 s[4:5], vcc, s[4:5]
	v_cndmask_b32_e64 v47, 0, 1, s[4:5]
	v_cmp_gt_u32_e32 vcc, s56, v9
	s_waitcnt lgkmcnt(0)
	v_cmp_ne_u16_e64 s[4:5], v11, v7
	s_and_b64 s[50:51], vcc, s[4:5]
.LBB625_54:
	s_mov_b64 s[52:53], -1
	s_cbranch_execnz .LBB625_63
.LBB625_55:
	s_movk_i32 s4, 0xffde
	v_mad_i32_i24 v10, v0, s4, v10
	s_and_b64 vcc, exec, s[6:7]
	v_cmp_ne_u16_e64 s[4:5], v22, v21
	v_cmp_ne_u16_e64 s[6:7], v23, v22
	;; [unrolled: 1-line block ×17, first 2 shown]
	ds_write_b16 v10, v21
	s_cbranch_vccz .LBB625_59
; %bb.56:
	s_waitcnt vmcnt(0) lgkmcnt(0)
	s_barrier
                                        ; implicit-def: $sgpr50_sgpr51
	s_and_saveexec_b64 s[54:55], s[2:3]
	s_xor_b64 s[54:55], exec, s[54:55]
	s_cbranch_execz .LBB625_58
; %bb.57:
	v_add_u32_e32 v11, -2, v10
	ds_read_u16 v11, v11
	s_or_b64 s[52:53], s[52:53], exec
	s_waitcnt lgkmcnt(0)
	v_cmp_ne_u16_e64 s[50:51], v11, v7
.LBB625_58:
	s_or_b64 exec, exec, s[54:55]
	v_cndmask_b32_e64 v31, 0, 1, s[4:5]
	v_cndmask_b32_e64 v32, 0, 1, s[6:7]
	;; [unrolled: 1-line block ×17, first 2 shown]
	s_branch .LBB625_63
.LBB625_59:
                                        ; implicit-def: $sgpr50_sgpr51
                                        ; implicit-def: $vgpr31
                                        ; implicit-def: $vgpr32
                                        ; implicit-def: $vgpr33
                                        ; implicit-def: $vgpr34
                                        ; implicit-def: $vgpr35
                                        ; implicit-def: $vgpr36
                                        ; implicit-def: $vgpr37
                                        ; implicit-def: $vgpr38
                                        ; implicit-def: $vgpr39
                                        ; implicit-def: $vgpr47
                                        ; implicit-def: $vgpr46
                                        ; implicit-def: $vgpr45
                                        ; implicit-def: $vgpr44
                                        ; implicit-def: $vgpr43
                                        ; implicit-def: $vgpr42
                                        ; implicit-def: $vgpr41
                                        ; implicit-def: $vgpr40
	s_cbranch_execz .LBB625_63
; %bb.60:
	s_waitcnt vmcnt(0) lgkmcnt(0)
	v_add_u32_e32 v11, 17, v9
	v_cmp_gt_u32_e32 vcc, s56, v11
	v_cmp_ne_u16_e64 s[4:5], v22, v21
	v_add_u32_e32 v11, 16, v9
	s_and_b64 s[6:7], vcc, s[4:5]
	v_cmp_gt_u32_e32 vcc, s56, v11
	v_cmp_ne_u16_e64 s[4:5], v23, v22
	v_add_u32_e32 v11, 15, v9
	s_and_b64 s[8:9], vcc, s[4:5]
	;; [unrolled: 4-line block ×15, first 2 shown]
	v_cmp_gt_u32_e32 vcc, s56, v11
	v_cmp_ne_u16_e64 s[4:5], v30, v8
	v_or_b32_e32 v11, 1, v9
	s_and_b64 s[38:39], vcc, s[4:5]
	v_cmp_gt_u32_e32 vcc, s56, v11
	v_cmp_ne_u16_e64 s[4:5], v7, v30
	s_and_b64 s[4:5], vcc, s[4:5]
	s_barrier
                                        ; implicit-def: $sgpr50_sgpr51
	s_and_saveexec_b64 s[54:55], s[2:3]
	s_cbranch_execz .LBB625_62
; %bb.61:
	v_add_u32_e32 v10, -2, v10
	ds_read_u16 v10, v10
	v_cmp_gt_u32_e32 vcc, s56, v9
	s_or_b64 s[52:53], s[52:53], exec
	s_waitcnt lgkmcnt(0)
	v_cmp_ne_u16_e64 s[2:3], v10, v7
	s_and_b64 s[50:51], vcc, s[2:3]
.LBB625_62:
	s_or_b64 exec, exec, s[54:55]
	v_cndmask_b32_e64 v31, 0, 1, s[6:7]
	v_cndmask_b32_e64 v32, 0, 1, s[8:9]
	;; [unrolled: 1-line block ×17, first 2 shown]
.LBB625_63:
	v_mov_b32_e32 v52, 1
	s_and_saveexec_b64 s[2:3], s[52:53]
; %bb.64:
	v_cndmask_b32_e64 v52, 0, 1, s[50:51]
; %bb.65:
	s_or_b64 exec, exec, s[2:3]
	s_andn2_b64 vcc, exec, s[46:47]
	s_cbranch_vccnz .LBB625_67
; %bb.66:
	v_cmp_gt_u32_e32 vcc, s56, v9
	v_or_b32_e32 v10, 1, v9
	v_cndmask_b32_e32 v52, 0, v52, vcc
	v_cmp_gt_u32_e32 vcc, s56, v10
	v_add_u32_e32 v10, 2, v9
	v_cndmask_b32_e32 v47, 0, v47, vcc
	v_cmp_gt_u32_e32 vcc, s56, v10
	v_add_u32_e32 v10, 3, v9
	v_cndmask_b32_e32 v46, 0, v46, vcc
	v_cmp_gt_u32_e32 vcc, s56, v10
	v_add_u32_e32 v10, 4, v9
	v_cndmask_b32_e32 v45, 0, v45, vcc
	v_cmp_gt_u32_e32 vcc, s56, v10
	v_add_u32_e32 v10, 5, v9
	v_cndmask_b32_e32 v44, 0, v44, vcc
	v_cmp_gt_u32_e32 vcc, s56, v10
	v_add_u32_e32 v10, 6, v9
	v_cndmask_b32_e32 v43, 0, v43, vcc
	v_cmp_gt_u32_e32 vcc, s56, v10
	v_add_u32_e32 v10, 7, v9
	v_cndmask_b32_e32 v42, 0, v42, vcc
	v_cmp_gt_u32_e32 vcc, s56, v10
	v_add_u32_e32 v10, 8, v9
	v_cndmask_b32_e32 v41, 0, v41, vcc
	v_cmp_gt_u32_e32 vcc, s56, v10
	v_add_u32_e32 v10, 9, v9
	v_cndmask_b32_e32 v40, 0, v40, vcc
	v_cmp_gt_u32_e32 vcc, s56, v10
	v_add_u32_e32 v10, 10, v9
	v_cndmask_b32_e32 v39, 0, v39, vcc
	v_cmp_gt_u32_e32 vcc, s56, v10
	v_add_u32_e32 v10, 11, v9
	v_cndmask_b32_e32 v38, 0, v38, vcc
	v_cmp_gt_u32_e32 vcc, s56, v10
	v_add_u32_e32 v10, 12, v9
	v_cndmask_b32_e32 v37, 0, v37, vcc
	v_cmp_gt_u32_e32 vcc, s56, v10
	v_add_u32_e32 v10, 13, v9
	v_cndmask_b32_e32 v36, 0, v36, vcc
	v_cmp_gt_u32_e32 vcc, s56, v10
	v_add_u32_e32 v10, 14, v9
	v_cndmask_b32_e32 v35, 0, v35, vcc
	v_cmp_gt_u32_e32 vcc, s56, v10
	v_add_u32_e32 v10, 15, v9
	v_cndmask_b32_e32 v34, 0, v34, vcc
	v_cmp_gt_u32_e32 vcc, s56, v10
	v_add_u32_e32 v10, 16, v9
	v_cndmask_b32_e32 v33, 0, v33, vcc
	v_cmp_gt_u32_e32 vcc, s56, v10
	v_add_u32_e32 v9, 17, v9
	v_cndmask_b32_e32 v32, 0, v32, vcc
	v_cmp_gt_u32_e32 vcc, s56, v9
	v_cndmask_b32_e32 v31, 0, v31, vcc
.LBB625_67:
	v_and_b32_e32 v58, 0xff, v43
	v_and_b32_e32 v57, 0xff, v42
	v_add_u32_sdwa v10, v41, v40 dst_sel:DWORD dst_unused:UNUSED_PAD src0_sel:BYTE_0 src1_sel:BYTE_0
	v_and_b32_e32 v60, 0xff, v45
	v_and_b32_e32 v59, 0xff, v44
	v_add3_u32 v10, v10, v57, v58
	v_and_b32_e32 v62, 0xff, v47
	v_and_b32_e32 v61, 0xff, v46
	v_add3_u32 v10, v10, v59, v60
	;; [unrolled: 3-line block ×7, first 2 shown]
	v_add3_u32 v66, v10, v48, v9
	v_mbcnt_lo_u32_b32 v9, -1, 0
	v_mbcnt_hi_u32_b32 v64, -1, v9
	v_and_b32_e32 v9, 15, v64
	v_cmp_eq_u32_e64 s[14:15], 0, v9
	v_cmp_lt_u32_e64 s[12:13], 1, v9
	v_cmp_lt_u32_e64 s[10:11], 3, v9
	;; [unrolled: 1-line block ×3, first 2 shown]
	v_and_b32_e32 v9, 16, v64
	v_cmp_eq_u32_e64 s[4:5], 0, v9
	v_and_b32_e32 v9, 0xc0, v0
	v_min_u32_e32 v9, 0x80, v9
	v_or_b32_e32 v9, 63, v9
	v_cmp_lt_u32_e64 s[2:3], 31, v64
	v_lshrrev_b32_e32 v65, 6, v0
	v_cmp_eq_u32_e64 s[6:7], v0, v9
	s_and_b64 vcc, exec, s[48:49]
	s_waitcnt vmcnt(0) lgkmcnt(0)
	s_barrier
	s_cbranch_vccz .LBB625_89
; %bb.68:
	v_mov_b32_dpp v9, v66 row_shr:1 row_mask:0xf bank_mask:0xf
	v_cndmask_b32_e64 v9, v9, 0, s[14:15]
	v_add_u32_e32 v9, v9, v66
	s_nop 1
	v_mov_b32_dpp v10, v9 row_shr:2 row_mask:0xf bank_mask:0xf
	v_cndmask_b32_e64 v10, 0, v10, s[12:13]
	v_add_u32_e32 v9, v9, v10
	s_nop 1
	;; [unrolled: 4-line block ×4, first 2 shown]
	v_mov_b32_dpp v10, v9 row_bcast:15 row_mask:0xf bank_mask:0xf
	v_cndmask_b32_e64 v10, v10, 0, s[4:5]
	v_add_u32_e32 v9, v9, v10
	s_nop 1
	v_mov_b32_dpp v10, v9 row_bcast:31 row_mask:0xf bank_mask:0xf
	v_cndmask_b32_e64 v10, 0, v10, s[2:3]
	v_add_u32_e32 v9, v9, v10
	s_and_saveexec_b64 s[16:17], s[6:7]
; %bb.69:
	v_lshlrev_b32_e32 v10, 2, v65
	ds_write_b32 v10, v9
; %bb.70:
	s_or_b64 exec, exec, s[16:17]
	v_cmp_gt_u32_e32 vcc, 3, v0
	s_waitcnt lgkmcnt(0)
	s_barrier
	s_and_saveexec_b64 s[16:17], vcc
	s_cbranch_execz .LBB625_72
; %bb.71:
	v_lshlrev_b32_e32 v10, 2, v0
	ds_read_b32 v11, v10
	v_and_b32_e32 v12, 3, v64
	v_cmp_ne_u32_e32 vcc, 0, v12
	s_waitcnt lgkmcnt(0)
	v_mov_b32_dpp v13, v11 row_shr:1 row_mask:0xf bank_mask:0xf
	v_cndmask_b32_e32 v13, 0, v13, vcc
	v_add_u32_e32 v11, v13, v11
	v_cmp_lt_u32_e32 vcc, 1, v12
	s_nop 0
	v_mov_b32_dpp v13, v11 row_shr:2 row_mask:0xf bank_mask:0xf
	v_cndmask_b32_e32 v12, 0, v13, vcc
	v_add_u32_e32 v11, v11, v12
	ds_write_b32 v10, v11
.LBB625_72:
	s_or_b64 exec, exec, s[16:17]
	v_cmp_gt_u32_e32 vcc, 64, v0
	v_cmp_lt_u32_e64 s[16:17], 63, v0
	s_waitcnt lgkmcnt(0)
	s_barrier
                                        ; implicit-def: $vgpr67
	s_and_saveexec_b64 s[18:19], s[16:17]
	s_cbranch_execz .LBB625_74
; %bb.73:
	v_lshl_add_u32 v10, v65, 2, -4
	ds_read_b32 v67, v10
	s_waitcnt lgkmcnt(0)
	v_add_u32_e32 v9, v67, v9
.LBB625_74:
	s_or_b64 exec, exec, s[18:19]
	v_subrev_co_u32_e64 v10, s[16:17], 1, v64
	v_and_b32_e32 v11, 64, v64
	v_cmp_lt_i32_e64 s[18:19], v10, v11
	v_cndmask_b32_e64 v10, v10, v64, s[18:19]
	v_lshlrev_b32_e32 v10, 2, v10
	ds_bpermute_b32 v68, v10, v9
	s_and_saveexec_b64 s[18:19], vcc
	s_cbranch_execz .LBB625_94
; %bb.75:
	v_mov_b32_e32 v15, 0
	ds_read_b32 v9, v15 offset:8
	s_and_saveexec_b64 s[20:21], s[16:17]
	s_cbranch_execz .LBB625_77
; %bb.76:
	s_add_i32 s22, s33, 64
	s_mov_b32 s23, 0
	s_lshl_b64 s[22:23], s[22:23], 3
	s_add_u32 s22, s44, s22
	v_mov_b32_e32 v10, 1
	s_addc_u32 s23, s45, s23
	s_waitcnt lgkmcnt(0)
	global_store_dwordx2 v15, v[9:10], s[22:23]
.LBB625_77:
	s_or_b64 exec, exec, s[20:21]
	v_xad_u32 v11, v64, -1, s33
	v_add_u32_e32 v14, 64, v11
	v_lshlrev_b64 v[12:13], 3, v[14:15]
	v_mov_b32_e32 v10, s45
	v_add_co_u32_e32 v19, vcc, s44, v12
	v_addc_co_u32_e32 v20, vcc, v10, v13, vcc
	global_load_dwordx2 v[13:14], v[19:20], off glc
	s_waitcnt vmcnt(0)
	v_cmp_eq_u16_sdwa s[22:23], v14, v15 src0_sel:BYTE_0 src1_sel:DWORD
	s_and_saveexec_b64 s[20:21], s[22:23]
	s_cbranch_execz .LBB625_81
; %bb.78:
	s_mov_b64 s[22:23], 0
	v_mov_b32_e32 v10, 0
.LBB625_79:                             ; =>This Inner Loop Header: Depth=1
	global_load_dwordx2 v[13:14], v[19:20], off glc
	s_waitcnt vmcnt(0)
	v_cmp_ne_u16_sdwa s[24:25], v14, v10 src0_sel:BYTE_0 src1_sel:DWORD
	s_or_b64 s[22:23], s[24:25], s[22:23]
	s_andn2_b64 exec, exec, s[22:23]
	s_cbranch_execnz .LBB625_79
; %bb.80:
	s_or_b64 exec, exec, s[22:23]
.LBB625_81:
	s_or_b64 exec, exec, s[20:21]
	v_and_b32_e32 v70, 63, v64
	v_mov_b32_e32 v69, 2
	v_lshlrev_b64 v[15:16], v64, -1
	v_cmp_ne_u32_e32 vcc, 63, v70
	v_cmp_eq_u16_sdwa s[20:21], v14, v69 src0_sel:BYTE_0 src1_sel:DWORD
	v_addc_co_u32_e32 v19, vcc, 0, v64, vcc
	v_and_b32_e32 v10, s21, v16
	v_lshlrev_b32_e32 v71, 2, v19
	v_or_b32_e32 v10, 0x80000000, v10
	ds_bpermute_b32 v19, v71, v13
	v_and_b32_e32 v12, s20, v15
	v_ffbl_b32_e32 v10, v10
	v_add_u32_e32 v10, 32, v10
	v_ffbl_b32_e32 v12, v12
	v_min_u32_e32 v10, v12, v10
	v_cmp_lt_u32_e32 vcc, v70, v10
	s_waitcnt lgkmcnt(0)
	v_cndmask_b32_e32 v12, 0, v19, vcc
	v_cmp_gt_u32_e32 vcc, 62, v70
	v_add_u32_e32 v12, v12, v13
	v_cndmask_b32_e64 v13, 0, 2, vcc
	v_add_lshl_u32 v72, v13, v64, 2
	ds_bpermute_b32 v13, v72, v12
	v_add_u32_e32 v73, 2, v70
	v_cmp_le_u32_e32 vcc, v73, v10
	v_add_u32_e32 v75, 4, v70
	v_add_u32_e32 v77, 8, v70
	s_waitcnt lgkmcnt(0)
	v_cndmask_b32_e32 v13, 0, v13, vcc
	v_cmp_gt_u32_e32 vcc, 60, v70
	v_add_u32_e32 v12, v12, v13
	v_cndmask_b32_e64 v13, 0, 4, vcc
	v_add_lshl_u32 v74, v13, v64, 2
	ds_bpermute_b32 v13, v74, v12
	v_cmp_le_u32_e32 vcc, v75, v10
	v_add_u32_e32 v79, 16, v70
	v_add_u32_e32 v81, 32, v70
	s_waitcnt lgkmcnt(0)
	v_cndmask_b32_e32 v13, 0, v13, vcc
	v_cmp_gt_u32_e32 vcc, 56, v70
	v_add_u32_e32 v12, v12, v13
	v_cndmask_b32_e64 v13, 0, 8, vcc
	v_add_lshl_u32 v76, v13, v64, 2
	ds_bpermute_b32 v13, v76, v12
	v_cmp_le_u32_e32 vcc, v77, v10
	s_waitcnt lgkmcnt(0)
	v_cndmask_b32_e32 v13, 0, v13, vcc
	v_cmp_gt_u32_e32 vcc, 48, v70
	v_add_u32_e32 v12, v12, v13
	v_cndmask_b32_e64 v13, 0, 16, vcc
	v_add_lshl_u32 v78, v13, v64, 2
	ds_bpermute_b32 v13, v78, v12
	v_cmp_le_u32_e32 vcc, v79, v10
	s_waitcnt lgkmcnt(0)
	v_cndmask_b32_e32 v13, 0, v13, vcc
	v_add_u32_e32 v12, v12, v13
	v_mov_b32_e32 v13, 0x80
	v_lshl_or_b32 v80, v64, 2, v13
	ds_bpermute_b32 v13, v80, v12
	v_cmp_le_u32_e32 vcc, v81, v10
	s_waitcnt lgkmcnt(0)
	v_cndmask_b32_e32 v10, 0, v13, vcc
	v_add_u32_e32 v13, v12, v10
	v_mov_b32_e32 v12, 0
	s_branch .LBB625_84
.LBB625_82:                             ;   in Loop: Header=BB625_84 Depth=1
	s_or_b64 exec, exec, s[20:21]
	v_cmp_eq_u16_sdwa s[20:21], v14, v69 src0_sel:BYTE_0 src1_sel:DWORD
	v_and_b32_e32 v19, s21, v16
	v_or_b32_e32 v19, 0x80000000, v19
	ds_bpermute_b32 v82, v71, v13
	v_and_b32_e32 v20, s20, v15
	v_ffbl_b32_e32 v19, v19
	v_add_u32_e32 v19, 32, v19
	v_ffbl_b32_e32 v20, v20
	v_min_u32_e32 v19, v20, v19
	v_cmp_lt_u32_e32 vcc, v70, v19
	s_waitcnt lgkmcnt(0)
	v_cndmask_b32_e32 v20, 0, v82, vcc
	v_add_u32_e32 v13, v20, v13
	ds_bpermute_b32 v20, v72, v13
	v_cmp_le_u32_e32 vcc, v73, v19
	v_subrev_u32_e32 v11, 64, v11
	s_mov_b64 s[20:21], 0
	s_waitcnt lgkmcnt(0)
	v_cndmask_b32_e32 v20, 0, v20, vcc
	v_add_u32_e32 v13, v13, v20
	ds_bpermute_b32 v20, v74, v13
	v_cmp_le_u32_e32 vcc, v75, v19
	s_waitcnt lgkmcnt(0)
	v_cndmask_b32_e32 v20, 0, v20, vcc
	v_add_u32_e32 v13, v13, v20
	ds_bpermute_b32 v20, v76, v13
	v_cmp_le_u32_e32 vcc, v77, v19
	;; [unrolled: 5-line block ×4, first 2 shown]
	s_waitcnt lgkmcnt(0)
	v_cndmask_b32_e32 v19, 0, v20, vcc
	v_add3_u32 v13, v19, v10, v13
.LBB625_83:                             ;   in Loop: Header=BB625_84 Depth=1
	s_and_b64 vcc, exec, s[20:21]
	s_cbranch_vccnz .LBB625_90
.LBB625_84:                             ; =>This Loop Header: Depth=1
                                        ;     Child Loop BB625_87 Depth 2
	v_cmp_ne_u16_sdwa s[20:21], v14, v69 src0_sel:BYTE_0 src1_sel:DWORD
	v_mov_b32_e32 v10, v13
	s_cmp_lg_u64 s[20:21], exec
	s_mov_b64 s[20:21], -1
                                        ; implicit-def: $vgpr13
                                        ; implicit-def: $vgpr14
	s_cbranch_scc1 .LBB625_83
; %bb.85:                               ;   in Loop: Header=BB625_84 Depth=1
	v_lshlrev_b64 v[13:14], 3, v[11:12]
	v_mov_b32_e32 v20, s45
	v_add_co_u32_e32 v19, vcc, s44, v13
	v_addc_co_u32_e32 v20, vcc, v20, v14, vcc
	global_load_dwordx2 v[13:14], v[19:20], off glc
	s_waitcnt vmcnt(0)
	v_cmp_eq_u16_sdwa s[22:23], v14, v12 src0_sel:BYTE_0 src1_sel:DWORD
	s_and_saveexec_b64 s[20:21], s[22:23]
	s_cbranch_execz .LBB625_82
; %bb.86:                               ;   in Loop: Header=BB625_84 Depth=1
	s_mov_b64 s[22:23], 0
.LBB625_87:                             ;   Parent Loop BB625_84 Depth=1
                                        ; =>  This Inner Loop Header: Depth=2
	global_load_dwordx2 v[13:14], v[19:20], off glc
	s_waitcnt vmcnt(0)
	v_cmp_ne_u16_sdwa s[24:25], v14, v12 src0_sel:BYTE_0 src1_sel:DWORD
	s_or_b64 s[22:23], s[24:25], s[22:23]
	s_andn2_b64 exec, exec, s[22:23]
	s_cbranch_execnz .LBB625_87
; %bb.88:                               ;   in Loop: Header=BB625_84 Depth=1
	s_or_b64 exec, exec, s[22:23]
	s_branch .LBB625_82
.LBB625_89:
                                        ; implicit-def: $vgpr10
                                        ; implicit-def: $vgpr11
	s_cbranch_execnz .LBB625_95
	s_branch .LBB625_104
.LBB625_90:
	s_and_saveexec_b64 s[20:21], s[16:17]
	s_cbranch_execz .LBB625_92
; %bb.91:
	s_add_i32 s22, s33, 64
	s_mov_b32 s23, 0
	s_lshl_b64 s[22:23], s[22:23], 3
	s_add_u32 s22, s44, s22
	v_add_u32_e32 v11, v10, v9
	v_mov_b32_e32 v12, 2
	s_addc_u32 s23, s45, s23
	v_mov_b32_e32 v13, 0
	global_store_dwordx2 v13, v[11:12], s[22:23]
	ds_write_b64 v13, v[9:10] offset:6912
.LBB625_92:
	s_or_b64 exec, exec, s[20:21]
	s_and_b64 exec, exec, s[0:1]
; %bb.93:
	v_mov_b32_e32 v9, 0
	ds_write_b32 v9, v10 offset:8
.LBB625_94:
	s_or_b64 exec, exec, s[18:19]
	v_mov_b32_e32 v9, 0
	s_waitcnt vmcnt(0) lgkmcnt(0)
	s_barrier
	ds_read_b32 v11, v9 offset:8
	s_waitcnt lgkmcnt(0)
	s_barrier
	ds_read_b64 v[9:10], v9 offset:6912
	v_cndmask_b32_e64 v12, v68, v67, s[16:17]
	v_cndmask_b32_e64 v12, v12, 0, s[0:1]
	v_add_u32_e32 v11, v11, v12
	s_branch .LBB625_104
.LBB625_95:
	s_waitcnt lgkmcnt(0)
	v_mov_b32_dpp v9, v66 row_shr:1 row_mask:0xf bank_mask:0xf
	v_cndmask_b32_e64 v9, v9, 0, s[14:15]
	v_add_u32_e32 v9, v9, v66
	s_nop 1
	v_mov_b32_dpp v10, v9 row_shr:2 row_mask:0xf bank_mask:0xf
	v_cndmask_b32_e64 v10, 0, v10, s[12:13]
	v_add_u32_e32 v9, v9, v10
	s_nop 1
	;; [unrolled: 4-line block ×4, first 2 shown]
	v_mov_b32_dpp v10, v9 row_bcast:15 row_mask:0xf bank_mask:0xf
	v_cndmask_b32_e64 v10, v10, 0, s[4:5]
	v_add_u32_e32 v9, v9, v10
	s_nop 1
	v_mov_b32_dpp v10, v9 row_bcast:31 row_mask:0xf bank_mask:0xf
	v_cndmask_b32_e64 v10, 0, v10, s[2:3]
	v_add_u32_e32 v9, v9, v10
	s_and_saveexec_b64 s[2:3], s[6:7]
; %bb.96:
	v_lshlrev_b32_e32 v10, 2, v65
	ds_write_b32 v10, v9
; %bb.97:
	s_or_b64 exec, exec, s[2:3]
	v_cmp_gt_u32_e32 vcc, 3, v0
	s_waitcnt lgkmcnt(0)
	s_barrier
	s_and_saveexec_b64 s[2:3], vcc
	s_cbranch_execz .LBB625_99
; %bb.98:
	v_lshlrev_b32_e32 v10, 2, v0
	ds_read_b32 v11, v10
	v_and_b32_e32 v12, 3, v64
	v_cmp_ne_u32_e32 vcc, 0, v12
	s_waitcnt lgkmcnt(0)
	v_mov_b32_dpp v13, v11 row_shr:1 row_mask:0xf bank_mask:0xf
	v_cndmask_b32_e32 v13, 0, v13, vcc
	v_add_u32_e32 v11, v13, v11
	v_cmp_lt_u32_e32 vcc, 1, v12
	s_nop 0
	v_mov_b32_dpp v13, v11 row_shr:2 row_mask:0xf bank_mask:0xf
	v_cndmask_b32_e32 v12, 0, v13, vcc
	v_add_u32_e32 v11, v11, v12
	ds_write_b32 v10, v11
.LBB625_99:
	s_or_b64 exec, exec, s[2:3]
	v_cmp_lt_u32_e32 vcc, 63, v0
	v_mov_b32_e32 v10, 0
	v_mov_b32_e32 v0, 0
	s_waitcnt lgkmcnt(0)
	s_barrier
	s_and_saveexec_b64 s[2:3], vcc
; %bb.100:
	v_lshl_add_u32 v0, v65, 2, -4
	ds_read_b32 v0, v0
; %bb.101:
	s_or_b64 exec, exec, s[2:3]
	v_subrev_co_u32_e32 v11, vcc, 1, v64
	v_and_b32_e32 v12, 64, v64
	v_cmp_lt_i32_e64 s[2:3], v11, v12
	v_cndmask_b32_e64 v11, v11, v64, s[2:3]
	s_waitcnt lgkmcnt(0)
	v_add_u32_e32 v9, v0, v9
	v_lshlrev_b32_e32 v11, 2, v11
	ds_bpermute_b32 v11, v11, v9
	ds_read_b32 v9, v10 offset:8
	s_and_saveexec_b64 s[2:3], s[0:1]
	s_cbranch_execz .LBB625_103
; %bb.102:
	v_mov_b32_e32 v12, 0
	v_mov_b32_e32 v10, 2
	s_waitcnt lgkmcnt(0)
	global_store_dwordx2 v12, v[9:10], s[44:45] offset:512
.LBB625_103:
	s_or_b64 exec, exec, s[2:3]
	s_waitcnt lgkmcnt(1)
	v_cndmask_b32_e32 v0, v11, v0, vcc
	v_cndmask_b32_e64 v11, v0, 0, s[0:1]
	s_waitcnt vmcnt(0) lgkmcnt(0)
	s_barrier
	v_mov_b32_e32 v10, 0
.LBB625_104:
	s_movk_i32 s2, 0xc1
	s_waitcnt lgkmcnt(0)
	v_cmp_gt_u32_e32 vcc, s2, v9
	s_cbranch_vccz .LBB625_107
; %bb.105:
	s_and_b64 s[0:1], s[0:1], s[42:43]
	s_and_saveexec_b64 s[2:3], s[0:1]
	s_cbranch_execnz .LBB625_144
.LBB625_106:
	s_endpgm
.LBB625_107:
	v_and_b32_e32 v0, 1, v52
	v_cmp_eq_u32_e32 vcc, 1, v0
	s_and_saveexec_b64 s[2:3], vcc
; %bb.108:
	v_sub_u32_e32 v0, v11, v10
	v_lshlrev_b32_e32 v0, 1, v0
	ds_write_b16 v0, v7
; %bb.109:
	s_or_b64 exec, exec, s[2:3]
	v_and_b32_e32 v7, 1, v47
	v_add_u32_e32 v0, v11, v63
	v_cmp_eq_u32_e32 vcc, 1, v7
	s_and_saveexec_b64 s[2:3], vcc
; %bb.110:
	v_sub_u32_e32 v7, v0, v10
	v_lshlrev_b32_e32 v7, 1, v7
	ds_write_b16 v7, v30
; %bb.111:
	s_or_b64 exec, exec, s[2:3]
	v_and_b32_e32 v7, 1, v46
	v_add_u32_e32 v0, v0, v62
	;; [unrolled: 10-line block ×7, first 2 shown]
	v_cmp_eq_u32_e32 vcc, 1, v5
	s_and_saveexec_b64 s[2:3], vcc
; %bb.122:
	v_sub_u32_e32 v5, v0, v10
	v_lshlrev_b32_e32 v5, 1, v5
	ds_write_b16 v5, v27
; %bb.123:
	s_or_b64 exec, exec, s[2:3]
	v_and_b32_e32 v5, 1, v40
	v_add_u32_sdwa v0, v0, v41 dst_sel:DWORD dst_unused:UNUSED_PAD src0_sel:DWORD src1_sel:BYTE_0
	v_cmp_eq_u32_e32 vcc, 1, v5
	s_and_saveexec_b64 s[2:3], vcc
; %bb.124:
	v_sub_u32_e32 v5, v0, v10
	v_lshlrev_b32_e32 v5, 1, v5
	ds_write_b16 v5, v3
; %bb.125:
	s_or_b64 exec, exec, s[2:3]
	v_and_b32_e32 v3, 1, v39
	v_add_u32_sdwa v0, v0, v40 dst_sel:DWORD dst_unused:UNUSED_PAD src0_sel:DWORD src1_sel:BYTE_0
	v_cmp_eq_u32_e32 vcc, 1, v3
	s_and_saveexec_b64 s[2:3], vcc
; %bb.126:
	v_sub_u32_e32 v3, v0, v10
	v_lshlrev_b32_e32 v3, 1, v3
	ds_write_b16 v3, v26
; %bb.127:
	s_or_b64 exec, exec, s[2:3]
	v_and_b32_e32 v3, 1, v38
	v_add_u32_e32 v0, v0, v56
	v_cmp_eq_u32_e32 vcc, 1, v3
	s_and_saveexec_b64 s[2:3], vcc
; %bb.128:
	v_sub_u32_e32 v3, v0, v10
	v_lshlrev_b32_e32 v3, 1, v3
	ds_write_b16 v3, v4
; %bb.129:
	s_or_b64 exec, exec, s[2:3]
	v_and_b32_e32 v3, 1, v37
	v_add_u32_e32 v0, v0, v55
	v_cmp_eq_u32_e32 vcc, 1, v3
	s_and_saveexec_b64 s[2:3], vcc
; %bb.130:
	v_sub_u32_e32 v3, v0, v10
	v_lshlrev_b32_e32 v3, 1, v3
	ds_write_b16 v3, v25
; %bb.131:
	s_or_b64 exec, exec, s[2:3]
	v_and_b32_e32 v3, 1, v36
	v_add_u32_e32 v0, v0, v54
	v_cmp_eq_u32_e32 vcc, 1, v3
	s_and_saveexec_b64 s[2:3], vcc
; %bb.132:
	v_sub_u32_e32 v3, v0, v10
	v_lshlrev_b32_e32 v3, 1, v3
	ds_write_b16 v3, v1
; %bb.133:
	s_or_b64 exec, exec, s[2:3]
	v_and_b32_e32 v1, 1, v35
	v_add_u32_e32 v0, v0, v53
	v_cmp_eq_u32_e32 vcc, 1, v1
	s_and_saveexec_b64 s[2:3], vcc
; %bb.134:
	v_sub_u32_e32 v1, v0, v10
	v_lshlrev_b32_e32 v1, 1, v1
	ds_write_b16 v1, v24
; %bb.135:
	s_or_b64 exec, exec, s[2:3]
	v_and_b32_e32 v1, 1, v34
	v_add_u32_e32 v0, v0, v51
	v_cmp_eq_u32_e32 vcc, 1, v1
	s_and_saveexec_b64 s[2:3], vcc
; %bb.136:
	v_sub_u32_e32 v1, v0, v10
	v_lshlrev_b32_e32 v1, 1, v1
	ds_write_b16 v1, v2
; %bb.137:
	s_or_b64 exec, exec, s[2:3]
	v_and_b32_e32 v1, 1, v33
	v_add_u32_e32 v0, v0, v50
	v_cmp_eq_u32_e32 vcc, 1, v1
	s_and_saveexec_b64 s[2:3], vcc
; %bb.138:
	v_sub_u32_e32 v1, v0, v10
	v_lshlrev_b32_e32 v1, 1, v1
	ds_write_b16 v1, v23
; %bb.139:
	s_or_b64 exec, exec, s[2:3]
	v_and_b32_e32 v1, 1, v32
	v_add_u32_e32 v0, v0, v49
	v_cmp_eq_u32_e32 vcc, 1, v1
	s_and_saveexec_b64 s[2:3], vcc
; %bb.140:
	v_sub_u32_e32 v1, v0, v10
	v_lshlrev_b32_e32 v1, 1, v1
	ds_write_b16 v1, v22
; %bb.141:
	s_or_b64 exec, exec, s[2:3]
	v_and_b32_e32 v1, 1, v31
	v_cmp_eq_u32_e32 vcc, 1, v1
	s_and_saveexec_b64 s[2:3], vcc
; %bb.142:
	v_sub_u32_e32 v1, v48, v10
	v_lshlrev_b32_e32 v0, 1, v0
	v_lshl_add_u32 v0, v1, 1, v0
	ds_write_b16 v0, v21
; %bb.143:
	s_or_b64 exec, exec, s[2:3]
	s_waitcnt lgkmcnt(0)
	s_barrier
	s_and_b64 s[0:1], s[0:1], s[42:43]
	s_and_saveexec_b64 s[2:3], s[0:1]
	s_cbranch_execz .LBB625_106
.LBB625_144:
	v_add_co_u32_e32 v0, vcc, v17, v9
	v_addc_co_u32_e32 v1, vcc, 0, v18, vcc
	v_add_co_u32_e32 v0, vcc, v0, v10
	v_mov_b32_e32 v2, 0
	v_addc_co_u32_e32 v1, vcc, 0, v1, vcc
	global_store_dwordx2 v2, v[0:1], s[40:41]
	s_endpgm
	.section	.rodata,"a",@progbits
	.p2align	6, 0x0
	.amdhsa_kernel _ZN7rocprim17ROCPRIM_400000_NS6detail17trampoline_kernelINS0_14default_configENS1_25partition_config_selectorILNS1_17partition_subalgoE8EtNS0_10empty_typeEbEEZZNS1_14partition_implILS5_8ELb0ES3_jN6thrust23THRUST_200600_302600_NS6detail15normal_iteratorINSA_10device_ptrItEEEEPS6_PKS6_NS0_5tupleIJNSA_16discard_iteratorINSA_11use_defaultEEES6_EEENSJ_IJSG_SG_EEENS0_18inequality_wrapperINSA_8equal_toItEEEEPmJS6_EEE10hipError_tPvRmT3_T4_T5_T6_T7_T9_mT8_P12ihipStream_tbDpT10_ENKUlT_T0_E_clISt17integral_constantIbLb0EES1C_IbLb1EEEEDaS18_S19_EUlS18_E_NS1_11comp_targetILNS1_3genE2ELNS1_11target_archE906ELNS1_3gpuE6ELNS1_3repE0EEENS1_30default_config_static_selectorELNS0_4arch9wavefront6targetE1EEEvT1_
		.amdhsa_group_segment_fixed_size 6920
		.amdhsa_private_segment_fixed_size 0
		.amdhsa_kernarg_size 136
		.amdhsa_user_sgpr_count 6
		.amdhsa_user_sgpr_private_segment_buffer 1
		.amdhsa_user_sgpr_dispatch_ptr 0
		.amdhsa_user_sgpr_queue_ptr 0
		.amdhsa_user_sgpr_kernarg_segment_ptr 1
		.amdhsa_user_sgpr_dispatch_id 0
		.amdhsa_user_sgpr_flat_scratch_init 0
		.amdhsa_user_sgpr_private_segment_size 0
		.amdhsa_uses_dynamic_stack 0
		.amdhsa_system_sgpr_private_segment_wavefront_offset 0
		.amdhsa_system_sgpr_workgroup_id_x 1
		.amdhsa_system_sgpr_workgroup_id_y 0
		.amdhsa_system_sgpr_workgroup_id_z 0
		.amdhsa_system_sgpr_workgroup_info 0
		.amdhsa_system_vgpr_workitem_id 0
		.amdhsa_next_free_vgpr 83
		.amdhsa_next_free_sgpr 77
		.amdhsa_reserve_vcc 1
		.amdhsa_reserve_flat_scratch 0
		.amdhsa_float_round_mode_32 0
		.amdhsa_float_round_mode_16_64 0
		.amdhsa_float_denorm_mode_32 3
		.amdhsa_float_denorm_mode_16_64 3
		.amdhsa_dx10_clamp 1
		.amdhsa_ieee_mode 1
		.amdhsa_fp16_overflow 0
		.amdhsa_exception_fp_ieee_invalid_op 0
		.amdhsa_exception_fp_denorm_src 0
		.amdhsa_exception_fp_ieee_div_zero 0
		.amdhsa_exception_fp_ieee_overflow 0
		.amdhsa_exception_fp_ieee_underflow 0
		.amdhsa_exception_fp_ieee_inexact 0
		.amdhsa_exception_int_div_zero 0
	.end_amdhsa_kernel
	.section	.text._ZN7rocprim17ROCPRIM_400000_NS6detail17trampoline_kernelINS0_14default_configENS1_25partition_config_selectorILNS1_17partition_subalgoE8EtNS0_10empty_typeEbEEZZNS1_14partition_implILS5_8ELb0ES3_jN6thrust23THRUST_200600_302600_NS6detail15normal_iteratorINSA_10device_ptrItEEEEPS6_PKS6_NS0_5tupleIJNSA_16discard_iteratorINSA_11use_defaultEEES6_EEENSJ_IJSG_SG_EEENS0_18inequality_wrapperINSA_8equal_toItEEEEPmJS6_EEE10hipError_tPvRmT3_T4_T5_T6_T7_T9_mT8_P12ihipStream_tbDpT10_ENKUlT_T0_E_clISt17integral_constantIbLb0EES1C_IbLb1EEEEDaS18_S19_EUlS18_E_NS1_11comp_targetILNS1_3genE2ELNS1_11target_archE906ELNS1_3gpuE6ELNS1_3repE0EEENS1_30default_config_static_selectorELNS0_4arch9wavefront6targetE1EEEvT1_,"axG",@progbits,_ZN7rocprim17ROCPRIM_400000_NS6detail17trampoline_kernelINS0_14default_configENS1_25partition_config_selectorILNS1_17partition_subalgoE8EtNS0_10empty_typeEbEEZZNS1_14partition_implILS5_8ELb0ES3_jN6thrust23THRUST_200600_302600_NS6detail15normal_iteratorINSA_10device_ptrItEEEEPS6_PKS6_NS0_5tupleIJNSA_16discard_iteratorINSA_11use_defaultEEES6_EEENSJ_IJSG_SG_EEENS0_18inequality_wrapperINSA_8equal_toItEEEEPmJS6_EEE10hipError_tPvRmT3_T4_T5_T6_T7_T9_mT8_P12ihipStream_tbDpT10_ENKUlT_T0_E_clISt17integral_constantIbLb0EES1C_IbLb1EEEEDaS18_S19_EUlS18_E_NS1_11comp_targetILNS1_3genE2ELNS1_11target_archE906ELNS1_3gpuE6ELNS1_3repE0EEENS1_30default_config_static_selectorELNS0_4arch9wavefront6targetE1EEEvT1_,comdat
.Lfunc_end625:
	.size	_ZN7rocprim17ROCPRIM_400000_NS6detail17trampoline_kernelINS0_14default_configENS1_25partition_config_selectorILNS1_17partition_subalgoE8EtNS0_10empty_typeEbEEZZNS1_14partition_implILS5_8ELb0ES3_jN6thrust23THRUST_200600_302600_NS6detail15normal_iteratorINSA_10device_ptrItEEEEPS6_PKS6_NS0_5tupleIJNSA_16discard_iteratorINSA_11use_defaultEEES6_EEENSJ_IJSG_SG_EEENS0_18inequality_wrapperINSA_8equal_toItEEEEPmJS6_EEE10hipError_tPvRmT3_T4_T5_T6_T7_T9_mT8_P12ihipStream_tbDpT10_ENKUlT_T0_E_clISt17integral_constantIbLb0EES1C_IbLb1EEEEDaS18_S19_EUlS18_E_NS1_11comp_targetILNS1_3genE2ELNS1_11target_archE906ELNS1_3gpuE6ELNS1_3repE0EEENS1_30default_config_static_selectorELNS0_4arch9wavefront6targetE1EEEvT1_, .Lfunc_end625-_ZN7rocprim17ROCPRIM_400000_NS6detail17trampoline_kernelINS0_14default_configENS1_25partition_config_selectorILNS1_17partition_subalgoE8EtNS0_10empty_typeEbEEZZNS1_14partition_implILS5_8ELb0ES3_jN6thrust23THRUST_200600_302600_NS6detail15normal_iteratorINSA_10device_ptrItEEEEPS6_PKS6_NS0_5tupleIJNSA_16discard_iteratorINSA_11use_defaultEEES6_EEENSJ_IJSG_SG_EEENS0_18inequality_wrapperINSA_8equal_toItEEEEPmJS6_EEE10hipError_tPvRmT3_T4_T5_T6_T7_T9_mT8_P12ihipStream_tbDpT10_ENKUlT_T0_E_clISt17integral_constantIbLb0EES1C_IbLb1EEEEDaS18_S19_EUlS18_E_NS1_11comp_targetILNS1_3genE2ELNS1_11target_archE906ELNS1_3gpuE6ELNS1_3repE0EEENS1_30default_config_static_selectorELNS0_4arch9wavefront6targetE1EEEvT1_
                                        ; -- End function
	.set _ZN7rocprim17ROCPRIM_400000_NS6detail17trampoline_kernelINS0_14default_configENS1_25partition_config_selectorILNS1_17partition_subalgoE8EtNS0_10empty_typeEbEEZZNS1_14partition_implILS5_8ELb0ES3_jN6thrust23THRUST_200600_302600_NS6detail15normal_iteratorINSA_10device_ptrItEEEEPS6_PKS6_NS0_5tupleIJNSA_16discard_iteratorINSA_11use_defaultEEES6_EEENSJ_IJSG_SG_EEENS0_18inequality_wrapperINSA_8equal_toItEEEEPmJS6_EEE10hipError_tPvRmT3_T4_T5_T6_T7_T9_mT8_P12ihipStream_tbDpT10_ENKUlT_T0_E_clISt17integral_constantIbLb0EES1C_IbLb1EEEEDaS18_S19_EUlS18_E_NS1_11comp_targetILNS1_3genE2ELNS1_11target_archE906ELNS1_3gpuE6ELNS1_3repE0EEENS1_30default_config_static_selectorELNS0_4arch9wavefront6targetE1EEEvT1_.num_vgpr, 83
	.set _ZN7rocprim17ROCPRIM_400000_NS6detail17trampoline_kernelINS0_14default_configENS1_25partition_config_selectorILNS1_17partition_subalgoE8EtNS0_10empty_typeEbEEZZNS1_14partition_implILS5_8ELb0ES3_jN6thrust23THRUST_200600_302600_NS6detail15normal_iteratorINSA_10device_ptrItEEEEPS6_PKS6_NS0_5tupleIJNSA_16discard_iteratorINSA_11use_defaultEEES6_EEENSJ_IJSG_SG_EEENS0_18inequality_wrapperINSA_8equal_toItEEEEPmJS6_EEE10hipError_tPvRmT3_T4_T5_T6_T7_T9_mT8_P12ihipStream_tbDpT10_ENKUlT_T0_E_clISt17integral_constantIbLb0EES1C_IbLb1EEEEDaS18_S19_EUlS18_E_NS1_11comp_targetILNS1_3genE2ELNS1_11target_archE906ELNS1_3gpuE6ELNS1_3repE0EEENS1_30default_config_static_selectorELNS0_4arch9wavefront6targetE1EEEvT1_.num_agpr, 0
	.set _ZN7rocprim17ROCPRIM_400000_NS6detail17trampoline_kernelINS0_14default_configENS1_25partition_config_selectorILNS1_17partition_subalgoE8EtNS0_10empty_typeEbEEZZNS1_14partition_implILS5_8ELb0ES3_jN6thrust23THRUST_200600_302600_NS6detail15normal_iteratorINSA_10device_ptrItEEEEPS6_PKS6_NS0_5tupleIJNSA_16discard_iteratorINSA_11use_defaultEEES6_EEENSJ_IJSG_SG_EEENS0_18inequality_wrapperINSA_8equal_toItEEEEPmJS6_EEE10hipError_tPvRmT3_T4_T5_T6_T7_T9_mT8_P12ihipStream_tbDpT10_ENKUlT_T0_E_clISt17integral_constantIbLb0EES1C_IbLb1EEEEDaS18_S19_EUlS18_E_NS1_11comp_targetILNS1_3genE2ELNS1_11target_archE906ELNS1_3gpuE6ELNS1_3repE0EEENS1_30default_config_static_selectorELNS0_4arch9wavefront6targetE1EEEvT1_.numbered_sgpr, 57
	.set _ZN7rocprim17ROCPRIM_400000_NS6detail17trampoline_kernelINS0_14default_configENS1_25partition_config_selectorILNS1_17partition_subalgoE8EtNS0_10empty_typeEbEEZZNS1_14partition_implILS5_8ELb0ES3_jN6thrust23THRUST_200600_302600_NS6detail15normal_iteratorINSA_10device_ptrItEEEEPS6_PKS6_NS0_5tupleIJNSA_16discard_iteratorINSA_11use_defaultEEES6_EEENSJ_IJSG_SG_EEENS0_18inequality_wrapperINSA_8equal_toItEEEEPmJS6_EEE10hipError_tPvRmT3_T4_T5_T6_T7_T9_mT8_P12ihipStream_tbDpT10_ENKUlT_T0_E_clISt17integral_constantIbLb0EES1C_IbLb1EEEEDaS18_S19_EUlS18_E_NS1_11comp_targetILNS1_3genE2ELNS1_11target_archE906ELNS1_3gpuE6ELNS1_3repE0EEENS1_30default_config_static_selectorELNS0_4arch9wavefront6targetE1EEEvT1_.num_named_barrier, 0
	.set _ZN7rocprim17ROCPRIM_400000_NS6detail17trampoline_kernelINS0_14default_configENS1_25partition_config_selectorILNS1_17partition_subalgoE8EtNS0_10empty_typeEbEEZZNS1_14partition_implILS5_8ELb0ES3_jN6thrust23THRUST_200600_302600_NS6detail15normal_iteratorINSA_10device_ptrItEEEEPS6_PKS6_NS0_5tupleIJNSA_16discard_iteratorINSA_11use_defaultEEES6_EEENSJ_IJSG_SG_EEENS0_18inequality_wrapperINSA_8equal_toItEEEEPmJS6_EEE10hipError_tPvRmT3_T4_T5_T6_T7_T9_mT8_P12ihipStream_tbDpT10_ENKUlT_T0_E_clISt17integral_constantIbLb0EES1C_IbLb1EEEEDaS18_S19_EUlS18_E_NS1_11comp_targetILNS1_3genE2ELNS1_11target_archE906ELNS1_3gpuE6ELNS1_3repE0EEENS1_30default_config_static_selectorELNS0_4arch9wavefront6targetE1EEEvT1_.private_seg_size, 0
	.set _ZN7rocprim17ROCPRIM_400000_NS6detail17trampoline_kernelINS0_14default_configENS1_25partition_config_selectorILNS1_17partition_subalgoE8EtNS0_10empty_typeEbEEZZNS1_14partition_implILS5_8ELb0ES3_jN6thrust23THRUST_200600_302600_NS6detail15normal_iteratorINSA_10device_ptrItEEEEPS6_PKS6_NS0_5tupleIJNSA_16discard_iteratorINSA_11use_defaultEEES6_EEENSJ_IJSG_SG_EEENS0_18inequality_wrapperINSA_8equal_toItEEEEPmJS6_EEE10hipError_tPvRmT3_T4_T5_T6_T7_T9_mT8_P12ihipStream_tbDpT10_ENKUlT_T0_E_clISt17integral_constantIbLb0EES1C_IbLb1EEEEDaS18_S19_EUlS18_E_NS1_11comp_targetILNS1_3genE2ELNS1_11target_archE906ELNS1_3gpuE6ELNS1_3repE0EEENS1_30default_config_static_selectorELNS0_4arch9wavefront6targetE1EEEvT1_.uses_vcc, 1
	.set _ZN7rocprim17ROCPRIM_400000_NS6detail17trampoline_kernelINS0_14default_configENS1_25partition_config_selectorILNS1_17partition_subalgoE8EtNS0_10empty_typeEbEEZZNS1_14partition_implILS5_8ELb0ES3_jN6thrust23THRUST_200600_302600_NS6detail15normal_iteratorINSA_10device_ptrItEEEEPS6_PKS6_NS0_5tupleIJNSA_16discard_iteratorINSA_11use_defaultEEES6_EEENSJ_IJSG_SG_EEENS0_18inequality_wrapperINSA_8equal_toItEEEEPmJS6_EEE10hipError_tPvRmT3_T4_T5_T6_T7_T9_mT8_P12ihipStream_tbDpT10_ENKUlT_T0_E_clISt17integral_constantIbLb0EES1C_IbLb1EEEEDaS18_S19_EUlS18_E_NS1_11comp_targetILNS1_3genE2ELNS1_11target_archE906ELNS1_3gpuE6ELNS1_3repE0EEENS1_30default_config_static_selectorELNS0_4arch9wavefront6targetE1EEEvT1_.uses_flat_scratch, 0
	.set _ZN7rocprim17ROCPRIM_400000_NS6detail17trampoline_kernelINS0_14default_configENS1_25partition_config_selectorILNS1_17partition_subalgoE8EtNS0_10empty_typeEbEEZZNS1_14partition_implILS5_8ELb0ES3_jN6thrust23THRUST_200600_302600_NS6detail15normal_iteratorINSA_10device_ptrItEEEEPS6_PKS6_NS0_5tupleIJNSA_16discard_iteratorINSA_11use_defaultEEES6_EEENSJ_IJSG_SG_EEENS0_18inequality_wrapperINSA_8equal_toItEEEEPmJS6_EEE10hipError_tPvRmT3_T4_T5_T6_T7_T9_mT8_P12ihipStream_tbDpT10_ENKUlT_T0_E_clISt17integral_constantIbLb0EES1C_IbLb1EEEEDaS18_S19_EUlS18_E_NS1_11comp_targetILNS1_3genE2ELNS1_11target_archE906ELNS1_3gpuE6ELNS1_3repE0EEENS1_30default_config_static_selectorELNS0_4arch9wavefront6targetE1EEEvT1_.has_dyn_sized_stack, 0
	.set _ZN7rocprim17ROCPRIM_400000_NS6detail17trampoline_kernelINS0_14default_configENS1_25partition_config_selectorILNS1_17partition_subalgoE8EtNS0_10empty_typeEbEEZZNS1_14partition_implILS5_8ELb0ES3_jN6thrust23THRUST_200600_302600_NS6detail15normal_iteratorINSA_10device_ptrItEEEEPS6_PKS6_NS0_5tupleIJNSA_16discard_iteratorINSA_11use_defaultEEES6_EEENSJ_IJSG_SG_EEENS0_18inequality_wrapperINSA_8equal_toItEEEEPmJS6_EEE10hipError_tPvRmT3_T4_T5_T6_T7_T9_mT8_P12ihipStream_tbDpT10_ENKUlT_T0_E_clISt17integral_constantIbLb0EES1C_IbLb1EEEEDaS18_S19_EUlS18_E_NS1_11comp_targetILNS1_3genE2ELNS1_11target_archE906ELNS1_3gpuE6ELNS1_3repE0EEENS1_30default_config_static_selectorELNS0_4arch9wavefront6targetE1EEEvT1_.has_recursion, 0
	.set _ZN7rocprim17ROCPRIM_400000_NS6detail17trampoline_kernelINS0_14default_configENS1_25partition_config_selectorILNS1_17partition_subalgoE8EtNS0_10empty_typeEbEEZZNS1_14partition_implILS5_8ELb0ES3_jN6thrust23THRUST_200600_302600_NS6detail15normal_iteratorINSA_10device_ptrItEEEEPS6_PKS6_NS0_5tupleIJNSA_16discard_iteratorINSA_11use_defaultEEES6_EEENSJ_IJSG_SG_EEENS0_18inequality_wrapperINSA_8equal_toItEEEEPmJS6_EEE10hipError_tPvRmT3_T4_T5_T6_T7_T9_mT8_P12ihipStream_tbDpT10_ENKUlT_T0_E_clISt17integral_constantIbLb0EES1C_IbLb1EEEEDaS18_S19_EUlS18_E_NS1_11comp_targetILNS1_3genE2ELNS1_11target_archE906ELNS1_3gpuE6ELNS1_3repE0EEENS1_30default_config_static_selectorELNS0_4arch9wavefront6targetE1EEEvT1_.has_indirect_call, 0
	.section	.AMDGPU.csdata,"",@progbits
; Kernel info:
; codeLenInByte = 6876
; TotalNumSgprs: 61
; NumVgprs: 83
; ScratchSize: 0
; MemoryBound: 0
; FloatMode: 240
; IeeeMode: 1
; LDSByteSize: 6920 bytes/workgroup (compile time only)
; SGPRBlocks: 10
; VGPRBlocks: 20
; NumSGPRsForWavesPerEU: 81
; NumVGPRsForWavesPerEU: 83
; Occupancy: 3
; WaveLimiterHint : 1
; COMPUTE_PGM_RSRC2:SCRATCH_EN: 0
; COMPUTE_PGM_RSRC2:USER_SGPR: 6
; COMPUTE_PGM_RSRC2:TRAP_HANDLER: 0
; COMPUTE_PGM_RSRC2:TGID_X_EN: 1
; COMPUTE_PGM_RSRC2:TGID_Y_EN: 0
; COMPUTE_PGM_RSRC2:TGID_Z_EN: 0
; COMPUTE_PGM_RSRC2:TIDIG_COMP_CNT: 0
	.section	.text._ZN7rocprim17ROCPRIM_400000_NS6detail17trampoline_kernelINS0_14default_configENS1_25partition_config_selectorILNS1_17partition_subalgoE8EtNS0_10empty_typeEbEEZZNS1_14partition_implILS5_8ELb0ES3_jN6thrust23THRUST_200600_302600_NS6detail15normal_iteratorINSA_10device_ptrItEEEEPS6_PKS6_NS0_5tupleIJNSA_16discard_iteratorINSA_11use_defaultEEES6_EEENSJ_IJSG_SG_EEENS0_18inequality_wrapperINSA_8equal_toItEEEEPmJS6_EEE10hipError_tPvRmT3_T4_T5_T6_T7_T9_mT8_P12ihipStream_tbDpT10_ENKUlT_T0_E_clISt17integral_constantIbLb0EES1C_IbLb1EEEEDaS18_S19_EUlS18_E_NS1_11comp_targetILNS1_3genE10ELNS1_11target_archE1200ELNS1_3gpuE4ELNS1_3repE0EEENS1_30default_config_static_selectorELNS0_4arch9wavefront6targetE1EEEvT1_,"axG",@progbits,_ZN7rocprim17ROCPRIM_400000_NS6detail17trampoline_kernelINS0_14default_configENS1_25partition_config_selectorILNS1_17partition_subalgoE8EtNS0_10empty_typeEbEEZZNS1_14partition_implILS5_8ELb0ES3_jN6thrust23THRUST_200600_302600_NS6detail15normal_iteratorINSA_10device_ptrItEEEEPS6_PKS6_NS0_5tupleIJNSA_16discard_iteratorINSA_11use_defaultEEES6_EEENSJ_IJSG_SG_EEENS0_18inequality_wrapperINSA_8equal_toItEEEEPmJS6_EEE10hipError_tPvRmT3_T4_T5_T6_T7_T9_mT8_P12ihipStream_tbDpT10_ENKUlT_T0_E_clISt17integral_constantIbLb0EES1C_IbLb1EEEEDaS18_S19_EUlS18_E_NS1_11comp_targetILNS1_3genE10ELNS1_11target_archE1200ELNS1_3gpuE4ELNS1_3repE0EEENS1_30default_config_static_selectorELNS0_4arch9wavefront6targetE1EEEvT1_,comdat
	.protected	_ZN7rocprim17ROCPRIM_400000_NS6detail17trampoline_kernelINS0_14default_configENS1_25partition_config_selectorILNS1_17partition_subalgoE8EtNS0_10empty_typeEbEEZZNS1_14partition_implILS5_8ELb0ES3_jN6thrust23THRUST_200600_302600_NS6detail15normal_iteratorINSA_10device_ptrItEEEEPS6_PKS6_NS0_5tupleIJNSA_16discard_iteratorINSA_11use_defaultEEES6_EEENSJ_IJSG_SG_EEENS0_18inequality_wrapperINSA_8equal_toItEEEEPmJS6_EEE10hipError_tPvRmT3_T4_T5_T6_T7_T9_mT8_P12ihipStream_tbDpT10_ENKUlT_T0_E_clISt17integral_constantIbLb0EES1C_IbLb1EEEEDaS18_S19_EUlS18_E_NS1_11comp_targetILNS1_3genE10ELNS1_11target_archE1200ELNS1_3gpuE4ELNS1_3repE0EEENS1_30default_config_static_selectorELNS0_4arch9wavefront6targetE1EEEvT1_ ; -- Begin function _ZN7rocprim17ROCPRIM_400000_NS6detail17trampoline_kernelINS0_14default_configENS1_25partition_config_selectorILNS1_17partition_subalgoE8EtNS0_10empty_typeEbEEZZNS1_14partition_implILS5_8ELb0ES3_jN6thrust23THRUST_200600_302600_NS6detail15normal_iteratorINSA_10device_ptrItEEEEPS6_PKS6_NS0_5tupleIJNSA_16discard_iteratorINSA_11use_defaultEEES6_EEENSJ_IJSG_SG_EEENS0_18inequality_wrapperINSA_8equal_toItEEEEPmJS6_EEE10hipError_tPvRmT3_T4_T5_T6_T7_T9_mT8_P12ihipStream_tbDpT10_ENKUlT_T0_E_clISt17integral_constantIbLb0EES1C_IbLb1EEEEDaS18_S19_EUlS18_E_NS1_11comp_targetILNS1_3genE10ELNS1_11target_archE1200ELNS1_3gpuE4ELNS1_3repE0EEENS1_30default_config_static_selectorELNS0_4arch9wavefront6targetE1EEEvT1_
	.globl	_ZN7rocprim17ROCPRIM_400000_NS6detail17trampoline_kernelINS0_14default_configENS1_25partition_config_selectorILNS1_17partition_subalgoE8EtNS0_10empty_typeEbEEZZNS1_14partition_implILS5_8ELb0ES3_jN6thrust23THRUST_200600_302600_NS6detail15normal_iteratorINSA_10device_ptrItEEEEPS6_PKS6_NS0_5tupleIJNSA_16discard_iteratorINSA_11use_defaultEEES6_EEENSJ_IJSG_SG_EEENS0_18inequality_wrapperINSA_8equal_toItEEEEPmJS6_EEE10hipError_tPvRmT3_T4_T5_T6_T7_T9_mT8_P12ihipStream_tbDpT10_ENKUlT_T0_E_clISt17integral_constantIbLb0EES1C_IbLb1EEEEDaS18_S19_EUlS18_E_NS1_11comp_targetILNS1_3genE10ELNS1_11target_archE1200ELNS1_3gpuE4ELNS1_3repE0EEENS1_30default_config_static_selectorELNS0_4arch9wavefront6targetE1EEEvT1_
	.p2align	8
	.type	_ZN7rocprim17ROCPRIM_400000_NS6detail17trampoline_kernelINS0_14default_configENS1_25partition_config_selectorILNS1_17partition_subalgoE8EtNS0_10empty_typeEbEEZZNS1_14partition_implILS5_8ELb0ES3_jN6thrust23THRUST_200600_302600_NS6detail15normal_iteratorINSA_10device_ptrItEEEEPS6_PKS6_NS0_5tupleIJNSA_16discard_iteratorINSA_11use_defaultEEES6_EEENSJ_IJSG_SG_EEENS0_18inequality_wrapperINSA_8equal_toItEEEEPmJS6_EEE10hipError_tPvRmT3_T4_T5_T6_T7_T9_mT8_P12ihipStream_tbDpT10_ENKUlT_T0_E_clISt17integral_constantIbLb0EES1C_IbLb1EEEEDaS18_S19_EUlS18_E_NS1_11comp_targetILNS1_3genE10ELNS1_11target_archE1200ELNS1_3gpuE4ELNS1_3repE0EEENS1_30default_config_static_selectorELNS0_4arch9wavefront6targetE1EEEvT1_,@function
_ZN7rocprim17ROCPRIM_400000_NS6detail17trampoline_kernelINS0_14default_configENS1_25partition_config_selectorILNS1_17partition_subalgoE8EtNS0_10empty_typeEbEEZZNS1_14partition_implILS5_8ELb0ES3_jN6thrust23THRUST_200600_302600_NS6detail15normal_iteratorINSA_10device_ptrItEEEEPS6_PKS6_NS0_5tupleIJNSA_16discard_iteratorINSA_11use_defaultEEES6_EEENSJ_IJSG_SG_EEENS0_18inequality_wrapperINSA_8equal_toItEEEEPmJS6_EEE10hipError_tPvRmT3_T4_T5_T6_T7_T9_mT8_P12ihipStream_tbDpT10_ENKUlT_T0_E_clISt17integral_constantIbLb0EES1C_IbLb1EEEEDaS18_S19_EUlS18_E_NS1_11comp_targetILNS1_3genE10ELNS1_11target_archE1200ELNS1_3gpuE4ELNS1_3repE0EEENS1_30default_config_static_selectorELNS0_4arch9wavefront6targetE1EEEvT1_: ; @_ZN7rocprim17ROCPRIM_400000_NS6detail17trampoline_kernelINS0_14default_configENS1_25partition_config_selectorILNS1_17partition_subalgoE8EtNS0_10empty_typeEbEEZZNS1_14partition_implILS5_8ELb0ES3_jN6thrust23THRUST_200600_302600_NS6detail15normal_iteratorINSA_10device_ptrItEEEEPS6_PKS6_NS0_5tupleIJNSA_16discard_iteratorINSA_11use_defaultEEES6_EEENSJ_IJSG_SG_EEENS0_18inequality_wrapperINSA_8equal_toItEEEEPmJS6_EEE10hipError_tPvRmT3_T4_T5_T6_T7_T9_mT8_P12ihipStream_tbDpT10_ENKUlT_T0_E_clISt17integral_constantIbLb0EES1C_IbLb1EEEEDaS18_S19_EUlS18_E_NS1_11comp_targetILNS1_3genE10ELNS1_11target_archE1200ELNS1_3gpuE4ELNS1_3repE0EEENS1_30default_config_static_selectorELNS0_4arch9wavefront6targetE1EEEvT1_
; %bb.0:
	.section	.rodata,"a",@progbits
	.p2align	6, 0x0
	.amdhsa_kernel _ZN7rocprim17ROCPRIM_400000_NS6detail17trampoline_kernelINS0_14default_configENS1_25partition_config_selectorILNS1_17partition_subalgoE8EtNS0_10empty_typeEbEEZZNS1_14partition_implILS5_8ELb0ES3_jN6thrust23THRUST_200600_302600_NS6detail15normal_iteratorINSA_10device_ptrItEEEEPS6_PKS6_NS0_5tupleIJNSA_16discard_iteratorINSA_11use_defaultEEES6_EEENSJ_IJSG_SG_EEENS0_18inequality_wrapperINSA_8equal_toItEEEEPmJS6_EEE10hipError_tPvRmT3_T4_T5_T6_T7_T9_mT8_P12ihipStream_tbDpT10_ENKUlT_T0_E_clISt17integral_constantIbLb0EES1C_IbLb1EEEEDaS18_S19_EUlS18_E_NS1_11comp_targetILNS1_3genE10ELNS1_11target_archE1200ELNS1_3gpuE4ELNS1_3repE0EEENS1_30default_config_static_selectorELNS0_4arch9wavefront6targetE1EEEvT1_
		.amdhsa_group_segment_fixed_size 0
		.amdhsa_private_segment_fixed_size 0
		.amdhsa_kernarg_size 136
		.amdhsa_user_sgpr_count 6
		.amdhsa_user_sgpr_private_segment_buffer 1
		.amdhsa_user_sgpr_dispatch_ptr 0
		.amdhsa_user_sgpr_queue_ptr 0
		.amdhsa_user_sgpr_kernarg_segment_ptr 1
		.amdhsa_user_sgpr_dispatch_id 0
		.amdhsa_user_sgpr_flat_scratch_init 0
		.amdhsa_user_sgpr_private_segment_size 0
		.amdhsa_uses_dynamic_stack 0
		.amdhsa_system_sgpr_private_segment_wavefront_offset 0
		.amdhsa_system_sgpr_workgroup_id_x 1
		.amdhsa_system_sgpr_workgroup_id_y 0
		.amdhsa_system_sgpr_workgroup_id_z 0
		.amdhsa_system_sgpr_workgroup_info 0
		.amdhsa_system_vgpr_workitem_id 0
		.amdhsa_next_free_vgpr 1
		.amdhsa_next_free_sgpr 0
		.amdhsa_reserve_vcc 0
		.amdhsa_reserve_flat_scratch 0
		.amdhsa_float_round_mode_32 0
		.amdhsa_float_round_mode_16_64 0
		.amdhsa_float_denorm_mode_32 3
		.amdhsa_float_denorm_mode_16_64 3
		.amdhsa_dx10_clamp 1
		.amdhsa_ieee_mode 1
		.amdhsa_fp16_overflow 0
		.amdhsa_exception_fp_ieee_invalid_op 0
		.amdhsa_exception_fp_denorm_src 0
		.amdhsa_exception_fp_ieee_div_zero 0
		.amdhsa_exception_fp_ieee_overflow 0
		.amdhsa_exception_fp_ieee_underflow 0
		.amdhsa_exception_fp_ieee_inexact 0
		.amdhsa_exception_int_div_zero 0
	.end_amdhsa_kernel
	.section	.text._ZN7rocprim17ROCPRIM_400000_NS6detail17trampoline_kernelINS0_14default_configENS1_25partition_config_selectorILNS1_17partition_subalgoE8EtNS0_10empty_typeEbEEZZNS1_14partition_implILS5_8ELb0ES3_jN6thrust23THRUST_200600_302600_NS6detail15normal_iteratorINSA_10device_ptrItEEEEPS6_PKS6_NS0_5tupleIJNSA_16discard_iteratorINSA_11use_defaultEEES6_EEENSJ_IJSG_SG_EEENS0_18inequality_wrapperINSA_8equal_toItEEEEPmJS6_EEE10hipError_tPvRmT3_T4_T5_T6_T7_T9_mT8_P12ihipStream_tbDpT10_ENKUlT_T0_E_clISt17integral_constantIbLb0EES1C_IbLb1EEEEDaS18_S19_EUlS18_E_NS1_11comp_targetILNS1_3genE10ELNS1_11target_archE1200ELNS1_3gpuE4ELNS1_3repE0EEENS1_30default_config_static_selectorELNS0_4arch9wavefront6targetE1EEEvT1_,"axG",@progbits,_ZN7rocprim17ROCPRIM_400000_NS6detail17trampoline_kernelINS0_14default_configENS1_25partition_config_selectorILNS1_17partition_subalgoE8EtNS0_10empty_typeEbEEZZNS1_14partition_implILS5_8ELb0ES3_jN6thrust23THRUST_200600_302600_NS6detail15normal_iteratorINSA_10device_ptrItEEEEPS6_PKS6_NS0_5tupleIJNSA_16discard_iteratorINSA_11use_defaultEEES6_EEENSJ_IJSG_SG_EEENS0_18inequality_wrapperINSA_8equal_toItEEEEPmJS6_EEE10hipError_tPvRmT3_T4_T5_T6_T7_T9_mT8_P12ihipStream_tbDpT10_ENKUlT_T0_E_clISt17integral_constantIbLb0EES1C_IbLb1EEEEDaS18_S19_EUlS18_E_NS1_11comp_targetILNS1_3genE10ELNS1_11target_archE1200ELNS1_3gpuE4ELNS1_3repE0EEENS1_30default_config_static_selectorELNS0_4arch9wavefront6targetE1EEEvT1_,comdat
.Lfunc_end626:
	.size	_ZN7rocprim17ROCPRIM_400000_NS6detail17trampoline_kernelINS0_14default_configENS1_25partition_config_selectorILNS1_17partition_subalgoE8EtNS0_10empty_typeEbEEZZNS1_14partition_implILS5_8ELb0ES3_jN6thrust23THRUST_200600_302600_NS6detail15normal_iteratorINSA_10device_ptrItEEEEPS6_PKS6_NS0_5tupleIJNSA_16discard_iteratorINSA_11use_defaultEEES6_EEENSJ_IJSG_SG_EEENS0_18inequality_wrapperINSA_8equal_toItEEEEPmJS6_EEE10hipError_tPvRmT3_T4_T5_T6_T7_T9_mT8_P12ihipStream_tbDpT10_ENKUlT_T0_E_clISt17integral_constantIbLb0EES1C_IbLb1EEEEDaS18_S19_EUlS18_E_NS1_11comp_targetILNS1_3genE10ELNS1_11target_archE1200ELNS1_3gpuE4ELNS1_3repE0EEENS1_30default_config_static_selectorELNS0_4arch9wavefront6targetE1EEEvT1_, .Lfunc_end626-_ZN7rocprim17ROCPRIM_400000_NS6detail17trampoline_kernelINS0_14default_configENS1_25partition_config_selectorILNS1_17partition_subalgoE8EtNS0_10empty_typeEbEEZZNS1_14partition_implILS5_8ELb0ES3_jN6thrust23THRUST_200600_302600_NS6detail15normal_iteratorINSA_10device_ptrItEEEEPS6_PKS6_NS0_5tupleIJNSA_16discard_iteratorINSA_11use_defaultEEES6_EEENSJ_IJSG_SG_EEENS0_18inequality_wrapperINSA_8equal_toItEEEEPmJS6_EEE10hipError_tPvRmT3_T4_T5_T6_T7_T9_mT8_P12ihipStream_tbDpT10_ENKUlT_T0_E_clISt17integral_constantIbLb0EES1C_IbLb1EEEEDaS18_S19_EUlS18_E_NS1_11comp_targetILNS1_3genE10ELNS1_11target_archE1200ELNS1_3gpuE4ELNS1_3repE0EEENS1_30default_config_static_selectorELNS0_4arch9wavefront6targetE1EEEvT1_
                                        ; -- End function
	.set _ZN7rocprim17ROCPRIM_400000_NS6detail17trampoline_kernelINS0_14default_configENS1_25partition_config_selectorILNS1_17partition_subalgoE8EtNS0_10empty_typeEbEEZZNS1_14partition_implILS5_8ELb0ES3_jN6thrust23THRUST_200600_302600_NS6detail15normal_iteratorINSA_10device_ptrItEEEEPS6_PKS6_NS0_5tupleIJNSA_16discard_iteratorINSA_11use_defaultEEES6_EEENSJ_IJSG_SG_EEENS0_18inequality_wrapperINSA_8equal_toItEEEEPmJS6_EEE10hipError_tPvRmT3_T4_T5_T6_T7_T9_mT8_P12ihipStream_tbDpT10_ENKUlT_T0_E_clISt17integral_constantIbLb0EES1C_IbLb1EEEEDaS18_S19_EUlS18_E_NS1_11comp_targetILNS1_3genE10ELNS1_11target_archE1200ELNS1_3gpuE4ELNS1_3repE0EEENS1_30default_config_static_selectorELNS0_4arch9wavefront6targetE1EEEvT1_.num_vgpr, 0
	.set _ZN7rocprim17ROCPRIM_400000_NS6detail17trampoline_kernelINS0_14default_configENS1_25partition_config_selectorILNS1_17partition_subalgoE8EtNS0_10empty_typeEbEEZZNS1_14partition_implILS5_8ELb0ES3_jN6thrust23THRUST_200600_302600_NS6detail15normal_iteratorINSA_10device_ptrItEEEEPS6_PKS6_NS0_5tupleIJNSA_16discard_iteratorINSA_11use_defaultEEES6_EEENSJ_IJSG_SG_EEENS0_18inequality_wrapperINSA_8equal_toItEEEEPmJS6_EEE10hipError_tPvRmT3_T4_T5_T6_T7_T9_mT8_P12ihipStream_tbDpT10_ENKUlT_T0_E_clISt17integral_constantIbLb0EES1C_IbLb1EEEEDaS18_S19_EUlS18_E_NS1_11comp_targetILNS1_3genE10ELNS1_11target_archE1200ELNS1_3gpuE4ELNS1_3repE0EEENS1_30default_config_static_selectorELNS0_4arch9wavefront6targetE1EEEvT1_.num_agpr, 0
	.set _ZN7rocprim17ROCPRIM_400000_NS6detail17trampoline_kernelINS0_14default_configENS1_25partition_config_selectorILNS1_17partition_subalgoE8EtNS0_10empty_typeEbEEZZNS1_14partition_implILS5_8ELb0ES3_jN6thrust23THRUST_200600_302600_NS6detail15normal_iteratorINSA_10device_ptrItEEEEPS6_PKS6_NS0_5tupleIJNSA_16discard_iteratorINSA_11use_defaultEEES6_EEENSJ_IJSG_SG_EEENS0_18inequality_wrapperINSA_8equal_toItEEEEPmJS6_EEE10hipError_tPvRmT3_T4_T5_T6_T7_T9_mT8_P12ihipStream_tbDpT10_ENKUlT_T0_E_clISt17integral_constantIbLb0EES1C_IbLb1EEEEDaS18_S19_EUlS18_E_NS1_11comp_targetILNS1_3genE10ELNS1_11target_archE1200ELNS1_3gpuE4ELNS1_3repE0EEENS1_30default_config_static_selectorELNS0_4arch9wavefront6targetE1EEEvT1_.numbered_sgpr, 0
	.set _ZN7rocprim17ROCPRIM_400000_NS6detail17trampoline_kernelINS0_14default_configENS1_25partition_config_selectorILNS1_17partition_subalgoE8EtNS0_10empty_typeEbEEZZNS1_14partition_implILS5_8ELb0ES3_jN6thrust23THRUST_200600_302600_NS6detail15normal_iteratorINSA_10device_ptrItEEEEPS6_PKS6_NS0_5tupleIJNSA_16discard_iteratorINSA_11use_defaultEEES6_EEENSJ_IJSG_SG_EEENS0_18inequality_wrapperINSA_8equal_toItEEEEPmJS6_EEE10hipError_tPvRmT3_T4_T5_T6_T7_T9_mT8_P12ihipStream_tbDpT10_ENKUlT_T0_E_clISt17integral_constantIbLb0EES1C_IbLb1EEEEDaS18_S19_EUlS18_E_NS1_11comp_targetILNS1_3genE10ELNS1_11target_archE1200ELNS1_3gpuE4ELNS1_3repE0EEENS1_30default_config_static_selectorELNS0_4arch9wavefront6targetE1EEEvT1_.num_named_barrier, 0
	.set _ZN7rocprim17ROCPRIM_400000_NS6detail17trampoline_kernelINS0_14default_configENS1_25partition_config_selectorILNS1_17partition_subalgoE8EtNS0_10empty_typeEbEEZZNS1_14partition_implILS5_8ELb0ES3_jN6thrust23THRUST_200600_302600_NS6detail15normal_iteratorINSA_10device_ptrItEEEEPS6_PKS6_NS0_5tupleIJNSA_16discard_iteratorINSA_11use_defaultEEES6_EEENSJ_IJSG_SG_EEENS0_18inequality_wrapperINSA_8equal_toItEEEEPmJS6_EEE10hipError_tPvRmT3_T4_T5_T6_T7_T9_mT8_P12ihipStream_tbDpT10_ENKUlT_T0_E_clISt17integral_constantIbLb0EES1C_IbLb1EEEEDaS18_S19_EUlS18_E_NS1_11comp_targetILNS1_3genE10ELNS1_11target_archE1200ELNS1_3gpuE4ELNS1_3repE0EEENS1_30default_config_static_selectorELNS0_4arch9wavefront6targetE1EEEvT1_.private_seg_size, 0
	.set _ZN7rocprim17ROCPRIM_400000_NS6detail17trampoline_kernelINS0_14default_configENS1_25partition_config_selectorILNS1_17partition_subalgoE8EtNS0_10empty_typeEbEEZZNS1_14partition_implILS5_8ELb0ES3_jN6thrust23THRUST_200600_302600_NS6detail15normal_iteratorINSA_10device_ptrItEEEEPS6_PKS6_NS0_5tupleIJNSA_16discard_iteratorINSA_11use_defaultEEES6_EEENSJ_IJSG_SG_EEENS0_18inequality_wrapperINSA_8equal_toItEEEEPmJS6_EEE10hipError_tPvRmT3_T4_T5_T6_T7_T9_mT8_P12ihipStream_tbDpT10_ENKUlT_T0_E_clISt17integral_constantIbLb0EES1C_IbLb1EEEEDaS18_S19_EUlS18_E_NS1_11comp_targetILNS1_3genE10ELNS1_11target_archE1200ELNS1_3gpuE4ELNS1_3repE0EEENS1_30default_config_static_selectorELNS0_4arch9wavefront6targetE1EEEvT1_.uses_vcc, 0
	.set _ZN7rocprim17ROCPRIM_400000_NS6detail17trampoline_kernelINS0_14default_configENS1_25partition_config_selectorILNS1_17partition_subalgoE8EtNS0_10empty_typeEbEEZZNS1_14partition_implILS5_8ELb0ES3_jN6thrust23THRUST_200600_302600_NS6detail15normal_iteratorINSA_10device_ptrItEEEEPS6_PKS6_NS0_5tupleIJNSA_16discard_iteratorINSA_11use_defaultEEES6_EEENSJ_IJSG_SG_EEENS0_18inequality_wrapperINSA_8equal_toItEEEEPmJS6_EEE10hipError_tPvRmT3_T4_T5_T6_T7_T9_mT8_P12ihipStream_tbDpT10_ENKUlT_T0_E_clISt17integral_constantIbLb0EES1C_IbLb1EEEEDaS18_S19_EUlS18_E_NS1_11comp_targetILNS1_3genE10ELNS1_11target_archE1200ELNS1_3gpuE4ELNS1_3repE0EEENS1_30default_config_static_selectorELNS0_4arch9wavefront6targetE1EEEvT1_.uses_flat_scratch, 0
	.set _ZN7rocprim17ROCPRIM_400000_NS6detail17trampoline_kernelINS0_14default_configENS1_25partition_config_selectorILNS1_17partition_subalgoE8EtNS0_10empty_typeEbEEZZNS1_14partition_implILS5_8ELb0ES3_jN6thrust23THRUST_200600_302600_NS6detail15normal_iteratorINSA_10device_ptrItEEEEPS6_PKS6_NS0_5tupleIJNSA_16discard_iteratorINSA_11use_defaultEEES6_EEENSJ_IJSG_SG_EEENS0_18inequality_wrapperINSA_8equal_toItEEEEPmJS6_EEE10hipError_tPvRmT3_T4_T5_T6_T7_T9_mT8_P12ihipStream_tbDpT10_ENKUlT_T0_E_clISt17integral_constantIbLb0EES1C_IbLb1EEEEDaS18_S19_EUlS18_E_NS1_11comp_targetILNS1_3genE10ELNS1_11target_archE1200ELNS1_3gpuE4ELNS1_3repE0EEENS1_30default_config_static_selectorELNS0_4arch9wavefront6targetE1EEEvT1_.has_dyn_sized_stack, 0
	.set _ZN7rocprim17ROCPRIM_400000_NS6detail17trampoline_kernelINS0_14default_configENS1_25partition_config_selectorILNS1_17partition_subalgoE8EtNS0_10empty_typeEbEEZZNS1_14partition_implILS5_8ELb0ES3_jN6thrust23THRUST_200600_302600_NS6detail15normal_iteratorINSA_10device_ptrItEEEEPS6_PKS6_NS0_5tupleIJNSA_16discard_iteratorINSA_11use_defaultEEES6_EEENSJ_IJSG_SG_EEENS0_18inequality_wrapperINSA_8equal_toItEEEEPmJS6_EEE10hipError_tPvRmT3_T4_T5_T6_T7_T9_mT8_P12ihipStream_tbDpT10_ENKUlT_T0_E_clISt17integral_constantIbLb0EES1C_IbLb1EEEEDaS18_S19_EUlS18_E_NS1_11comp_targetILNS1_3genE10ELNS1_11target_archE1200ELNS1_3gpuE4ELNS1_3repE0EEENS1_30default_config_static_selectorELNS0_4arch9wavefront6targetE1EEEvT1_.has_recursion, 0
	.set _ZN7rocprim17ROCPRIM_400000_NS6detail17trampoline_kernelINS0_14default_configENS1_25partition_config_selectorILNS1_17partition_subalgoE8EtNS0_10empty_typeEbEEZZNS1_14partition_implILS5_8ELb0ES3_jN6thrust23THRUST_200600_302600_NS6detail15normal_iteratorINSA_10device_ptrItEEEEPS6_PKS6_NS0_5tupleIJNSA_16discard_iteratorINSA_11use_defaultEEES6_EEENSJ_IJSG_SG_EEENS0_18inequality_wrapperINSA_8equal_toItEEEEPmJS6_EEE10hipError_tPvRmT3_T4_T5_T6_T7_T9_mT8_P12ihipStream_tbDpT10_ENKUlT_T0_E_clISt17integral_constantIbLb0EES1C_IbLb1EEEEDaS18_S19_EUlS18_E_NS1_11comp_targetILNS1_3genE10ELNS1_11target_archE1200ELNS1_3gpuE4ELNS1_3repE0EEENS1_30default_config_static_selectorELNS0_4arch9wavefront6targetE1EEEvT1_.has_indirect_call, 0
	.section	.AMDGPU.csdata,"",@progbits
; Kernel info:
; codeLenInByte = 0
; TotalNumSgprs: 4
; NumVgprs: 0
; ScratchSize: 0
; MemoryBound: 0
; FloatMode: 240
; IeeeMode: 1
; LDSByteSize: 0 bytes/workgroup (compile time only)
; SGPRBlocks: 0
; VGPRBlocks: 0
; NumSGPRsForWavesPerEU: 4
; NumVGPRsForWavesPerEU: 1
; Occupancy: 10
; WaveLimiterHint : 0
; COMPUTE_PGM_RSRC2:SCRATCH_EN: 0
; COMPUTE_PGM_RSRC2:USER_SGPR: 6
; COMPUTE_PGM_RSRC2:TRAP_HANDLER: 0
; COMPUTE_PGM_RSRC2:TGID_X_EN: 1
; COMPUTE_PGM_RSRC2:TGID_Y_EN: 0
; COMPUTE_PGM_RSRC2:TGID_Z_EN: 0
; COMPUTE_PGM_RSRC2:TIDIG_COMP_CNT: 0
	.section	.text._ZN7rocprim17ROCPRIM_400000_NS6detail17trampoline_kernelINS0_14default_configENS1_25partition_config_selectorILNS1_17partition_subalgoE8EtNS0_10empty_typeEbEEZZNS1_14partition_implILS5_8ELb0ES3_jN6thrust23THRUST_200600_302600_NS6detail15normal_iteratorINSA_10device_ptrItEEEEPS6_PKS6_NS0_5tupleIJNSA_16discard_iteratorINSA_11use_defaultEEES6_EEENSJ_IJSG_SG_EEENS0_18inequality_wrapperINSA_8equal_toItEEEEPmJS6_EEE10hipError_tPvRmT3_T4_T5_T6_T7_T9_mT8_P12ihipStream_tbDpT10_ENKUlT_T0_E_clISt17integral_constantIbLb0EES1C_IbLb1EEEEDaS18_S19_EUlS18_E_NS1_11comp_targetILNS1_3genE9ELNS1_11target_archE1100ELNS1_3gpuE3ELNS1_3repE0EEENS1_30default_config_static_selectorELNS0_4arch9wavefront6targetE1EEEvT1_,"axG",@progbits,_ZN7rocprim17ROCPRIM_400000_NS6detail17trampoline_kernelINS0_14default_configENS1_25partition_config_selectorILNS1_17partition_subalgoE8EtNS0_10empty_typeEbEEZZNS1_14partition_implILS5_8ELb0ES3_jN6thrust23THRUST_200600_302600_NS6detail15normal_iteratorINSA_10device_ptrItEEEEPS6_PKS6_NS0_5tupleIJNSA_16discard_iteratorINSA_11use_defaultEEES6_EEENSJ_IJSG_SG_EEENS0_18inequality_wrapperINSA_8equal_toItEEEEPmJS6_EEE10hipError_tPvRmT3_T4_T5_T6_T7_T9_mT8_P12ihipStream_tbDpT10_ENKUlT_T0_E_clISt17integral_constantIbLb0EES1C_IbLb1EEEEDaS18_S19_EUlS18_E_NS1_11comp_targetILNS1_3genE9ELNS1_11target_archE1100ELNS1_3gpuE3ELNS1_3repE0EEENS1_30default_config_static_selectorELNS0_4arch9wavefront6targetE1EEEvT1_,comdat
	.protected	_ZN7rocprim17ROCPRIM_400000_NS6detail17trampoline_kernelINS0_14default_configENS1_25partition_config_selectorILNS1_17partition_subalgoE8EtNS0_10empty_typeEbEEZZNS1_14partition_implILS5_8ELb0ES3_jN6thrust23THRUST_200600_302600_NS6detail15normal_iteratorINSA_10device_ptrItEEEEPS6_PKS6_NS0_5tupleIJNSA_16discard_iteratorINSA_11use_defaultEEES6_EEENSJ_IJSG_SG_EEENS0_18inequality_wrapperINSA_8equal_toItEEEEPmJS6_EEE10hipError_tPvRmT3_T4_T5_T6_T7_T9_mT8_P12ihipStream_tbDpT10_ENKUlT_T0_E_clISt17integral_constantIbLb0EES1C_IbLb1EEEEDaS18_S19_EUlS18_E_NS1_11comp_targetILNS1_3genE9ELNS1_11target_archE1100ELNS1_3gpuE3ELNS1_3repE0EEENS1_30default_config_static_selectorELNS0_4arch9wavefront6targetE1EEEvT1_ ; -- Begin function _ZN7rocprim17ROCPRIM_400000_NS6detail17trampoline_kernelINS0_14default_configENS1_25partition_config_selectorILNS1_17partition_subalgoE8EtNS0_10empty_typeEbEEZZNS1_14partition_implILS5_8ELb0ES3_jN6thrust23THRUST_200600_302600_NS6detail15normal_iteratorINSA_10device_ptrItEEEEPS6_PKS6_NS0_5tupleIJNSA_16discard_iteratorINSA_11use_defaultEEES6_EEENSJ_IJSG_SG_EEENS0_18inequality_wrapperINSA_8equal_toItEEEEPmJS6_EEE10hipError_tPvRmT3_T4_T5_T6_T7_T9_mT8_P12ihipStream_tbDpT10_ENKUlT_T0_E_clISt17integral_constantIbLb0EES1C_IbLb1EEEEDaS18_S19_EUlS18_E_NS1_11comp_targetILNS1_3genE9ELNS1_11target_archE1100ELNS1_3gpuE3ELNS1_3repE0EEENS1_30default_config_static_selectorELNS0_4arch9wavefront6targetE1EEEvT1_
	.globl	_ZN7rocprim17ROCPRIM_400000_NS6detail17trampoline_kernelINS0_14default_configENS1_25partition_config_selectorILNS1_17partition_subalgoE8EtNS0_10empty_typeEbEEZZNS1_14partition_implILS5_8ELb0ES3_jN6thrust23THRUST_200600_302600_NS6detail15normal_iteratorINSA_10device_ptrItEEEEPS6_PKS6_NS0_5tupleIJNSA_16discard_iteratorINSA_11use_defaultEEES6_EEENSJ_IJSG_SG_EEENS0_18inequality_wrapperINSA_8equal_toItEEEEPmJS6_EEE10hipError_tPvRmT3_T4_T5_T6_T7_T9_mT8_P12ihipStream_tbDpT10_ENKUlT_T0_E_clISt17integral_constantIbLb0EES1C_IbLb1EEEEDaS18_S19_EUlS18_E_NS1_11comp_targetILNS1_3genE9ELNS1_11target_archE1100ELNS1_3gpuE3ELNS1_3repE0EEENS1_30default_config_static_selectorELNS0_4arch9wavefront6targetE1EEEvT1_
	.p2align	8
	.type	_ZN7rocprim17ROCPRIM_400000_NS6detail17trampoline_kernelINS0_14default_configENS1_25partition_config_selectorILNS1_17partition_subalgoE8EtNS0_10empty_typeEbEEZZNS1_14partition_implILS5_8ELb0ES3_jN6thrust23THRUST_200600_302600_NS6detail15normal_iteratorINSA_10device_ptrItEEEEPS6_PKS6_NS0_5tupleIJNSA_16discard_iteratorINSA_11use_defaultEEES6_EEENSJ_IJSG_SG_EEENS0_18inequality_wrapperINSA_8equal_toItEEEEPmJS6_EEE10hipError_tPvRmT3_T4_T5_T6_T7_T9_mT8_P12ihipStream_tbDpT10_ENKUlT_T0_E_clISt17integral_constantIbLb0EES1C_IbLb1EEEEDaS18_S19_EUlS18_E_NS1_11comp_targetILNS1_3genE9ELNS1_11target_archE1100ELNS1_3gpuE3ELNS1_3repE0EEENS1_30default_config_static_selectorELNS0_4arch9wavefront6targetE1EEEvT1_,@function
_ZN7rocprim17ROCPRIM_400000_NS6detail17trampoline_kernelINS0_14default_configENS1_25partition_config_selectorILNS1_17partition_subalgoE8EtNS0_10empty_typeEbEEZZNS1_14partition_implILS5_8ELb0ES3_jN6thrust23THRUST_200600_302600_NS6detail15normal_iteratorINSA_10device_ptrItEEEEPS6_PKS6_NS0_5tupleIJNSA_16discard_iteratorINSA_11use_defaultEEES6_EEENSJ_IJSG_SG_EEENS0_18inequality_wrapperINSA_8equal_toItEEEEPmJS6_EEE10hipError_tPvRmT3_T4_T5_T6_T7_T9_mT8_P12ihipStream_tbDpT10_ENKUlT_T0_E_clISt17integral_constantIbLb0EES1C_IbLb1EEEEDaS18_S19_EUlS18_E_NS1_11comp_targetILNS1_3genE9ELNS1_11target_archE1100ELNS1_3gpuE3ELNS1_3repE0EEENS1_30default_config_static_selectorELNS0_4arch9wavefront6targetE1EEEvT1_: ; @_ZN7rocprim17ROCPRIM_400000_NS6detail17trampoline_kernelINS0_14default_configENS1_25partition_config_selectorILNS1_17partition_subalgoE8EtNS0_10empty_typeEbEEZZNS1_14partition_implILS5_8ELb0ES3_jN6thrust23THRUST_200600_302600_NS6detail15normal_iteratorINSA_10device_ptrItEEEEPS6_PKS6_NS0_5tupleIJNSA_16discard_iteratorINSA_11use_defaultEEES6_EEENSJ_IJSG_SG_EEENS0_18inequality_wrapperINSA_8equal_toItEEEEPmJS6_EEE10hipError_tPvRmT3_T4_T5_T6_T7_T9_mT8_P12ihipStream_tbDpT10_ENKUlT_T0_E_clISt17integral_constantIbLb0EES1C_IbLb1EEEEDaS18_S19_EUlS18_E_NS1_11comp_targetILNS1_3genE9ELNS1_11target_archE1100ELNS1_3gpuE3ELNS1_3repE0EEENS1_30default_config_static_selectorELNS0_4arch9wavefront6targetE1EEEvT1_
; %bb.0:
	.section	.rodata,"a",@progbits
	.p2align	6, 0x0
	.amdhsa_kernel _ZN7rocprim17ROCPRIM_400000_NS6detail17trampoline_kernelINS0_14default_configENS1_25partition_config_selectorILNS1_17partition_subalgoE8EtNS0_10empty_typeEbEEZZNS1_14partition_implILS5_8ELb0ES3_jN6thrust23THRUST_200600_302600_NS6detail15normal_iteratorINSA_10device_ptrItEEEEPS6_PKS6_NS0_5tupleIJNSA_16discard_iteratorINSA_11use_defaultEEES6_EEENSJ_IJSG_SG_EEENS0_18inequality_wrapperINSA_8equal_toItEEEEPmJS6_EEE10hipError_tPvRmT3_T4_T5_T6_T7_T9_mT8_P12ihipStream_tbDpT10_ENKUlT_T0_E_clISt17integral_constantIbLb0EES1C_IbLb1EEEEDaS18_S19_EUlS18_E_NS1_11comp_targetILNS1_3genE9ELNS1_11target_archE1100ELNS1_3gpuE3ELNS1_3repE0EEENS1_30default_config_static_selectorELNS0_4arch9wavefront6targetE1EEEvT1_
		.amdhsa_group_segment_fixed_size 0
		.amdhsa_private_segment_fixed_size 0
		.amdhsa_kernarg_size 136
		.amdhsa_user_sgpr_count 6
		.amdhsa_user_sgpr_private_segment_buffer 1
		.amdhsa_user_sgpr_dispatch_ptr 0
		.amdhsa_user_sgpr_queue_ptr 0
		.amdhsa_user_sgpr_kernarg_segment_ptr 1
		.amdhsa_user_sgpr_dispatch_id 0
		.amdhsa_user_sgpr_flat_scratch_init 0
		.amdhsa_user_sgpr_private_segment_size 0
		.amdhsa_uses_dynamic_stack 0
		.amdhsa_system_sgpr_private_segment_wavefront_offset 0
		.amdhsa_system_sgpr_workgroup_id_x 1
		.amdhsa_system_sgpr_workgroup_id_y 0
		.amdhsa_system_sgpr_workgroup_id_z 0
		.amdhsa_system_sgpr_workgroup_info 0
		.amdhsa_system_vgpr_workitem_id 0
		.amdhsa_next_free_vgpr 1
		.amdhsa_next_free_sgpr 0
		.amdhsa_reserve_vcc 0
		.amdhsa_reserve_flat_scratch 0
		.amdhsa_float_round_mode_32 0
		.amdhsa_float_round_mode_16_64 0
		.amdhsa_float_denorm_mode_32 3
		.amdhsa_float_denorm_mode_16_64 3
		.amdhsa_dx10_clamp 1
		.amdhsa_ieee_mode 1
		.amdhsa_fp16_overflow 0
		.amdhsa_exception_fp_ieee_invalid_op 0
		.amdhsa_exception_fp_denorm_src 0
		.amdhsa_exception_fp_ieee_div_zero 0
		.amdhsa_exception_fp_ieee_overflow 0
		.amdhsa_exception_fp_ieee_underflow 0
		.amdhsa_exception_fp_ieee_inexact 0
		.amdhsa_exception_int_div_zero 0
	.end_amdhsa_kernel
	.section	.text._ZN7rocprim17ROCPRIM_400000_NS6detail17trampoline_kernelINS0_14default_configENS1_25partition_config_selectorILNS1_17partition_subalgoE8EtNS0_10empty_typeEbEEZZNS1_14partition_implILS5_8ELb0ES3_jN6thrust23THRUST_200600_302600_NS6detail15normal_iteratorINSA_10device_ptrItEEEEPS6_PKS6_NS0_5tupleIJNSA_16discard_iteratorINSA_11use_defaultEEES6_EEENSJ_IJSG_SG_EEENS0_18inequality_wrapperINSA_8equal_toItEEEEPmJS6_EEE10hipError_tPvRmT3_T4_T5_T6_T7_T9_mT8_P12ihipStream_tbDpT10_ENKUlT_T0_E_clISt17integral_constantIbLb0EES1C_IbLb1EEEEDaS18_S19_EUlS18_E_NS1_11comp_targetILNS1_3genE9ELNS1_11target_archE1100ELNS1_3gpuE3ELNS1_3repE0EEENS1_30default_config_static_selectorELNS0_4arch9wavefront6targetE1EEEvT1_,"axG",@progbits,_ZN7rocprim17ROCPRIM_400000_NS6detail17trampoline_kernelINS0_14default_configENS1_25partition_config_selectorILNS1_17partition_subalgoE8EtNS0_10empty_typeEbEEZZNS1_14partition_implILS5_8ELb0ES3_jN6thrust23THRUST_200600_302600_NS6detail15normal_iteratorINSA_10device_ptrItEEEEPS6_PKS6_NS0_5tupleIJNSA_16discard_iteratorINSA_11use_defaultEEES6_EEENSJ_IJSG_SG_EEENS0_18inequality_wrapperINSA_8equal_toItEEEEPmJS6_EEE10hipError_tPvRmT3_T4_T5_T6_T7_T9_mT8_P12ihipStream_tbDpT10_ENKUlT_T0_E_clISt17integral_constantIbLb0EES1C_IbLb1EEEEDaS18_S19_EUlS18_E_NS1_11comp_targetILNS1_3genE9ELNS1_11target_archE1100ELNS1_3gpuE3ELNS1_3repE0EEENS1_30default_config_static_selectorELNS0_4arch9wavefront6targetE1EEEvT1_,comdat
.Lfunc_end627:
	.size	_ZN7rocprim17ROCPRIM_400000_NS6detail17trampoline_kernelINS0_14default_configENS1_25partition_config_selectorILNS1_17partition_subalgoE8EtNS0_10empty_typeEbEEZZNS1_14partition_implILS5_8ELb0ES3_jN6thrust23THRUST_200600_302600_NS6detail15normal_iteratorINSA_10device_ptrItEEEEPS6_PKS6_NS0_5tupleIJNSA_16discard_iteratorINSA_11use_defaultEEES6_EEENSJ_IJSG_SG_EEENS0_18inequality_wrapperINSA_8equal_toItEEEEPmJS6_EEE10hipError_tPvRmT3_T4_T5_T6_T7_T9_mT8_P12ihipStream_tbDpT10_ENKUlT_T0_E_clISt17integral_constantIbLb0EES1C_IbLb1EEEEDaS18_S19_EUlS18_E_NS1_11comp_targetILNS1_3genE9ELNS1_11target_archE1100ELNS1_3gpuE3ELNS1_3repE0EEENS1_30default_config_static_selectorELNS0_4arch9wavefront6targetE1EEEvT1_, .Lfunc_end627-_ZN7rocprim17ROCPRIM_400000_NS6detail17trampoline_kernelINS0_14default_configENS1_25partition_config_selectorILNS1_17partition_subalgoE8EtNS0_10empty_typeEbEEZZNS1_14partition_implILS5_8ELb0ES3_jN6thrust23THRUST_200600_302600_NS6detail15normal_iteratorINSA_10device_ptrItEEEEPS6_PKS6_NS0_5tupleIJNSA_16discard_iteratorINSA_11use_defaultEEES6_EEENSJ_IJSG_SG_EEENS0_18inequality_wrapperINSA_8equal_toItEEEEPmJS6_EEE10hipError_tPvRmT3_T4_T5_T6_T7_T9_mT8_P12ihipStream_tbDpT10_ENKUlT_T0_E_clISt17integral_constantIbLb0EES1C_IbLb1EEEEDaS18_S19_EUlS18_E_NS1_11comp_targetILNS1_3genE9ELNS1_11target_archE1100ELNS1_3gpuE3ELNS1_3repE0EEENS1_30default_config_static_selectorELNS0_4arch9wavefront6targetE1EEEvT1_
                                        ; -- End function
	.set _ZN7rocprim17ROCPRIM_400000_NS6detail17trampoline_kernelINS0_14default_configENS1_25partition_config_selectorILNS1_17partition_subalgoE8EtNS0_10empty_typeEbEEZZNS1_14partition_implILS5_8ELb0ES3_jN6thrust23THRUST_200600_302600_NS6detail15normal_iteratorINSA_10device_ptrItEEEEPS6_PKS6_NS0_5tupleIJNSA_16discard_iteratorINSA_11use_defaultEEES6_EEENSJ_IJSG_SG_EEENS0_18inequality_wrapperINSA_8equal_toItEEEEPmJS6_EEE10hipError_tPvRmT3_T4_T5_T6_T7_T9_mT8_P12ihipStream_tbDpT10_ENKUlT_T0_E_clISt17integral_constantIbLb0EES1C_IbLb1EEEEDaS18_S19_EUlS18_E_NS1_11comp_targetILNS1_3genE9ELNS1_11target_archE1100ELNS1_3gpuE3ELNS1_3repE0EEENS1_30default_config_static_selectorELNS0_4arch9wavefront6targetE1EEEvT1_.num_vgpr, 0
	.set _ZN7rocprim17ROCPRIM_400000_NS6detail17trampoline_kernelINS0_14default_configENS1_25partition_config_selectorILNS1_17partition_subalgoE8EtNS0_10empty_typeEbEEZZNS1_14partition_implILS5_8ELb0ES3_jN6thrust23THRUST_200600_302600_NS6detail15normal_iteratorINSA_10device_ptrItEEEEPS6_PKS6_NS0_5tupleIJNSA_16discard_iteratorINSA_11use_defaultEEES6_EEENSJ_IJSG_SG_EEENS0_18inequality_wrapperINSA_8equal_toItEEEEPmJS6_EEE10hipError_tPvRmT3_T4_T5_T6_T7_T9_mT8_P12ihipStream_tbDpT10_ENKUlT_T0_E_clISt17integral_constantIbLb0EES1C_IbLb1EEEEDaS18_S19_EUlS18_E_NS1_11comp_targetILNS1_3genE9ELNS1_11target_archE1100ELNS1_3gpuE3ELNS1_3repE0EEENS1_30default_config_static_selectorELNS0_4arch9wavefront6targetE1EEEvT1_.num_agpr, 0
	.set _ZN7rocprim17ROCPRIM_400000_NS6detail17trampoline_kernelINS0_14default_configENS1_25partition_config_selectorILNS1_17partition_subalgoE8EtNS0_10empty_typeEbEEZZNS1_14partition_implILS5_8ELb0ES3_jN6thrust23THRUST_200600_302600_NS6detail15normal_iteratorINSA_10device_ptrItEEEEPS6_PKS6_NS0_5tupleIJNSA_16discard_iteratorINSA_11use_defaultEEES6_EEENSJ_IJSG_SG_EEENS0_18inequality_wrapperINSA_8equal_toItEEEEPmJS6_EEE10hipError_tPvRmT3_T4_T5_T6_T7_T9_mT8_P12ihipStream_tbDpT10_ENKUlT_T0_E_clISt17integral_constantIbLb0EES1C_IbLb1EEEEDaS18_S19_EUlS18_E_NS1_11comp_targetILNS1_3genE9ELNS1_11target_archE1100ELNS1_3gpuE3ELNS1_3repE0EEENS1_30default_config_static_selectorELNS0_4arch9wavefront6targetE1EEEvT1_.numbered_sgpr, 0
	.set _ZN7rocprim17ROCPRIM_400000_NS6detail17trampoline_kernelINS0_14default_configENS1_25partition_config_selectorILNS1_17partition_subalgoE8EtNS0_10empty_typeEbEEZZNS1_14partition_implILS5_8ELb0ES3_jN6thrust23THRUST_200600_302600_NS6detail15normal_iteratorINSA_10device_ptrItEEEEPS6_PKS6_NS0_5tupleIJNSA_16discard_iteratorINSA_11use_defaultEEES6_EEENSJ_IJSG_SG_EEENS0_18inequality_wrapperINSA_8equal_toItEEEEPmJS6_EEE10hipError_tPvRmT3_T4_T5_T6_T7_T9_mT8_P12ihipStream_tbDpT10_ENKUlT_T0_E_clISt17integral_constantIbLb0EES1C_IbLb1EEEEDaS18_S19_EUlS18_E_NS1_11comp_targetILNS1_3genE9ELNS1_11target_archE1100ELNS1_3gpuE3ELNS1_3repE0EEENS1_30default_config_static_selectorELNS0_4arch9wavefront6targetE1EEEvT1_.num_named_barrier, 0
	.set _ZN7rocprim17ROCPRIM_400000_NS6detail17trampoline_kernelINS0_14default_configENS1_25partition_config_selectorILNS1_17partition_subalgoE8EtNS0_10empty_typeEbEEZZNS1_14partition_implILS5_8ELb0ES3_jN6thrust23THRUST_200600_302600_NS6detail15normal_iteratorINSA_10device_ptrItEEEEPS6_PKS6_NS0_5tupleIJNSA_16discard_iteratorINSA_11use_defaultEEES6_EEENSJ_IJSG_SG_EEENS0_18inequality_wrapperINSA_8equal_toItEEEEPmJS6_EEE10hipError_tPvRmT3_T4_T5_T6_T7_T9_mT8_P12ihipStream_tbDpT10_ENKUlT_T0_E_clISt17integral_constantIbLb0EES1C_IbLb1EEEEDaS18_S19_EUlS18_E_NS1_11comp_targetILNS1_3genE9ELNS1_11target_archE1100ELNS1_3gpuE3ELNS1_3repE0EEENS1_30default_config_static_selectorELNS0_4arch9wavefront6targetE1EEEvT1_.private_seg_size, 0
	.set _ZN7rocprim17ROCPRIM_400000_NS6detail17trampoline_kernelINS0_14default_configENS1_25partition_config_selectorILNS1_17partition_subalgoE8EtNS0_10empty_typeEbEEZZNS1_14partition_implILS5_8ELb0ES3_jN6thrust23THRUST_200600_302600_NS6detail15normal_iteratorINSA_10device_ptrItEEEEPS6_PKS6_NS0_5tupleIJNSA_16discard_iteratorINSA_11use_defaultEEES6_EEENSJ_IJSG_SG_EEENS0_18inequality_wrapperINSA_8equal_toItEEEEPmJS6_EEE10hipError_tPvRmT3_T4_T5_T6_T7_T9_mT8_P12ihipStream_tbDpT10_ENKUlT_T0_E_clISt17integral_constantIbLb0EES1C_IbLb1EEEEDaS18_S19_EUlS18_E_NS1_11comp_targetILNS1_3genE9ELNS1_11target_archE1100ELNS1_3gpuE3ELNS1_3repE0EEENS1_30default_config_static_selectorELNS0_4arch9wavefront6targetE1EEEvT1_.uses_vcc, 0
	.set _ZN7rocprim17ROCPRIM_400000_NS6detail17trampoline_kernelINS0_14default_configENS1_25partition_config_selectorILNS1_17partition_subalgoE8EtNS0_10empty_typeEbEEZZNS1_14partition_implILS5_8ELb0ES3_jN6thrust23THRUST_200600_302600_NS6detail15normal_iteratorINSA_10device_ptrItEEEEPS6_PKS6_NS0_5tupleIJNSA_16discard_iteratorINSA_11use_defaultEEES6_EEENSJ_IJSG_SG_EEENS0_18inequality_wrapperINSA_8equal_toItEEEEPmJS6_EEE10hipError_tPvRmT3_T4_T5_T6_T7_T9_mT8_P12ihipStream_tbDpT10_ENKUlT_T0_E_clISt17integral_constantIbLb0EES1C_IbLb1EEEEDaS18_S19_EUlS18_E_NS1_11comp_targetILNS1_3genE9ELNS1_11target_archE1100ELNS1_3gpuE3ELNS1_3repE0EEENS1_30default_config_static_selectorELNS0_4arch9wavefront6targetE1EEEvT1_.uses_flat_scratch, 0
	.set _ZN7rocprim17ROCPRIM_400000_NS6detail17trampoline_kernelINS0_14default_configENS1_25partition_config_selectorILNS1_17partition_subalgoE8EtNS0_10empty_typeEbEEZZNS1_14partition_implILS5_8ELb0ES3_jN6thrust23THRUST_200600_302600_NS6detail15normal_iteratorINSA_10device_ptrItEEEEPS6_PKS6_NS0_5tupleIJNSA_16discard_iteratorINSA_11use_defaultEEES6_EEENSJ_IJSG_SG_EEENS0_18inequality_wrapperINSA_8equal_toItEEEEPmJS6_EEE10hipError_tPvRmT3_T4_T5_T6_T7_T9_mT8_P12ihipStream_tbDpT10_ENKUlT_T0_E_clISt17integral_constantIbLb0EES1C_IbLb1EEEEDaS18_S19_EUlS18_E_NS1_11comp_targetILNS1_3genE9ELNS1_11target_archE1100ELNS1_3gpuE3ELNS1_3repE0EEENS1_30default_config_static_selectorELNS0_4arch9wavefront6targetE1EEEvT1_.has_dyn_sized_stack, 0
	.set _ZN7rocprim17ROCPRIM_400000_NS6detail17trampoline_kernelINS0_14default_configENS1_25partition_config_selectorILNS1_17partition_subalgoE8EtNS0_10empty_typeEbEEZZNS1_14partition_implILS5_8ELb0ES3_jN6thrust23THRUST_200600_302600_NS6detail15normal_iteratorINSA_10device_ptrItEEEEPS6_PKS6_NS0_5tupleIJNSA_16discard_iteratorINSA_11use_defaultEEES6_EEENSJ_IJSG_SG_EEENS0_18inequality_wrapperINSA_8equal_toItEEEEPmJS6_EEE10hipError_tPvRmT3_T4_T5_T6_T7_T9_mT8_P12ihipStream_tbDpT10_ENKUlT_T0_E_clISt17integral_constantIbLb0EES1C_IbLb1EEEEDaS18_S19_EUlS18_E_NS1_11comp_targetILNS1_3genE9ELNS1_11target_archE1100ELNS1_3gpuE3ELNS1_3repE0EEENS1_30default_config_static_selectorELNS0_4arch9wavefront6targetE1EEEvT1_.has_recursion, 0
	.set _ZN7rocprim17ROCPRIM_400000_NS6detail17trampoline_kernelINS0_14default_configENS1_25partition_config_selectorILNS1_17partition_subalgoE8EtNS0_10empty_typeEbEEZZNS1_14partition_implILS5_8ELb0ES3_jN6thrust23THRUST_200600_302600_NS6detail15normal_iteratorINSA_10device_ptrItEEEEPS6_PKS6_NS0_5tupleIJNSA_16discard_iteratorINSA_11use_defaultEEES6_EEENSJ_IJSG_SG_EEENS0_18inequality_wrapperINSA_8equal_toItEEEEPmJS6_EEE10hipError_tPvRmT3_T4_T5_T6_T7_T9_mT8_P12ihipStream_tbDpT10_ENKUlT_T0_E_clISt17integral_constantIbLb0EES1C_IbLb1EEEEDaS18_S19_EUlS18_E_NS1_11comp_targetILNS1_3genE9ELNS1_11target_archE1100ELNS1_3gpuE3ELNS1_3repE0EEENS1_30default_config_static_selectorELNS0_4arch9wavefront6targetE1EEEvT1_.has_indirect_call, 0
	.section	.AMDGPU.csdata,"",@progbits
; Kernel info:
; codeLenInByte = 0
; TotalNumSgprs: 4
; NumVgprs: 0
; ScratchSize: 0
; MemoryBound: 0
; FloatMode: 240
; IeeeMode: 1
; LDSByteSize: 0 bytes/workgroup (compile time only)
; SGPRBlocks: 0
; VGPRBlocks: 0
; NumSGPRsForWavesPerEU: 4
; NumVGPRsForWavesPerEU: 1
; Occupancy: 10
; WaveLimiterHint : 0
; COMPUTE_PGM_RSRC2:SCRATCH_EN: 0
; COMPUTE_PGM_RSRC2:USER_SGPR: 6
; COMPUTE_PGM_RSRC2:TRAP_HANDLER: 0
; COMPUTE_PGM_RSRC2:TGID_X_EN: 1
; COMPUTE_PGM_RSRC2:TGID_Y_EN: 0
; COMPUTE_PGM_RSRC2:TGID_Z_EN: 0
; COMPUTE_PGM_RSRC2:TIDIG_COMP_CNT: 0
	.section	.text._ZN7rocprim17ROCPRIM_400000_NS6detail17trampoline_kernelINS0_14default_configENS1_25partition_config_selectorILNS1_17partition_subalgoE8EtNS0_10empty_typeEbEEZZNS1_14partition_implILS5_8ELb0ES3_jN6thrust23THRUST_200600_302600_NS6detail15normal_iteratorINSA_10device_ptrItEEEEPS6_PKS6_NS0_5tupleIJNSA_16discard_iteratorINSA_11use_defaultEEES6_EEENSJ_IJSG_SG_EEENS0_18inequality_wrapperINSA_8equal_toItEEEEPmJS6_EEE10hipError_tPvRmT3_T4_T5_T6_T7_T9_mT8_P12ihipStream_tbDpT10_ENKUlT_T0_E_clISt17integral_constantIbLb0EES1C_IbLb1EEEEDaS18_S19_EUlS18_E_NS1_11comp_targetILNS1_3genE8ELNS1_11target_archE1030ELNS1_3gpuE2ELNS1_3repE0EEENS1_30default_config_static_selectorELNS0_4arch9wavefront6targetE1EEEvT1_,"axG",@progbits,_ZN7rocprim17ROCPRIM_400000_NS6detail17trampoline_kernelINS0_14default_configENS1_25partition_config_selectorILNS1_17partition_subalgoE8EtNS0_10empty_typeEbEEZZNS1_14partition_implILS5_8ELb0ES3_jN6thrust23THRUST_200600_302600_NS6detail15normal_iteratorINSA_10device_ptrItEEEEPS6_PKS6_NS0_5tupleIJNSA_16discard_iteratorINSA_11use_defaultEEES6_EEENSJ_IJSG_SG_EEENS0_18inequality_wrapperINSA_8equal_toItEEEEPmJS6_EEE10hipError_tPvRmT3_T4_T5_T6_T7_T9_mT8_P12ihipStream_tbDpT10_ENKUlT_T0_E_clISt17integral_constantIbLb0EES1C_IbLb1EEEEDaS18_S19_EUlS18_E_NS1_11comp_targetILNS1_3genE8ELNS1_11target_archE1030ELNS1_3gpuE2ELNS1_3repE0EEENS1_30default_config_static_selectorELNS0_4arch9wavefront6targetE1EEEvT1_,comdat
	.protected	_ZN7rocprim17ROCPRIM_400000_NS6detail17trampoline_kernelINS0_14default_configENS1_25partition_config_selectorILNS1_17partition_subalgoE8EtNS0_10empty_typeEbEEZZNS1_14partition_implILS5_8ELb0ES3_jN6thrust23THRUST_200600_302600_NS6detail15normal_iteratorINSA_10device_ptrItEEEEPS6_PKS6_NS0_5tupleIJNSA_16discard_iteratorINSA_11use_defaultEEES6_EEENSJ_IJSG_SG_EEENS0_18inequality_wrapperINSA_8equal_toItEEEEPmJS6_EEE10hipError_tPvRmT3_T4_T5_T6_T7_T9_mT8_P12ihipStream_tbDpT10_ENKUlT_T0_E_clISt17integral_constantIbLb0EES1C_IbLb1EEEEDaS18_S19_EUlS18_E_NS1_11comp_targetILNS1_3genE8ELNS1_11target_archE1030ELNS1_3gpuE2ELNS1_3repE0EEENS1_30default_config_static_selectorELNS0_4arch9wavefront6targetE1EEEvT1_ ; -- Begin function _ZN7rocprim17ROCPRIM_400000_NS6detail17trampoline_kernelINS0_14default_configENS1_25partition_config_selectorILNS1_17partition_subalgoE8EtNS0_10empty_typeEbEEZZNS1_14partition_implILS5_8ELb0ES3_jN6thrust23THRUST_200600_302600_NS6detail15normal_iteratorINSA_10device_ptrItEEEEPS6_PKS6_NS0_5tupleIJNSA_16discard_iteratorINSA_11use_defaultEEES6_EEENSJ_IJSG_SG_EEENS0_18inequality_wrapperINSA_8equal_toItEEEEPmJS6_EEE10hipError_tPvRmT3_T4_T5_T6_T7_T9_mT8_P12ihipStream_tbDpT10_ENKUlT_T0_E_clISt17integral_constantIbLb0EES1C_IbLb1EEEEDaS18_S19_EUlS18_E_NS1_11comp_targetILNS1_3genE8ELNS1_11target_archE1030ELNS1_3gpuE2ELNS1_3repE0EEENS1_30default_config_static_selectorELNS0_4arch9wavefront6targetE1EEEvT1_
	.globl	_ZN7rocprim17ROCPRIM_400000_NS6detail17trampoline_kernelINS0_14default_configENS1_25partition_config_selectorILNS1_17partition_subalgoE8EtNS0_10empty_typeEbEEZZNS1_14partition_implILS5_8ELb0ES3_jN6thrust23THRUST_200600_302600_NS6detail15normal_iteratorINSA_10device_ptrItEEEEPS6_PKS6_NS0_5tupleIJNSA_16discard_iteratorINSA_11use_defaultEEES6_EEENSJ_IJSG_SG_EEENS0_18inequality_wrapperINSA_8equal_toItEEEEPmJS6_EEE10hipError_tPvRmT3_T4_T5_T6_T7_T9_mT8_P12ihipStream_tbDpT10_ENKUlT_T0_E_clISt17integral_constantIbLb0EES1C_IbLb1EEEEDaS18_S19_EUlS18_E_NS1_11comp_targetILNS1_3genE8ELNS1_11target_archE1030ELNS1_3gpuE2ELNS1_3repE0EEENS1_30default_config_static_selectorELNS0_4arch9wavefront6targetE1EEEvT1_
	.p2align	8
	.type	_ZN7rocprim17ROCPRIM_400000_NS6detail17trampoline_kernelINS0_14default_configENS1_25partition_config_selectorILNS1_17partition_subalgoE8EtNS0_10empty_typeEbEEZZNS1_14partition_implILS5_8ELb0ES3_jN6thrust23THRUST_200600_302600_NS6detail15normal_iteratorINSA_10device_ptrItEEEEPS6_PKS6_NS0_5tupleIJNSA_16discard_iteratorINSA_11use_defaultEEES6_EEENSJ_IJSG_SG_EEENS0_18inequality_wrapperINSA_8equal_toItEEEEPmJS6_EEE10hipError_tPvRmT3_T4_T5_T6_T7_T9_mT8_P12ihipStream_tbDpT10_ENKUlT_T0_E_clISt17integral_constantIbLb0EES1C_IbLb1EEEEDaS18_S19_EUlS18_E_NS1_11comp_targetILNS1_3genE8ELNS1_11target_archE1030ELNS1_3gpuE2ELNS1_3repE0EEENS1_30default_config_static_selectorELNS0_4arch9wavefront6targetE1EEEvT1_,@function
_ZN7rocprim17ROCPRIM_400000_NS6detail17trampoline_kernelINS0_14default_configENS1_25partition_config_selectorILNS1_17partition_subalgoE8EtNS0_10empty_typeEbEEZZNS1_14partition_implILS5_8ELb0ES3_jN6thrust23THRUST_200600_302600_NS6detail15normal_iteratorINSA_10device_ptrItEEEEPS6_PKS6_NS0_5tupleIJNSA_16discard_iteratorINSA_11use_defaultEEES6_EEENSJ_IJSG_SG_EEENS0_18inequality_wrapperINSA_8equal_toItEEEEPmJS6_EEE10hipError_tPvRmT3_T4_T5_T6_T7_T9_mT8_P12ihipStream_tbDpT10_ENKUlT_T0_E_clISt17integral_constantIbLb0EES1C_IbLb1EEEEDaS18_S19_EUlS18_E_NS1_11comp_targetILNS1_3genE8ELNS1_11target_archE1030ELNS1_3gpuE2ELNS1_3repE0EEENS1_30default_config_static_selectorELNS0_4arch9wavefront6targetE1EEEvT1_: ; @_ZN7rocprim17ROCPRIM_400000_NS6detail17trampoline_kernelINS0_14default_configENS1_25partition_config_selectorILNS1_17partition_subalgoE8EtNS0_10empty_typeEbEEZZNS1_14partition_implILS5_8ELb0ES3_jN6thrust23THRUST_200600_302600_NS6detail15normal_iteratorINSA_10device_ptrItEEEEPS6_PKS6_NS0_5tupleIJNSA_16discard_iteratorINSA_11use_defaultEEES6_EEENSJ_IJSG_SG_EEENS0_18inequality_wrapperINSA_8equal_toItEEEEPmJS6_EEE10hipError_tPvRmT3_T4_T5_T6_T7_T9_mT8_P12ihipStream_tbDpT10_ENKUlT_T0_E_clISt17integral_constantIbLb0EES1C_IbLb1EEEEDaS18_S19_EUlS18_E_NS1_11comp_targetILNS1_3genE8ELNS1_11target_archE1030ELNS1_3gpuE2ELNS1_3repE0EEENS1_30default_config_static_selectorELNS0_4arch9wavefront6targetE1EEEvT1_
; %bb.0:
	.section	.rodata,"a",@progbits
	.p2align	6, 0x0
	.amdhsa_kernel _ZN7rocprim17ROCPRIM_400000_NS6detail17trampoline_kernelINS0_14default_configENS1_25partition_config_selectorILNS1_17partition_subalgoE8EtNS0_10empty_typeEbEEZZNS1_14partition_implILS5_8ELb0ES3_jN6thrust23THRUST_200600_302600_NS6detail15normal_iteratorINSA_10device_ptrItEEEEPS6_PKS6_NS0_5tupleIJNSA_16discard_iteratorINSA_11use_defaultEEES6_EEENSJ_IJSG_SG_EEENS0_18inequality_wrapperINSA_8equal_toItEEEEPmJS6_EEE10hipError_tPvRmT3_T4_T5_T6_T7_T9_mT8_P12ihipStream_tbDpT10_ENKUlT_T0_E_clISt17integral_constantIbLb0EES1C_IbLb1EEEEDaS18_S19_EUlS18_E_NS1_11comp_targetILNS1_3genE8ELNS1_11target_archE1030ELNS1_3gpuE2ELNS1_3repE0EEENS1_30default_config_static_selectorELNS0_4arch9wavefront6targetE1EEEvT1_
		.amdhsa_group_segment_fixed_size 0
		.amdhsa_private_segment_fixed_size 0
		.amdhsa_kernarg_size 136
		.amdhsa_user_sgpr_count 6
		.amdhsa_user_sgpr_private_segment_buffer 1
		.amdhsa_user_sgpr_dispatch_ptr 0
		.amdhsa_user_sgpr_queue_ptr 0
		.amdhsa_user_sgpr_kernarg_segment_ptr 1
		.amdhsa_user_sgpr_dispatch_id 0
		.amdhsa_user_sgpr_flat_scratch_init 0
		.amdhsa_user_sgpr_private_segment_size 0
		.amdhsa_uses_dynamic_stack 0
		.amdhsa_system_sgpr_private_segment_wavefront_offset 0
		.amdhsa_system_sgpr_workgroup_id_x 1
		.amdhsa_system_sgpr_workgroup_id_y 0
		.amdhsa_system_sgpr_workgroup_id_z 0
		.amdhsa_system_sgpr_workgroup_info 0
		.amdhsa_system_vgpr_workitem_id 0
		.amdhsa_next_free_vgpr 1
		.amdhsa_next_free_sgpr 0
		.amdhsa_reserve_vcc 0
		.amdhsa_reserve_flat_scratch 0
		.amdhsa_float_round_mode_32 0
		.amdhsa_float_round_mode_16_64 0
		.amdhsa_float_denorm_mode_32 3
		.amdhsa_float_denorm_mode_16_64 3
		.amdhsa_dx10_clamp 1
		.amdhsa_ieee_mode 1
		.amdhsa_fp16_overflow 0
		.amdhsa_exception_fp_ieee_invalid_op 0
		.amdhsa_exception_fp_denorm_src 0
		.amdhsa_exception_fp_ieee_div_zero 0
		.amdhsa_exception_fp_ieee_overflow 0
		.amdhsa_exception_fp_ieee_underflow 0
		.amdhsa_exception_fp_ieee_inexact 0
		.amdhsa_exception_int_div_zero 0
	.end_amdhsa_kernel
	.section	.text._ZN7rocprim17ROCPRIM_400000_NS6detail17trampoline_kernelINS0_14default_configENS1_25partition_config_selectorILNS1_17partition_subalgoE8EtNS0_10empty_typeEbEEZZNS1_14partition_implILS5_8ELb0ES3_jN6thrust23THRUST_200600_302600_NS6detail15normal_iteratorINSA_10device_ptrItEEEEPS6_PKS6_NS0_5tupleIJNSA_16discard_iteratorINSA_11use_defaultEEES6_EEENSJ_IJSG_SG_EEENS0_18inequality_wrapperINSA_8equal_toItEEEEPmJS6_EEE10hipError_tPvRmT3_T4_T5_T6_T7_T9_mT8_P12ihipStream_tbDpT10_ENKUlT_T0_E_clISt17integral_constantIbLb0EES1C_IbLb1EEEEDaS18_S19_EUlS18_E_NS1_11comp_targetILNS1_3genE8ELNS1_11target_archE1030ELNS1_3gpuE2ELNS1_3repE0EEENS1_30default_config_static_selectorELNS0_4arch9wavefront6targetE1EEEvT1_,"axG",@progbits,_ZN7rocprim17ROCPRIM_400000_NS6detail17trampoline_kernelINS0_14default_configENS1_25partition_config_selectorILNS1_17partition_subalgoE8EtNS0_10empty_typeEbEEZZNS1_14partition_implILS5_8ELb0ES3_jN6thrust23THRUST_200600_302600_NS6detail15normal_iteratorINSA_10device_ptrItEEEEPS6_PKS6_NS0_5tupleIJNSA_16discard_iteratorINSA_11use_defaultEEES6_EEENSJ_IJSG_SG_EEENS0_18inequality_wrapperINSA_8equal_toItEEEEPmJS6_EEE10hipError_tPvRmT3_T4_T5_T6_T7_T9_mT8_P12ihipStream_tbDpT10_ENKUlT_T0_E_clISt17integral_constantIbLb0EES1C_IbLb1EEEEDaS18_S19_EUlS18_E_NS1_11comp_targetILNS1_3genE8ELNS1_11target_archE1030ELNS1_3gpuE2ELNS1_3repE0EEENS1_30default_config_static_selectorELNS0_4arch9wavefront6targetE1EEEvT1_,comdat
.Lfunc_end628:
	.size	_ZN7rocprim17ROCPRIM_400000_NS6detail17trampoline_kernelINS0_14default_configENS1_25partition_config_selectorILNS1_17partition_subalgoE8EtNS0_10empty_typeEbEEZZNS1_14partition_implILS5_8ELb0ES3_jN6thrust23THRUST_200600_302600_NS6detail15normal_iteratorINSA_10device_ptrItEEEEPS6_PKS6_NS0_5tupleIJNSA_16discard_iteratorINSA_11use_defaultEEES6_EEENSJ_IJSG_SG_EEENS0_18inequality_wrapperINSA_8equal_toItEEEEPmJS6_EEE10hipError_tPvRmT3_T4_T5_T6_T7_T9_mT8_P12ihipStream_tbDpT10_ENKUlT_T0_E_clISt17integral_constantIbLb0EES1C_IbLb1EEEEDaS18_S19_EUlS18_E_NS1_11comp_targetILNS1_3genE8ELNS1_11target_archE1030ELNS1_3gpuE2ELNS1_3repE0EEENS1_30default_config_static_selectorELNS0_4arch9wavefront6targetE1EEEvT1_, .Lfunc_end628-_ZN7rocprim17ROCPRIM_400000_NS6detail17trampoline_kernelINS0_14default_configENS1_25partition_config_selectorILNS1_17partition_subalgoE8EtNS0_10empty_typeEbEEZZNS1_14partition_implILS5_8ELb0ES3_jN6thrust23THRUST_200600_302600_NS6detail15normal_iteratorINSA_10device_ptrItEEEEPS6_PKS6_NS0_5tupleIJNSA_16discard_iteratorINSA_11use_defaultEEES6_EEENSJ_IJSG_SG_EEENS0_18inequality_wrapperINSA_8equal_toItEEEEPmJS6_EEE10hipError_tPvRmT3_T4_T5_T6_T7_T9_mT8_P12ihipStream_tbDpT10_ENKUlT_T0_E_clISt17integral_constantIbLb0EES1C_IbLb1EEEEDaS18_S19_EUlS18_E_NS1_11comp_targetILNS1_3genE8ELNS1_11target_archE1030ELNS1_3gpuE2ELNS1_3repE0EEENS1_30default_config_static_selectorELNS0_4arch9wavefront6targetE1EEEvT1_
                                        ; -- End function
	.set _ZN7rocprim17ROCPRIM_400000_NS6detail17trampoline_kernelINS0_14default_configENS1_25partition_config_selectorILNS1_17partition_subalgoE8EtNS0_10empty_typeEbEEZZNS1_14partition_implILS5_8ELb0ES3_jN6thrust23THRUST_200600_302600_NS6detail15normal_iteratorINSA_10device_ptrItEEEEPS6_PKS6_NS0_5tupleIJNSA_16discard_iteratorINSA_11use_defaultEEES6_EEENSJ_IJSG_SG_EEENS0_18inequality_wrapperINSA_8equal_toItEEEEPmJS6_EEE10hipError_tPvRmT3_T4_T5_T6_T7_T9_mT8_P12ihipStream_tbDpT10_ENKUlT_T0_E_clISt17integral_constantIbLb0EES1C_IbLb1EEEEDaS18_S19_EUlS18_E_NS1_11comp_targetILNS1_3genE8ELNS1_11target_archE1030ELNS1_3gpuE2ELNS1_3repE0EEENS1_30default_config_static_selectorELNS0_4arch9wavefront6targetE1EEEvT1_.num_vgpr, 0
	.set _ZN7rocprim17ROCPRIM_400000_NS6detail17trampoline_kernelINS0_14default_configENS1_25partition_config_selectorILNS1_17partition_subalgoE8EtNS0_10empty_typeEbEEZZNS1_14partition_implILS5_8ELb0ES3_jN6thrust23THRUST_200600_302600_NS6detail15normal_iteratorINSA_10device_ptrItEEEEPS6_PKS6_NS0_5tupleIJNSA_16discard_iteratorINSA_11use_defaultEEES6_EEENSJ_IJSG_SG_EEENS0_18inequality_wrapperINSA_8equal_toItEEEEPmJS6_EEE10hipError_tPvRmT3_T4_T5_T6_T7_T9_mT8_P12ihipStream_tbDpT10_ENKUlT_T0_E_clISt17integral_constantIbLb0EES1C_IbLb1EEEEDaS18_S19_EUlS18_E_NS1_11comp_targetILNS1_3genE8ELNS1_11target_archE1030ELNS1_3gpuE2ELNS1_3repE0EEENS1_30default_config_static_selectorELNS0_4arch9wavefront6targetE1EEEvT1_.num_agpr, 0
	.set _ZN7rocprim17ROCPRIM_400000_NS6detail17trampoline_kernelINS0_14default_configENS1_25partition_config_selectorILNS1_17partition_subalgoE8EtNS0_10empty_typeEbEEZZNS1_14partition_implILS5_8ELb0ES3_jN6thrust23THRUST_200600_302600_NS6detail15normal_iteratorINSA_10device_ptrItEEEEPS6_PKS6_NS0_5tupleIJNSA_16discard_iteratorINSA_11use_defaultEEES6_EEENSJ_IJSG_SG_EEENS0_18inequality_wrapperINSA_8equal_toItEEEEPmJS6_EEE10hipError_tPvRmT3_T4_T5_T6_T7_T9_mT8_P12ihipStream_tbDpT10_ENKUlT_T0_E_clISt17integral_constantIbLb0EES1C_IbLb1EEEEDaS18_S19_EUlS18_E_NS1_11comp_targetILNS1_3genE8ELNS1_11target_archE1030ELNS1_3gpuE2ELNS1_3repE0EEENS1_30default_config_static_selectorELNS0_4arch9wavefront6targetE1EEEvT1_.numbered_sgpr, 0
	.set _ZN7rocprim17ROCPRIM_400000_NS6detail17trampoline_kernelINS0_14default_configENS1_25partition_config_selectorILNS1_17partition_subalgoE8EtNS0_10empty_typeEbEEZZNS1_14partition_implILS5_8ELb0ES3_jN6thrust23THRUST_200600_302600_NS6detail15normal_iteratorINSA_10device_ptrItEEEEPS6_PKS6_NS0_5tupleIJNSA_16discard_iteratorINSA_11use_defaultEEES6_EEENSJ_IJSG_SG_EEENS0_18inequality_wrapperINSA_8equal_toItEEEEPmJS6_EEE10hipError_tPvRmT3_T4_T5_T6_T7_T9_mT8_P12ihipStream_tbDpT10_ENKUlT_T0_E_clISt17integral_constantIbLb0EES1C_IbLb1EEEEDaS18_S19_EUlS18_E_NS1_11comp_targetILNS1_3genE8ELNS1_11target_archE1030ELNS1_3gpuE2ELNS1_3repE0EEENS1_30default_config_static_selectorELNS0_4arch9wavefront6targetE1EEEvT1_.num_named_barrier, 0
	.set _ZN7rocprim17ROCPRIM_400000_NS6detail17trampoline_kernelINS0_14default_configENS1_25partition_config_selectorILNS1_17partition_subalgoE8EtNS0_10empty_typeEbEEZZNS1_14partition_implILS5_8ELb0ES3_jN6thrust23THRUST_200600_302600_NS6detail15normal_iteratorINSA_10device_ptrItEEEEPS6_PKS6_NS0_5tupleIJNSA_16discard_iteratorINSA_11use_defaultEEES6_EEENSJ_IJSG_SG_EEENS0_18inequality_wrapperINSA_8equal_toItEEEEPmJS6_EEE10hipError_tPvRmT3_T4_T5_T6_T7_T9_mT8_P12ihipStream_tbDpT10_ENKUlT_T0_E_clISt17integral_constantIbLb0EES1C_IbLb1EEEEDaS18_S19_EUlS18_E_NS1_11comp_targetILNS1_3genE8ELNS1_11target_archE1030ELNS1_3gpuE2ELNS1_3repE0EEENS1_30default_config_static_selectorELNS0_4arch9wavefront6targetE1EEEvT1_.private_seg_size, 0
	.set _ZN7rocprim17ROCPRIM_400000_NS6detail17trampoline_kernelINS0_14default_configENS1_25partition_config_selectorILNS1_17partition_subalgoE8EtNS0_10empty_typeEbEEZZNS1_14partition_implILS5_8ELb0ES3_jN6thrust23THRUST_200600_302600_NS6detail15normal_iteratorINSA_10device_ptrItEEEEPS6_PKS6_NS0_5tupleIJNSA_16discard_iteratorINSA_11use_defaultEEES6_EEENSJ_IJSG_SG_EEENS0_18inequality_wrapperINSA_8equal_toItEEEEPmJS6_EEE10hipError_tPvRmT3_T4_T5_T6_T7_T9_mT8_P12ihipStream_tbDpT10_ENKUlT_T0_E_clISt17integral_constantIbLb0EES1C_IbLb1EEEEDaS18_S19_EUlS18_E_NS1_11comp_targetILNS1_3genE8ELNS1_11target_archE1030ELNS1_3gpuE2ELNS1_3repE0EEENS1_30default_config_static_selectorELNS0_4arch9wavefront6targetE1EEEvT1_.uses_vcc, 0
	.set _ZN7rocprim17ROCPRIM_400000_NS6detail17trampoline_kernelINS0_14default_configENS1_25partition_config_selectorILNS1_17partition_subalgoE8EtNS0_10empty_typeEbEEZZNS1_14partition_implILS5_8ELb0ES3_jN6thrust23THRUST_200600_302600_NS6detail15normal_iteratorINSA_10device_ptrItEEEEPS6_PKS6_NS0_5tupleIJNSA_16discard_iteratorINSA_11use_defaultEEES6_EEENSJ_IJSG_SG_EEENS0_18inequality_wrapperINSA_8equal_toItEEEEPmJS6_EEE10hipError_tPvRmT3_T4_T5_T6_T7_T9_mT8_P12ihipStream_tbDpT10_ENKUlT_T0_E_clISt17integral_constantIbLb0EES1C_IbLb1EEEEDaS18_S19_EUlS18_E_NS1_11comp_targetILNS1_3genE8ELNS1_11target_archE1030ELNS1_3gpuE2ELNS1_3repE0EEENS1_30default_config_static_selectorELNS0_4arch9wavefront6targetE1EEEvT1_.uses_flat_scratch, 0
	.set _ZN7rocprim17ROCPRIM_400000_NS6detail17trampoline_kernelINS0_14default_configENS1_25partition_config_selectorILNS1_17partition_subalgoE8EtNS0_10empty_typeEbEEZZNS1_14partition_implILS5_8ELb0ES3_jN6thrust23THRUST_200600_302600_NS6detail15normal_iteratorINSA_10device_ptrItEEEEPS6_PKS6_NS0_5tupleIJNSA_16discard_iteratorINSA_11use_defaultEEES6_EEENSJ_IJSG_SG_EEENS0_18inequality_wrapperINSA_8equal_toItEEEEPmJS6_EEE10hipError_tPvRmT3_T4_T5_T6_T7_T9_mT8_P12ihipStream_tbDpT10_ENKUlT_T0_E_clISt17integral_constantIbLb0EES1C_IbLb1EEEEDaS18_S19_EUlS18_E_NS1_11comp_targetILNS1_3genE8ELNS1_11target_archE1030ELNS1_3gpuE2ELNS1_3repE0EEENS1_30default_config_static_selectorELNS0_4arch9wavefront6targetE1EEEvT1_.has_dyn_sized_stack, 0
	.set _ZN7rocprim17ROCPRIM_400000_NS6detail17trampoline_kernelINS0_14default_configENS1_25partition_config_selectorILNS1_17partition_subalgoE8EtNS0_10empty_typeEbEEZZNS1_14partition_implILS5_8ELb0ES3_jN6thrust23THRUST_200600_302600_NS6detail15normal_iteratorINSA_10device_ptrItEEEEPS6_PKS6_NS0_5tupleIJNSA_16discard_iteratorINSA_11use_defaultEEES6_EEENSJ_IJSG_SG_EEENS0_18inequality_wrapperINSA_8equal_toItEEEEPmJS6_EEE10hipError_tPvRmT3_T4_T5_T6_T7_T9_mT8_P12ihipStream_tbDpT10_ENKUlT_T0_E_clISt17integral_constantIbLb0EES1C_IbLb1EEEEDaS18_S19_EUlS18_E_NS1_11comp_targetILNS1_3genE8ELNS1_11target_archE1030ELNS1_3gpuE2ELNS1_3repE0EEENS1_30default_config_static_selectorELNS0_4arch9wavefront6targetE1EEEvT1_.has_recursion, 0
	.set _ZN7rocprim17ROCPRIM_400000_NS6detail17trampoline_kernelINS0_14default_configENS1_25partition_config_selectorILNS1_17partition_subalgoE8EtNS0_10empty_typeEbEEZZNS1_14partition_implILS5_8ELb0ES3_jN6thrust23THRUST_200600_302600_NS6detail15normal_iteratorINSA_10device_ptrItEEEEPS6_PKS6_NS0_5tupleIJNSA_16discard_iteratorINSA_11use_defaultEEES6_EEENSJ_IJSG_SG_EEENS0_18inequality_wrapperINSA_8equal_toItEEEEPmJS6_EEE10hipError_tPvRmT3_T4_T5_T6_T7_T9_mT8_P12ihipStream_tbDpT10_ENKUlT_T0_E_clISt17integral_constantIbLb0EES1C_IbLb1EEEEDaS18_S19_EUlS18_E_NS1_11comp_targetILNS1_3genE8ELNS1_11target_archE1030ELNS1_3gpuE2ELNS1_3repE0EEENS1_30default_config_static_selectorELNS0_4arch9wavefront6targetE1EEEvT1_.has_indirect_call, 0
	.section	.AMDGPU.csdata,"",@progbits
; Kernel info:
; codeLenInByte = 0
; TotalNumSgprs: 4
; NumVgprs: 0
; ScratchSize: 0
; MemoryBound: 0
; FloatMode: 240
; IeeeMode: 1
; LDSByteSize: 0 bytes/workgroup (compile time only)
; SGPRBlocks: 0
; VGPRBlocks: 0
; NumSGPRsForWavesPerEU: 4
; NumVGPRsForWavesPerEU: 1
; Occupancy: 10
; WaveLimiterHint : 0
; COMPUTE_PGM_RSRC2:SCRATCH_EN: 0
; COMPUTE_PGM_RSRC2:USER_SGPR: 6
; COMPUTE_PGM_RSRC2:TRAP_HANDLER: 0
; COMPUTE_PGM_RSRC2:TGID_X_EN: 1
; COMPUTE_PGM_RSRC2:TGID_Y_EN: 0
; COMPUTE_PGM_RSRC2:TGID_Z_EN: 0
; COMPUTE_PGM_RSRC2:TIDIG_COMP_CNT: 0
	.section	.text._ZN7rocprim17ROCPRIM_400000_NS6detail17trampoline_kernelINS0_14default_configENS1_25partition_config_selectorILNS1_17partition_subalgoE8ExNS0_10empty_typeEbEEZZNS1_14partition_implILS5_8ELb0ES3_jN6thrust23THRUST_200600_302600_NS6detail15normal_iteratorINSA_10device_ptrIxEEEEPS6_PKS6_NS0_5tupleIJNSA_16discard_iteratorINSA_11use_defaultEEES6_EEENSJ_IJSG_SG_EEENS0_18inequality_wrapperINSA_8equal_toIxEEEEPmJS6_EEE10hipError_tPvRmT3_T4_T5_T6_T7_T9_mT8_P12ihipStream_tbDpT10_ENKUlT_T0_E_clISt17integral_constantIbLb0EES1D_EEDaS18_S19_EUlS18_E_NS1_11comp_targetILNS1_3genE0ELNS1_11target_archE4294967295ELNS1_3gpuE0ELNS1_3repE0EEENS1_30default_config_static_selectorELNS0_4arch9wavefront6targetE1EEEvT1_,"axG",@progbits,_ZN7rocprim17ROCPRIM_400000_NS6detail17trampoline_kernelINS0_14default_configENS1_25partition_config_selectorILNS1_17partition_subalgoE8ExNS0_10empty_typeEbEEZZNS1_14partition_implILS5_8ELb0ES3_jN6thrust23THRUST_200600_302600_NS6detail15normal_iteratorINSA_10device_ptrIxEEEEPS6_PKS6_NS0_5tupleIJNSA_16discard_iteratorINSA_11use_defaultEEES6_EEENSJ_IJSG_SG_EEENS0_18inequality_wrapperINSA_8equal_toIxEEEEPmJS6_EEE10hipError_tPvRmT3_T4_T5_T6_T7_T9_mT8_P12ihipStream_tbDpT10_ENKUlT_T0_E_clISt17integral_constantIbLb0EES1D_EEDaS18_S19_EUlS18_E_NS1_11comp_targetILNS1_3genE0ELNS1_11target_archE4294967295ELNS1_3gpuE0ELNS1_3repE0EEENS1_30default_config_static_selectorELNS0_4arch9wavefront6targetE1EEEvT1_,comdat
	.protected	_ZN7rocprim17ROCPRIM_400000_NS6detail17trampoline_kernelINS0_14default_configENS1_25partition_config_selectorILNS1_17partition_subalgoE8ExNS0_10empty_typeEbEEZZNS1_14partition_implILS5_8ELb0ES3_jN6thrust23THRUST_200600_302600_NS6detail15normal_iteratorINSA_10device_ptrIxEEEEPS6_PKS6_NS0_5tupleIJNSA_16discard_iteratorINSA_11use_defaultEEES6_EEENSJ_IJSG_SG_EEENS0_18inequality_wrapperINSA_8equal_toIxEEEEPmJS6_EEE10hipError_tPvRmT3_T4_T5_T6_T7_T9_mT8_P12ihipStream_tbDpT10_ENKUlT_T0_E_clISt17integral_constantIbLb0EES1D_EEDaS18_S19_EUlS18_E_NS1_11comp_targetILNS1_3genE0ELNS1_11target_archE4294967295ELNS1_3gpuE0ELNS1_3repE0EEENS1_30default_config_static_selectorELNS0_4arch9wavefront6targetE1EEEvT1_ ; -- Begin function _ZN7rocprim17ROCPRIM_400000_NS6detail17trampoline_kernelINS0_14default_configENS1_25partition_config_selectorILNS1_17partition_subalgoE8ExNS0_10empty_typeEbEEZZNS1_14partition_implILS5_8ELb0ES3_jN6thrust23THRUST_200600_302600_NS6detail15normal_iteratorINSA_10device_ptrIxEEEEPS6_PKS6_NS0_5tupleIJNSA_16discard_iteratorINSA_11use_defaultEEES6_EEENSJ_IJSG_SG_EEENS0_18inequality_wrapperINSA_8equal_toIxEEEEPmJS6_EEE10hipError_tPvRmT3_T4_T5_T6_T7_T9_mT8_P12ihipStream_tbDpT10_ENKUlT_T0_E_clISt17integral_constantIbLb0EES1D_EEDaS18_S19_EUlS18_E_NS1_11comp_targetILNS1_3genE0ELNS1_11target_archE4294967295ELNS1_3gpuE0ELNS1_3repE0EEENS1_30default_config_static_selectorELNS0_4arch9wavefront6targetE1EEEvT1_
	.globl	_ZN7rocprim17ROCPRIM_400000_NS6detail17trampoline_kernelINS0_14default_configENS1_25partition_config_selectorILNS1_17partition_subalgoE8ExNS0_10empty_typeEbEEZZNS1_14partition_implILS5_8ELb0ES3_jN6thrust23THRUST_200600_302600_NS6detail15normal_iteratorINSA_10device_ptrIxEEEEPS6_PKS6_NS0_5tupleIJNSA_16discard_iteratorINSA_11use_defaultEEES6_EEENSJ_IJSG_SG_EEENS0_18inequality_wrapperINSA_8equal_toIxEEEEPmJS6_EEE10hipError_tPvRmT3_T4_T5_T6_T7_T9_mT8_P12ihipStream_tbDpT10_ENKUlT_T0_E_clISt17integral_constantIbLb0EES1D_EEDaS18_S19_EUlS18_E_NS1_11comp_targetILNS1_3genE0ELNS1_11target_archE4294967295ELNS1_3gpuE0ELNS1_3repE0EEENS1_30default_config_static_selectorELNS0_4arch9wavefront6targetE1EEEvT1_
	.p2align	8
	.type	_ZN7rocprim17ROCPRIM_400000_NS6detail17trampoline_kernelINS0_14default_configENS1_25partition_config_selectorILNS1_17partition_subalgoE8ExNS0_10empty_typeEbEEZZNS1_14partition_implILS5_8ELb0ES3_jN6thrust23THRUST_200600_302600_NS6detail15normal_iteratorINSA_10device_ptrIxEEEEPS6_PKS6_NS0_5tupleIJNSA_16discard_iteratorINSA_11use_defaultEEES6_EEENSJ_IJSG_SG_EEENS0_18inequality_wrapperINSA_8equal_toIxEEEEPmJS6_EEE10hipError_tPvRmT3_T4_T5_T6_T7_T9_mT8_P12ihipStream_tbDpT10_ENKUlT_T0_E_clISt17integral_constantIbLb0EES1D_EEDaS18_S19_EUlS18_E_NS1_11comp_targetILNS1_3genE0ELNS1_11target_archE4294967295ELNS1_3gpuE0ELNS1_3repE0EEENS1_30default_config_static_selectorELNS0_4arch9wavefront6targetE1EEEvT1_,@function
_ZN7rocprim17ROCPRIM_400000_NS6detail17trampoline_kernelINS0_14default_configENS1_25partition_config_selectorILNS1_17partition_subalgoE8ExNS0_10empty_typeEbEEZZNS1_14partition_implILS5_8ELb0ES3_jN6thrust23THRUST_200600_302600_NS6detail15normal_iteratorINSA_10device_ptrIxEEEEPS6_PKS6_NS0_5tupleIJNSA_16discard_iteratorINSA_11use_defaultEEES6_EEENSJ_IJSG_SG_EEENS0_18inequality_wrapperINSA_8equal_toIxEEEEPmJS6_EEE10hipError_tPvRmT3_T4_T5_T6_T7_T9_mT8_P12ihipStream_tbDpT10_ENKUlT_T0_E_clISt17integral_constantIbLb0EES1D_EEDaS18_S19_EUlS18_E_NS1_11comp_targetILNS1_3genE0ELNS1_11target_archE4294967295ELNS1_3gpuE0ELNS1_3repE0EEENS1_30default_config_static_selectorELNS0_4arch9wavefront6targetE1EEEvT1_: ; @_ZN7rocprim17ROCPRIM_400000_NS6detail17trampoline_kernelINS0_14default_configENS1_25partition_config_selectorILNS1_17partition_subalgoE8ExNS0_10empty_typeEbEEZZNS1_14partition_implILS5_8ELb0ES3_jN6thrust23THRUST_200600_302600_NS6detail15normal_iteratorINSA_10device_ptrIxEEEEPS6_PKS6_NS0_5tupleIJNSA_16discard_iteratorINSA_11use_defaultEEES6_EEENSJ_IJSG_SG_EEENS0_18inequality_wrapperINSA_8equal_toIxEEEEPmJS6_EEE10hipError_tPvRmT3_T4_T5_T6_T7_T9_mT8_P12ihipStream_tbDpT10_ENKUlT_T0_E_clISt17integral_constantIbLb0EES1D_EEDaS18_S19_EUlS18_E_NS1_11comp_targetILNS1_3genE0ELNS1_11target_archE4294967295ELNS1_3gpuE0ELNS1_3repE0EEENS1_30default_config_static_selectorELNS0_4arch9wavefront6targetE1EEEvT1_
; %bb.0:
	.section	.rodata,"a",@progbits
	.p2align	6, 0x0
	.amdhsa_kernel _ZN7rocprim17ROCPRIM_400000_NS6detail17trampoline_kernelINS0_14default_configENS1_25partition_config_selectorILNS1_17partition_subalgoE8ExNS0_10empty_typeEbEEZZNS1_14partition_implILS5_8ELb0ES3_jN6thrust23THRUST_200600_302600_NS6detail15normal_iteratorINSA_10device_ptrIxEEEEPS6_PKS6_NS0_5tupleIJNSA_16discard_iteratorINSA_11use_defaultEEES6_EEENSJ_IJSG_SG_EEENS0_18inequality_wrapperINSA_8equal_toIxEEEEPmJS6_EEE10hipError_tPvRmT3_T4_T5_T6_T7_T9_mT8_P12ihipStream_tbDpT10_ENKUlT_T0_E_clISt17integral_constantIbLb0EES1D_EEDaS18_S19_EUlS18_E_NS1_11comp_targetILNS1_3genE0ELNS1_11target_archE4294967295ELNS1_3gpuE0ELNS1_3repE0EEENS1_30default_config_static_selectorELNS0_4arch9wavefront6targetE1EEEvT1_
		.amdhsa_group_segment_fixed_size 0
		.amdhsa_private_segment_fixed_size 0
		.amdhsa_kernarg_size 120
		.amdhsa_user_sgpr_count 6
		.amdhsa_user_sgpr_private_segment_buffer 1
		.amdhsa_user_sgpr_dispatch_ptr 0
		.amdhsa_user_sgpr_queue_ptr 0
		.amdhsa_user_sgpr_kernarg_segment_ptr 1
		.amdhsa_user_sgpr_dispatch_id 0
		.amdhsa_user_sgpr_flat_scratch_init 0
		.amdhsa_user_sgpr_private_segment_size 0
		.amdhsa_uses_dynamic_stack 0
		.amdhsa_system_sgpr_private_segment_wavefront_offset 0
		.amdhsa_system_sgpr_workgroup_id_x 1
		.amdhsa_system_sgpr_workgroup_id_y 0
		.amdhsa_system_sgpr_workgroup_id_z 0
		.amdhsa_system_sgpr_workgroup_info 0
		.amdhsa_system_vgpr_workitem_id 0
		.amdhsa_next_free_vgpr 1
		.amdhsa_next_free_sgpr 0
		.amdhsa_reserve_vcc 0
		.amdhsa_reserve_flat_scratch 0
		.amdhsa_float_round_mode_32 0
		.amdhsa_float_round_mode_16_64 0
		.amdhsa_float_denorm_mode_32 3
		.amdhsa_float_denorm_mode_16_64 3
		.amdhsa_dx10_clamp 1
		.amdhsa_ieee_mode 1
		.amdhsa_fp16_overflow 0
		.amdhsa_exception_fp_ieee_invalid_op 0
		.amdhsa_exception_fp_denorm_src 0
		.amdhsa_exception_fp_ieee_div_zero 0
		.amdhsa_exception_fp_ieee_overflow 0
		.amdhsa_exception_fp_ieee_underflow 0
		.amdhsa_exception_fp_ieee_inexact 0
		.amdhsa_exception_int_div_zero 0
	.end_amdhsa_kernel
	.section	.text._ZN7rocprim17ROCPRIM_400000_NS6detail17trampoline_kernelINS0_14default_configENS1_25partition_config_selectorILNS1_17partition_subalgoE8ExNS0_10empty_typeEbEEZZNS1_14partition_implILS5_8ELb0ES3_jN6thrust23THRUST_200600_302600_NS6detail15normal_iteratorINSA_10device_ptrIxEEEEPS6_PKS6_NS0_5tupleIJNSA_16discard_iteratorINSA_11use_defaultEEES6_EEENSJ_IJSG_SG_EEENS0_18inequality_wrapperINSA_8equal_toIxEEEEPmJS6_EEE10hipError_tPvRmT3_T4_T5_T6_T7_T9_mT8_P12ihipStream_tbDpT10_ENKUlT_T0_E_clISt17integral_constantIbLb0EES1D_EEDaS18_S19_EUlS18_E_NS1_11comp_targetILNS1_3genE0ELNS1_11target_archE4294967295ELNS1_3gpuE0ELNS1_3repE0EEENS1_30default_config_static_selectorELNS0_4arch9wavefront6targetE1EEEvT1_,"axG",@progbits,_ZN7rocprim17ROCPRIM_400000_NS6detail17trampoline_kernelINS0_14default_configENS1_25partition_config_selectorILNS1_17partition_subalgoE8ExNS0_10empty_typeEbEEZZNS1_14partition_implILS5_8ELb0ES3_jN6thrust23THRUST_200600_302600_NS6detail15normal_iteratorINSA_10device_ptrIxEEEEPS6_PKS6_NS0_5tupleIJNSA_16discard_iteratorINSA_11use_defaultEEES6_EEENSJ_IJSG_SG_EEENS0_18inequality_wrapperINSA_8equal_toIxEEEEPmJS6_EEE10hipError_tPvRmT3_T4_T5_T6_T7_T9_mT8_P12ihipStream_tbDpT10_ENKUlT_T0_E_clISt17integral_constantIbLb0EES1D_EEDaS18_S19_EUlS18_E_NS1_11comp_targetILNS1_3genE0ELNS1_11target_archE4294967295ELNS1_3gpuE0ELNS1_3repE0EEENS1_30default_config_static_selectorELNS0_4arch9wavefront6targetE1EEEvT1_,comdat
.Lfunc_end629:
	.size	_ZN7rocprim17ROCPRIM_400000_NS6detail17trampoline_kernelINS0_14default_configENS1_25partition_config_selectorILNS1_17partition_subalgoE8ExNS0_10empty_typeEbEEZZNS1_14partition_implILS5_8ELb0ES3_jN6thrust23THRUST_200600_302600_NS6detail15normal_iteratorINSA_10device_ptrIxEEEEPS6_PKS6_NS0_5tupleIJNSA_16discard_iteratorINSA_11use_defaultEEES6_EEENSJ_IJSG_SG_EEENS0_18inequality_wrapperINSA_8equal_toIxEEEEPmJS6_EEE10hipError_tPvRmT3_T4_T5_T6_T7_T9_mT8_P12ihipStream_tbDpT10_ENKUlT_T0_E_clISt17integral_constantIbLb0EES1D_EEDaS18_S19_EUlS18_E_NS1_11comp_targetILNS1_3genE0ELNS1_11target_archE4294967295ELNS1_3gpuE0ELNS1_3repE0EEENS1_30default_config_static_selectorELNS0_4arch9wavefront6targetE1EEEvT1_, .Lfunc_end629-_ZN7rocprim17ROCPRIM_400000_NS6detail17trampoline_kernelINS0_14default_configENS1_25partition_config_selectorILNS1_17partition_subalgoE8ExNS0_10empty_typeEbEEZZNS1_14partition_implILS5_8ELb0ES3_jN6thrust23THRUST_200600_302600_NS6detail15normal_iteratorINSA_10device_ptrIxEEEEPS6_PKS6_NS0_5tupleIJNSA_16discard_iteratorINSA_11use_defaultEEES6_EEENSJ_IJSG_SG_EEENS0_18inequality_wrapperINSA_8equal_toIxEEEEPmJS6_EEE10hipError_tPvRmT3_T4_T5_T6_T7_T9_mT8_P12ihipStream_tbDpT10_ENKUlT_T0_E_clISt17integral_constantIbLb0EES1D_EEDaS18_S19_EUlS18_E_NS1_11comp_targetILNS1_3genE0ELNS1_11target_archE4294967295ELNS1_3gpuE0ELNS1_3repE0EEENS1_30default_config_static_selectorELNS0_4arch9wavefront6targetE1EEEvT1_
                                        ; -- End function
	.set _ZN7rocprim17ROCPRIM_400000_NS6detail17trampoline_kernelINS0_14default_configENS1_25partition_config_selectorILNS1_17partition_subalgoE8ExNS0_10empty_typeEbEEZZNS1_14partition_implILS5_8ELb0ES3_jN6thrust23THRUST_200600_302600_NS6detail15normal_iteratorINSA_10device_ptrIxEEEEPS6_PKS6_NS0_5tupleIJNSA_16discard_iteratorINSA_11use_defaultEEES6_EEENSJ_IJSG_SG_EEENS0_18inequality_wrapperINSA_8equal_toIxEEEEPmJS6_EEE10hipError_tPvRmT3_T4_T5_T6_T7_T9_mT8_P12ihipStream_tbDpT10_ENKUlT_T0_E_clISt17integral_constantIbLb0EES1D_EEDaS18_S19_EUlS18_E_NS1_11comp_targetILNS1_3genE0ELNS1_11target_archE4294967295ELNS1_3gpuE0ELNS1_3repE0EEENS1_30default_config_static_selectorELNS0_4arch9wavefront6targetE1EEEvT1_.num_vgpr, 0
	.set _ZN7rocprim17ROCPRIM_400000_NS6detail17trampoline_kernelINS0_14default_configENS1_25partition_config_selectorILNS1_17partition_subalgoE8ExNS0_10empty_typeEbEEZZNS1_14partition_implILS5_8ELb0ES3_jN6thrust23THRUST_200600_302600_NS6detail15normal_iteratorINSA_10device_ptrIxEEEEPS6_PKS6_NS0_5tupleIJNSA_16discard_iteratorINSA_11use_defaultEEES6_EEENSJ_IJSG_SG_EEENS0_18inequality_wrapperINSA_8equal_toIxEEEEPmJS6_EEE10hipError_tPvRmT3_T4_T5_T6_T7_T9_mT8_P12ihipStream_tbDpT10_ENKUlT_T0_E_clISt17integral_constantIbLb0EES1D_EEDaS18_S19_EUlS18_E_NS1_11comp_targetILNS1_3genE0ELNS1_11target_archE4294967295ELNS1_3gpuE0ELNS1_3repE0EEENS1_30default_config_static_selectorELNS0_4arch9wavefront6targetE1EEEvT1_.num_agpr, 0
	.set _ZN7rocprim17ROCPRIM_400000_NS6detail17trampoline_kernelINS0_14default_configENS1_25partition_config_selectorILNS1_17partition_subalgoE8ExNS0_10empty_typeEbEEZZNS1_14partition_implILS5_8ELb0ES3_jN6thrust23THRUST_200600_302600_NS6detail15normal_iteratorINSA_10device_ptrIxEEEEPS6_PKS6_NS0_5tupleIJNSA_16discard_iteratorINSA_11use_defaultEEES6_EEENSJ_IJSG_SG_EEENS0_18inequality_wrapperINSA_8equal_toIxEEEEPmJS6_EEE10hipError_tPvRmT3_T4_T5_T6_T7_T9_mT8_P12ihipStream_tbDpT10_ENKUlT_T0_E_clISt17integral_constantIbLb0EES1D_EEDaS18_S19_EUlS18_E_NS1_11comp_targetILNS1_3genE0ELNS1_11target_archE4294967295ELNS1_3gpuE0ELNS1_3repE0EEENS1_30default_config_static_selectorELNS0_4arch9wavefront6targetE1EEEvT1_.numbered_sgpr, 0
	.set _ZN7rocprim17ROCPRIM_400000_NS6detail17trampoline_kernelINS0_14default_configENS1_25partition_config_selectorILNS1_17partition_subalgoE8ExNS0_10empty_typeEbEEZZNS1_14partition_implILS5_8ELb0ES3_jN6thrust23THRUST_200600_302600_NS6detail15normal_iteratorINSA_10device_ptrIxEEEEPS6_PKS6_NS0_5tupleIJNSA_16discard_iteratorINSA_11use_defaultEEES6_EEENSJ_IJSG_SG_EEENS0_18inequality_wrapperINSA_8equal_toIxEEEEPmJS6_EEE10hipError_tPvRmT3_T4_T5_T6_T7_T9_mT8_P12ihipStream_tbDpT10_ENKUlT_T0_E_clISt17integral_constantIbLb0EES1D_EEDaS18_S19_EUlS18_E_NS1_11comp_targetILNS1_3genE0ELNS1_11target_archE4294967295ELNS1_3gpuE0ELNS1_3repE0EEENS1_30default_config_static_selectorELNS0_4arch9wavefront6targetE1EEEvT1_.num_named_barrier, 0
	.set _ZN7rocprim17ROCPRIM_400000_NS6detail17trampoline_kernelINS0_14default_configENS1_25partition_config_selectorILNS1_17partition_subalgoE8ExNS0_10empty_typeEbEEZZNS1_14partition_implILS5_8ELb0ES3_jN6thrust23THRUST_200600_302600_NS6detail15normal_iteratorINSA_10device_ptrIxEEEEPS6_PKS6_NS0_5tupleIJNSA_16discard_iteratorINSA_11use_defaultEEES6_EEENSJ_IJSG_SG_EEENS0_18inequality_wrapperINSA_8equal_toIxEEEEPmJS6_EEE10hipError_tPvRmT3_T4_T5_T6_T7_T9_mT8_P12ihipStream_tbDpT10_ENKUlT_T0_E_clISt17integral_constantIbLb0EES1D_EEDaS18_S19_EUlS18_E_NS1_11comp_targetILNS1_3genE0ELNS1_11target_archE4294967295ELNS1_3gpuE0ELNS1_3repE0EEENS1_30default_config_static_selectorELNS0_4arch9wavefront6targetE1EEEvT1_.private_seg_size, 0
	.set _ZN7rocprim17ROCPRIM_400000_NS6detail17trampoline_kernelINS0_14default_configENS1_25partition_config_selectorILNS1_17partition_subalgoE8ExNS0_10empty_typeEbEEZZNS1_14partition_implILS5_8ELb0ES3_jN6thrust23THRUST_200600_302600_NS6detail15normal_iteratorINSA_10device_ptrIxEEEEPS6_PKS6_NS0_5tupleIJNSA_16discard_iteratorINSA_11use_defaultEEES6_EEENSJ_IJSG_SG_EEENS0_18inequality_wrapperINSA_8equal_toIxEEEEPmJS6_EEE10hipError_tPvRmT3_T4_T5_T6_T7_T9_mT8_P12ihipStream_tbDpT10_ENKUlT_T0_E_clISt17integral_constantIbLb0EES1D_EEDaS18_S19_EUlS18_E_NS1_11comp_targetILNS1_3genE0ELNS1_11target_archE4294967295ELNS1_3gpuE0ELNS1_3repE0EEENS1_30default_config_static_selectorELNS0_4arch9wavefront6targetE1EEEvT1_.uses_vcc, 0
	.set _ZN7rocprim17ROCPRIM_400000_NS6detail17trampoline_kernelINS0_14default_configENS1_25partition_config_selectorILNS1_17partition_subalgoE8ExNS0_10empty_typeEbEEZZNS1_14partition_implILS5_8ELb0ES3_jN6thrust23THRUST_200600_302600_NS6detail15normal_iteratorINSA_10device_ptrIxEEEEPS6_PKS6_NS0_5tupleIJNSA_16discard_iteratorINSA_11use_defaultEEES6_EEENSJ_IJSG_SG_EEENS0_18inequality_wrapperINSA_8equal_toIxEEEEPmJS6_EEE10hipError_tPvRmT3_T4_T5_T6_T7_T9_mT8_P12ihipStream_tbDpT10_ENKUlT_T0_E_clISt17integral_constantIbLb0EES1D_EEDaS18_S19_EUlS18_E_NS1_11comp_targetILNS1_3genE0ELNS1_11target_archE4294967295ELNS1_3gpuE0ELNS1_3repE0EEENS1_30default_config_static_selectorELNS0_4arch9wavefront6targetE1EEEvT1_.uses_flat_scratch, 0
	.set _ZN7rocprim17ROCPRIM_400000_NS6detail17trampoline_kernelINS0_14default_configENS1_25partition_config_selectorILNS1_17partition_subalgoE8ExNS0_10empty_typeEbEEZZNS1_14partition_implILS5_8ELb0ES3_jN6thrust23THRUST_200600_302600_NS6detail15normal_iteratorINSA_10device_ptrIxEEEEPS6_PKS6_NS0_5tupleIJNSA_16discard_iteratorINSA_11use_defaultEEES6_EEENSJ_IJSG_SG_EEENS0_18inequality_wrapperINSA_8equal_toIxEEEEPmJS6_EEE10hipError_tPvRmT3_T4_T5_T6_T7_T9_mT8_P12ihipStream_tbDpT10_ENKUlT_T0_E_clISt17integral_constantIbLb0EES1D_EEDaS18_S19_EUlS18_E_NS1_11comp_targetILNS1_3genE0ELNS1_11target_archE4294967295ELNS1_3gpuE0ELNS1_3repE0EEENS1_30default_config_static_selectorELNS0_4arch9wavefront6targetE1EEEvT1_.has_dyn_sized_stack, 0
	.set _ZN7rocprim17ROCPRIM_400000_NS6detail17trampoline_kernelINS0_14default_configENS1_25partition_config_selectorILNS1_17partition_subalgoE8ExNS0_10empty_typeEbEEZZNS1_14partition_implILS5_8ELb0ES3_jN6thrust23THRUST_200600_302600_NS6detail15normal_iteratorINSA_10device_ptrIxEEEEPS6_PKS6_NS0_5tupleIJNSA_16discard_iteratorINSA_11use_defaultEEES6_EEENSJ_IJSG_SG_EEENS0_18inequality_wrapperINSA_8equal_toIxEEEEPmJS6_EEE10hipError_tPvRmT3_T4_T5_T6_T7_T9_mT8_P12ihipStream_tbDpT10_ENKUlT_T0_E_clISt17integral_constantIbLb0EES1D_EEDaS18_S19_EUlS18_E_NS1_11comp_targetILNS1_3genE0ELNS1_11target_archE4294967295ELNS1_3gpuE0ELNS1_3repE0EEENS1_30default_config_static_selectorELNS0_4arch9wavefront6targetE1EEEvT1_.has_recursion, 0
	.set _ZN7rocprim17ROCPRIM_400000_NS6detail17trampoline_kernelINS0_14default_configENS1_25partition_config_selectorILNS1_17partition_subalgoE8ExNS0_10empty_typeEbEEZZNS1_14partition_implILS5_8ELb0ES3_jN6thrust23THRUST_200600_302600_NS6detail15normal_iteratorINSA_10device_ptrIxEEEEPS6_PKS6_NS0_5tupleIJNSA_16discard_iteratorINSA_11use_defaultEEES6_EEENSJ_IJSG_SG_EEENS0_18inequality_wrapperINSA_8equal_toIxEEEEPmJS6_EEE10hipError_tPvRmT3_T4_T5_T6_T7_T9_mT8_P12ihipStream_tbDpT10_ENKUlT_T0_E_clISt17integral_constantIbLb0EES1D_EEDaS18_S19_EUlS18_E_NS1_11comp_targetILNS1_3genE0ELNS1_11target_archE4294967295ELNS1_3gpuE0ELNS1_3repE0EEENS1_30default_config_static_selectorELNS0_4arch9wavefront6targetE1EEEvT1_.has_indirect_call, 0
	.section	.AMDGPU.csdata,"",@progbits
; Kernel info:
; codeLenInByte = 0
; TotalNumSgprs: 4
; NumVgprs: 0
; ScratchSize: 0
; MemoryBound: 0
; FloatMode: 240
; IeeeMode: 1
; LDSByteSize: 0 bytes/workgroup (compile time only)
; SGPRBlocks: 0
; VGPRBlocks: 0
; NumSGPRsForWavesPerEU: 4
; NumVGPRsForWavesPerEU: 1
; Occupancy: 10
; WaveLimiterHint : 0
; COMPUTE_PGM_RSRC2:SCRATCH_EN: 0
; COMPUTE_PGM_RSRC2:USER_SGPR: 6
; COMPUTE_PGM_RSRC2:TRAP_HANDLER: 0
; COMPUTE_PGM_RSRC2:TGID_X_EN: 1
; COMPUTE_PGM_RSRC2:TGID_Y_EN: 0
; COMPUTE_PGM_RSRC2:TGID_Z_EN: 0
; COMPUTE_PGM_RSRC2:TIDIG_COMP_CNT: 0
	.section	.text._ZN7rocprim17ROCPRIM_400000_NS6detail17trampoline_kernelINS0_14default_configENS1_25partition_config_selectorILNS1_17partition_subalgoE8ExNS0_10empty_typeEbEEZZNS1_14partition_implILS5_8ELb0ES3_jN6thrust23THRUST_200600_302600_NS6detail15normal_iteratorINSA_10device_ptrIxEEEEPS6_PKS6_NS0_5tupleIJNSA_16discard_iteratorINSA_11use_defaultEEES6_EEENSJ_IJSG_SG_EEENS0_18inequality_wrapperINSA_8equal_toIxEEEEPmJS6_EEE10hipError_tPvRmT3_T4_T5_T6_T7_T9_mT8_P12ihipStream_tbDpT10_ENKUlT_T0_E_clISt17integral_constantIbLb0EES1D_EEDaS18_S19_EUlS18_E_NS1_11comp_targetILNS1_3genE5ELNS1_11target_archE942ELNS1_3gpuE9ELNS1_3repE0EEENS1_30default_config_static_selectorELNS0_4arch9wavefront6targetE1EEEvT1_,"axG",@progbits,_ZN7rocprim17ROCPRIM_400000_NS6detail17trampoline_kernelINS0_14default_configENS1_25partition_config_selectorILNS1_17partition_subalgoE8ExNS0_10empty_typeEbEEZZNS1_14partition_implILS5_8ELb0ES3_jN6thrust23THRUST_200600_302600_NS6detail15normal_iteratorINSA_10device_ptrIxEEEEPS6_PKS6_NS0_5tupleIJNSA_16discard_iteratorINSA_11use_defaultEEES6_EEENSJ_IJSG_SG_EEENS0_18inequality_wrapperINSA_8equal_toIxEEEEPmJS6_EEE10hipError_tPvRmT3_T4_T5_T6_T7_T9_mT8_P12ihipStream_tbDpT10_ENKUlT_T0_E_clISt17integral_constantIbLb0EES1D_EEDaS18_S19_EUlS18_E_NS1_11comp_targetILNS1_3genE5ELNS1_11target_archE942ELNS1_3gpuE9ELNS1_3repE0EEENS1_30default_config_static_selectorELNS0_4arch9wavefront6targetE1EEEvT1_,comdat
	.protected	_ZN7rocprim17ROCPRIM_400000_NS6detail17trampoline_kernelINS0_14default_configENS1_25partition_config_selectorILNS1_17partition_subalgoE8ExNS0_10empty_typeEbEEZZNS1_14partition_implILS5_8ELb0ES3_jN6thrust23THRUST_200600_302600_NS6detail15normal_iteratorINSA_10device_ptrIxEEEEPS6_PKS6_NS0_5tupleIJNSA_16discard_iteratorINSA_11use_defaultEEES6_EEENSJ_IJSG_SG_EEENS0_18inequality_wrapperINSA_8equal_toIxEEEEPmJS6_EEE10hipError_tPvRmT3_T4_T5_T6_T7_T9_mT8_P12ihipStream_tbDpT10_ENKUlT_T0_E_clISt17integral_constantIbLb0EES1D_EEDaS18_S19_EUlS18_E_NS1_11comp_targetILNS1_3genE5ELNS1_11target_archE942ELNS1_3gpuE9ELNS1_3repE0EEENS1_30default_config_static_selectorELNS0_4arch9wavefront6targetE1EEEvT1_ ; -- Begin function _ZN7rocprim17ROCPRIM_400000_NS6detail17trampoline_kernelINS0_14default_configENS1_25partition_config_selectorILNS1_17partition_subalgoE8ExNS0_10empty_typeEbEEZZNS1_14partition_implILS5_8ELb0ES3_jN6thrust23THRUST_200600_302600_NS6detail15normal_iteratorINSA_10device_ptrIxEEEEPS6_PKS6_NS0_5tupleIJNSA_16discard_iteratorINSA_11use_defaultEEES6_EEENSJ_IJSG_SG_EEENS0_18inequality_wrapperINSA_8equal_toIxEEEEPmJS6_EEE10hipError_tPvRmT3_T4_T5_T6_T7_T9_mT8_P12ihipStream_tbDpT10_ENKUlT_T0_E_clISt17integral_constantIbLb0EES1D_EEDaS18_S19_EUlS18_E_NS1_11comp_targetILNS1_3genE5ELNS1_11target_archE942ELNS1_3gpuE9ELNS1_3repE0EEENS1_30default_config_static_selectorELNS0_4arch9wavefront6targetE1EEEvT1_
	.globl	_ZN7rocprim17ROCPRIM_400000_NS6detail17trampoline_kernelINS0_14default_configENS1_25partition_config_selectorILNS1_17partition_subalgoE8ExNS0_10empty_typeEbEEZZNS1_14partition_implILS5_8ELb0ES3_jN6thrust23THRUST_200600_302600_NS6detail15normal_iteratorINSA_10device_ptrIxEEEEPS6_PKS6_NS0_5tupleIJNSA_16discard_iteratorINSA_11use_defaultEEES6_EEENSJ_IJSG_SG_EEENS0_18inequality_wrapperINSA_8equal_toIxEEEEPmJS6_EEE10hipError_tPvRmT3_T4_T5_T6_T7_T9_mT8_P12ihipStream_tbDpT10_ENKUlT_T0_E_clISt17integral_constantIbLb0EES1D_EEDaS18_S19_EUlS18_E_NS1_11comp_targetILNS1_3genE5ELNS1_11target_archE942ELNS1_3gpuE9ELNS1_3repE0EEENS1_30default_config_static_selectorELNS0_4arch9wavefront6targetE1EEEvT1_
	.p2align	8
	.type	_ZN7rocprim17ROCPRIM_400000_NS6detail17trampoline_kernelINS0_14default_configENS1_25partition_config_selectorILNS1_17partition_subalgoE8ExNS0_10empty_typeEbEEZZNS1_14partition_implILS5_8ELb0ES3_jN6thrust23THRUST_200600_302600_NS6detail15normal_iteratorINSA_10device_ptrIxEEEEPS6_PKS6_NS0_5tupleIJNSA_16discard_iteratorINSA_11use_defaultEEES6_EEENSJ_IJSG_SG_EEENS0_18inequality_wrapperINSA_8equal_toIxEEEEPmJS6_EEE10hipError_tPvRmT3_T4_T5_T6_T7_T9_mT8_P12ihipStream_tbDpT10_ENKUlT_T0_E_clISt17integral_constantIbLb0EES1D_EEDaS18_S19_EUlS18_E_NS1_11comp_targetILNS1_3genE5ELNS1_11target_archE942ELNS1_3gpuE9ELNS1_3repE0EEENS1_30default_config_static_selectorELNS0_4arch9wavefront6targetE1EEEvT1_,@function
_ZN7rocprim17ROCPRIM_400000_NS6detail17trampoline_kernelINS0_14default_configENS1_25partition_config_selectorILNS1_17partition_subalgoE8ExNS0_10empty_typeEbEEZZNS1_14partition_implILS5_8ELb0ES3_jN6thrust23THRUST_200600_302600_NS6detail15normal_iteratorINSA_10device_ptrIxEEEEPS6_PKS6_NS0_5tupleIJNSA_16discard_iteratorINSA_11use_defaultEEES6_EEENSJ_IJSG_SG_EEENS0_18inequality_wrapperINSA_8equal_toIxEEEEPmJS6_EEE10hipError_tPvRmT3_T4_T5_T6_T7_T9_mT8_P12ihipStream_tbDpT10_ENKUlT_T0_E_clISt17integral_constantIbLb0EES1D_EEDaS18_S19_EUlS18_E_NS1_11comp_targetILNS1_3genE5ELNS1_11target_archE942ELNS1_3gpuE9ELNS1_3repE0EEENS1_30default_config_static_selectorELNS0_4arch9wavefront6targetE1EEEvT1_: ; @_ZN7rocprim17ROCPRIM_400000_NS6detail17trampoline_kernelINS0_14default_configENS1_25partition_config_selectorILNS1_17partition_subalgoE8ExNS0_10empty_typeEbEEZZNS1_14partition_implILS5_8ELb0ES3_jN6thrust23THRUST_200600_302600_NS6detail15normal_iteratorINSA_10device_ptrIxEEEEPS6_PKS6_NS0_5tupleIJNSA_16discard_iteratorINSA_11use_defaultEEES6_EEENSJ_IJSG_SG_EEENS0_18inequality_wrapperINSA_8equal_toIxEEEEPmJS6_EEE10hipError_tPvRmT3_T4_T5_T6_T7_T9_mT8_P12ihipStream_tbDpT10_ENKUlT_T0_E_clISt17integral_constantIbLb0EES1D_EEDaS18_S19_EUlS18_E_NS1_11comp_targetILNS1_3genE5ELNS1_11target_archE942ELNS1_3gpuE9ELNS1_3repE0EEENS1_30default_config_static_selectorELNS0_4arch9wavefront6targetE1EEEvT1_
; %bb.0:
	.section	.rodata,"a",@progbits
	.p2align	6, 0x0
	.amdhsa_kernel _ZN7rocprim17ROCPRIM_400000_NS6detail17trampoline_kernelINS0_14default_configENS1_25partition_config_selectorILNS1_17partition_subalgoE8ExNS0_10empty_typeEbEEZZNS1_14partition_implILS5_8ELb0ES3_jN6thrust23THRUST_200600_302600_NS6detail15normal_iteratorINSA_10device_ptrIxEEEEPS6_PKS6_NS0_5tupleIJNSA_16discard_iteratorINSA_11use_defaultEEES6_EEENSJ_IJSG_SG_EEENS0_18inequality_wrapperINSA_8equal_toIxEEEEPmJS6_EEE10hipError_tPvRmT3_T4_T5_T6_T7_T9_mT8_P12ihipStream_tbDpT10_ENKUlT_T0_E_clISt17integral_constantIbLb0EES1D_EEDaS18_S19_EUlS18_E_NS1_11comp_targetILNS1_3genE5ELNS1_11target_archE942ELNS1_3gpuE9ELNS1_3repE0EEENS1_30default_config_static_selectorELNS0_4arch9wavefront6targetE1EEEvT1_
		.amdhsa_group_segment_fixed_size 0
		.amdhsa_private_segment_fixed_size 0
		.amdhsa_kernarg_size 120
		.amdhsa_user_sgpr_count 6
		.amdhsa_user_sgpr_private_segment_buffer 1
		.amdhsa_user_sgpr_dispatch_ptr 0
		.amdhsa_user_sgpr_queue_ptr 0
		.amdhsa_user_sgpr_kernarg_segment_ptr 1
		.amdhsa_user_sgpr_dispatch_id 0
		.amdhsa_user_sgpr_flat_scratch_init 0
		.amdhsa_user_sgpr_private_segment_size 0
		.amdhsa_uses_dynamic_stack 0
		.amdhsa_system_sgpr_private_segment_wavefront_offset 0
		.amdhsa_system_sgpr_workgroup_id_x 1
		.amdhsa_system_sgpr_workgroup_id_y 0
		.amdhsa_system_sgpr_workgroup_id_z 0
		.amdhsa_system_sgpr_workgroup_info 0
		.amdhsa_system_vgpr_workitem_id 0
		.amdhsa_next_free_vgpr 1
		.amdhsa_next_free_sgpr 0
		.amdhsa_reserve_vcc 0
		.amdhsa_reserve_flat_scratch 0
		.amdhsa_float_round_mode_32 0
		.amdhsa_float_round_mode_16_64 0
		.amdhsa_float_denorm_mode_32 3
		.amdhsa_float_denorm_mode_16_64 3
		.amdhsa_dx10_clamp 1
		.amdhsa_ieee_mode 1
		.amdhsa_fp16_overflow 0
		.amdhsa_exception_fp_ieee_invalid_op 0
		.amdhsa_exception_fp_denorm_src 0
		.amdhsa_exception_fp_ieee_div_zero 0
		.amdhsa_exception_fp_ieee_overflow 0
		.amdhsa_exception_fp_ieee_underflow 0
		.amdhsa_exception_fp_ieee_inexact 0
		.amdhsa_exception_int_div_zero 0
	.end_amdhsa_kernel
	.section	.text._ZN7rocprim17ROCPRIM_400000_NS6detail17trampoline_kernelINS0_14default_configENS1_25partition_config_selectorILNS1_17partition_subalgoE8ExNS0_10empty_typeEbEEZZNS1_14partition_implILS5_8ELb0ES3_jN6thrust23THRUST_200600_302600_NS6detail15normal_iteratorINSA_10device_ptrIxEEEEPS6_PKS6_NS0_5tupleIJNSA_16discard_iteratorINSA_11use_defaultEEES6_EEENSJ_IJSG_SG_EEENS0_18inequality_wrapperINSA_8equal_toIxEEEEPmJS6_EEE10hipError_tPvRmT3_T4_T5_T6_T7_T9_mT8_P12ihipStream_tbDpT10_ENKUlT_T0_E_clISt17integral_constantIbLb0EES1D_EEDaS18_S19_EUlS18_E_NS1_11comp_targetILNS1_3genE5ELNS1_11target_archE942ELNS1_3gpuE9ELNS1_3repE0EEENS1_30default_config_static_selectorELNS0_4arch9wavefront6targetE1EEEvT1_,"axG",@progbits,_ZN7rocprim17ROCPRIM_400000_NS6detail17trampoline_kernelINS0_14default_configENS1_25partition_config_selectorILNS1_17partition_subalgoE8ExNS0_10empty_typeEbEEZZNS1_14partition_implILS5_8ELb0ES3_jN6thrust23THRUST_200600_302600_NS6detail15normal_iteratorINSA_10device_ptrIxEEEEPS6_PKS6_NS0_5tupleIJNSA_16discard_iteratorINSA_11use_defaultEEES6_EEENSJ_IJSG_SG_EEENS0_18inequality_wrapperINSA_8equal_toIxEEEEPmJS6_EEE10hipError_tPvRmT3_T4_T5_T6_T7_T9_mT8_P12ihipStream_tbDpT10_ENKUlT_T0_E_clISt17integral_constantIbLb0EES1D_EEDaS18_S19_EUlS18_E_NS1_11comp_targetILNS1_3genE5ELNS1_11target_archE942ELNS1_3gpuE9ELNS1_3repE0EEENS1_30default_config_static_selectorELNS0_4arch9wavefront6targetE1EEEvT1_,comdat
.Lfunc_end630:
	.size	_ZN7rocprim17ROCPRIM_400000_NS6detail17trampoline_kernelINS0_14default_configENS1_25partition_config_selectorILNS1_17partition_subalgoE8ExNS0_10empty_typeEbEEZZNS1_14partition_implILS5_8ELb0ES3_jN6thrust23THRUST_200600_302600_NS6detail15normal_iteratorINSA_10device_ptrIxEEEEPS6_PKS6_NS0_5tupleIJNSA_16discard_iteratorINSA_11use_defaultEEES6_EEENSJ_IJSG_SG_EEENS0_18inequality_wrapperINSA_8equal_toIxEEEEPmJS6_EEE10hipError_tPvRmT3_T4_T5_T6_T7_T9_mT8_P12ihipStream_tbDpT10_ENKUlT_T0_E_clISt17integral_constantIbLb0EES1D_EEDaS18_S19_EUlS18_E_NS1_11comp_targetILNS1_3genE5ELNS1_11target_archE942ELNS1_3gpuE9ELNS1_3repE0EEENS1_30default_config_static_selectorELNS0_4arch9wavefront6targetE1EEEvT1_, .Lfunc_end630-_ZN7rocprim17ROCPRIM_400000_NS6detail17trampoline_kernelINS0_14default_configENS1_25partition_config_selectorILNS1_17partition_subalgoE8ExNS0_10empty_typeEbEEZZNS1_14partition_implILS5_8ELb0ES3_jN6thrust23THRUST_200600_302600_NS6detail15normal_iteratorINSA_10device_ptrIxEEEEPS6_PKS6_NS0_5tupleIJNSA_16discard_iteratorINSA_11use_defaultEEES6_EEENSJ_IJSG_SG_EEENS0_18inequality_wrapperINSA_8equal_toIxEEEEPmJS6_EEE10hipError_tPvRmT3_T4_T5_T6_T7_T9_mT8_P12ihipStream_tbDpT10_ENKUlT_T0_E_clISt17integral_constantIbLb0EES1D_EEDaS18_S19_EUlS18_E_NS1_11comp_targetILNS1_3genE5ELNS1_11target_archE942ELNS1_3gpuE9ELNS1_3repE0EEENS1_30default_config_static_selectorELNS0_4arch9wavefront6targetE1EEEvT1_
                                        ; -- End function
	.set _ZN7rocprim17ROCPRIM_400000_NS6detail17trampoline_kernelINS0_14default_configENS1_25partition_config_selectorILNS1_17partition_subalgoE8ExNS0_10empty_typeEbEEZZNS1_14partition_implILS5_8ELb0ES3_jN6thrust23THRUST_200600_302600_NS6detail15normal_iteratorINSA_10device_ptrIxEEEEPS6_PKS6_NS0_5tupleIJNSA_16discard_iteratorINSA_11use_defaultEEES6_EEENSJ_IJSG_SG_EEENS0_18inequality_wrapperINSA_8equal_toIxEEEEPmJS6_EEE10hipError_tPvRmT3_T4_T5_T6_T7_T9_mT8_P12ihipStream_tbDpT10_ENKUlT_T0_E_clISt17integral_constantIbLb0EES1D_EEDaS18_S19_EUlS18_E_NS1_11comp_targetILNS1_3genE5ELNS1_11target_archE942ELNS1_3gpuE9ELNS1_3repE0EEENS1_30default_config_static_selectorELNS0_4arch9wavefront6targetE1EEEvT1_.num_vgpr, 0
	.set _ZN7rocprim17ROCPRIM_400000_NS6detail17trampoline_kernelINS0_14default_configENS1_25partition_config_selectorILNS1_17partition_subalgoE8ExNS0_10empty_typeEbEEZZNS1_14partition_implILS5_8ELb0ES3_jN6thrust23THRUST_200600_302600_NS6detail15normal_iteratorINSA_10device_ptrIxEEEEPS6_PKS6_NS0_5tupleIJNSA_16discard_iteratorINSA_11use_defaultEEES6_EEENSJ_IJSG_SG_EEENS0_18inequality_wrapperINSA_8equal_toIxEEEEPmJS6_EEE10hipError_tPvRmT3_T4_T5_T6_T7_T9_mT8_P12ihipStream_tbDpT10_ENKUlT_T0_E_clISt17integral_constantIbLb0EES1D_EEDaS18_S19_EUlS18_E_NS1_11comp_targetILNS1_3genE5ELNS1_11target_archE942ELNS1_3gpuE9ELNS1_3repE0EEENS1_30default_config_static_selectorELNS0_4arch9wavefront6targetE1EEEvT1_.num_agpr, 0
	.set _ZN7rocprim17ROCPRIM_400000_NS6detail17trampoline_kernelINS0_14default_configENS1_25partition_config_selectorILNS1_17partition_subalgoE8ExNS0_10empty_typeEbEEZZNS1_14partition_implILS5_8ELb0ES3_jN6thrust23THRUST_200600_302600_NS6detail15normal_iteratorINSA_10device_ptrIxEEEEPS6_PKS6_NS0_5tupleIJNSA_16discard_iteratorINSA_11use_defaultEEES6_EEENSJ_IJSG_SG_EEENS0_18inequality_wrapperINSA_8equal_toIxEEEEPmJS6_EEE10hipError_tPvRmT3_T4_T5_T6_T7_T9_mT8_P12ihipStream_tbDpT10_ENKUlT_T0_E_clISt17integral_constantIbLb0EES1D_EEDaS18_S19_EUlS18_E_NS1_11comp_targetILNS1_3genE5ELNS1_11target_archE942ELNS1_3gpuE9ELNS1_3repE0EEENS1_30default_config_static_selectorELNS0_4arch9wavefront6targetE1EEEvT1_.numbered_sgpr, 0
	.set _ZN7rocprim17ROCPRIM_400000_NS6detail17trampoline_kernelINS0_14default_configENS1_25partition_config_selectorILNS1_17partition_subalgoE8ExNS0_10empty_typeEbEEZZNS1_14partition_implILS5_8ELb0ES3_jN6thrust23THRUST_200600_302600_NS6detail15normal_iteratorINSA_10device_ptrIxEEEEPS6_PKS6_NS0_5tupleIJNSA_16discard_iteratorINSA_11use_defaultEEES6_EEENSJ_IJSG_SG_EEENS0_18inequality_wrapperINSA_8equal_toIxEEEEPmJS6_EEE10hipError_tPvRmT3_T4_T5_T6_T7_T9_mT8_P12ihipStream_tbDpT10_ENKUlT_T0_E_clISt17integral_constantIbLb0EES1D_EEDaS18_S19_EUlS18_E_NS1_11comp_targetILNS1_3genE5ELNS1_11target_archE942ELNS1_3gpuE9ELNS1_3repE0EEENS1_30default_config_static_selectorELNS0_4arch9wavefront6targetE1EEEvT1_.num_named_barrier, 0
	.set _ZN7rocprim17ROCPRIM_400000_NS6detail17trampoline_kernelINS0_14default_configENS1_25partition_config_selectorILNS1_17partition_subalgoE8ExNS0_10empty_typeEbEEZZNS1_14partition_implILS5_8ELb0ES3_jN6thrust23THRUST_200600_302600_NS6detail15normal_iteratorINSA_10device_ptrIxEEEEPS6_PKS6_NS0_5tupleIJNSA_16discard_iteratorINSA_11use_defaultEEES6_EEENSJ_IJSG_SG_EEENS0_18inequality_wrapperINSA_8equal_toIxEEEEPmJS6_EEE10hipError_tPvRmT3_T4_T5_T6_T7_T9_mT8_P12ihipStream_tbDpT10_ENKUlT_T0_E_clISt17integral_constantIbLb0EES1D_EEDaS18_S19_EUlS18_E_NS1_11comp_targetILNS1_3genE5ELNS1_11target_archE942ELNS1_3gpuE9ELNS1_3repE0EEENS1_30default_config_static_selectorELNS0_4arch9wavefront6targetE1EEEvT1_.private_seg_size, 0
	.set _ZN7rocprim17ROCPRIM_400000_NS6detail17trampoline_kernelINS0_14default_configENS1_25partition_config_selectorILNS1_17partition_subalgoE8ExNS0_10empty_typeEbEEZZNS1_14partition_implILS5_8ELb0ES3_jN6thrust23THRUST_200600_302600_NS6detail15normal_iteratorINSA_10device_ptrIxEEEEPS6_PKS6_NS0_5tupleIJNSA_16discard_iteratorINSA_11use_defaultEEES6_EEENSJ_IJSG_SG_EEENS0_18inequality_wrapperINSA_8equal_toIxEEEEPmJS6_EEE10hipError_tPvRmT3_T4_T5_T6_T7_T9_mT8_P12ihipStream_tbDpT10_ENKUlT_T0_E_clISt17integral_constantIbLb0EES1D_EEDaS18_S19_EUlS18_E_NS1_11comp_targetILNS1_3genE5ELNS1_11target_archE942ELNS1_3gpuE9ELNS1_3repE0EEENS1_30default_config_static_selectorELNS0_4arch9wavefront6targetE1EEEvT1_.uses_vcc, 0
	.set _ZN7rocprim17ROCPRIM_400000_NS6detail17trampoline_kernelINS0_14default_configENS1_25partition_config_selectorILNS1_17partition_subalgoE8ExNS0_10empty_typeEbEEZZNS1_14partition_implILS5_8ELb0ES3_jN6thrust23THRUST_200600_302600_NS6detail15normal_iteratorINSA_10device_ptrIxEEEEPS6_PKS6_NS0_5tupleIJNSA_16discard_iteratorINSA_11use_defaultEEES6_EEENSJ_IJSG_SG_EEENS0_18inequality_wrapperINSA_8equal_toIxEEEEPmJS6_EEE10hipError_tPvRmT3_T4_T5_T6_T7_T9_mT8_P12ihipStream_tbDpT10_ENKUlT_T0_E_clISt17integral_constantIbLb0EES1D_EEDaS18_S19_EUlS18_E_NS1_11comp_targetILNS1_3genE5ELNS1_11target_archE942ELNS1_3gpuE9ELNS1_3repE0EEENS1_30default_config_static_selectorELNS0_4arch9wavefront6targetE1EEEvT1_.uses_flat_scratch, 0
	.set _ZN7rocprim17ROCPRIM_400000_NS6detail17trampoline_kernelINS0_14default_configENS1_25partition_config_selectorILNS1_17partition_subalgoE8ExNS0_10empty_typeEbEEZZNS1_14partition_implILS5_8ELb0ES3_jN6thrust23THRUST_200600_302600_NS6detail15normal_iteratorINSA_10device_ptrIxEEEEPS6_PKS6_NS0_5tupleIJNSA_16discard_iteratorINSA_11use_defaultEEES6_EEENSJ_IJSG_SG_EEENS0_18inequality_wrapperINSA_8equal_toIxEEEEPmJS6_EEE10hipError_tPvRmT3_T4_T5_T6_T7_T9_mT8_P12ihipStream_tbDpT10_ENKUlT_T0_E_clISt17integral_constantIbLb0EES1D_EEDaS18_S19_EUlS18_E_NS1_11comp_targetILNS1_3genE5ELNS1_11target_archE942ELNS1_3gpuE9ELNS1_3repE0EEENS1_30default_config_static_selectorELNS0_4arch9wavefront6targetE1EEEvT1_.has_dyn_sized_stack, 0
	.set _ZN7rocprim17ROCPRIM_400000_NS6detail17trampoline_kernelINS0_14default_configENS1_25partition_config_selectorILNS1_17partition_subalgoE8ExNS0_10empty_typeEbEEZZNS1_14partition_implILS5_8ELb0ES3_jN6thrust23THRUST_200600_302600_NS6detail15normal_iteratorINSA_10device_ptrIxEEEEPS6_PKS6_NS0_5tupleIJNSA_16discard_iteratorINSA_11use_defaultEEES6_EEENSJ_IJSG_SG_EEENS0_18inequality_wrapperINSA_8equal_toIxEEEEPmJS6_EEE10hipError_tPvRmT3_T4_T5_T6_T7_T9_mT8_P12ihipStream_tbDpT10_ENKUlT_T0_E_clISt17integral_constantIbLb0EES1D_EEDaS18_S19_EUlS18_E_NS1_11comp_targetILNS1_3genE5ELNS1_11target_archE942ELNS1_3gpuE9ELNS1_3repE0EEENS1_30default_config_static_selectorELNS0_4arch9wavefront6targetE1EEEvT1_.has_recursion, 0
	.set _ZN7rocprim17ROCPRIM_400000_NS6detail17trampoline_kernelINS0_14default_configENS1_25partition_config_selectorILNS1_17partition_subalgoE8ExNS0_10empty_typeEbEEZZNS1_14partition_implILS5_8ELb0ES3_jN6thrust23THRUST_200600_302600_NS6detail15normal_iteratorINSA_10device_ptrIxEEEEPS6_PKS6_NS0_5tupleIJNSA_16discard_iteratorINSA_11use_defaultEEES6_EEENSJ_IJSG_SG_EEENS0_18inequality_wrapperINSA_8equal_toIxEEEEPmJS6_EEE10hipError_tPvRmT3_T4_T5_T6_T7_T9_mT8_P12ihipStream_tbDpT10_ENKUlT_T0_E_clISt17integral_constantIbLb0EES1D_EEDaS18_S19_EUlS18_E_NS1_11comp_targetILNS1_3genE5ELNS1_11target_archE942ELNS1_3gpuE9ELNS1_3repE0EEENS1_30default_config_static_selectorELNS0_4arch9wavefront6targetE1EEEvT1_.has_indirect_call, 0
	.section	.AMDGPU.csdata,"",@progbits
; Kernel info:
; codeLenInByte = 0
; TotalNumSgprs: 4
; NumVgprs: 0
; ScratchSize: 0
; MemoryBound: 0
; FloatMode: 240
; IeeeMode: 1
; LDSByteSize: 0 bytes/workgroup (compile time only)
; SGPRBlocks: 0
; VGPRBlocks: 0
; NumSGPRsForWavesPerEU: 4
; NumVGPRsForWavesPerEU: 1
; Occupancy: 10
; WaveLimiterHint : 0
; COMPUTE_PGM_RSRC2:SCRATCH_EN: 0
; COMPUTE_PGM_RSRC2:USER_SGPR: 6
; COMPUTE_PGM_RSRC2:TRAP_HANDLER: 0
; COMPUTE_PGM_RSRC2:TGID_X_EN: 1
; COMPUTE_PGM_RSRC2:TGID_Y_EN: 0
; COMPUTE_PGM_RSRC2:TGID_Z_EN: 0
; COMPUTE_PGM_RSRC2:TIDIG_COMP_CNT: 0
	.section	.text._ZN7rocprim17ROCPRIM_400000_NS6detail17trampoline_kernelINS0_14default_configENS1_25partition_config_selectorILNS1_17partition_subalgoE8ExNS0_10empty_typeEbEEZZNS1_14partition_implILS5_8ELb0ES3_jN6thrust23THRUST_200600_302600_NS6detail15normal_iteratorINSA_10device_ptrIxEEEEPS6_PKS6_NS0_5tupleIJNSA_16discard_iteratorINSA_11use_defaultEEES6_EEENSJ_IJSG_SG_EEENS0_18inequality_wrapperINSA_8equal_toIxEEEEPmJS6_EEE10hipError_tPvRmT3_T4_T5_T6_T7_T9_mT8_P12ihipStream_tbDpT10_ENKUlT_T0_E_clISt17integral_constantIbLb0EES1D_EEDaS18_S19_EUlS18_E_NS1_11comp_targetILNS1_3genE4ELNS1_11target_archE910ELNS1_3gpuE8ELNS1_3repE0EEENS1_30default_config_static_selectorELNS0_4arch9wavefront6targetE1EEEvT1_,"axG",@progbits,_ZN7rocprim17ROCPRIM_400000_NS6detail17trampoline_kernelINS0_14default_configENS1_25partition_config_selectorILNS1_17partition_subalgoE8ExNS0_10empty_typeEbEEZZNS1_14partition_implILS5_8ELb0ES3_jN6thrust23THRUST_200600_302600_NS6detail15normal_iteratorINSA_10device_ptrIxEEEEPS6_PKS6_NS0_5tupleIJNSA_16discard_iteratorINSA_11use_defaultEEES6_EEENSJ_IJSG_SG_EEENS0_18inequality_wrapperINSA_8equal_toIxEEEEPmJS6_EEE10hipError_tPvRmT3_T4_T5_T6_T7_T9_mT8_P12ihipStream_tbDpT10_ENKUlT_T0_E_clISt17integral_constantIbLb0EES1D_EEDaS18_S19_EUlS18_E_NS1_11comp_targetILNS1_3genE4ELNS1_11target_archE910ELNS1_3gpuE8ELNS1_3repE0EEENS1_30default_config_static_selectorELNS0_4arch9wavefront6targetE1EEEvT1_,comdat
	.protected	_ZN7rocprim17ROCPRIM_400000_NS6detail17trampoline_kernelINS0_14default_configENS1_25partition_config_selectorILNS1_17partition_subalgoE8ExNS0_10empty_typeEbEEZZNS1_14partition_implILS5_8ELb0ES3_jN6thrust23THRUST_200600_302600_NS6detail15normal_iteratorINSA_10device_ptrIxEEEEPS6_PKS6_NS0_5tupleIJNSA_16discard_iteratorINSA_11use_defaultEEES6_EEENSJ_IJSG_SG_EEENS0_18inequality_wrapperINSA_8equal_toIxEEEEPmJS6_EEE10hipError_tPvRmT3_T4_T5_T6_T7_T9_mT8_P12ihipStream_tbDpT10_ENKUlT_T0_E_clISt17integral_constantIbLb0EES1D_EEDaS18_S19_EUlS18_E_NS1_11comp_targetILNS1_3genE4ELNS1_11target_archE910ELNS1_3gpuE8ELNS1_3repE0EEENS1_30default_config_static_selectorELNS0_4arch9wavefront6targetE1EEEvT1_ ; -- Begin function _ZN7rocprim17ROCPRIM_400000_NS6detail17trampoline_kernelINS0_14default_configENS1_25partition_config_selectorILNS1_17partition_subalgoE8ExNS0_10empty_typeEbEEZZNS1_14partition_implILS5_8ELb0ES3_jN6thrust23THRUST_200600_302600_NS6detail15normal_iteratorINSA_10device_ptrIxEEEEPS6_PKS6_NS0_5tupleIJNSA_16discard_iteratorINSA_11use_defaultEEES6_EEENSJ_IJSG_SG_EEENS0_18inequality_wrapperINSA_8equal_toIxEEEEPmJS6_EEE10hipError_tPvRmT3_T4_T5_T6_T7_T9_mT8_P12ihipStream_tbDpT10_ENKUlT_T0_E_clISt17integral_constantIbLb0EES1D_EEDaS18_S19_EUlS18_E_NS1_11comp_targetILNS1_3genE4ELNS1_11target_archE910ELNS1_3gpuE8ELNS1_3repE0EEENS1_30default_config_static_selectorELNS0_4arch9wavefront6targetE1EEEvT1_
	.globl	_ZN7rocprim17ROCPRIM_400000_NS6detail17trampoline_kernelINS0_14default_configENS1_25partition_config_selectorILNS1_17partition_subalgoE8ExNS0_10empty_typeEbEEZZNS1_14partition_implILS5_8ELb0ES3_jN6thrust23THRUST_200600_302600_NS6detail15normal_iteratorINSA_10device_ptrIxEEEEPS6_PKS6_NS0_5tupleIJNSA_16discard_iteratorINSA_11use_defaultEEES6_EEENSJ_IJSG_SG_EEENS0_18inequality_wrapperINSA_8equal_toIxEEEEPmJS6_EEE10hipError_tPvRmT3_T4_T5_T6_T7_T9_mT8_P12ihipStream_tbDpT10_ENKUlT_T0_E_clISt17integral_constantIbLb0EES1D_EEDaS18_S19_EUlS18_E_NS1_11comp_targetILNS1_3genE4ELNS1_11target_archE910ELNS1_3gpuE8ELNS1_3repE0EEENS1_30default_config_static_selectorELNS0_4arch9wavefront6targetE1EEEvT1_
	.p2align	8
	.type	_ZN7rocprim17ROCPRIM_400000_NS6detail17trampoline_kernelINS0_14default_configENS1_25partition_config_selectorILNS1_17partition_subalgoE8ExNS0_10empty_typeEbEEZZNS1_14partition_implILS5_8ELb0ES3_jN6thrust23THRUST_200600_302600_NS6detail15normal_iteratorINSA_10device_ptrIxEEEEPS6_PKS6_NS0_5tupleIJNSA_16discard_iteratorINSA_11use_defaultEEES6_EEENSJ_IJSG_SG_EEENS0_18inequality_wrapperINSA_8equal_toIxEEEEPmJS6_EEE10hipError_tPvRmT3_T4_T5_T6_T7_T9_mT8_P12ihipStream_tbDpT10_ENKUlT_T0_E_clISt17integral_constantIbLb0EES1D_EEDaS18_S19_EUlS18_E_NS1_11comp_targetILNS1_3genE4ELNS1_11target_archE910ELNS1_3gpuE8ELNS1_3repE0EEENS1_30default_config_static_selectorELNS0_4arch9wavefront6targetE1EEEvT1_,@function
_ZN7rocprim17ROCPRIM_400000_NS6detail17trampoline_kernelINS0_14default_configENS1_25partition_config_selectorILNS1_17partition_subalgoE8ExNS0_10empty_typeEbEEZZNS1_14partition_implILS5_8ELb0ES3_jN6thrust23THRUST_200600_302600_NS6detail15normal_iteratorINSA_10device_ptrIxEEEEPS6_PKS6_NS0_5tupleIJNSA_16discard_iteratorINSA_11use_defaultEEES6_EEENSJ_IJSG_SG_EEENS0_18inequality_wrapperINSA_8equal_toIxEEEEPmJS6_EEE10hipError_tPvRmT3_T4_T5_T6_T7_T9_mT8_P12ihipStream_tbDpT10_ENKUlT_T0_E_clISt17integral_constantIbLb0EES1D_EEDaS18_S19_EUlS18_E_NS1_11comp_targetILNS1_3genE4ELNS1_11target_archE910ELNS1_3gpuE8ELNS1_3repE0EEENS1_30default_config_static_selectorELNS0_4arch9wavefront6targetE1EEEvT1_: ; @_ZN7rocprim17ROCPRIM_400000_NS6detail17trampoline_kernelINS0_14default_configENS1_25partition_config_selectorILNS1_17partition_subalgoE8ExNS0_10empty_typeEbEEZZNS1_14partition_implILS5_8ELb0ES3_jN6thrust23THRUST_200600_302600_NS6detail15normal_iteratorINSA_10device_ptrIxEEEEPS6_PKS6_NS0_5tupleIJNSA_16discard_iteratorINSA_11use_defaultEEES6_EEENSJ_IJSG_SG_EEENS0_18inequality_wrapperINSA_8equal_toIxEEEEPmJS6_EEE10hipError_tPvRmT3_T4_T5_T6_T7_T9_mT8_P12ihipStream_tbDpT10_ENKUlT_T0_E_clISt17integral_constantIbLb0EES1D_EEDaS18_S19_EUlS18_E_NS1_11comp_targetILNS1_3genE4ELNS1_11target_archE910ELNS1_3gpuE8ELNS1_3repE0EEENS1_30default_config_static_selectorELNS0_4arch9wavefront6targetE1EEEvT1_
; %bb.0:
	.section	.rodata,"a",@progbits
	.p2align	6, 0x0
	.amdhsa_kernel _ZN7rocprim17ROCPRIM_400000_NS6detail17trampoline_kernelINS0_14default_configENS1_25partition_config_selectorILNS1_17partition_subalgoE8ExNS0_10empty_typeEbEEZZNS1_14partition_implILS5_8ELb0ES3_jN6thrust23THRUST_200600_302600_NS6detail15normal_iteratorINSA_10device_ptrIxEEEEPS6_PKS6_NS0_5tupleIJNSA_16discard_iteratorINSA_11use_defaultEEES6_EEENSJ_IJSG_SG_EEENS0_18inequality_wrapperINSA_8equal_toIxEEEEPmJS6_EEE10hipError_tPvRmT3_T4_T5_T6_T7_T9_mT8_P12ihipStream_tbDpT10_ENKUlT_T0_E_clISt17integral_constantIbLb0EES1D_EEDaS18_S19_EUlS18_E_NS1_11comp_targetILNS1_3genE4ELNS1_11target_archE910ELNS1_3gpuE8ELNS1_3repE0EEENS1_30default_config_static_selectorELNS0_4arch9wavefront6targetE1EEEvT1_
		.amdhsa_group_segment_fixed_size 0
		.amdhsa_private_segment_fixed_size 0
		.amdhsa_kernarg_size 120
		.amdhsa_user_sgpr_count 6
		.amdhsa_user_sgpr_private_segment_buffer 1
		.amdhsa_user_sgpr_dispatch_ptr 0
		.amdhsa_user_sgpr_queue_ptr 0
		.amdhsa_user_sgpr_kernarg_segment_ptr 1
		.amdhsa_user_sgpr_dispatch_id 0
		.amdhsa_user_sgpr_flat_scratch_init 0
		.amdhsa_user_sgpr_private_segment_size 0
		.amdhsa_uses_dynamic_stack 0
		.amdhsa_system_sgpr_private_segment_wavefront_offset 0
		.amdhsa_system_sgpr_workgroup_id_x 1
		.amdhsa_system_sgpr_workgroup_id_y 0
		.amdhsa_system_sgpr_workgroup_id_z 0
		.amdhsa_system_sgpr_workgroup_info 0
		.amdhsa_system_vgpr_workitem_id 0
		.amdhsa_next_free_vgpr 1
		.amdhsa_next_free_sgpr 0
		.amdhsa_reserve_vcc 0
		.amdhsa_reserve_flat_scratch 0
		.amdhsa_float_round_mode_32 0
		.amdhsa_float_round_mode_16_64 0
		.amdhsa_float_denorm_mode_32 3
		.amdhsa_float_denorm_mode_16_64 3
		.amdhsa_dx10_clamp 1
		.amdhsa_ieee_mode 1
		.amdhsa_fp16_overflow 0
		.amdhsa_exception_fp_ieee_invalid_op 0
		.amdhsa_exception_fp_denorm_src 0
		.amdhsa_exception_fp_ieee_div_zero 0
		.amdhsa_exception_fp_ieee_overflow 0
		.amdhsa_exception_fp_ieee_underflow 0
		.amdhsa_exception_fp_ieee_inexact 0
		.amdhsa_exception_int_div_zero 0
	.end_amdhsa_kernel
	.section	.text._ZN7rocprim17ROCPRIM_400000_NS6detail17trampoline_kernelINS0_14default_configENS1_25partition_config_selectorILNS1_17partition_subalgoE8ExNS0_10empty_typeEbEEZZNS1_14partition_implILS5_8ELb0ES3_jN6thrust23THRUST_200600_302600_NS6detail15normal_iteratorINSA_10device_ptrIxEEEEPS6_PKS6_NS0_5tupleIJNSA_16discard_iteratorINSA_11use_defaultEEES6_EEENSJ_IJSG_SG_EEENS0_18inequality_wrapperINSA_8equal_toIxEEEEPmJS6_EEE10hipError_tPvRmT3_T4_T5_T6_T7_T9_mT8_P12ihipStream_tbDpT10_ENKUlT_T0_E_clISt17integral_constantIbLb0EES1D_EEDaS18_S19_EUlS18_E_NS1_11comp_targetILNS1_3genE4ELNS1_11target_archE910ELNS1_3gpuE8ELNS1_3repE0EEENS1_30default_config_static_selectorELNS0_4arch9wavefront6targetE1EEEvT1_,"axG",@progbits,_ZN7rocprim17ROCPRIM_400000_NS6detail17trampoline_kernelINS0_14default_configENS1_25partition_config_selectorILNS1_17partition_subalgoE8ExNS0_10empty_typeEbEEZZNS1_14partition_implILS5_8ELb0ES3_jN6thrust23THRUST_200600_302600_NS6detail15normal_iteratorINSA_10device_ptrIxEEEEPS6_PKS6_NS0_5tupleIJNSA_16discard_iteratorINSA_11use_defaultEEES6_EEENSJ_IJSG_SG_EEENS0_18inequality_wrapperINSA_8equal_toIxEEEEPmJS6_EEE10hipError_tPvRmT3_T4_T5_T6_T7_T9_mT8_P12ihipStream_tbDpT10_ENKUlT_T0_E_clISt17integral_constantIbLb0EES1D_EEDaS18_S19_EUlS18_E_NS1_11comp_targetILNS1_3genE4ELNS1_11target_archE910ELNS1_3gpuE8ELNS1_3repE0EEENS1_30default_config_static_selectorELNS0_4arch9wavefront6targetE1EEEvT1_,comdat
.Lfunc_end631:
	.size	_ZN7rocprim17ROCPRIM_400000_NS6detail17trampoline_kernelINS0_14default_configENS1_25partition_config_selectorILNS1_17partition_subalgoE8ExNS0_10empty_typeEbEEZZNS1_14partition_implILS5_8ELb0ES3_jN6thrust23THRUST_200600_302600_NS6detail15normal_iteratorINSA_10device_ptrIxEEEEPS6_PKS6_NS0_5tupleIJNSA_16discard_iteratorINSA_11use_defaultEEES6_EEENSJ_IJSG_SG_EEENS0_18inequality_wrapperINSA_8equal_toIxEEEEPmJS6_EEE10hipError_tPvRmT3_T4_T5_T6_T7_T9_mT8_P12ihipStream_tbDpT10_ENKUlT_T0_E_clISt17integral_constantIbLb0EES1D_EEDaS18_S19_EUlS18_E_NS1_11comp_targetILNS1_3genE4ELNS1_11target_archE910ELNS1_3gpuE8ELNS1_3repE0EEENS1_30default_config_static_selectorELNS0_4arch9wavefront6targetE1EEEvT1_, .Lfunc_end631-_ZN7rocprim17ROCPRIM_400000_NS6detail17trampoline_kernelINS0_14default_configENS1_25partition_config_selectorILNS1_17partition_subalgoE8ExNS0_10empty_typeEbEEZZNS1_14partition_implILS5_8ELb0ES3_jN6thrust23THRUST_200600_302600_NS6detail15normal_iteratorINSA_10device_ptrIxEEEEPS6_PKS6_NS0_5tupleIJNSA_16discard_iteratorINSA_11use_defaultEEES6_EEENSJ_IJSG_SG_EEENS0_18inequality_wrapperINSA_8equal_toIxEEEEPmJS6_EEE10hipError_tPvRmT3_T4_T5_T6_T7_T9_mT8_P12ihipStream_tbDpT10_ENKUlT_T0_E_clISt17integral_constantIbLb0EES1D_EEDaS18_S19_EUlS18_E_NS1_11comp_targetILNS1_3genE4ELNS1_11target_archE910ELNS1_3gpuE8ELNS1_3repE0EEENS1_30default_config_static_selectorELNS0_4arch9wavefront6targetE1EEEvT1_
                                        ; -- End function
	.set _ZN7rocprim17ROCPRIM_400000_NS6detail17trampoline_kernelINS0_14default_configENS1_25partition_config_selectorILNS1_17partition_subalgoE8ExNS0_10empty_typeEbEEZZNS1_14partition_implILS5_8ELb0ES3_jN6thrust23THRUST_200600_302600_NS6detail15normal_iteratorINSA_10device_ptrIxEEEEPS6_PKS6_NS0_5tupleIJNSA_16discard_iteratorINSA_11use_defaultEEES6_EEENSJ_IJSG_SG_EEENS0_18inequality_wrapperINSA_8equal_toIxEEEEPmJS6_EEE10hipError_tPvRmT3_T4_T5_T6_T7_T9_mT8_P12ihipStream_tbDpT10_ENKUlT_T0_E_clISt17integral_constantIbLb0EES1D_EEDaS18_S19_EUlS18_E_NS1_11comp_targetILNS1_3genE4ELNS1_11target_archE910ELNS1_3gpuE8ELNS1_3repE0EEENS1_30default_config_static_selectorELNS0_4arch9wavefront6targetE1EEEvT1_.num_vgpr, 0
	.set _ZN7rocprim17ROCPRIM_400000_NS6detail17trampoline_kernelINS0_14default_configENS1_25partition_config_selectorILNS1_17partition_subalgoE8ExNS0_10empty_typeEbEEZZNS1_14partition_implILS5_8ELb0ES3_jN6thrust23THRUST_200600_302600_NS6detail15normal_iteratorINSA_10device_ptrIxEEEEPS6_PKS6_NS0_5tupleIJNSA_16discard_iteratorINSA_11use_defaultEEES6_EEENSJ_IJSG_SG_EEENS0_18inequality_wrapperINSA_8equal_toIxEEEEPmJS6_EEE10hipError_tPvRmT3_T4_T5_T6_T7_T9_mT8_P12ihipStream_tbDpT10_ENKUlT_T0_E_clISt17integral_constantIbLb0EES1D_EEDaS18_S19_EUlS18_E_NS1_11comp_targetILNS1_3genE4ELNS1_11target_archE910ELNS1_3gpuE8ELNS1_3repE0EEENS1_30default_config_static_selectorELNS0_4arch9wavefront6targetE1EEEvT1_.num_agpr, 0
	.set _ZN7rocprim17ROCPRIM_400000_NS6detail17trampoline_kernelINS0_14default_configENS1_25partition_config_selectorILNS1_17partition_subalgoE8ExNS0_10empty_typeEbEEZZNS1_14partition_implILS5_8ELb0ES3_jN6thrust23THRUST_200600_302600_NS6detail15normal_iteratorINSA_10device_ptrIxEEEEPS6_PKS6_NS0_5tupleIJNSA_16discard_iteratorINSA_11use_defaultEEES6_EEENSJ_IJSG_SG_EEENS0_18inequality_wrapperINSA_8equal_toIxEEEEPmJS6_EEE10hipError_tPvRmT3_T4_T5_T6_T7_T9_mT8_P12ihipStream_tbDpT10_ENKUlT_T0_E_clISt17integral_constantIbLb0EES1D_EEDaS18_S19_EUlS18_E_NS1_11comp_targetILNS1_3genE4ELNS1_11target_archE910ELNS1_3gpuE8ELNS1_3repE0EEENS1_30default_config_static_selectorELNS0_4arch9wavefront6targetE1EEEvT1_.numbered_sgpr, 0
	.set _ZN7rocprim17ROCPRIM_400000_NS6detail17trampoline_kernelINS0_14default_configENS1_25partition_config_selectorILNS1_17partition_subalgoE8ExNS0_10empty_typeEbEEZZNS1_14partition_implILS5_8ELb0ES3_jN6thrust23THRUST_200600_302600_NS6detail15normal_iteratorINSA_10device_ptrIxEEEEPS6_PKS6_NS0_5tupleIJNSA_16discard_iteratorINSA_11use_defaultEEES6_EEENSJ_IJSG_SG_EEENS0_18inequality_wrapperINSA_8equal_toIxEEEEPmJS6_EEE10hipError_tPvRmT3_T4_T5_T6_T7_T9_mT8_P12ihipStream_tbDpT10_ENKUlT_T0_E_clISt17integral_constantIbLb0EES1D_EEDaS18_S19_EUlS18_E_NS1_11comp_targetILNS1_3genE4ELNS1_11target_archE910ELNS1_3gpuE8ELNS1_3repE0EEENS1_30default_config_static_selectorELNS0_4arch9wavefront6targetE1EEEvT1_.num_named_barrier, 0
	.set _ZN7rocprim17ROCPRIM_400000_NS6detail17trampoline_kernelINS0_14default_configENS1_25partition_config_selectorILNS1_17partition_subalgoE8ExNS0_10empty_typeEbEEZZNS1_14partition_implILS5_8ELb0ES3_jN6thrust23THRUST_200600_302600_NS6detail15normal_iteratorINSA_10device_ptrIxEEEEPS6_PKS6_NS0_5tupleIJNSA_16discard_iteratorINSA_11use_defaultEEES6_EEENSJ_IJSG_SG_EEENS0_18inequality_wrapperINSA_8equal_toIxEEEEPmJS6_EEE10hipError_tPvRmT3_T4_T5_T6_T7_T9_mT8_P12ihipStream_tbDpT10_ENKUlT_T0_E_clISt17integral_constantIbLb0EES1D_EEDaS18_S19_EUlS18_E_NS1_11comp_targetILNS1_3genE4ELNS1_11target_archE910ELNS1_3gpuE8ELNS1_3repE0EEENS1_30default_config_static_selectorELNS0_4arch9wavefront6targetE1EEEvT1_.private_seg_size, 0
	.set _ZN7rocprim17ROCPRIM_400000_NS6detail17trampoline_kernelINS0_14default_configENS1_25partition_config_selectorILNS1_17partition_subalgoE8ExNS0_10empty_typeEbEEZZNS1_14partition_implILS5_8ELb0ES3_jN6thrust23THRUST_200600_302600_NS6detail15normal_iteratorINSA_10device_ptrIxEEEEPS6_PKS6_NS0_5tupleIJNSA_16discard_iteratorINSA_11use_defaultEEES6_EEENSJ_IJSG_SG_EEENS0_18inequality_wrapperINSA_8equal_toIxEEEEPmJS6_EEE10hipError_tPvRmT3_T4_T5_T6_T7_T9_mT8_P12ihipStream_tbDpT10_ENKUlT_T0_E_clISt17integral_constantIbLb0EES1D_EEDaS18_S19_EUlS18_E_NS1_11comp_targetILNS1_3genE4ELNS1_11target_archE910ELNS1_3gpuE8ELNS1_3repE0EEENS1_30default_config_static_selectorELNS0_4arch9wavefront6targetE1EEEvT1_.uses_vcc, 0
	.set _ZN7rocprim17ROCPRIM_400000_NS6detail17trampoline_kernelINS0_14default_configENS1_25partition_config_selectorILNS1_17partition_subalgoE8ExNS0_10empty_typeEbEEZZNS1_14partition_implILS5_8ELb0ES3_jN6thrust23THRUST_200600_302600_NS6detail15normal_iteratorINSA_10device_ptrIxEEEEPS6_PKS6_NS0_5tupleIJNSA_16discard_iteratorINSA_11use_defaultEEES6_EEENSJ_IJSG_SG_EEENS0_18inequality_wrapperINSA_8equal_toIxEEEEPmJS6_EEE10hipError_tPvRmT3_T4_T5_T6_T7_T9_mT8_P12ihipStream_tbDpT10_ENKUlT_T0_E_clISt17integral_constantIbLb0EES1D_EEDaS18_S19_EUlS18_E_NS1_11comp_targetILNS1_3genE4ELNS1_11target_archE910ELNS1_3gpuE8ELNS1_3repE0EEENS1_30default_config_static_selectorELNS0_4arch9wavefront6targetE1EEEvT1_.uses_flat_scratch, 0
	.set _ZN7rocprim17ROCPRIM_400000_NS6detail17trampoline_kernelINS0_14default_configENS1_25partition_config_selectorILNS1_17partition_subalgoE8ExNS0_10empty_typeEbEEZZNS1_14partition_implILS5_8ELb0ES3_jN6thrust23THRUST_200600_302600_NS6detail15normal_iteratorINSA_10device_ptrIxEEEEPS6_PKS6_NS0_5tupleIJNSA_16discard_iteratorINSA_11use_defaultEEES6_EEENSJ_IJSG_SG_EEENS0_18inequality_wrapperINSA_8equal_toIxEEEEPmJS6_EEE10hipError_tPvRmT3_T4_T5_T6_T7_T9_mT8_P12ihipStream_tbDpT10_ENKUlT_T0_E_clISt17integral_constantIbLb0EES1D_EEDaS18_S19_EUlS18_E_NS1_11comp_targetILNS1_3genE4ELNS1_11target_archE910ELNS1_3gpuE8ELNS1_3repE0EEENS1_30default_config_static_selectorELNS0_4arch9wavefront6targetE1EEEvT1_.has_dyn_sized_stack, 0
	.set _ZN7rocprim17ROCPRIM_400000_NS6detail17trampoline_kernelINS0_14default_configENS1_25partition_config_selectorILNS1_17partition_subalgoE8ExNS0_10empty_typeEbEEZZNS1_14partition_implILS5_8ELb0ES3_jN6thrust23THRUST_200600_302600_NS6detail15normal_iteratorINSA_10device_ptrIxEEEEPS6_PKS6_NS0_5tupleIJNSA_16discard_iteratorINSA_11use_defaultEEES6_EEENSJ_IJSG_SG_EEENS0_18inequality_wrapperINSA_8equal_toIxEEEEPmJS6_EEE10hipError_tPvRmT3_T4_T5_T6_T7_T9_mT8_P12ihipStream_tbDpT10_ENKUlT_T0_E_clISt17integral_constantIbLb0EES1D_EEDaS18_S19_EUlS18_E_NS1_11comp_targetILNS1_3genE4ELNS1_11target_archE910ELNS1_3gpuE8ELNS1_3repE0EEENS1_30default_config_static_selectorELNS0_4arch9wavefront6targetE1EEEvT1_.has_recursion, 0
	.set _ZN7rocprim17ROCPRIM_400000_NS6detail17trampoline_kernelINS0_14default_configENS1_25partition_config_selectorILNS1_17partition_subalgoE8ExNS0_10empty_typeEbEEZZNS1_14partition_implILS5_8ELb0ES3_jN6thrust23THRUST_200600_302600_NS6detail15normal_iteratorINSA_10device_ptrIxEEEEPS6_PKS6_NS0_5tupleIJNSA_16discard_iteratorINSA_11use_defaultEEES6_EEENSJ_IJSG_SG_EEENS0_18inequality_wrapperINSA_8equal_toIxEEEEPmJS6_EEE10hipError_tPvRmT3_T4_T5_T6_T7_T9_mT8_P12ihipStream_tbDpT10_ENKUlT_T0_E_clISt17integral_constantIbLb0EES1D_EEDaS18_S19_EUlS18_E_NS1_11comp_targetILNS1_3genE4ELNS1_11target_archE910ELNS1_3gpuE8ELNS1_3repE0EEENS1_30default_config_static_selectorELNS0_4arch9wavefront6targetE1EEEvT1_.has_indirect_call, 0
	.section	.AMDGPU.csdata,"",@progbits
; Kernel info:
; codeLenInByte = 0
; TotalNumSgprs: 4
; NumVgprs: 0
; ScratchSize: 0
; MemoryBound: 0
; FloatMode: 240
; IeeeMode: 1
; LDSByteSize: 0 bytes/workgroup (compile time only)
; SGPRBlocks: 0
; VGPRBlocks: 0
; NumSGPRsForWavesPerEU: 4
; NumVGPRsForWavesPerEU: 1
; Occupancy: 10
; WaveLimiterHint : 0
; COMPUTE_PGM_RSRC2:SCRATCH_EN: 0
; COMPUTE_PGM_RSRC2:USER_SGPR: 6
; COMPUTE_PGM_RSRC2:TRAP_HANDLER: 0
; COMPUTE_PGM_RSRC2:TGID_X_EN: 1
; COMPUTE_PGM_RSRC2:TGID_Y_EN: 0
; COMPUTE_PGM_RSRC2:TGID_Z_EN: 0
; COMPUTE_PGM_RSRC2:TIDIG_COMP_CNT: 0
	.section	.text._ZN7rocprim17ROCPRIM_400000_NS6detail17trampoline_kernelINS0_14default_configENS1_25partition_config_selectorILNS1_17partition_subalgoE8ExNS0_10empty_typeEbEEZZNS1_14partition_implILS5_8ELb0ES3_jN6thrust23THRUST_200600_302600_NS6detail15normal_iteratorINSA_10device_ptrIxEEEEPS6_PKS6_NS0_5tupleIJNSA_16discard_iteratorINSA_11use_defaultEEES6_EEENSJ_IJSG_SG_EEENS0_18inequality_wrapperINSA_8equal_toIxEEEEPmJS6_EEE10hipError_tPvRmT3_T4_T5_T6_T7_T9_mT8_P12ihipStream_tbDpT10_ENKUlT_T0_E_clISt17integral_constantIbLb0EES1D_EEDaS18_S19_EUlS18_E_NS1_11comp_targetILNS1_3genE3ELNS1_11target_archE908ELNS1_3gpuE7ELNS1_3repE0EEENS1_30default_config_static_selectorELNS0_4arch9wavefront6targetE1EEEvT1_,"axG",@progbits,_ZN7rocprim17ROCPRIM_400000_NS6detail17trampoline_kernelINS0_14default_configENS1_25partition_config_selectorILNS1_17partition_subalgoE8ExNS0_10empty_typeEbEEZZNS1_14partition_implILS5_8ELb0ES3_jN6thrust23THRUST_200600_302600_NS6detail15normal_iteratorINSA_10device_ptrIxEEEEPS6_PKS6_NS0_5tupleIJNSA_16discard_iteratorINSA_11use_defaultEEES6_EEENSJ_IJSG_SG_EEENS0_18inequality_wrapperINSA_8equal_toIxEEEEPmJS6_EEE10hipError_tPvRmT3_T4_T5_T6_T7_T9_mT8_P12ihipStream_tbDpT10_ENKUlT_T0_E_clISt17integral_constantIbLb0EES1D_EEDaS18_S19_EUlS18_E_NS1_11comp_targetILNS1_3genE3ELNS1_11target_archE908ELNS1_3gpuE7ELNS1_3repE0EEENS1_30default_config_static_selectorELNS0_4arch9wavefront6targetE1EEEvT1_,comdat
	.protected	_ZN7rocprim17ROCPRIM_400000_NS6detail17trampoline_kernelINS0_14default_configENS1_25partition_config_selectorILNS1_17partition_subalgoE8ExNS0_10empty_typeEbEEZZNS1_14partition_implILS5_8ELb0ES3_jN6thrust23THRUST_200600_302600_NS6detail15normal_iteratorINSA_10device_ptrIxEEEEPS6_PKS6_NS0_5tupleIJNSA_16discard_iteratorINSA_11use_defaultEEES6_EEENSJ_IJSG_SG_EEENS0_18inequality_wrapperINSA_8equal_toIxEEEEPmJS6_EEE10hipError_tPvRmT3_T4_T5_T6_T7_T9_mT8_P12ihipStream_tbDpT10_ENKUlT_T0_E_clISt17integral_constantIbLb0EES1D_EEDaS18_S19_EUlS18_E_NS1_11comp_targetILNS1_3genE3ELNS1_11target_archE908ELNS1_3gpuE7ELNS1_3repE0EEENS1_30default_config_static_selectorELNS0_4arch9wavefront6targetE1EEEvT1_ ; -- Begin function _ZN7rocprim17ROCPRIM_400000_NS6detail17trampoline_kernelINS0_14default_configENS1_25partition_config_selectorILNS1_17partition_subalgoE8ExNS0_10empty_typeEbEEZZNS1_14partition_implILS5_8ELb0ES3_jN6thrust23THRUST_200600_302600_NS6detail15normal_iteratorINSA_10device_ptrIxEEEEPS6_PKS6_NS0_5tupleIJNSA_16discard_iteratorINSA_11use_defaultEEES6_EEENSJ_IJSG_SG_EEENS0_18inequality_wrapperINSA_8equal_toIxEEEEPmJS6_EEE10hipError_tPvRmT3_T4_T5_T6_T7_T9_mT8_P12ihipStream_tbDpT10_ENKUlT_T0_E_clISt17integral_constantIbLb0EES1D_EEDaS18_S19_EUlS18_E_NS1_11comp_targetILNS1_3genE3ELNS1_11target_archE908ELNS1_3gpuE7ELNS1_3repE0EEENS1_30default_config_static_selectorELNS0_4arch9wavefront6targetE1EEEvT1_
	.globl	_ZN7rocprim17ROCPRIM_400000_NS6detail17trampoline_kernelINS0_14default_configENS1_25partition_config_selectorILNS1_17partition_subalgoE8ExNS0_10empty_typeEbEEZZNS1_14partition_implILS5_8ELb0ES3_jN6thrust23THRUST_200600_302600_NS6detail15normal_iteratorINSA_10device_ptrIxEEEEPS6_PKS6_NS0_5tupleIJNSA_16discard_iteratorINSA_11use_defaultEEES6_EEENSJ_IJSG_SG_EEENS0_18inequality_wrapperINSA_8equal_toIxEEEEPmJS6_EEE10hipError_tPvRmT3_T4_T5_T6_T7_T9_mT8_P12ihipStream_tbDpT10_ENKUlT_T0_E_clISt17integral_constantIbLb0EES1D_EEDaS18_S19_EUlS18_E_NS1_11comp_targetILNS1_3genE3ELNS1_11target_archE908ELNS1_3gpuE7ELNS1_3repE0EEENS1_30default_config_static_selectorELNS0_4arch9wavefront6targetE1EEEvT1_
	.p2align	8
	.type	_ZN7rocprim17ROCPRIM_400000_NS6detail17trampoline_kernelINS0_14default_configENS1_25partition_config_selectorILNS1_17partition_subalgoE8ExNS0_10empty_typeEbEEZZNS1_14partition_implILS5_8ELb0ES3_jN6thrust23THRUST_200600_302600_NS6detail15normal_iteratorINSA_10device_ptrIxEEEEPS6_PKS6_NS0_5tupleIJNSA_16discard_iteratorINSA_11use_defaultEEES6_EEENSJ_IJSG_SG_EEENS0_18inequality_wrapperINSA_8equal_toIxEEEEPmJS6_EEE10hipError_tPvRmT3_T4_T5_T6_T7_T9_mT8_P12ihipStream_tbDpT10_ENKUlT_T0_E_clISt17integral_constantIbLb0EES1D_EEDaS18_S19_EUlS18_E_NS1_11comp_targetILNS1_3genE3ELNS1_11target_archE908ELNS1_3gpuE7ELNS1_3repE0EEENS1_30default_config_static_selectorELNS0_4arch9wavefront6targetE1EEEvT1_,@function
_ZN7rocprim17ROCPRIM_400000_NS6detail17trampoline_kernelINS0_14default_configENS1_25partition_config_selectorILNS1_17partition_subalgoE8ExNS0_10empty_typeEbEEZZNS1_14partition_implILS5_8ELb0ES3_jN6thrust23THRUST_200600_302600_NS6detail15normal_iteratorINSA_10device_ptrIxEEEEPS6_PKS6_NS0_5tupleIJNSA_16discard_iteratorINSA_11use_defaultEEES6_EEENSJ_IJSG_SG_EEENS0_18inequality_wrapperINSA_8equal_toIxEEEEPmJS6_EEE10hipError_tPvRmT3_T4_T5_T6_T7_T9_mT8_P12ihipStream_tbDpT10_ENKUlT_T0_E_clISt17integral_constantIbLb0EES1D_EEDaS18_S19_EUlS18_E_NS1_11comp_targetILNS1_3genE3ELNS1_11target_archE908ELNS1_3gpuE7ELNS1_3repE0EEENS1_30default_config_static_selectorELNS0_4arch9wavefront6targetE1EEEvT1_: ; @_ZN7rocprim17ROCPRIM_400000_NS6detail17trampoline_kernelINS0_14default_configENS1_25partition_config_selectorILNS1_17partition_subalgoE8ExNS0_10empty_typeEbEEZZNS1_14partition_implILS5_8ELb0ES3_jN6thrust23THRUST_200600_302600_NS6detail15normal_iteratorINSA_10device_ptrIxEEEEPS6_PKS6_NS0_5tupleIJNSA_16discard_iteratorINSA_11use_defaultEEES6_EEENSJ_IJSG_SG_EEENS0_18inequality_wrapperINSA_8equal_toIxEEEEPmJS6_EEE10hipError_tPvRmT3_T4_T5_T6_T7_T9_mT8_P12ihipStream_tbDpT10_ENKUlT_T0_E_clISt17integral_constantIbLb0EES1D_EEDaS18_S19_EUlS18_E_NS1_11comp_targetILNS1_3genE3ELNS1_11target_archE908ELNS1_3gpuE7ELNS1_3repE0EEENS1_30default_config_static_selectorELNS0_4arch9wavefront6targetE1EEEvT1_
; %bb.0:
	.section	.rodata,"a",@progbits
	.p2align	6, 0x0
	.amdhsa_kernel _ZN7rocprim17ROCPRIM_400000_NS6detail17trampoline_kernelINS0_14default_configENS1_25partition_config_selectorILNS1_17partition_subalgoE8ExNS0_10empty_typeEbEEZZNS1_14partition_implILS5_8ELb0ES3_jN6thrust23THRUST_200600_302600_NS6detail15normal_iteratorINSA_10device_ptrIxEEEEPS6_PKS6_NS0_5tupleIJNSA_16discard_iteratorINSA_11use_defaultEEES6_EEENSJ_IJSG_SG_EEENS0_18inequality_wrapperINSA_8equal_toIxEEEEPmJS6_EEE10hipError_tPvRmT3_T4_T5_T6_T7_T9_mT8_P12ihipStream_tbDpT10_ENKUlT_T0_E_clISt17integral_constantIbLb0EES1D_EEDaS18_S19_EUlS18_E_NS1_11comp_targetILNS1_3genE3ELNS1_11target_archE908ELNS1_3gpuE7ELNS1_3repE0EEENS1_30default_config_static_selectorELNS0_4arch9wavefront6targetE1EEEvT1_
		.amdhsa_group_segment_fixed_size 0
		.amdhsa_private_segment_fixed_size 0
		.amdhsa_kernarg_size 120
		.amdhsa_user_sgpr_count 6
		.amdhsa_user_sgpr_private_segment_buffer 1
		.amdhsa_user_sgpr_dispatch_ptr 0
		.amdhsa_user_sgpr_queue_ptr 0
		.amdhsa_user_sgpr_kernarg_segment_ptr 1
		.amdhsa_user_sgpr_dispatch_id 0
		.amdhsa_user_sgpr_flat_scratch_init 0
		.amdhsa_user_sgpr_private_segment_size 0
		.amdhsa_uses_dynamic_stack 0
		.amdhsa_system_sgpr_private_segment_wavefront_offset 0
		.amdhsa_system_sgpr_workgroup_id_x 1
		.amdhsa_system_sgpr_workgroup_id_y 0
		.amdhsa_system_sgpr_workgroup_id_z 0
		.amdhsa_system_sgpr_workgroup_info 0
		.amdhsa_system_vgpr_workitem_id 0
		.amdhsa_next_free_vgpr 1
		.amdhsa_next_free_sgpr 0
		.amdhsa_reserve_vcc 0
		.amdhsa_reserve_flat_scratch 0
		.amdhsa_float_round_mode_32 0
		.amdhsa_float_round_mode_16_64 0
		.amdhsa_float_denorm_mode_32 3
		.amdhsa_float_denorm_mode_16_64 3
		.amdhsa_dx10_clamp 1
		.amdhsa_ieee_mode 1
		.amdhsa_fp16_overflow 0
		.amdhsa_exception_fp_ieee_invalid_op 0
		.amdhsa_exception_fp_denorm_src 0
		.amdhsa_exception_fp_ieee_div_zero 0
		.amdhsa_exception_fp_ieee_overflow 0
		.amdhsa_exception_fp_ieee_underflow 0
		.amdhsa_exception_fp_ieee_inexact 0
		.amdhsa_exception_int_div_zero 0
	.end_amdhsa_kernel
	.section	.text._ZN7rocprim17ROCPRIM_400000_NS6detail17trampoline_kernelINS0_14default_configENS1_25partition_config_selectorILNS1_17partition_subalgoE8ExNS0_10empty_typeEbEEZZNS1_14partition_implILS5_8ELb0ES3_jN6thrust23THRUST_200600_302600_NS6detail15normal_iteratorINSA_10device_ptrIxEEEEPS6_PKS6_NS0_5tupleIJNSA_16discard_iteratorINSA_11use_defaultEEES6_EEENSJ_IJSG_SG_EEENS0_18inequality_wrapperINSA_8equal_toIxEEEEPmJS6_EEE10hipError_tPvRmT3_T4_T5_T6_T7_T9_mT8_P12ihipStream_tbDpT10_ENKUlT_T0_E_clISt17integral_constantIbLb0EES1D_EEDaS18_S19_EUlS18_E_NS1_11comp_targetILNS1_3genE3ELNS1_11target_archE908ELNS1_3gpuE7ELNS1_3repE0EEENS1_30default_config_static_selectorELNS0_4arch9wavefront6targetE1EEEvT1_,"axG",@progbits,_ZN7rocprim17ROCPRIM_400000_NS6detail17trampoline_kernelINS0_14default_configENS1_25partition_config_selectorILNS1_17partition_subalgoE8ExNS0_10empty_typeEbEEZZNS1_14partition_implILS5_8ELb0ES3_jN6thrust23THRUST_200600_302600_NS6detail15normal_iteratorINSA_10device_ptrIxEEEEPS6_PKS6_NS0_5tupleIJNSA_16discard_iteratorINSA_11use_defaultEEES6_EEENSJ_IJSG_SG_EEENS0_18inequality_wrapperINSA_8equal_toIxEEEEPmJS6_EEE10hipError_tPvRmT3_T4_T5_T6_T7_T9_mT8_P12ihipStream_tbDpT10_ENKUlT_T0_E_clISt17integral_constantIbLb0EES1D_EEDaS18_S19_EUlS18_E_NS1_11comp_targetILNS1_3genE3ELNS1_11target_archE908ELNS1_3gpuE7ELNS1_3repE0EEENS1_30default_config_static_selectorELNS0_4arch9wavefront6targetE1EEEvT1_,comdat
.Lfunc_end632:
	.size	_ZN7rocprim17ROCPRIM_400000_NS6detail17trampoline_kernelINS0_14default_configENS1_25partition_config_selectorILNS1_17partition_subalgoE8ExNS0_10empty_typeEbEEZZNS1_14partition_implILS5_8ELb0ES3_jN6thrust23THRUST_200600_302600_NS6detail15normal_iteratorINSA_10device_ptrIxEEEEPS6_PKS6_NS0_5tupleIJNSA_16discard_iteratorINSA_11use_defaultEEES6_EEENSJ_IJSG_SG_EEENS0_18inequality_wrapperINSA_8equal_toIxEEEEPmJS6_EEE10hipError_tPvRmT3_T4_T5_T6_T7_T9_mT8_P12ihipStream_tbDpT10_ENKUlT_T0_E_clISt17integral_constantIbLb0EES1D_EEDaS18_S19_EUlS18_E_NS1_11comp_targetILNS1_3genE3ELNS1_11target_archE908ELNS1_3gpuE7ELNS1_3repE0EEENS1_30default_config_static_selectorELNS0_4arch9wavefront6targetE1EEEvT1_, .Lfunc_end632-_ZN7rocprim17ROCPRIM_400000_NS6detail17trampoline_kernelINS0_14default_configENS1_25partition_config_selectorILNS1_17partition_subalgoE8ExNS0_10empty_typeEbEEZZNS1_14partition_implILS5_8ELb0ES3_jN6thrust23THRUST_200600_302600_NS6detail15normal_iteratorINSA_10device_ptrIxEEEEPS6_PKS6_NS0_5tupleIJNSA_16discard_iteratorINSA_11use_defaultEEES6_EEENSJ_IJSG_SG_EEENS0_18inequality_wrapperINSA_8equal_toIxEEEEPmJS6_EEE10hipError_tPvRmT3_T4_T5_T6_T7_T9_mT8_P12ihipStream_tbDpT10_ENKUlT_T0_E_clISt17integral_constantIbLb0EES1D_EEDaS18_S19_EUlS18_E_NS1_11comp_targetILNS1_3genE3ELNS1_11target_archE908ELNS1_3gpuE7ELNS1_3repE0EEENS1_30default_config_static_selectorELNS0_4arch9wavefront6targetE1EEEvT1_
                                        ; -- End function
	.set _ZN7rocprim17ROCPRIM_400000_NS6detail17trampoline_kernelINS0_14default_configENS1_25partition_config_selectorILNS1_17partition_subalgoE8ExNS0_10empty_typeEbEEZZNS1_14partition_implILS5_8ELb0ES3_jN6thrust23THRUST_200600_302600_NS6detail15normal_iteratorINSA_10device_ptrIxEEEEPS6_PKS6_NS0_5tupleIJNSA_16discard_iteratorINSA_11use_defaultEEES6_EEENSJ_IJSG_SG_EEENS0_18inequality_wrapperINSA_8equal_toIxEEEEPmJS6_EEE10hipError_tPvRmT3_T4_T5_T6_T7_T9_mT8_P12ihipStream_tbDpT10_ENKUlT_T0_E_clISt17integral_constantIbLb0EES1D_EEDaS18_S19_EUlS18_E_NS1_11comp_targetILNS1_3genE3ELNS1_11target_archE908ELNS1_3gpuE7ELNS1_3repE0EEENS1_30default_config_static_selectorELNS0_4arch9wavefront6targetE1EEEvT1_.num_vgpr, 0
	.set _ZN7rocprim17ROCPRIM_400000_NS6detail17trampoline_kernelINS0_14default_configENS1_25partition_config_selectorILNS1_17partition_subalgoE8ExNS0_10empty_typeEbEEZZNS1_14partition_implILS5_8ELb0ES3_jN6thrust23THRUST_200600_302600_NS6detail15normal_iteratorINSA_10device_ptrIxEEEEPS6_PKS6_NS0_5tupleIJNSA_16discard_iteratorINSA_11use_defaultEEES6_EEENSJ_IJSG_SG_EEENS0_18inequality_wrapperINSA_8equal_toIxEEEEPmJS6_EEE10hipError_tPvRmT3_T4_T5_T6_T7_T9_mT8_P12ihipStream_tbDpT10_ENKUlT_T0_E_clISt17integral_constantIbLb0EES1D_EEDaS18_S19_EUlS18_E_NS1_11comp_targetILNS1_3genE3ELNS1_11target_archE908ELNS1_3gpuE7ELNS1_3repE0EEENS1_30default_config_static_selectorELNS0_4arch9wavefront6targetE1EEEvT1_.num_agpr, 0
	.set _ZN7rocprim17ROCPRIM_400000_NS6detail17trampoline_kernelINS0_14default_configENS1_25partition_config_selectorILNS1_17partition_subalgoE8ExNS0_10empty_typeEbEEZZNS1_14partition_implILS5_8ELb0ES3_jN6thrust23THRUST_200600_302600_NS6detail15normal_iteratorINSA_10device_ptrIxEEEEPS6_PKS6_NS0_5tupleIJNSA_16discard_iteratorINSA_11use_defaultEEES6_EEENSJ_IJSG_SG_EEENS0_18inequality_wrapperINSA_8equal_toIxEEEEPmJS6_EEE10hipError_tPvRmT3_T4_T5_T6_T7_T9_mT8_P12ihipStream_tbDpT10_ENKUlT_T0_E_clISt17integral_constantIbLb0EES1D_EEDaS18_S19_EUlS18_E_NS1_11comp_targetILNS1_3genE3ELNS1_11target_archE908ELNS1_3gpuE7ELNS1_3repE0EEENS1_30default_config_static_selectorELNS0_4arch9wavefront6targetE1EEEvT1_.numbered_sgpr, 0
	.set _ZN7rocprim17ROCPRIM_400000_NS6detail17trampoline_kernelINS0_14default_configENS1_25partition_config_selectorILNS1_17partition_subalgoE8ExNS0_10empty_typeEbEEZZNS1_14partition_implILS5_8ELb0ES3_jN6thrust23THRUST_200600_302600_NS6detail15normal_iteratorINSA_10device_ptrIxEEEEPS6_PKS6_NS0_5tupleIJNSA_16discard_iteratorINSA_11use_defaultEEES6_EEENSJ_IJSG_SG_EEENS0_18inequality_wrapperINSA_8equal_toIxEEEEPmJS6_EEE10hipError_tPvRmT3_T4_T5_T6_T7_T9_mT8_P12ihipStream_tbDpT10_ENKUlT_T0_E_clISt17integral_constantIbLb0EES1D_EEDaS18_S19_EUlS18_E_NS1_11comp_targetILNS1_3genE3ELNS1_11target_archE908ELNS1_3gpuE7ELNS1_3repE0EEENS1_30default_config_static_selectorELNS0_4arch9wavefront6targetE1EEEvT1_.num_named_barrier, 0
	.set _ZN7rocprim17ROCPRIM_400000_NS6detail17trampoline_kernelINS0_14default_configENS1_25partition_config_selectorILNS1_17partition_subalgoE8ExNS0_10empty_typeEbEEZZNS1_14partition_implILS5_8ELb0ES3_jN6thrust23THRUST_200600_302600_NS6detail15normal_iteratorINSA_10device_ptrIxEEEEPS6_PKS6_NS0_5tupleIJNSA_16discard_iteratorINSA_11use_defaultEEES6_EEENSJ_IJSG_SG_EEENS0_18inequality_wrapperINSA_8equal_toIxEEEEPmJS6_EEE10hipError_tPvRmT3_T4_T5_T6_T7_T9_mT8_P12ihipStream_tbDpT10_ENKUlT_T0_E_clISt17integral_constantIbLb0EES1D_EEDaS18_S19_EUlS18_E_NS1_11comp_targetILNS1_3genE3ELNS1_11target_archE908ELNS1_3gpuE7ELNS1_3repE0EEENS1_30default_config_static_selectorELNS0_4arch9wavefront6targetE1EEEvT1_.private_seg_size, 0
	.set _ZN7rocprim17ROCPRIM_400000_NS6detail17trampoline_kernelINS0_14default_configENS1_25partition_config_selectorILNS1_17partition_subalgoE8ExNS0_10empty_typeEbEEZZNS1_14partition_implILS5_8ELb0ES3_jN6thrust23THRUST_200600_302600_NS6detail15normal_iteratorINSA_10device_ptrIxEEEEPS6_PKS6_NS0_5tupleIJNSA_16discard_iteratorINSA_11use_defaultEEES6_EEENSJ_IJSG_SG_EEENS0_18inequality_wrapperINSA_8equal_toIxEEEEPmJS6_EEE10hipError_tPvRmT3_T4_T5_T6_T7_T9_mT8_P12ihipStream_tbDpT10_ENKUlT_T0_E_clISt17integral_constantIbLb0EES1D_EEDaS18_S19_EUlS18_E_NS1_11comp_targetILNS1_3genE3ELNS1_11target_archE908ELNS1_3gpuE7ELNS1_3repE0EEENS1_30default_config_static_selectorELNS0_4arch9wavefront6targetE1EEEvT1_.uses_vcc, 0
	.set _ZN7rocprim17ROCPRIM_400000_NS6detail17trampoline_kernelINS0_14default_configENS1_25partition_config_selectorILNS1_17partition_subalgoE8ExNS0_10empty_typeEbEEZZNS1_14partition_implILS5_8ELb0ES3_jN6thrust23THRUST_200600_302600_NS6detail15normal_iteratorINSA_10device_ptrIxEEEEPS6_PKS6_NS0_5tupleIJNSA_16discard_iteratorINSA_11use_defaultEEES6_EEENSJ_IJSG_SG_EEENS0_18inequality_wrapperINSA_8equal_toIxEEEEPmJS6_EEE10hipError_tPvRmT3_T4_T5_T6_T7_T9_mT8_P12ihipStream_tbDpT10_ENKUlT_T0_E_clISt17integral_constantIbLb0EES1D_EEDaS18_S19_EUlS18_E_NS1_11comp_targetILNS1_3genE3ELNS1_11target_archE908ELNS1_3gpuE7ELNS1_3repE0EEENS1_30default_config_static_selectorELNS0_4arch9wavefront6targetE1EEEvT1_.uses_flat_scratch, 0
	.set _ZN7rocprim17ROCPRIM_400000_NS6detail17trampoline_kernelINS0_14default_configENS1_25partition_config_selectorILNS1_17partition_subalgoE8ExNS0_10empty_typeEbEEZZNS1_14partition_implILS5_8ELb0ES3_jN6thrust23THRUST_200600_302600_NS6detail15normal_iteratorINSA_10device_ptrIxEEEEPS6_PKS6_NS0_5tupleIJNSA_16discard_iteratorINSA_11use_defaultEEES6_EEENSJ_IJSG_SG_EEENS0_18inequality_wrapperINSA_8equal_toIxEEEEPmJS6_EEE10hipError_tPvRmT3_T4_T5_T6_T7_T9_mT8_P12ihipStream_tbDpT10_ENKUlT_T0_E_clISt17integral_constantIbLb0EES1D_EEDaS18_S19_EUlS18_E_NS1_11comp_targetILNS1_3genE3ELNS1_11target_archE908ELNS1_3gpuE7ELNS1_3repE0EEENS1_30default_config_static_selectorELNS0_4arch9wavefront6targetE1EEEvT1_.has_dyn_sized_stack, 0
	.set _ZN7rocprim17ROCPRIM_400000_NS6detail17trampoline_kernelINS0_14default_configENS1_25partition_config_selectorILNS1_17partition_subalgoE8ExNS0_10empty_typeEbEEZZNS1_14partition_implILS5_8ELb0ES3_jN6thrust23THRUST_200600_302600_NS6detail15normal_iteratorINSA_10device_ptrIxEEEEPS6_PKS6_NS0_5tupleIJNSA_16discard_iteratorINSA_11use_defaultEEES6_EEENSJ_IJSG_SG_EEENS0_18inequality_wrapperINSA_8equal_toIxEEEEPmJS6_EEE10hipError_tPvRmT3_T4_T5_T6_T7_T9_mT8_P12ihipStream_tbDpT10_ENKUlT_T0_E_clISt17integral_constantIbLb0EES1D_EEDaS18_S19_EUlS18_E_NS1_11comp_targetILNS1_3genE3ELNS1_11target_archE908ELNS1_3gpuE7ELNS1_3repE0EEENS1_30default_config_static_selectorELNS0_4arch9wavefront6targetE1EEEvT1_.has_recursion, 0
	.set _ZN7rocprim17ROCPRIM_400000_NS6detail17trampoline_kernelINS0_14default_configENS1_25partition_config_selectorILNS1_17partition_subalgoE8ExNS0_10empty_typeEbEEZZNS1_14partition_implILS5_8ELb0ES3_jN6thrust23THRUST_200600_302600_NS6detail15normal_iteratorINSA_10device_ptrIxEEEEPS6_PKS6_NS0_5tupleIJNSA_16discard_iteratorINSA_11use_defaultEEES6_EEENSJ_IJSG_SG_EEENS0_18inequality_wrapperINSA_8equal_toIxEEEEPmJS6_EEE10hipError_tPvRmT3_T4_T5_T6_T7_T9_mT8_P12ihipStream_tbDpT10_ENKUlT_T0_E_clISt17integral_constantIbLb0EES1D_EEDaS18_S19_EUlS18_E_NS1_11comp_targetILNS1_3genE3ELNS1_11target_archE908ELNS1_3gpuE7ELNS1_3repE0EEENS1_30default_config_static_selectorELNS0_4arch9wavefront6targetE1EEEvT1_.has_indirect_call, 0
	.section	.AMDGPU.csdata,"",@progbits
; Kernel info:
; codeLenInByte = 0
; TotalNumSgprs: 4
; NumVgprs: 0
; ScratchSize: 0
; MemoryBound: 0
; FloatMode: 240
; IeeeMode: 1
; LDSByteSize: 0 bytes/workgroup (compile time only)
; SGPRBlocks: 0
; VGPRBlocks: 0
; NumSGPRsForWavesPerEU: 4
; NumVGPRsForWavesPerEU: 1
; Occupancy: 10
; WaveLimiterHint : 0
; COMPUTE_PGM_RSRC2:SCRATCH_EN: 0
; COMPUTE_PGM_RSRC2:USER_SGPR: 6
; COMPUTE_PGM_RSRC2:TRAP_HANDLER: 0
; COMPUTE_PGM_RSRC2:TGID_X_EN: 1
; COMPUTE_PGM_RSRC2:TGID_Y_EN: 0
; COMPUTE_PGM_RSRC2:TGID_Z_EN: 0
; COMPUTE_PGM_RSRC2:TIDIG_COMP_CNT: 0
	.section	.text._ZN7rocprim17ROCPRIM_400000_NS6detail17trampoline_kernelINS0_14default_configENS1_25partition_config_selectorILNS1_17partition_subalgoE8ExNS0_10empty_typeEbEEZZNS1_14partition_implILS5_8ELb0ES3_jN6thrust23THRUST_200600_302600_NS6detail15normal_iteratorINSA_10device_ptrIxEEEEPS6_PKS6_NS0_5tupleIJNSA_16discard_iteratorINSA_11use_defaultEEES6_EEENSJ_IJSG_SG_EEENS0_18inequality_wrapperINSA_8equal_toIxEEEEPmJS6_EEE10hipError_tPvRmT3_T4_T5_T6_T7_T9_mT8_P12ihipStream_tbDpT10_ENKUlT_T0_E_clISt17integral_constantIbLb0EES1D_EEDaS18_S19_EUlS18_E_NS1_11comp_targetILNS1_3genE2ELNS1_11target_archE906ELNS1_3gpuE6ELNS1_3repE0EEENS1_30default_config_static_selectorELNS0_4arch9wavefront6targetE1EEEvT1_,"axG",@progbits,_ZN7rocprim17ROCPRIM_400000_NS6detail17trampoline_kernelINS0_14default_configENS1_25partition_config_selectorILNS1_17partition_subalgoE8ExNS0_10empty_typeEbEEZZNS1_14partition_implILS5_8ELb0ES3_jN6thrust23THRUST_200600_302600_NS6detail15normal_iteratorINSA_10device_ptrIxEEEEPS6_PKS6_NS0_5tupleIJNSA_16discard_iteratorINSA_11use_defaultEEES6_EEENSJ_IJSG_SG_EEENS0_18inequality_wrapperINSA_8equal_toIxEEEEPmJS6_EEE10hipError_tPvRmT3_T4_T5_T6_T7_T9_mT8_P12ihipStream_tbDpT10_ENKUlT_T0_E_clISt17integral_constantIbLb0EES1D_EEDaS18_S19_EUlS18_E_NS1_11comp_targetILNS1_3genE2ELNS1_11target_archE906ELNS1_3gpuE6ELNS1_3repE0EEENS1_30default_config_static_selectorELNS0_4arch9wavefront6targetE1EEEvT1_,comdat
	.protected	_ZN7rocprim17ROCPRIM_400000_NS6detail17trampoline_kernelINS0_14default_configENS1_25partition_config_selectorILNS1_17partition_subalgoE8ExNS0_10empty_typeEbEEZZNS1_14partition_implILS5_8ELb0ES3_jN6thrust23THRUST_200600_302600_NS6detail15normal_iteratorINSA_10device_ptrIxEEEEPS6_PKS6_NS0_5tupleIJNSA_16discard_iteratorINSA_11use_defaultEEES6_EEENSJ_IJSG_SG_EEENS0_18inequality_wrapperINSA_8equal_toIxEEEEPmJS6_EEE10hipError_tPvRmT3_T4_T5_T6_T7_T9_mT8_P12ihipStream_tbDpT10_ENKUlT_T0_E_clISt17integral_constantIbLb0EES1D_EEDaS18_S19_EUlS18_E_NS1_11comp_targetILNS1_3genE2ELNS1_11target_archE906ELNS1_3gpuE6ELNS1_3repE0EEENS1_30default_config_static_selectorELNS0_4arch9wavefront6targetE1EEEvT1_ ; -- Begin function _ZN7rocprim17ROCPRIM_400000_NS6detail17trampoline_kernelINS0_14default_configENS1_25partition_config_selectorILNS1_17partition_subalgoE8ExNS0_10empty_typeEbEEZZNS1_14partition_implILS5_8ELb0ES3_jN6thrust23THRUST_200600_302600_NS6detail15normal_iteratorINSA_10device_ptrIxEEEEPS6_PKS6_NS0_5tupleIJNSA_16discard_iteratorINSA_11use_defaultEEES6_EEENSJ_IJSG_SG_EEENS0_18inequality_wrapperINSA_8equal_toIxEEEEPmJS6_EEE10hipError_tPvRmT3_T4_T5_T6_T7_T9_mT8_P12ihipStream_tbDpT10_ENKUlT_T0_E_clISt17integral_constantIbLb0EES1D_EEDaS18_S19_EUlS18_E_NS1_11comp_targetILNS1_3genE2ELNS1_11target_archE906ELNS1_3gpuE6ELNS1_3repE0EEENS1_30default_config_static_selectorELNS0_4arch9wavefront6targetE1EEEvT1_
	.globl	_ZN7rocprim17ROCPRIM_400000_NS6detail17trampoline_kernelINS0_14default_configENS1_25partition_config_selectorILNS1_17partition_subalgoE8ExNS0_10empty_typeEbEEZZNS1_14partition_implILS5_8ELb0ES3_jN6thrust23THRUST_200600_302600_NS6detail15normal_iteratorINSA_10device_ptrIxEEEEPS6_PKS6_NS0_5tupleIJNSA_16discard_iteratorINSA_11use_defaultEEES6_EEENSJ_IJSG_SG_EEENS0_18inequality_wrapperINSA_8equal_toIxEEEEPmJS6_EEE10hipError_tPvRmT3_T4_T5_T6_T7_T9_mT8_P12ihipStream_tbDpT10_ENKUlT_T0_E_clISt17integral_constantIbLb0EES1D_EEDaS18_S19_EUlS18_E_NS1_11comp_targetILNS1_3genE2ELNS1_11target_archE906ELNS1_3gpuE6ELNS1_3repE0EEENS1_30default_config_static_selectorELNS0_4arch9wavefront6targetE1EEEvT1_
	.p2align	8
	.type	_ZN7rocprim17ROCPRIM_400000_NS6detail17trampoline_kernelINS0_14default_configENS1_25partition_config_selectorILNS1_17partition_subalgoE8ExNS0_10empty_typeEbEEZZNS1_14partition_implILS5_8ELb0ES3_jN6thrust23THRUST_200600_302600_NS6detail15normal_iteratorINSA_10device_ptrIxEEEEPS6_PKS6_NS0_5tupleIJNSA_16discard_iteratorINSA_11use_defaultEEES6_EEENSJ_IJSG_SG_EEENS0_18inequality_wrapperINSA_8equal_toIxEEEEPmJS6_EEE10hipError_tPvRmT3_T4_T5_T6_T7_T9_mT8_P12ihipStream_tbDpT10_ENKUlT_T0_E_clISt17integral_constantIbLb0EES1D_EEDaS18_S19_EUlS18_E_NS1_11comp_targetILNS1_3genE2ELNS1_11target_archE906ELNS1_3gpuE6ELNS1_3repE0EEENS1_30default_config_static_selectorELNS0_4arch9wavefront6targetE1EEEvT1_,@function
_ZN7rocprim17ROCPRIM_400000_NS6detail17trampoline_kernelINS0_14default_configENS1_25partition_config_selectorILNS1_17partition_subalgoE8ExNS0_10empty_typeEbEEZZNS1_14partition_implILS5_8ELb0ES3_jN6thrust23THRUST_200600_302600_NS6detail15normal_iteratorINSA_10device_ptrIxEEEEPS6_PKS6_NS0_5tupleIJNSA_16discard_iteratorINSA_11use_defaultEEES6_EEENSJ_IJSG_SG_EEENS0_18inequality_wrapperINSA_8equal_toIxEEEEPmJS6_EEE10hipError_tPvRmT3_T4_T5_T6_T7_T9_mT8_P12ihipStream_tbDpT10_ENKUlT_T0_E_clISt17integral_constantIbLb0EES1D_EEDaS18_S19_EUlS18_E_NS1_11comp_targetILNS1_3genE2ELNS1_11target_archE906ELNS1_3gpuE6ELNS1_3repE0EEENS1_30default_config_static_selectorELNS0_4arch9wavefront6targetE1EEEvT1_: ; @_ZN7rocprim17ROCPRIM_400000_NS6detail17trampoline_kernelINS0_14default_configENS1_25partition_config_selectorILNS1_17partition_subalgoE8ExNS0_10empty_typeEbEEZZNS1_14partition_implILS5_8ELb0ES3_jN6thrust23THRUST_200600_302600_NS6detail15normal_iteratorINSA_10device_ptrIxEEEEPS6_PKS6_NS0_5tupleIJNSA_16discard_iteratorINSA_11use_defaultEEES6_EEENSJ_IJSG_SG_EEENS0_18inequality_wrapperINSA_8equal_toIxEEEEPmJS6_EEE10hipError_tPvRmT3_T4_T5_T6_T7_T9_mT8_P12ihipStream_tbDpT10_ENKUlT_T0_E_clISt17integral_constantIbLb0EES1D_EEDaS18_S19_EUlS18_E_NS1_11comp_targetILNS1_3genE2ELNS1_11target_archE906ELNS1_3gpuE6ELNS1_3repE0EEENS1_30default_config_static_selectorELNS0_4arch9wavefront6targetE1EEEvT1_
; %bb.0:
	s_load_dwordx4 s[0:3], s[4:5], 0x8
	s_load_dwordx4 s[20:23], s[4:5], 0x48
	s_load_dwordx2 s[8:9], s[4:5], 0x58
	s_load_dword s7, s[4:5], 0x70
	v_lshlrev_b32_e32 v20, 3, v0
	s_waitcnt lgkmcnt(0)
	s_lshl_b64 s[10:11], s[2:3], 3
	s_add_u32 s12, s0, s10
	s_addc_u32 s13, s1, s11
	s_mul_i32 s0, s7, 0x700
	s_add_i32 s1, s0, s2
	s_add_i32 s14, s7, -1
	s_sub_i32 s7, s8, s1
	s_add_u32 s0, s2, s0
	s_addc_u32 s1, s3, 0
	v_mov_b32_e32 v2, s1
	v_mov_b32_e32 v1, s0
	v_cmp_le_u64_e32 vcc, s[8:9], v[1:2]
	s_cmp_eq_u32 s6, s14
	s_load_dwordx2 s[22:23], s[22:23], 0x0
	s_cselect_b64 s[24:25], -1, 0
	s_mul_i32 s10, s6, 0x700
	s_mov_b32 s11, 0
	s_and_b64 s[16:17], s[24:25], vcc
	s_xor_b64 s[8:9], s[16:17], -1
	s_lshl_b64 s[10:11], s[10:11], 3
	s_add_u32 s10, s12, s10
	s_mov_b64 s[0:1], -1
	s_addc_u32 s11, s13, s11
	s_and_b64 vcc, exec, s[8:9]
	s_cbranch_vccz .LBB633_2
; %bb.1:
	v_mov_b32_e32 v2, s11
	v_add_co_u32_e32 v1, vcc, s10, v20
	v_addc_co_u32_e32 v2, vcc, 0, v2, vcc
	v_add_co_u32_e32 v3, vcc, 0x1000, v1
	v_addc_co_u32_e32 v4, vcc, 0, v2, vcc
	flat_load_dwordx2 v[5:6], v[1:2]
	flat_load_dwordx2 v[7:8], v[1:2] offset:2048
	flat_load_dwordx2 v[9:10], v[3:4]
	flat_load_dwordx2 v[11:12], v[3:4] offset:2048
	v_add_co_u32_e32 v3, vcc, 0x2000, v1
	v_addc_co_u32_e32 v4, vcc, 0, v2, vcc
	v_add_co_u32_e32 v1, vcc, 0x3000, v1
	v_addc_co_u32_e32 v2, vcc, 0, v2, vcc
	flat_load_dwordx2 v[13:14], v[3:4]
	flat_load_dwordx2 v[15:16], v[3:4] offset:2048
	flat_load_dwordx2 v[17:18], v[1:2]
	s_mov_b64 s[0:1], 0
	s_waitcnt vmcnt(0) lgkmcnt(0)
	ds_write2st64_b64 v20, v[5:6], v[7:8] offset1:4
	ds_write2st64_b64 v20, v[9:10], v[11:12] offset0:8 offset1:12
	ds_write2st64_b64 v20, v[13:14], v[15:16] offset0:16 offset1:20
	ds_write_b64 v20, v[17:18] offset:12288
	s_waitcnt lgkmcnt(0)
	s_barrier
.LBB633_2:
	s_andn2_b64 vcc, exec, s[0:1]
	s_addk_i32 s7, 0x700
	s_cbranch_vccnz .LBB633_18
; %bb.3:
	v_mov_b32_e32 v1, 0
	v_cmp_gt_u32_e32 vcc, s7, v0
	v_mov_b32_e32 v2, v1
	v_mov_b32_e32 v3, v1
	;; [unrolled: 1-line block ×13, first 2 shown]
	s_and_saveexec_b64 s[0:1], vcc
	s_cbranch_execz .LBB633_5
; %bb.4:
	v_mov_b32_e32 v3, s11
	v_add_co_u32_e32 v2, vcc, s10, v20
	v_addc_co_u32_e32 v3, vcc, 0, v3, vcc
	flat_load_dwordx2 v[2:3], v[2:3]
	v_mov_b32_e32 v4, v1
	v_mov_b32_e32 v5, v1
	v_mov_b32_e32 v6, v1
	v_mov_b32_e32 v7, v1
	v_mov_b32_e32 v8, v1
	v_mov_b32_e32 v9, v1
	v_mov_b32_e32 v10, v1
	v_mov_b32_e32 v11, v1
	v_mov_b32_e32 v12, v1
	v_mov_b32_e32 v13, v1
	v_mov_b32_e32 v14, v1
	v_mov_b32_e32 v15, v1
	s_waitcnt vmcnt(0) lgkmcnt(0)
	v_mov_b32_e32 v1, v2
	v_mov_b32_e32 v2, v3
	v_mov_b32_e32 v3, v4
	v_mov_b32_e32 v4, v5
	v_mov_b32_e32 v5, v6
	v_mov_b32_e32 v6, v7
	v_mov_b32_e32 v7, v8
	v_mov_b32_e32 v8, v9
	v_mov_b32_e32 v9, v10
	v_mov_b32_e32 v10, v11
	v_mov_b32_e32 v11, v12
	v_mov_b32_e32 v12, v13
	v_mov_b32_e32 v13, v14
	v_mov_b32_e32 v14, v15
	v_mov_b32_e32 v15, v16
	v_mov_b32_e32 v16, v17
.LBB633_5:
	s_or_b64 exec, exec, s[0:1]
	v_or_b32_e32 v15, 0x100, v0
	v_cmp_gt_u32_e32 vcc, s7, v15
	s_and_saveexec_b64 s[0:1], vcc
	s_cbranch_execz .LBB633_7
; %bb.6:
	v_mov_b32_e32 v4, s11
	v_add_co_u32_e32 v3, vcc, s10, v20
	v_addc_co_u32_e32 v4, vcc, 0, v4, vcc
	flat_load_dwordx2 v[3:4], v[3:4] offset:2048
.LBB633_7:
	s_or_b64 exec, exec, s[0:1]
	v_or_b32_e32 v15, 0x200, v0
	v_cmp_gt_u32_e32 vcc, s7, v15
	s_and_saveexec_b64 s[0:1], vcc
	s_cbranch_execz .LBB633_9
; %bb.8:
	v_lshlrev_b32_e32 v5, 3, v15
	v_mov_b32_e32 v6, s11
	v_add_co_u32_e32 v5, vcc, s10, v5
	v_addc_co_u32_e32 v6, vcc, 0, v6, vcc
	flat_load_dwordx2 v[5:6], v[5:6]
.LBB633_9:
	s_or_b64 exec, exec, s[0:1]
	v_or_b32_e32 v15, 0x300, v0
	v_cmp_gt_u32_e32 vcc, s7, v15
	s_and_saveexec_b64 s[0:1], vcc
	s_cbranch_execz .LBB633_11
; %bb.10:
	v_lshlrev_b32_e32 v7, 3, v15
	v_mov_b32_e32 v8, s11
	v_add_co_u32_e32 v7, vcc, s10, v7
	v_addc_co_u32_e32 v8, vcc, 0, v8, vcc
	flat_load_dwordx2 v[7:8], v[7:8]
.LBB633_11:
	;; [unrolled: 12-line block ×5, first 2 shown]
	s_or_b64 exec, exec, s[0:1]
	s_waitcnt vmcnt(0) lgkmcnt(0)
	ds_write2st64_b64 v20, v[1:2], v[3:4] offset1:4
	ds_write2st64_b64 v20, v[5:6], v[7:8] offset0:8 offset1:12
	ds_write2st64_b64 v20, v[9:10], v[11:12] offset0:16 offset1:20
	ds_write_b64 v20, v[13:14] offset:12288
	s_waitcnt lgkmcnt(0)
	s_barrier
.LBB633_18:
	v_mul_u32_u24_e32 v19, 7, v0
	v_lshlrev_b32_e32 v21, 3, v19
	s_waitcnt lgkmcnt(0)
	ds_read2_b64 v[9:12], v21 offset1:1
	ds_read2_b64 v[5:8], v21 offset0:2 offset1:3
	ds_read2_b64 v[1:4], v21 offset0:4 offset1:5
	ds_read_b64 v[13:14], v21 offset:48
	s_cmp_lg_u32 s6, 0
	s_cselect_b64 s[18:19], -1, 0
	s_cmp_lg_u64 s[2:3], 0
	s_cselect_b64 s[0:1], -1, 0
	s_or_b64 s[0:1], s[18:19], s[0:1]
	s_mov_b64 s[26:27], 0
	s_and_b64 vcc, exec, s[0:1]
	s_waitcnt lgkmcnt(0)
	s_barrier
	s_cbranch_vccz .LBB633_23
; %bb.19:
	v_mov_b32_e32 v16, s11
	v_add_co_u32_e64 v15, vcc, -8, s10
	v_addc_co_u32_e32 v16, vcc, -1, v16, vcc
	flat_load_dwordx2 v[15:16], v[15:16]
	s_and_b64 vcc, exec, s[8:9]
	ds_write_b64 v20, v[13:14]
	s_cbranch_vccz .LBB633_24
; %bb.20:
	s_waitcnt vmcnt(0) lgkmcnt(0)
	v_mov_b32_e32 v18, v16
	v_cmp_ne_u32_e32 vcc, 0, v0
	v_mov_b32_e32 v17, v15
	s_barrier
	s_and_saveexec_b64 s[0:1], vcc
; %bb.21:
	v_add_u32_e32 v17, -8, v20
	ds_read_b64 v[17:18], v17
; %bb.22:
	s_or_b64 exec, exec, s[0:1]
	v_cmp_ne_u64_e32 vcc, v[3:4], v[13:14]
	s_waitcnt lgkmcnt(0)
	v_cmp_ne_u64_e64 s[28:29], v[17:18], v[9:10]
	v_cndmask_b32_e64 v25, 0, 1, vcc
	v_cmp_ne_u64_e32 vcc, v[1:2], v[3:4]
	v_cndmask_b32_e64 v26, 0, 1, vcc
	v_cmp_ne_u64_e32 vcc, v[7:8], v[1:2]
	;; [unrolled: 2-line block ×5, first 2 shown]
	v_cndmask_b32_e64 v30, 0, 1, vcc
	s_branch .LBB633_28
.LBB633_23:
                                        ; implicit-def: $sgpr28_sgpr29
                                        ; implicit-def: $vgpr25
                                        ; implicit-def: $vgpr26
                                        ; implicit-def: $vgpr27
                                        ; implicit-def: $vgpr28
                                        ; implicit-def: $vgpr29
                                        ; implicit-def: $vgpr30
	s_branch .LBB633_29
.LBB633_24:
                                        ; implicit-def: $sgpr28_sgpr29
                                        ; implicit-def: $vgpr25
                                        ; implicit-def: $vgpr26
                                        ; implicit-def: $vgpr27
                                        ; implicit-def: $vgpr28
                                        ; implicit-def: $vgpr29
                                        ; implicit-def: $vgpr30
	s_cbranch_execz .LBB633_28
; %bb.25:
	v_cmp_ne_u32_e32 vcc, 0, v0
	s_waitcnt vmcnt(0) lgkmcnt(0)
	s_barrier
	s_and_saveexec_b64 s[0:1], vcc
; %bb.26:
	v_add_u32_e32 v15, -8, v20
	ds_read_b64 v[15:16], v15
; %bb.27:
	s_or_b64 exec, exec, s[0:1]
	v_add_u32_e32 v17, 6, v19
	v_cmp_ne_u64_e32 vcc, v[3:4], v[13:14]
	v_cmp_gt_u32_e64 s[0:1], s7, v17
	s_and_b64 s[0:1], s[0:1], vcc
	v_add_u32_e32 v17, 5, v19
	v_cmp_ne_u64_e32 vcc, v[1:2], v[3:4]
	v_cndmask_b32_e64 v25, 0, 1, s[0:1]
	v_cmp_gt_u32_e64 s[0:1], s7, v17
	s_and_b64 s[0:1], s[0:1], vcc
	v_add_u32_e32 v17, 4, v19
	v_cmp_ne_u64_e32 vcc, v[7:8], v[1:2]
	v_cndmask_b32_e64 v26, 0, 1, s[0:1]
	;; [unrolled: 5-line block ×5, first 2 shown]
	v_cmp_gt_u32_e64 s[0:1], s7, v17
	s_and_b64 s[0:1], s[0:1], vcc
	s_waitcnt lgkmcnt(0)
	v_cmp_ne_u64_e32 vcc, v[15:16], v[9:10]
	v_cndmask_b32_e64 v30, 0, 1, s[0:1]
	v_cmp_gt_u32_e64 s[0:1], s7, v19
	s_and_b64 s[28:29], s[0:1], vcc
.LBB633_28:
	s_mov_b64 s[26:27], -1
	s_cbranch_execnz .LBB633_37
.LBB633_29:
	s_movk_i32 s0, 0xffd0
	s_waitcnt vmcnt(0) lgkmcnt(0)
	v_mad_i32_i24 v15, v0, s0, v21
	s_and_b64 vcc, exec, s[8:9]
	v_cmp_ne_u64_e64 s[0:1], v[3:4], v[13:14]
	v_cmp_ne_u64_e64 s[2:3], v[1:2], v[3:4]
	;; [unrolled: 1-line block ×6, first 2 shown]
	ds_write_b64 v15, v[13:14]
	s_cbranch_vccz .LBB633_33
; %bb.30:
	v_cmp_ne_u32_e32 vcc, 0, v0
	s_waitcnt lgkmcnt(0)
	s_barrier
                                        ; implicit-def: $sgpr28_sgpr29
	s_and_saveexec_b64 s[30:31], vcc
	s_xor_b64 s[30:31], exec, s[30:31]
	s_cbranch_execz .LBB633_32
; %bb.31:
	v_add_u32_e32 v16, -8, v15
	ds_read_b64 v[16:17], v16
	s_or_b64 s[26:27], s[26:27], exec
	s_waitcnt lgkmcnt(0)
	v_cmp_ne_u64_e64 s[28:29], v[16:17], v[9:10]
.LBB633_32:
	s_or_b64 exec, exec, s[30:31]
	v_cndmask_b32_e64 v25, 0, 1, s[0:1]
	v_cndmask_b32_e64 v26, 0, 1, s[2:3]
	;; [unrolled: 1-line block ×6, first 2 shown]
	s_branch .LBB633_37
.LBB633_33:
                                        ; implicit-def: $sgpr28_sgpr29
                                        ; implicit-def: $vgpr25
                                        ; implicit-def: $vgpr26
                                        ; implicit-def: $vgpr27
                                        ; implicit-def: $vgpr28
                                        ; implicit-def: $vgpr29
                                        ; implicit-def: $vgpr30
	s_cbranch_execz .LBB633_37
; %bb.34:
	v_add_u32_e32 v16, 6, v19
	v_cmp_ne_u64_e32 vcc, v[3:4], v[13:14]
	v_cmp_gt_u32_e64 s[0:1], s7, v16
	s_and_b64 s[2:3], s[0:1], vcc
	v_add_u32_e32 v16, 5, v19
	v_cmp_ne_u64_e32 vcc, v[1:2], v[3:4]
	v_cmp_gt_u32_e64 s[0:1], s7, v16
	s_and_b64 s[8:9], s[0:1], vcc
	;; [unrolled: 4-line block ×6, first 2 shown]
	v_cmp_ne_u32_e32 vcc, 0, v0
	s_waitcnt lgkmcnt(0)
	s_barrier
                                        ; implicit-def: $sgpr28_sgpr29
	s_and_saveexec_b64 s[34:35], vcc
	s_cbranch_execz .LBB633_36
; %bb.35:
	v_add_u32_e32 v15, -8, v15
	ds_read_b64 v[15:16], v15
	v_cmp_gt_u32_e64 s[0:1], s7, v19
	s_or_b64 s[26:27], s[26:27], exec
	s_waitcnt lgkmcnt(0)
	v_cmp_ne_u64_e32 vcc, v[15:16], v[9:10]
	s_and_b64 s[28:29], s[0:1], vcc
.LBB633_36:
	s_or_b64 exec, exec, s[34:35]
	v_cndmask_b32_e64 v25, 0, 1, s[2:3]
	v_cndmask_b32_e64 v26, 0, 1, s[8:9]
	;; [unrolled: 1-line block ×6, first 2 shown]
.LBB633_37:
	v_mov_b32_e32 v32, 1
	s_and_saveexec_b64 s[0:1], s[26:27]
; %bb.38:
	v_cndmask_b32_e64 v32, 0, 1, s[28:29]
; %bb.39:
	s_or_b64 exec, exec, s[0:1]
	s_load_dwordx2 s[26:27], s[4:5], 0x68
	s_andn2_b64 vcc, exec, s[16:17]
	s_cbranch_vccnz .LBB633_41
; %bb.40:
	v_cmp_gt_u32_e32 vcc, s7, v19
	s_waitcnt vmcnt(0) lgkmcnt(0)
	v_add_u32_e32 v15, 1, v19
	v_cndmask_b32_e32 v32, 0, v32, vcc
	v_cmp_gt_u32_e32 vcc, s7, v15
	v_add_u32_e32 v15, 2, v19
	v_cndmask_b32_e32 v30, 0, v30, vcc
	v_cmp_gt_u32_e32 vcc, s7, v15
	;; [unrolled: 3-line block ×6, first 2 shown]
	v_cndmask_b32_e32 v25, 0, v25, vcc
.LBB633_41:
	v_and_b32_e32 v37, 0xffff, v32
	v_and_b32_e32 v36, 0xff, v30
	;; [unrolled: 1-line block ×5, first 2 shown]
	s_waitcnt vmcnt(0) lgkmcnt(0)
	v_add3_u32 v16, v36, v37, v35
	v_and_b32_e32 v31, 0xff, v26
	v_and_b32_e32 v15, 0xff, v25
	v_add3_u32 v16, v16, v34, v33
	v_add3_u32 v40, v16, v31, v15
	v_mbcnt_lo_u32_b32 v15, -1, 0
	v_mbcnt_hi_u32_b32 v38, -1, v15
	v_and_b32_e32 v15, 15, v38
	v_cmp_eq_u32_e64 s[12:13], 0, v15
	v_cmp_lt_u32_e64 s[10:11], 1, v15
	v_cmp_lt_u32_e64 s[8:9], 3, v15
	;; [unrolled: 1-line block ×3, first 2 shown]
	v_and_b32_e32 v15, 16, v38
	v_cmp_eq_u32_e64 s[4:5], 0, v15
	v_or_b32_e32 v15, 63, v0
	v_cmp_lt_u32_e64 s[0:1], 31, v38
	v_lshrrev_b32_e32 v39, 6, v0
	v_cmp_eq_u32_e64 s[2:3], v0, v15
	s_and_b64 vcc, exec, s[18:19]
	s_barrier
	s_cbranch_vccz .LBB633_63
; %bb.42:
	v_mov_b32_dpp v15, v40 row_shr:1 row_mask:0xf bank_mask:0xf
	v_cndmask_b32_e64 v15, v15, 0, s[12:13]
	v_add_u32_e32 v15, v15, v40
	s_nop 1
	v_mov_b32_dpp v16, v15 row_shr:2 row_mask:0xf bank_mask:0xf
	v_cndmask_b32_e64 v16, 0, v16, s[10:11]
	v_add_u32_e32 v15, v15, v16
	s_nop 1
	;; [unrolled: 4-line block ×4, first 2 shown]
	v_mov_b32_dpp v16, v15 row_bcast:15 row_mask:0xf bank_mask:0xf
	v_cndmask_b32_e64 v16, v16, 0, s[4:5]
	v_add_u32_e32 v15, v15, v16
	s_nop 1
	v_mov_b32_dpp v16, v15 row_bcast:31 row_mask:0xf bank_mask:0xf
	v_cndmask_b32_e64 v16, 0, v16, s[0:1]
	v_add_u32_e32 v15, v15, v16
	s_and_saveexec_b64 s[14:15], s[2:3]
; %bb.43:
	v_lshlrev_b32_e32 v16, 2, v39
	ds_write_b32 v16, v15
; %bb.44:
	s_or_b64 exec, exec, s[14:15]
	v_cmp_gt_u32_e32 vcc, 4, v0
	s_waitcnt lgkmcnt(0)
	s_barrier
	s_and_saveexec_b64 s[14:15], vcc
	s_cbranch_execz .LBB633_46
; %bb.45:
	v_lshlrev_b32_e32 v16, 2, v0
	ds_read_b32 v17, v16
	v_and_b32_e32 v18, 3, v38
	v_cmp_ne_u32_e32 vcc, 0, v18
	s_waitcnt lgkmcnt(0)
	v_mov_b32_dpp v19, v17 row_shr:1 row_mask:0xf bank_mask:0xf
	v_cndmask_b32_e32 v19, 0, v19, vcc
	v_add_u32_e32 v17, v19, v17
	v_cmp_lt_u32_e32 vcc, 1, v18
	s_nop 0
	v_mov_b32_dpp v19, v17 row_shr:2 row_mask:0xf bank_mask:0xf
	v_cndmask_b32_e32 v18, 0, v19, vcc
	v_add_u32_e32 v17, v17, v18
	ds_write_b32 v16, v17
.LBB633_46:
	s_or_b64 exec, exec, s[14:15]
	v_cmp_gt_u32_e32 vcc, 64, v0
	v_cmp_lt_u32_e64 s[14:15], 63, v0
	s_waitcnt lgkmcnt(0)
	s_barrier
                                        ; implicit-def: $vgpr41
	s_and_saveexec_b64 s[18:19], s[14:15]
	s_cbranch_execz .LBB633_48
; %bb.47:
	v_lshl_add_u32 v16, v39, 2, -4
	ds_read_b32 v41, v16
	s_waitcnt lgkmcnt(0)
	v_add_u32_e32 v15, v41, v15
.LBB633_48:
	s_or_b64 exec, exec, s[18:19]
	v_subrev_co_u32_e64 v16, s[14:15], 1, v38
	v_and_b32_e32 v17, 64, v38
	v_cmp_lt_i32_e64 s[18:19], v16, v17
	v_cndmask_b32_e64 v16, v16, v38, s[18:19]
	v_lshlrev_b32_e32 v16, 2, v16
	ds_bpermute_b32 v42, v16, v15
	s_and_saveexec_b64 s[18:19], vcc
	s_cbranch_execz .LBB633_68
; %bb.49:
	v_mov_b32_e32 v21, 0
	ds_read_b32 v15, v21 offset:12
	s_and_saveexec_b64 s[28:29], s[14:15]
	s_cbranch_execz .LBB633_51
; %bb.50:
	s_add_i32 s30, s6, 64
	s_mov_b32 s31, 0
	s_lshl_b64 s[30:31], s[30:31], 3
	s_add_u32 s30, s26, s30
	v_mov_b32_e32 v16, 1
	s_addc_u32 s31, s27, s31
	s_waitcnt lgkmcnt(0)
	global_store_dwordx2 v21, v[15:16], s[30:31]
.LBB633_51:
	s_or_b64 exec, exec, s[28:29]
	v_xad_u32 v17, v38, -1, s6
	v_add_u32_e32 v20, 64, v17
	v_lshlrev_b64 v[18:19], 3, v[20:21]
	v_mov_b32_e32 v16, s27
	v_add_co_u32_e32 v22, vcc, s26, v18
	v_addc_co_u32_e32 v23, vcc, v16, v19, vcc
	global_load_dwordx2 v[19:20], v[22:23], off glc
	s_waitcnt vmcnt(0)
	v_cmp_eq_u16_sdwa s[30:31], v20, v21 src0_sel:BYTE_0 src1_sel:DWORD
	s_and_saveexec_b64 s[28:29], s[30:31]
	s_cbranch_execz .LBB633_55
; %bb.52:
	s_mov_b64 s[30:31], 0
	v_mov_b32_e32 v16, 0
.LBB633_53:                             ; =>This Inner Loop Header: Depth=1
	global_load_dwordx2 v[19:20], v[22:23], off glc
	s_waitcnt vmcnt(0)
	v_cmp_ne_u16_sdwa s[34:35], v20, v16 src0_sel:BYTE_0 src1_sel:DWORD
	s_or_b64 s[30:31], s[34:35], s[30:31]
	s_andn2_b64 exec, exec, s[30:31]
	s_cbranch_execnz .LBB633_53
; %bb.54:
	s_or_b64 exec, exec, s[30:31]
.LBB633_55:
	s_or_b64 exec, exec, s[28:29]
	v_and_b32_e32 v44, 63, v38
	v_mov_b32_e32 v43, 2
	v_lshlrev_b64 v[21:22], v38, -1
	v_cmp_ne_u32_e32 vcc, 63, v44
	v_cmp_eq_u16_sdwa s[28:29], v20, v43 src0_sel:BYTE_0 src1_sel:DWORD
	v_addc_co_u32_e32 v23, vcc, 0, v38, vcc
	v_and_b32_e32 v16, s29, v22
	v_lshlrev_b32_e32 v45, 2, v23
	v_or_b32_e32 v16, 0x80000000, v16
	ds_bpermute_b32 v23, v45, v19
	v_and_b32_e32 v18, s28, v21
	v_ffbl_b32_e32 v16, v16
	v_add_u32_e32 v16, 32, v16
	v_ffbl_b32_e32 v18, v18
	v_min_u32_e32 v16, v18, v16
	v_cmp_lt_u32_e32 vcc, v44, v16
	s_waitcnt lgkmcnt(0)
	v_cndmask_b32_e32 v18, 0, v23, vcc
	v_cmp_gt_u32_e32 vcc, 62, v44
	v_add_u32_e32 v18, v18, v19
	v_cndmask_b32_e64 v19, 0, 2, vcc
	v_add_lshl_u32 v46, v19, v38, 2
	ds_bpermute_b32 v19, v46, v18
	v_add_u32_e32 v47, 2, v44
	v_cmp_le_u32_e32 vcc, v47, v16
	v_add_u32_e32 v49, 4, v44
	v_add_u32_e32 v51, 8, v44
	s_waitcnt lgkmcnt(0)
	v_cndmask_b32_e32 v19, 0, v19, vcc
	v_cmp_gt_u32_e32 vcc, 60, v44
	v_add_u32_e32 v18, v18, v19
	v_cndmask_b32_e64 v19, 0, 4, vcc
	v_add_lshl_u32 v48, v19, v38, 2
	ds_bpermute_b32 v19, v48, v18
	v_cmp_le_u32_e32 vcc, v49, v16
	v_add_u32_e32 v53, 16, v44
	v_add_u32_e32 v55, 32, v44
	s_waitcnt lgkmcnt(0)
	v_cndmask_b32_e32 v19, 0, v19, vcc
	v_cmp_gt_u32_e32 vcc, 56, v44
	v_add_u32_e32 v18, v18, v19
	v_cndmask_b32_e64 v19, 0, 8, vcc
	v_add_lshl_u32 v50, v19, v38, 2
	ds_bpermute_b32 v19, v50, v18
	v_cmp_le_u32_e32 vcc, v51, v16
	s_waitcnt lgkmcnt(0)
	v_cndmask_b32_e32 v19, 0, v19, vcc
	v_cmp_gt_u32_e32 vcc, 48, v44
	v_add_u32_e32 v18, v18, v19
	v_cndmask_b32_e64 v19, 0, 16, vcc
	v_add_lshl_u32 v52, v19, v38, 2
	ds_bpermute_b32 v19, v52, v18
	v_cmp_le_u32_e32 vcc, v53, v16
	s_waitcnt lgkmcnt(0)
	v_cndmask_b32_e32 v19, 0, v19, vcc
	v_add_u32_e32 v18, v18, v19
	v_mov_b32_e32 v19, 0x80
	v_lshl_or_b32 v54, v38, 2, v19
	ds_bpermute_b32 v19, v54, v18
	v_cmp_le_u32_e32 vcc, v55, v16
	s_waitcnt lgkmcnt(0)
	v_cndmask_b32_e32 v16, 0, v19, vcc
	v_add_u32_e32 v19, v18, v16
	v_mov_b32_e32 v18, 0
	s_branch .LBB633_58
.LBB633_56:                             ;   in Loop: Header=BB633_58 Depth=1
	s_or_b64 exec, exec, s[28:29]
	v_cmp_eq_u16_sdwa s[28:29], v20, v43 src0_sel:BYTE_0 src1_sel:DWORD
	v_and_b32_e32 v23, s29, v22
	v_or_b32_e32 v23, 0x80000000, v23
	ds_bpermute_b32 v56, v45, v19
	v_and_b32_e32 v24, s28, v21
	v_ffbl_b32_e32 v23, v23
	v_add_u32_e32 v23, 32, v23
	v_ffbl_b32_e32 v24, v24
	v_min_u32_e32 v23, v24, v23
	v_cmp_lt_u32_e32 vcc, v44, v23
	s_waitcnt lgkmcnt(0)
	v_cndmask_b32_e32 v24, 0, v56, vcc
	v_add_u32_e32 v19, v24, v19
	ds_bpermute_b32 v24, v46, v19
	v_cmp_le_u32_e32 vcc, v47, v23
	v_subrev_u32_e32 v17, 64, v17
	s_mov_b64 s[28:29], 0
	s_waitcnt lgkmcnt(0)
	v_cndmask_b32_e32 v24, 0, v24, vcc
	v_add_u32_e32 v19, v19, v24
	ds_bpermute_b32 v24, v48, v19
	v_cmp_le_u32_e32 vcc, v49, v23
	s_waitcnt lgkmcnt(0)
	v_cndmask_b32_e32 v24, 0, v24, vcc
	v_add_u32_e32 v19, v19, v24
	ds_bpermute_b32 v24, v50, v19
	v_cmp_le_u32_e32 vcc, v51, v23
	;; [unrolled: 5-line block ×4, first 2 shown]
	s_waitcnt lgkmcnt(0)
	v_cndmask_b32_e32 v23, 0, v24, vcc
	v_add3_u32 v19, v23, v16, v19
.LBB633_57:                             ;   in Loop: Header=BB633_58 Depth=1
	s_and_b64 vcc, exec, s[28:29]
	s_cbranch_vccnz .LBB633_64
.LBB633_58:                             ; =>This Loop Header: Depth=1
                                        ;     Child Loop BB633_61 Depth 2
	v_cmp_ne_u16_sdwa s[28:29], v20, v43 src0_sel:BYTE_0 src1_sel:DWORD
	v_mov_b32_e32 v16, v19
	s_cmp_lg_u64 s[28:29], exec
	s_mov_b64 s[28:29], -1
                                        ; implicit-def: $vgpr19
                                        ; implicit-def: $vgpr20
	s_cbranch_scc1 .LBB633_57
; %bb.59:                               ;   in Loop: Header=BB633_58 Depth=1
	v_lshlrev_b64 v[19:20], 3, v[17:18]
	v_mov_b32_e32 v24, s27
	v_add_co_u32_e32 v23, vcc, s26, v19
	v_addc_co_u32_e32 v24, vcc, v24, v20, vcc
	global_load_dwordx2 v[19:20], v[23:24], off glc
	s_waitcnt vmcnt(0)
	v_cmp_eq_u16_sdwa s[30:31], v20, v18 src0_sel:BYTE_0 src1_sel:DWORD
	s_and_saveexec_b64 s[28:29], s[30:31]
	s_cbranch_execz .LBB633_56
; %bb.60:                               ;   in Loop: Header=BB633_58 Depth=1
	s_mov_b64 s[30:31], 0
.LBB633_61:                             ;   Parent Loop BB633_58 Depth=1
                                        ; =>  This Inner Loop Header: Depth=2
	global_load_dwordx2 v[19:20], v[23:24], off glc
	s_waitcnt vmcnt(0)
	v_cmp_ne_u16_sdwa s[34:35], v20, v18 src0_sel:BYTE_0 src1_sel:DWORD
	s_or_b64 s[30:31], s[34:35], s[30:31]
	s_andn2_b64 exec, exec, s[30:31]
	s_cbranch_execnz .LBB633_61
; %bb.62:                               ;   in Loop: Header=BB633_58 Depth=1
	s_or_b64 exec, exec, s[30:31]
	s_branch .LBB633_56
.LBB633_63:
                                        ; implicit-def: $vgpr16
                                        ; implicit-def: $vgpr17
	s_cbranch_execnz .LBB633_69
	s_branch .LBB633_78
.LBB633_64:
	s_and_saveexec_b64 s[28:29], s[14:15]
	s_cbranch_execz .LBB633_66
; %bb.65:
	s_add_i32 s6, s6, 64
	s_mov_b32 s7, 0
	s_lshl_b64 s[6:7], s[6:7], 3
	s_add_u32 s6, s26, s6
	v_add_u32_e32 v17, v16, v15
	v_mov_b32_e32 v18, 2
	s_addc_u32 s7, s27, s7
	v_mov_b32_e32 v19, 0
	global_store_dwordx2 v19, v[17:18], s[6:7]
	ds_write_b64 v19, v[15:16] offset:14336
.LBB633_66:
	s_or_b64 exec, exec, s[28:29]
	v_cmp_eq_u32_e32 vcc, 0, v0
	s_and_b64 exec, exec, vcc
; %bb.67:
	v_mov_b32_e32 v15, 0
	ds_write_b32 v15, v16 offset:12
.LBB633_68:
	s_or_b64 exec, exec, s[18:19]
	v_mov_b32_e32 v15, 0
	s_waitcnt vmcnt(0) lgkmcnt(0)
	s_barrier
	ds_read_b32 v18, v15 offset:12
	s_waitcnt lgkmcnt(0)
	s_barrier
	ds_read_b64 v[15:16], v15 offset:14336
	v_cndmask_b32_e64 v17, v42, v41, s[14:15]
	v_cmp_ne_u32_e32 vcc, 0, v0
	v_cndmask_b32_e32 v17, 0, v17, vcc
	v_add_u32_e32 v17, v18, v17
	s_branch .LBB633_78
.LBB633_69:
	s_waitcnt lgkmcnt(0)
	v_mov_b32_dpp v15, v40 row_shr:1 row_mask:0xf bank_mask:0xf
	v_cndmask_b32_e64 v15, v15, 0, s[12:13]
	v_add_u32_e32 v15, v15, v40
	s_nop 1
	v_mov_b32_dpp v16, v15 row_shr:2 row_mask:0xf bank_mask:0xf
	v_cndmask_b32_e64 v16, 0, v16, s[10:11]
	v_add_u32_e32 v15, v15, v16
	s_nop 1
	;; [unrolled: 4-line block ×4, first 2 shown]
	v_mov_b32_dpp v16, v15 row_bcast:15 row_mask:0xf bank_mask:0xf
	v_cndmask_b32_e64 v16, v16, 0, s[4:5]
	v_add_u32_e32 v15, v15, v16
	s_nop 1
	v_mov_b32_dpp v16, v15 row_bcast:31 row_mask:0xf bank_mask:0xf
	v_cndmask_b32_e64 v16, 0, v16, s[0:1]
	v_add_u32_e32 v15, v15, v16
	s_and_saveexec_b64 s[0:1], s[2:3]
; %bb.70:
	v_lshlrev_b32_e32 v16, 2, v39
	ds_write_b32 v16, v15
; %bb.71:
	s_or_b64 exec, exec, s[0:1]
	v_cmp_gt_u32_e32 vcc, 4, v0
	s_waitcnt lgkmcnt(0)
	s_barrier
	s_and_saveexec_b64 s[0:1], vcc
	s_cbranch_execz .LBB633_73
; %bb.72:
	v_lshlrev_b32_e32 v16, 2, v0
	ds_read_b32 v17, v16
	v_and_b32_e32 v18, 3, v38
	v_cmp_ne_u32_e32 vcc, 0, v18
	s_waitcnt lgkmcnt(0)
	v_mov_b32_dpp v19, v17 row_shr:1 row_mask:0xf bank_mask:0xf
	v_cndmask_b32_e32 v19, 0, v19, vcc
	v_add_u32_e32 v17, v19, v17
	v_cmp_lt_u32_e32 vcc, 1, v18
	s_nop 0
	v_mov_b32_dpp v19, v17 row_shr:2 row_mask:0xf bank_mask:0xf
	v_cndmask_b32_e32 v18, 0, v19, vcc
	v_add_u32_e32 v17, v17, v18
	ds_write_b32 v16, v17
.LBB633_73:
	s_or_b64 exec, exec, s[0:1]
	v_cmp_lt_u32_e32 vcc, 63, v0
	v_mov_b32_e32 v16, 0
	v_mov_b32_e32 v17, 0
	s_waitcnt lgkmcnt(0)
	s_barrier
	s_and_saveexec_b64 s[0:1], vcc
; %bb.74:
	v_lshl_add_u32 v17, v39, 2, -4
	ds_read_b32 v17, v17
; %bb.75:
	s_or_b64 exec, exec, s[0:1]
	v_subrev_co_u32_e32 v18, vcc, 1, v38
	v_and_b32_e32 v19, 64, v38
	v_cmp_lt_i32_e64 s[0:1], v18, v19
	v_cndmask_b32_e64 v18, v18, v38, s[0:1]
	s_waitcnt lgkmcnt(0)
	v_add_u32_e32 v15, v17, v15
	v_lshlrev_b32_e32 v18, 2, v18
	ds_bpermute_b32 v18, v18, v15
	ds_read_b32 v15, v16 offset:12
	v_cmp_eq_u32_e64 s[0:1], 0, v0
	s_and_saveexec_b64 s[2:3], s[0:1]
	s_cbranch_execz .LBB633_77
; %bb.76:
	v_mov_b32_e32 v19, 0
	v_mov_b32_e32 v16, 2
	s_waitcnt lgkmcnt(0)
	global_store_dwordx2 v19, v[15:16], s[26:27] offset:512
.LBB633_77:
	s_or_b64 exec, exec, s[2:3]
	s_waitcnt lgkmcnt(1)
	v_cndmask_b32_e32 v16, v18, v17, vcc
	v_cndmask_b32_e64 v17, v16, 0, s[0:1]
	s_waitcnt vmcnt(0) lgkmcnt(0)
	s_barrier
	v_mov_b32_e32 v16, 0
.LBB633_78:
	s_movk_i32 s0, 0x101
	s_waitcnt lgkmcnt(0)
	v_cmp_gt_u32_e32 vcc, s0, v15
	s_cbranch_vccz .LBB633_81
; %bb.79:
	v_cmp_eq_u32_e32 vcc, 0, v0
	s_and_b64 s[0:1], vcc, s[24:25]
	s_and_saveexec_b64 s[2:3], s[0:1]
	s_cbranch_execnz .LBB633_96
.LBB633_80:
	s_endpgm
.LBB633_81:
	v_and_b32_e32 v18, 1, v32
	v_cmp_eq_u32_e32 vcc, 1, v18
	s_and_saveexec_b64 s[0:1], vcc
; %bb.82:
	v_sub_u32_e32 v18, v17, v16
	v_lshlrev_b32_e32 v18, 3, v18
	ds_write_b64 v18, v[9:10]
; %bb.83:
	s_or_b64 exec, exec, s[0:1]
	v_and_b32_e32 v10, 1, v30
	v_add_u32_e32 v9, v17, v37
	v_cmp_eq_u32_e32 vcc, 1, v10
	s_and_saveexec_b64 s[0:1], vcc
; %bb.84:
	v_sub_u32_e32 v10, v9, v16
	v_lshlrev_b32_e32 v10, 3, v10
	ds_write_b64 v10, v[11:12]
; %bb.85:
	s_or_b64 exec, exec, s[0:1]
	v_and_b32_e32 v10, 1, v29
	v_add_u32_e32 v9, v9, v36
	;; [unrolled: 10-line block ×5, first 2 shown]
	v_cmp_eq_u32_e32 vcc, 1, v2
	s_and_saveexec_b64 s[0:1], vcc
; %bb.92:
	v_sub_u32_e32 v2, v1, v16
	v_lshlrev_b32_e32 v2, 3, v2
	ds_write_b64 v2, v[3:4]
; %bb.93:
	s_or_b64 exec, exec, s[0:1]
	v_and_b32_e32 v2, 1, v25
	v_cmp_eq_u32_e32 vcc, 1, v2
	s_and_saveexec_b64 s[0:1], vcc
; %bb.94:
	v_sub_u32_e32 v2, v31, v16
	v_lshlrev_b32_e32 v1, 3, v1
	v_lshl_add_u32 v1, v2, 3, v1
	ds_write_b64 v1, v[13:14]
; %bb.95:
	s_or_b64 exec, exec, s[0:1]
	s_waitcnt lgkmcnt(0)
	s_barrier
	v_cmp_eq_u32_e32 vcc, 0, v0
	s_and_b64 s[0:1], vcc, s[24:25]
	s_and_saveexec_b64 s[2:3], s[0:1]
	s_cbranch_execz .LBB633_80
.LBB633_96:
	v_mov_b32_e32 v0, s23
	v_add_co_u32_e32 v1, vcc, s22, v15
	v_addc_co_u32_e32 v3, vcc, 0, v0, vcc
	v_add_co_u32_e32 v0, vcc, v1, v16
	v_mov_b32_e32 v2, 0
	v_addc_co_u32_e32 v1, vcc, 0, v3, vcc
	global_store_dwordx2 v2, v[0:1], s[20:21]
	s_endpgm
	.section	.rodata,"a",@progbits
	.p2align	6, 0x0
	.amdhsa_kernel _ZN7rocprim17ROCPRIM_400000_NS6detail17trampoline_kernelINS0_14default_configENS1_25partition_config_selectorILNS1_17partition_subalgoE8ExNS0_10empty_typeEbEEZZNS1_14partition_implILS5_8ELb0ES3_jN6thrust23THRUST_200600_302600_NS6detail15normal_iteratorINSA_10device_ptrIxEEEEPS6_PKS6_NS0_5tupleIJNSA_16discard_iteratorINSA_11use_defaultEEES6_EEENSJ_IJSG_SG_EEENS0_18inequality_wrapperINSA_8equal_toIxEEEEPmJS6_EEE10hipError_tPvRmT3_T4_T5_T6_T7_T9_mT8_P12ihipStream_tbDpT10_ENKUlT_T0_E_clISt17integral_constantIbLb0EES1D_EEDaS18_S19_EUlS18_E_NS1_11comp_targetILNS1_3genE2ELNS1_11target_archE906ELNS1_3gpuE6ELNS1_3repE0EEENS1_30default_config_static_selectorELNS0_4arch9wavefront6targetE1EEEvT1_
		.amdhsa_group_segment_fixed_size 14344
		.amdhsa_private_segment_fixed_size 0
		.amdhsa_kernarg_size 120
		.amdhsa_user_sgpr_count 6
		.amdhsa_user_sgpr_private_segment_buffer 1
		.amdhsa_user_sgpr_dispatch_ptr 0
		.amdhsa_user_sgpr_queue_ptr 0
		.amdhsa_user_sgpr_kernarg_segment_ptr 1
		.amdhsa_user_sgpr_dispatch_id 0
		.amdhsa_user_sgpr_flat_scratch_init 0
		.amdhsa_user_sgpr_private_segment_size 0
		.amdhsa_uses_dynamic_stack 0
		.amdhsa_system_sgpr_private_segment_wavefront_offset 0
		.amdhsa_system_sgpr_workgroup_id_x 1
		.amdhsa_system_sgpr_workgroup_id_y 0
		.amdhsa_system_sgpr_workgroup_id_z 0
		.amdhsa_system_sgpr_workgroup_info 0
		.amdhsa_system_vgpr_workitem_id 0
		.amdhsa_next_free_vgpr 57
		.amdhsa_next_free_sgpr 98
		.amdhsa_reserve_vcc 1
		.amdhsa_reserve_flat_scratch 0
		.amdhsa_float_round_mode_32 0
		.amdhsa_float_round_mode_16_64 0
		.amdhsa_float_denorm_mode_32 3
		.amdhsa_float_denorm_mode_16_64 3
		.amdhsa_dx10_clamp 1
		.amdhsa_ieee_mode 1
		.amdhsa_fp16_overflow 0
		.amdhsa_exception_fp_ieee_invalid_op 0
		.amdhsa_exception_fp_denorm_src 0
		.amdhsa_exception_fp_ieee_div_zero 0
		.amdhsa_exception_fp_ieee_overflow 0
		.amdhsa_exception_fp_ieee_underflow 0
		.amdhsa_exception_fp_ieee_inexact 0
		.amdhsa_exception_int_div_zero 0
	.end_amdhsa_kernel
	.section	.text._ZN7rocprim17ROCPRIM_400000_NS6detail17trampoline_kernelINS0_14default_configENS1_25partition_config_selectorILNS1_17partition_subalgoE8ExNS0_10empty_typeEbEEZZNS1_14partition_implILS5_8ELb0ES3_jN6thrust23THRUST_200600_302600_NS6detail15normal_iteratorINSA_10device_ptrIxEEEEPS6_PKS6_NS0_5tupleIJNSA_16discard_iteratorINSA_11use_defaultEEES6_EEENSJ_IJSG_SG_EEENS0_18inequality_wrapperINSA_8equal_toIxEEEEPmJS6_EEE10hipError_tPvRmT3_T4_T5_T6_T7_T9_mT8_P12ihipStream_tbDpT10_ENKUlT_T0_E_clISt17integral_constantIbLb0EES1D_EEDaS18_S19_EUlS18_E_NS1_11comp_targetILNS1_3genE2ELNS1_11target_archE906ELNS1_3gpuE6ELNS1_3repE0EEENS1_30default_config_static_selectorELNS0_4arch9wavefront6targetE1EEEvT1_,"axG",@progbits,_ZN7rocprim17ROCPRIM_400000_NS6detail17trampoline_kernelINS0_14default_configENS1_25partition_config_selectorILNS1_17partition_subalgoE8ExNS0_10empty_typeEbEEZZNS1_14partition_implILS5_8ELb0ES3_jN6thrust23THRUST_200600_302600_NS6detail15normal_iteratorINSA_10device_ptrIxEEEEPS6_PKS6_NS0_5tupleIJNSA_16discard_iteratorINSA_11use_defaultEEES6_EEENSJ_IJSG_SG_EEENS0_18inequality_wrapperINSA_8equal_toIxEEEEPmJS6_EEE10hipError_tPvRmT3_T4_T5_T6_T7_T9_mT8_P12ihipStream_tbDpT10_ENKUlT_T0_E_clISt17integral_constantIbLb0EES1D_EEDaS18_S19_EUlS18_E_NS1_11comp_targetILNS1_3genE2ELNS1_11target_archE906ELNS1_3gpuE6ELNS1_3repE0EEENS1_30default_config_static_selectorELNS0_4arch9wavefront6targetE1EEEvT1_,comdat
.Lfunc_end633:
	.size	_ZN7rocprim17ROCPRIM_400000_NS6detail17trampoline_kernelINS0_14default_configENS1_25partition_config_selectorILNS1_17partition_subalgoE8ExNS0_10empty_typeEbEEZZNS1_14partition_implILS5_8ELb0ES3_jN6thrust23THRUST_200600_302600_NS6detail15normal_iteratorINSA_10device_ptrIxEEEEPS6_PKS6_NS0_5tupleIJNSA_16discard_iteratorINSA_11use_defaultEEES6_EEENSJ_IJSG_SG_EEENS0_18inequality_wrapperINSA_8equal_toIxEEEEPmJS6_EEE10hipError_tPvRmT3_T4_T5_T6_T7_T9_mT8_P12ihipStream_tbDpT10_ENKUlT_T0_E_clISt17integral_constantIbLb0EES1D_EEDaS18_S19_EUlS18_E_NS1_11comp_targetILNS1_3genE2ELNS1_11target_archE906ELNS1_3gpuE6ELNS1_3repE0EEENS1_30default_config_static_selectorELNS0_4arch9wavefront6targetE1EEEvT1_, .Lfunc_end633-_ZN7rocprim17ROCPRIM_400000_NS6detail17trampoline_kernelINS0_14default_configENS1_25partition_config_selectorILNS1_17partition_subalgoE8ExNS0_10empty_typeEbEEZZNS1_14partition_implILS5_8ELb0ES3_jN6thrust23THRUST_200600_302600_NS6detail15normal_iteratorINSA_10device_ptrIxEEEEPS6_PKS6_NS0_5tupleIJNSA_16discard_iteratorINSA_11use_defaultEEES6_EEENSJ_IJSG_SG_EEENS0_18inequality_wrapperINSA_8equal_toIxEEEEPmJS6_EEE10hipError_tPvRmT3_T4_T5_T6_T7_T9_mT8_P12ihipStream_tbDpT10_ENKUlT_T0_E_clISt17integral_constantIbLb0EES1D_EEDaS18_S19_EUlS18_E_NS1_11comp_targetILNS1_3genE2ELNS1_11target_archE906ELNS1_3gpuE6ELNS1_3repE0EEENS1_30default_config_static_selectorELNS0_4arch9wavefront6targetE1EEEvT1_
                                        ; -- End function
	.set _ZN7rocprim17ROCPRIM_400000_NS6detail17trampoline_kernelINS0_14default_configENS1_25partition_config_selectorILNS1_17partition_subalgoE8ExNS0_10empty_typeEbEEZZNS1_14partition_implILS5_8ELb0ES3_jN6thrust23THRUST_200600_302600_NS6detail15normal_iteratorINSA_10device_ptrIxEEEEPS6_PKS6_NS0_5tupleIJNSA_16discard_iteratorINSA_11use_defaultEEES6_EEENSJ_IJSG_SG_EEENS0_18inequality_wrapperINSA_8equal_toIxEEEEPmJS6_EEE10hipError_tPvRmT3_T4_T5_T6_T7_T9_mT8_P12ihipStream_tbDpT10_ENKUlT_T0_E_clISt17integral_constantIbLb0EES1D_EEDaS18_S19_EUlS18_E_NS1_11comp_targetILNS1_3genE2ELNS1_11target_archE906ELNS1_3gpuE6ELNS1_3repE0EEENS1_30default_config_static_selectorELNS0_4arch9wavefront6targetE1EEEvT1_.num_vgpr, 57
	.set _ZN7rocprim17ROCPRIM_400000_NS6detail17trampoline_kernelINS0_14default_configENS1_25partition_config_selectorILNS1_17partition_subalgoE8ExNS0_10empty_typeEbEEZZNS1_14partition_implILS5_8ELb0ES3_jN6thrust23THRUST_200600_302600_NS6detail15normal_iteratorINSA_10device_ptrIxEEEEPS6_PKS6_NS0_5tupleIJNSA_16discard_iteratorINSA_11use_defaultEEES6_EEENSJ_IJSG_SG_EEENS0_18inequality_wrapperINSA_8equal_toIxEEEEPmJS6_EEE10hipError_tPvRmT3_T4_T5_T6_T7_T9_mT8_P12ihipStream_tbDpT10_ENKUlT_T0_E_clISt17integral_constantIbLb0EES1D_EEDaS18_S19_EUlS18_E_NS1_11comp_targetILNS1_3genE2ELNS1_11target_archE906ELNS1_3gpuE6ELNS1_3repE0EEENS1_30default_config_static_selectorELNS0_4arch9wavefront6targetE1EEEvT1_.num_agpr, 0
	.set _ZN7rocprim17ROCPRIM_400000_NS6detail17trampoline_kernelINS0_14default_configENS1_25partition_config_selectorILNS1_17partition_subalgoE8ExNS0_10empty_typeEbEEZZNS1_14partition_implILS5_8ELb0ES3_jN6thrust23THRUST_200600_302600_NS6detail15normal_iteratorINSA_10device_ptrIxEEEEPS6_PKS6_NS0_5tupleIJNSA_16discard_iteratorINSA_11use_defaultEEES6_EEENSJ_IJSG_SG_EEENS0_18inequality_wrapperINSA_8equal_toIxEEEEPmJS6_EEE10hipError_tPvRmT3_T4_T5_T6_T7_T9_mT8_P12ihipStream_tbDpT10_ENKUlT_T0_E_clISt17integral_constantIbLb0EES1D_EEDaS18_S19_EUlS18_E_NS1_11comp_targetILNS1_3genE2ELNS1_11target_archE906ELNS1_3gpuE6ELNS1_3repE0EEENS1_30default_config_static_selectorELNS0_4arch9wavefront6targetE1EEEvT1_.numbered_sgpr, 36
	.set _ZN7rocprim17ROCPRIM_400000_NS6detail17trampoline_kernelINS0_14default_configENS1_25partition_config_selectorILNS1_17partition_subalgoE8ExNS0_10empty_typeEbEEZZNS1_14partition_implILS5_8ELb0ES3_jN6thrust23THRUST_200600_302600_NS6detail15normal_iteratorINSA_10device_ptrIxEEEEPS6_PKS6_NS0_5tupleIJNSA_16discard_iteratorINSA_11use_defaultEEES6_EEENSJ_IJSG_SG_EEENS0_18inequality_wrapperINSA_8equal_toIxEEEEPmJS6_EEE10hipError_tPvRmT3_T4_T5_T6_T7_T9_mT8_P12ihipStream_tbDpT10_ENKUlT_T0_E_clISt17integral_constantIbLb0EES1D_EEDaS18_S19_EUlS18_E_NS1_11comp_targetILNS1_3genE2ELNS1_11target_archE906ELNS1_3gpuE6ELNS1_3repE0EEENS1_30default_config_static_selectorELNS0_4arch9wavefront6targetE1EEEvT1_.num_named_barrier, 0
	.set _ZN7rocprim17ROCPRIM_400000_NS6detail17trampoline_kernelINS0_14default_configENS1_25partition_config_selectorILNS1_17partition_subalgoE8ExNS0_10empty_typeEbEEZZNS1_14partition_implILS5_8ELb0ES3_jN6thrust23THRUST_200600_302600_NS6detail15normal_iteratorINSA_10device_ptrIxEEEEPS6_PKS6_NS0_5tupleIJNSA_16discard_iteratorINSA_11use_defaultEEES6_EEENSJ_IJSG_SG_EEENS0_18inequality_wrapperINSA_8equal_toIxEEEEPmJS6_EEE10hipError_tPvRmT3_T4_T5_T6_T7_T9_mT8_P12ihipStream_tbDpT10_ENKUlT_T0_E_clISt17integral_constantIbLb0EES1D_EEDaS18_S19_EUlS18_E_NS1_11comp_targetILNS1_3genE2ELNS1_11target_archE906ELNS1_3gpuE6ELNS1_3repE0EEENS1_30default_config_static_selectorELNS0_4arch9wavefront6targetE1EEEvT1_.private_seg_size, 0
	.set _ZN7rocprim17ROCPRIM_400000_NS6detail17trampoline_kernelINS0_14default_configENS1_25partition_config_selectorILNS1_17partition_subalgoE8ExNS0_10empty_typeEbEEZZNS1_14partition_implILS5_8ELb0ES3_jN6thrust23THRUST_200600_302600_NS6detail15normal_iteratorINSA_10device_ptrIxEEEEPS6_PKS6_NS0_5tupleIJNSA_16discard_iteratorINSA_11use_defaultEEES6_EEENSJ_IJSG_SG_EEENS0_18inequality_wrapperINSA_8equal_toIxEEEEPmJS6_EEE10hipError_tPvRmT3_T4_T5_T6_T7_T9_mT8_P12ihipStream_tbDpT10_ENKUlT_T0_E_clISt17integral_constantIbLb0EES1D_EEDaS18_S19_EUlS18_E_NS1_11comp_targetILNS1_3genE2ELNS1_11target_archE906ELNS1_3gpuE6ELNS1_3repE0EEENS1_30default_config_static_selectorELNS0_4arch9wavefront6targetE1EEEvT1_.uses_vcc, 1
	.set _ZN7rocprim17ROCPRIM_400000_NS6detail17trampoline_kernelINS0_14default_configENS1_25partition_config_selectorILNS1_17partition_subalgoE8ExNS0_10empty_typeEbEEZZNS1_14partition_implILS5_8ELb0ES3_jN6thrust23THRUST_200600_302600_NS6detail15normal_iteratorINSA_10device_ptrIxEEEEPS6_PKS6_NS0_5tupleIJNSA_16discard_iteratorINSA_11use_defaultEEES6_EEENSJ_IJSG_SG_EEENS0_18inequality_wrapperINSA_8equal_toIxEEEEPmJS6_EEE10hipError_tPvRmT3_T4_T5_T6_T7_T9_mT8_P12ihipStream_tbDpT10_ENKUlT_T0_E_clISt17integral_constantIbLb0EES1D_EEDaS18_S19_EUlS18_E_NS1_11comp_targetILNS1_3genE2ELNS1_11target_archE906ELNS1_3gpuE6ELNS1_3repE0EEENS1_30default_config_static_selectorELNS0_4arch9wavefront6targetE1EEEvT1_.uses_flat_scratch, 0
	.set _ZN7rocprim17ROCPRIM_400000_NS6detail17trampoline_kernelINS0_14default_configENS1_25partition_config_selectorILNS1_17partition_subalgoE8ExNS0_10empty_typeEbEEZZNS1_14partition_implILS5_8ELb0ES3_jN6thrust23THRUST_200600_302600_NS6detail15normal_iteratorINSA_10device_ptrIxEEEEPS6_PKS6_NS0_5tupleIJNSA_16discard_iteratorINSA_11use_defaultEEES6_EEENSJ_IJSG_SG_EEENS0_18inequality_wrapperINSA_8equal_toIxEEEEPmJS6_EEE10hipError_tPvRmT3_T4_T5_T6_T7_T9_mT8_P12ihipStream_tbDpT10_ENKUlT_T0_E_clISt17integral_constantIbLb0EES1D_EEDaS18_S19_EUlS18_E_NS1_11comp_targetILNS1_3genE2ELNS1_11target_archE906ELNS1_3gpuE6ELNS1_3repE0EEENS1_30default_config_static_selectorELNS0_4arch9wavefront6targetE1EEEvT1_.has_dyn_sized_stack, 0
	.set _ZN7rocprim17ROCPRIM_400000_NS6detail17trampoline_kernelINS0_14default_configENS1_25partition_config_selectorILNS1_17partition_subalgoE8ExNS0_10empty_typeEbEEZZNS1_14partition_implILS5_8ELb0ES3_jN6thrust23THRUST_200600_302600_NS6detail15normal_iteratorINSA_10device_ptrIxEEEEPS6_PKS6_NS0_5tupleIJNSA_16discard_iteratorINSA_11use_defaultEEES6_EEENSJ_IJSG_SG_EEENS0_18inequality_wrapperINSA_8equal_toIxEEEEPmJS6_EEE10hipError_tPvRmT3_T4_T5_T6_T7_T9_mT8_P12ihipStream_tbDpT10_ENKUlT_T0_E_clISt17integral_constantIbLb0EES1D_EEDaS18_S19_EUlS18_E_NS1_11comp_targetILNS1_3genE2ELNS1_11target_archE906ELNS1_3gpuE6ELNS1_3repE0EEENS1_30default_config_static_selectorELNS0_4arch9wavefront6targetE1EEEvT1_.has_recursion, 0
	.set _ZN7rocprim17ROCPRIM_400000_NS6detail17trampoline_kernelINS0_14default_configENS1_25partition_config_selectorILNS1_17partition_subalgoE8ExNS0_10empty_typeEbEEZZNS1_14partition_implILS5_8ELb0ES3_jN6thrust23THRUST_200600_302600_NS6detail15normal_iteratorINSA_10device_ptrIxEEEEPS6_PKS6_NS0_5tupleIJNSA_16discard_iteratorINSA_11use_defaultEEES6_EEENSJ_IJSG_SG_EEENS0_18inequality_wrapperINSA_8equal_toIxEEEEPmJS6_EEE10hipError_tPvRmT3_T4_T5_T6_T7_T9_mT8_P12ihipStream_tbDpT10_ENKUlT_T0_E_clISt17integral_constantIbLb0EES1D_EEDaS18_S19_EUlS18_E_NS1_11comp_targetILNS1_3genE2ELNS1_11target_archE906ELNS1_3gpuE6ELNS1_3repE0EEENS1_30default_config_static_selectorELNS0_4arch9wavefront6targetE1EEEvT1_.has_indirect_call, 0
	.section	.AMDGPU.csdata,"",@progbits
; Kernel info:
; codeLenInByte = 4176
; TotalNumSgprs: 40
; NumVgprs: 57
; ScratchSize: 0
; MemoryBound: 0
; FloatMode: 240
; IeeeMode: 1
; LDSByteSize: 14344 bytes/workgroup (compile time only)
; SGPRBlocks: 12
; VGPRBlocks: 14
; NumSGPRsForWavesPerEU: 102
; NumVGPRsForWavesPerEU: 57
; Occupancy: 4
; WaveLimiterHint : 1
; COMPUTE_PGM_RSRC2:SCRATCH_EN: 0
; COMPUTE_PGM_RSRC2:USER_SGPR: 6
; COMPUTE_PGM_RSRC2:TRAP_HANDLER: 0
; COMPUTE_PGM_RSRC2:TGID_X_EN: 1
; COMPUTE_PGM_RSRC2:TGID_Y_EN: 0
; COMPUTE_PGM_RSRC2:TGID_Z_EN: 0
; COMPUTE_PGM_RSRC2:TIDIG_COMP_CNT: 0
	.section	.text._ZN7rocprim17ROCPRIM_400000_NS6detail17trampoline_kernelINS0_14default_configENS1_25partition_config_selectorILNS1_17partition_subalgoE8ExNS0_10empty_typeEbEEZZNS1_14partition_implILS5_8ELb0ES3_jN6thrust23THRUST_200600_302600_NS6detail15normal_iteratorINSA_10device_ptrIxEEEEPS6_PKS6_NS0_5tupleIJNSA_16discard_iteratorINSA_11use_defaultEEES6_EEENSJ_IJSG_SG_EEENS0_18inequality_wrapperINSA_8equal_toIxEEEEPmJS6_EEE10hipError_tPvRmT3_T4_T5_T6_T7_T9_mT8_P12ihipStream_tbDpT10_ENKUlT_T0_E_clISt17integral_constantIbLb0EES1D_EEDaS18_S19_EUlS18_E_NS1_11comp_targetILNS1_3genE10ELNS1_11target_archE1200ELNS1_3gpuE4ELNS1_3repE0EEENS1_30default_config_static_selectorELNS0_4arch9wavefront6targetE1EEEvT1_,"axG",@progbits,_ZN7rocprim17ROCPRIM_400000_NS6detail17trampoline_kernelINS0_14default_configENS1_25partition_config_selectorILNS1_17partition_subalgoE8ExNS0_10empty_typeEbEEZZNS1_14partition_implILS5_8ELb0ES3_jN6thrust23THRUST_200600_302600_NS6detail15normal_iteratorINSA_10device_ptrIxEEEEPS6_PKS6_NS0_5tupleIJNSA_16discard_iteratorINSA_11use_defaultEEES6_EEENSJ_IJSG_SG_EEENS0_18inequality_wrapperINSA_8equal_toIxEEEEPmJS6_EEE10hipError_tPvRmT3_T4_T5_T6_T7_T9_mT8_P12ihipStream_tbDpT10_ENKUlT_T0_E_clISt17integral_constantIbLb0EES1D_EEDaS18_S19_EUlS18_E_NS1_11comp_targetILNS1_3genE10ELNS1_11target_archE1200ELNS1_3gpuE4ELNS1_3repE0EEENS1_30default_config_static_selectorELNS0_4arch9wavefront6targetE1EEEvT1_,comdat
	.protected	_ZN7rocprim17ROCPRIM_400000_NS6detail17trampoline_kernelINS0_14default_configENS1_25partition_config_selectorILNS1_17partition_subalgoE8ExNS0_10empty_typeEbEEZZNS1_14partition_implILS5_8ELb0ES3_jN6thrust23THRUST_200600_302600_NS6detail15normal_iteratorINSA_10device_ptrIxEEEEPS6_PKS6_NS0_5tupleIJNSA_16discard_iteratorINSA_11use_defaultEEES6_EEENSJ_IJSG_SG_EEENS0_18inequality_wrapperINSA_8equal_toIxEEEEPmJS6_EEE10hipError_tPvRmT3_T4_T5_T6_T7_T9_mT8_P12ihipStream_tbDpT10_ENKUlT_T0_E_clISt17integral_constantIbLb0EES1D_EEDaS18_S19_EUlS18_E_NS1_11comp_targetILNS1_3genE10ELNS1_11target_archE1200ELNS1_3gpuE4ELNS1_3repE0EEENS1_30default_config_static_selectorELNS0_4arch9wavefront6targetE1EEEvT1_ ; -- Begin function _ZN7rocprim17ROCPRIM_400000_NS6detail17trampoline_kernelINS0_14default_configENS1_25partition_config_selectorILNS1_17partition_subalgoE8ExNS0_10empty_typeEbEEZZNS1_14partition_implILS5_8ELb0ES3_jN6thrust23THRUST_200600_302600_NS6detail15normal_iteratorINSA_10device_ptrIxEEEEPS6_PKS6_NS0_5tupleIJNSA_16discard_iteratorINSA_11use_defaultEEES6_EEENSJ_IJSG_SG_EEENS0_18inequality_wrapperINSA_8equal_toIxEEEEPmJS6_EEE10hipError_tPvRmT3_T4_T5_T6_T7_T9_mT8_P12ihipStream_tbDpT10_ENKUlT_T0_E_clISt17integral_constantIbLb0EES1D_EEDaS18_S19_EUlS18_E_NS1_11comp_targetILNS1_3genE10ELNS1_11target_archE1200ELNS1_3gpuE4ELNS1_3repE0EEENS1_30default_config_static_selectorELNS0_4arch9wavefront6targetE1EEEvT1_
	.globl	_ZN7rocprim17ROCPRIM_400000_NS6detail17trampoline_kernelINS0_14default_configENS1_25partition_config_selectorILNS1_17partition_subalgoE8ExNS0_10empty_typeEbEEZZNS1_14partition_implILS5_8ELb0ES3_jN6thrust23THRUST_200600_302600_NS6detail15normal_iteratorINSA_10device_ptrIxEEEEPS6_PKS6_NS0_5tupleIJNSA_16discard_iteratorINSA_11use_defaultEEES6_EEENSJ_IJSG_SG_EEENS0_18inequality_wrapperINSA_8equal_toIxEEEEPmJS6_EEE10hipError_tPvRmT3_T4_T5_T6_T7_T9_mT8_P12ihipStream_tbDpT10_ENKUlT_T0_E_clISt17integral_constantIbLb0EES1D_EEDaS18_S19_EUlS18_E_NS1_11comp_targetILNS1_3genE10ELNS1_11target_archE1200ELNS1_3gpuE4ELNS1_3repE0EEENS1_30default_config_static_selectorELNS0_4arch9wavefront6targetE1EEEvT1_
	.p2align	8
	.type	_ZN7rocprim17ROCPRIM_400000_NS6detail17trampoline_kernelINS0_14default_configENS1_25partition_config_selectorILNS1_17partition_subalgoE8ExNS0_10empty_typeEbEEZZNS1_14partition_implILS5_8ELb0ES3_jN6thrust23THRUST_200600_302600_NS6detail15normal_iteratorINSA_10device_ptrIxEEEEPS6_PKS6_NS0_5tupleIJNSA_16discard_iteratorINSA_11use_defaultEEES6_EEENSJ_IJSG_SG_EEENS0_18inequality_wrapperINSA_8equal_toIxEEEEPmJS6_EEE10hipError_tPvRmT3_T4_T5_T6_T7_T9_mT8_P12ihipStream_tbDpT10_ENKUlT_T0_E_clISt17integral_constantIbLb0EES1D_EEDaS18_S19_EUlS18_E_NS1_11comp_targetILNS1_3genE10ELNS1_11target_archE1200ELNS1_3gpuE4ELNS1_3repE0EEENS1_30default_config_static_selectorELNS0_4arch9wavefront6targetE1EEEvT1_,@function
_ZN7rocprim17ROCPRIM_400000_NS6detail17trampoline_kernelINS0_14default_configENS1_25partition_config_selectorILNS1_17partition_subalgoE8ExNS0_10empty_typeEbEEZZNS1_14partition_implILS5_8ELb0ES3_jN6thrust23THRUST_200600_302600_NS6detail15normal_iteratorINSA_10device_ptrIxEEEEPS6_PKS6_NS0_5tupleIJNSA_16discard_iteratorINSA_11use_defaultEEES6_EEENSJ_IJSG_SG_EEENS0_18inequality_wrapperINSA_8equal_toIxEEEEPmJS6_EEE10hipError_tPvRmT3_T4_T5_T6_T7_T9_mT8_P12ihipStream_tbDpT10_ENKUlT_T0_E_clISt17integral_constantIbLb0EES1D_EEDaS18_S19_EUlS18_E_NS1_11comp_targetILNS1_3genE10ELNS1_11target_archE1200ELNS1_3gpuE4ELNS1_3repE0EEENS1_30default_config_static_selectorELNS0_4arch9wavefront6targetE1EEEvT1_: ; @_ZN7rocprim17ROCPRIM_400000_NS6detail17trampoline_kernelINS0_14default_configENS1_25partition_config_selectorILNS1_17partition_subalgoE8ExNS0_10empty_typeEbEEZZNS1_14partition_implILS5_8ELb0ES3_jN6thrust23THRUST_200600_302600_NS6detail15normal_iteratorINSA_10device_ptrIxEEEEPS6_PKS6_NS0_5tupleIJNSA_16discard_iteratorINSA_11use_defaultEEES6_EEENSJ_IJSG_SG_EEENS0_18inequality_wrapperINSA_8equal_toIxEEEEPmJS6_EEE10hipError_tPvRmT3_T4_T5_T6_T7_T9_mT8_P12ihipStream_tbDpT10_ENKUlT_T0_E_clISt17integral_constantIbLb0EES1D_EEDaS18_S19_EUlS18_E_NS1_11comp_targetILNS1_3genE10ELNS1_11target_archE1200ELNS1_3gpuE4ELNS1_3repE0EEENS1_30default_config_static_selectorELNS0_4arch9wavefront6targetE1EEEvT1_
; %bb.0:
	.section	.rodata,"a",@progbits
	.p2align	6, 0x0
	.amdhsa_kernel _ZN7rocprim17ROCPRIM_400000_NS6detail17trampoline_kernelINS0_14default_configENS1_25partition_config_selectorILNS1_17partition_subalgoE8ExNS0_10empty_typeEbEEZZNS1_14partition_implILS5_8ELb0ES3_jN6thrust23THRUST_200600_302600_NS6detail15normal_iteratorINSA_10device_ptrIxEEEEPS6_PKS6_NS0_5tupleIJNSA_16discard_iteratorINSA_11use_defaultEEES6_EEENSJ_IJSG_SG_EEENS0_18inequality_wrapperINSA_8equal_toIxEEEEPmJS6_EEE10hipError_tPvRmT3_T4_T5_T6_T7_T9_mT8_P12ihipStream_tbDpT10_ENKUlT_T0_E_clISt17integral_constantIbLb0EES1D_EEDaS18_S19_EUlS18_E_NS1_11comp_targetILNS1_3genE10ELNS1_11target_archE1200ELNS1_3gpuE4ELNS1_3repE0EEENS1_30default_config_static_selectorELNS0_4arch9wavefront6targetE1EEEvT1_
		.amdhsa_group_segment_fixed_size 0
		.amdhsa_private_segment_fixed_size 0
		.amdhsa_kernarg_size 120
		.amdhsa_user_sgpr_count 6
		.amdhsa_user_sgpr_private_segment_buffer 1
		.amdhsa_user_sgpr_dispatch_ptr 0
		.amdhsa_user_sgpr_queue_ptr 0
		.amdhsa_user_sgpr_kernarg_segment_ptr 1
		.amdhsa_user_sgpr_dispatch_id 0
		.amdhsa_user_sgpr_flat_scratch_init 0
		.amdhsa_user_sgpr_private_segment_size 0
		.amdhsa_uses_dynamic_stack 0
		.amdhsa_system_sgpr_private_segment_wavefront_offset 0
		.amdhsa_system_sgpr_workgroup_id_x 1
		.amdhsa_system_sgpr_workgroup_id_y 0
		.amdhsa_system_sgpr_workgroup_id_z 0
		.amdhsa_system_sgpr_workgroup_info 0
		.amdhsa_system_vgpr_workitem_id 0
		.amdhsa_next_free_vgpr 1
		.amdhsa_next_free_sgpr 0
		.amdhsa_reserve_vcc 0
		.amdhsa_reserve_flat_scratch 0
		.amdhsa_float_round_mode_32 0
		.amdhsa_float_round_mode_16_64 0
		.amdhsa_float_denorm_mode_32 3
		.amdhsa_float_denorm_mode_16_64 3
		.amdhsa_dx10_clamp 1
		.amdhsa_ieee_mode 1
		.amdhsa_fp16_overflow 0
		.amdhsa_exception_fp_ieee_invalid_op 0
		.amdhsa_exception_fp_denorm_src 0
		.amdhsa_exception_fp_ieee_div_zero 0
		.amdhsa_exception_fp_ieee_overflow 0
		.amdhsa_exception_fp_ieee_underflow 0
		.amdhsa_exception_fp_ieee_inexact 0
		.amdhsa_exception_int_div_zero 0
	.end_amdhsa_kernel
	.section	.text._ZN7rocprim17ROCPRIM_400000_NS6detail17trampoline_kernelINS0_14default_configENS1_25partition_config_selectorILNS1_17partition_subalgoE8ExNS0_10empty_typeEbEEZZNS1_14partition_implILS5_8ELb0ES3_jN6thrust23THRUST_200600_302600_NS6detail15normal_iteratorINSA_10device_ptrIxEEEEPS6_PKS6_NS0_5tupleIJNSA_16discard_iteratorINSA_11use_defaultEEES6_EEENSJ_IJSG_SG_EEENS0_18inequality_wrapperINSA_8equal_toIxEEEEPmJS6_EEE10hipError_tPvRmT3_T4_T5_T6_T7_T9_mT8_P12ihipStream_tbDpT10_ENKUlT_T0_E_clISt17integral_constantIbLb0EES1D_EEDaS18_S19_EUlS18_E_NS1_11comp_targetILNS1_3genE10ELNS1_11target_archE1200ELNS1_3gpuE4ELNS1_3repE0EEENS1_30default_config_static_selectorELNS0_4arch9wavefront6targetE1EEEvT1_,"axG",@progbits,_ZN7rocprim17ROCPRIM_400000_NS6detail17trampoline_kernelINS0_14default_configENS1_25partition_config_selectorILNS1_17partition_subalgoE8ExNS0_10empty_typeEbEEZZNS1_14partition_implILS5_8ELb0ES3_jN6thrust23THRUST_200600_302600_NS6detail15normal_iteratorINSA_10device_ptrIxEEEEPS6_PKS6_NS0_5tupleIJNSA_16discard_iteratorINSA_11use_defaultEEES6_EEENSJ_IJSG_SG_EEENS0_18inequality_wrapperINSA_8equal_toIxEEEEPmJS6_EEE10hipError_tPvRmT3_T4_T5_T6_T7_T9_mT8_P12ihipStream_tbDpT10_ENKUlT_T0_E_clISt17integral_constantIbLb0EES1D_EEDaS18_S19_EUlS18_E_NS1_11comp_targetILNS1_3genE10ELNS1_11target_archE1200ELNS1_3gpuE4ELNS1_3repE0EEENS1_30default_config_static_selectorELNS0_4arch9wavefront6targetE1EEEvT1_,comdat
.Lfunc_end634:
	.size	_ZN7rocprim17ROCPRIM_400000_NS6detail17trampoline_kernelINS0_14default_configENS1_25partition_config_selectorILNS1_17partition_subalgoE8ExNS0_10empty_typeEbEEZZNS1_14partition_implILS5_8ELb0ES3_jN6thrust23THRUST_200600_302600_NS6detail15normal_iteratorINSA_10device_ptrIxEEEEPS6_PKS6_NS0_5tupleIJNSA_16discard_iteratorINSA_11use_defaultEEES6_EEENSJ_IJSG_SG_EEENS0_18inequality_wrapperINSA_8equal_toIxEEEEPmJS6_EEE10hipError_tPvRmT3_T4_T5_T6_T7_T9_mT8_P12ihipStream_tbDpT10_ENKUlT_T0_E_clISt17integral_constantIbLb0EES1D_EEDaS18_S19_EUlS18_E_NS1_11comp_targetILNS1_3genE10ELNS1_11target_archE1200ELNS1_3gpuE4ELNS1_3repE0EEENS1_30default_config_static_selectorELNS0_4arch9wavefront6targetE1EEEvT1_, .Lfunc_end634-_ZN7rocprim17ROCPRIM_400000_NS6detail17trampoline_kernelINS0_14default_configENS1_25partition_config_selectorILNS1_17partition_subalgoE8ExNS0_10empty_typeEbEEZZNS1_14partition_implILS5_8ELb0ES3_jN6thrust23THRUST_200600_302600_NS6detail15normal_iteratorINSA_10device_ptrIxEEEEPS6_PKS6_NS0_5tupleIJNSA_16discard_iteratorINSA_11use_defaultEEES6_EEENSJ_IJSG_SG_EEENS0_18inequality_wrapperINSA_8equal_toIxEEEEPmJS6_EEE10hipError_tPvRmT3_T4_T5_T6_T7_T9_mT8_P12ihipStream_tbDpT10_ENKUlT_T0_E_clISt17integral_constantIbLb0EES1D_EEDaS18_S19_EUlS18_E_NS1_11comp_targetILNS1_3genE10ELNS1_11target_archE1200ELNS1_3gpuE4ELNS1_3repE0EEENS1_30default_config_static_selectorELNS0_4arch9wavefront6targetE1EEEvT1_
                                        ; -- End function
	.set _ZN7rocprim17ROCPRIM_400000_NS6detail17trampoline_kernelINS0_14default_configENS1_25partition_config_selectorILNS1_17partition_subalgoE8ExNS0_10empty_typeEbEEZZNS1_14partition_implILS5_8ELb0ES3_jN6thrust23THRUST_200600_302600_NS6detail15normal_iteratorINSA_10device_ptrIxEEEEPS6_PKS6_NS0_5tupleIJNSA_16discard_iteratorINSA_11use_defaultEEES6_EEENSJ_IJSG_SG_EEENS0_18inequality_wrapperINSA_8equal_toIxEEEEPmJS6_EEE10hipError_tPvRmT3_T4_T5_T6_T7_T9_mT8_P12ihipStream_tbDpT10_ENKUlT_T0_E_clISt17integral_constantIbLb0EES1D_EEDaS18_S19_EUlS18_E_NS1_11comp_targetILNS1_3genE10ELNS1_11target_archE1200ELNS1_3gpuE4ELNS1_3repE0EEENS1_30default_config_static_selectorELNS0_4arch9wavefront6targetE1EEEvT1_.num_vgpr, 0
	.set _ZN7rocprim17ROCPRIM_400000_NS6detail17trampoline_kernelINS0_14default_configENS1_25partition_config_selectorILNS1_17partition_subalgoE8ExNS0_10empty_typeEbEEZZNS1_14partition_implILS5_8ELb0ES3_jN6thrust23THRUST_200600_302600_NS6detail15normal_iteratorINSA_10device_ptrIxEEEEPS6_PKS6_NS0_5tupleIJNSA_16discard_iteratorINSA_11use_defaultEEES6_EEENSJ_IJSG_SG_EEENS0_18inequality_wrapperINSA_8equal_toIxEEEEPmJS6_EEE10hipError_tPvRmT3_T4_T5_T6_T7_T9_mT8_P12ihipStream_tbDpT10_ENKUlT_T0_E_clISt17integral_constantIbLb0EES1D_EEDaS18_S19_EUlS18_E_NS1_11comp_targetILNS1_3genE10ELNS1_11target_archE1200ELNS1_3gpuE4ELNS1_3repE0EEENS1_30default_config_static_selectorELNS0_4arch9wavefront6targetE1EEEvT1_.num_agpr, 0
	.set _ZN7rocprim17ROCPRIM_400000_NS6detail17trampoline_kernelINS0_14default_configENS1_25partition_config_selectorILNS1_17partition_subalgoE8ExNS0_10empty_typeEbEEZZNS1_14partition_implILS5_8ELb0ES3_jN6thrust23THRUST_200600_302600_NS6detail15normal_iteratorINSA_10device_ptrIxEEEEPS6_PKS6_NS0_5tupleIJNSA_16discard_iteratorINSA_11use_defaultEEES6_EEENSJ_IJSG_SG_EEENS0_18inequality_wrapperINSA_8equal_toIxEEEEPmJS6_EEE10hipError_tPvRmT3_T4_T5_T6_T7_T9_mT8_P12ihipStream_tbDpT10_ENKUlT_T0_E_clISt17integral_constantIbLb0EES1D_EEDaS18_S19_EUlS18_E_NS1_11comp_targetILNS1_3genE10ELNS1_11target_archE1200ELNS1_3gpuE4ELNS1_3repE0EEENS1_30default_config_static_selectorELNS0_4arch9wavefront6targetE1EEEvT1_.numbered_sgpr, 0
	.set _ZN7rocprim17ROCPRIM_400000_NS6detail17trampoline_kernelINS0_14default_configENS1_25partition_config_selectorILNS1_17partition_subalgoE8ExNS0_10empty_typeEbEEZZNS1_14partition_implILS5_8ELb0ES3_jN6thrust23THRUST_200600_302600_NS6detail15normal_iteratorINSA_10device_ptrIxEEEEPS6_PKS6_NS0_5tupleIJNSA_16discard_iteratorINSA_11use_defaultEEES6_EEENSJ_IJSG_SG_EEENS0_18inequality_wrapperINSA_8equal_toIxEEEEPmJS6_EEE10hipError_tPvRmT3_T4_T5_T6_T7_T9_mT8_P12ihipStream_tbDpT10_ENKUlT_T0_E_clISt17integral_constantIbLb0EES1D_EEDaS18_S19_EUlS18_E_NS1_11comp_targetILNS1_3genE10ELNS1_11target_archE1200ELNS1_3gpuE4ELNS1_3repE0EEENS1_30default_config_static_selectorELNS0_4arch9wavefront6targetE1EEEvT1_.num_named_barrier, 0
	.set _ZN7rocprim17ROCPRIM_400000_NS6detail17trampoline_kernelINS0_14default_configENS1_25partition_config_selectorILNS1_17partition_subalgoE8ExNS0_10empty_typeEbEEZZNS1_14partition_implILS5_8ELb0ES3_jN6thrust23THRUST_200600_302600_NS6detail15normal_iteratorINSA_10device_ptrIxEEEEPS6_PKS6_NS0_5tupleIJNSA_16discard_iteratorINSA_11use_defaultEEES6_EEENSJ_IJSG_SG_EEENS0_18inequality_wrapperINSA_8equal_toIxEEEEPmJS6_EEE10hipError_tPvRmT3_T4_T5_T6_T7_T9_mT8_P12ihipStream_tbDpT10_ENKUlT_T0_E_clISt17integral_constantIbLb0EES1D_EEDaS18_S19_EUlS18_E_NS1_11comp_targetILNS1_3genE10ELNS1_11target_archE1200ELNS1_3gpuE4ELNS1_3repE0EEENS1_30default_config_static_selectorELNS0_4arch9wavefront6targetE1EEEvT1_.private_seg_size, 0
	.set _ZN7rocprim17ROCPRIM_400000_NS6detail17trampoline_kernelINS0_14default_configENS1_25partition_config_selectorILNS1_17partition_subalgoE8ExNS0_10empty_typeEbEEZZNS1_14partition_implILS5_8ELb0ES3_jN6thrust23THRUST_200600_302600_NS6detail15normal_iteratorINSA_10device_ptrIxEEEEPS6_PKS6_NS0_5tupleIJNSA_16discard_iteratorINSA_11use_defaultEEES6_EEENSJ_IJSG_SG_EEENS0_18inequality_wrapperINSA_8equal_toIxEEEEPmJS6_EEE10hipError_tPvRmT3_T4_T5_T6_T7_T9_mT8_P12ihipStream_tbDpT10_ENKUlT_T0_E_clISt17integral_constantIbLb0EES1D_EEDaS18_S19_EUlS18_E_NS1_11comp_targetILNS1_3genE10ELNS1_11target_archE1200ELNS1_3gpuE4ELNS1_3repE0EEENS1_30default_config_static_selectorELNS0_4arch9wavefront6targetE1EEEvT1_.uses_vcc, 0
	.set _ZN7rocprim17ROCPRIM_400000_NS6detail17trampoline_kernelINS0_14default_configENS1_25partition_config_selectorILNS1_17partition_subalgoE8ExNS0_10empty_typeEbEEZZNS1_14partition_implILS5_8ELb0ES3_jN6thrust23THRUST_200600_302600_NS6detail15normal_iteratorINSA_10device_ptrIxEEEEPS6_PKS6_NS0_5tupleIJNSA_16discard_iteratorINSA_11use_defaultEEES6_EEENSJ_IJSG_SG_EEENS0_18inequality_wrapperINSA_8equal_toIxEEEEPmJS6_EEE10hipError_tPvRmT3_T4_T5_T6_T7_T9_mT8_P12ihipStream_tbDpT10_ENKUlT_T0_E_clISt17integral_constantIbLb0EES1D_EEDaS18_S19_EUlS18_E_NS1_11comp_targetILNS1_3genE10ELNS1_11target_archE1200ELNS1_3gpuE4ELNS1_3repE0EEENS1_30default_config_static_selectorELNS0_4arch9wavefront6targetE1EEEvT1_.uses_flat_scratch, 0
	.set _ZN7rocprim17ROCPRIM_400000_NS6detail17trampoline_kernelINS0_14default_configENS1_25partition_config_selectorILNS1_17partition_subalgoE8ExNS0_10empty_typeEbEEZZNS1_14partition_implILS5_8ELb0ES3_jN6thrust23THRUST_200600_302600_NS6detail15normal_iteratorINSA_10device_ptrIxEEEEPS6_PKS6_NS0_5tupleIJNSA_16discard_iteratorINSA_11use_defaultEEES6_EEENSJ_IJSG_SG_EEENS0_18inequality_wrapperINSA_8equal_toIxEEEEPmJS6_EEE10hipError_tPvRmT3_T4_T5_T6_T7_T9_mT8_P12ihipStream_tbDpT10_ENKUlT_T0_E_clISt17integral_constantIbLb0EES1D_EEDaS18_S19_EUlS18_E_NS1_11comp_targetILNS1_3genE10ELNS1_11target_archE1200ELNS1_3gpuE4ELNS1_3repE0EEENS1_30default_config_static_selectorELNS0_4arch9wavefront6targetE1EEEvT1_.has_dyn_sized_stack, 0
	.set _ZN7rocprim17ROCPRIM_400000_NS6detail17trampoline_kernelINS0_14default_configENS1_25partition_config_selectorILNS1_17partition_subalgoE8ExNS0_10empty_typeEbEEZZNS1_14partition_implILS5_8ELb0ES3_jN6thrust23THRUST_200600_302600_NS6detail15normal_iteratorINSA_10device_ptrIxEEEEPS6_PKS6_NS0_5tupleIJNSA_16discard_iteratorINSA_11use_defaultEEES6_EEENSJ_IJSG_SG_EEENS0_18inequality_wrapperINSA_8equal_toIxEEEEPmJS6_EEE10hipError_tPvRmT3_T4_T5_T6_T7_T9_mT8_P12ihipStream_tbDpT10_ENKUlT_T0_E_clISt17integral_constantIbLb0EES1D_EEDaS18_S19_EUlS18_E_NS1_11comp_targetILNS1_3genE10ELNS1_11target_archE1200ELNS1_3gpuE4ELNS1_3repE0EEENS1_30default_config_static_selectorELNS0_4arch9wavefront6targetE1EEEvT1_.has_recursion, 0
	.set _ZN7rocprim17ROCPRIM_400000_NS6detail17trampoline_kernelINS0_14default_configENS1_25partition_config_selectorILNS1_17partition_subalgoE8ExNS0_10empty_typeEbEEZZNS1_14partition_implILS5_8ELb0ES3_jN6thrust23THRUST_200600_302600_NS6detail15normal_iteratorINSA_10device_ptrIxEEEEPS6_PKS6_NS0_5tupleIJNSA_16discard_iteratorINSA_11use_defaultEEES6_EEENSJ_IJSG_SG_EEENS0_18inequality_wrapperINSA_8equal_toIxEEEEPmJS6_EEE10hipError_tPvRmT3_T4_T5_T6_T7_T9_mT8_P12ihipStream_tbDpT10_ENKUlT_T0_E_clISt17integral_constantIbLb0EES1D_EEDaS18_S19_EUlS18_E_NS1_11comp_targetILNS1_3genE10ELNS1_11target_archE1200ELNS1_3gpuE4ELNS1_3repE0EEENS1_30default_config_static_selectorELNS0_4arch9wavefront6targetE1EEEvT1_.has_indirect_call, 0
	.section	.AMDGPU.csdata,"",@progbits
; Kernel info:
; codeLenInByte = 0
; TotalNumSgprs: 4
; NumVgprs: 0
; ScratchSize: 0
; MemoryBound: 0
; FloatMode: 240
; IeeeMode: 1
; LDSByteSize: 0 bytes/workgroup (compile time only)
; SGPRBlocks: 0
; VGPRBlocks: 0
; NumSGPRsForWavesPerEU: 4
; NumVGPRsForWavesPerEU: 1
; Occupancy: 10
; WaveLimiterHint : 0
; COMPUTE_PGM_RSRC2:SCRATCH_EN: 0
; COMPUTE_PGM_RSRC2:USER_SGPR: 6
; COMPUTE_PGM_RSRC2:TRAP_HANDLER: 0
; COMPUTE_PGM_RSRC2:TGID_X_EN: 1
; COMPUTE_PGM_RSRC2:TGID_Y_EN: 0
; COMPUTE_PGM_RSRC2:TGID_Z_EN: 0
; COMPUTE_PGM_RSRC2:TIDIG_COMP_CNT: 0
	.section	.text._ZN7rocprim17ROCPRIM_400000_NS6detail17trampoline_kernelINS0_14default_configENS1_25partition_config_selectorILNS1_17partition_subalgoE8ExNS0_10empty_typeEbEEZZNS1_14partition_implILS5_8ELb0ES3_jN6thrust23THRUST_200600_302600_NS6detail15normal_iteratorINSA_10device_ptrIxEEEEPS6_PKS6_NS0_5tupleIJNSA_16discard_iteratorINSA_11use_defaultEEES6_EEENSJ_IJSG_SG_EEENS0_18inequality_wrapperINSA_8equal_toIxEEEEPmJS6_EEE10hipError_tPvRmT3_T4_T5_T6_T7_T9_mT8_P12ihipStream_tbDpT10_ENKUlT_T0_E_clISt17integral_constantIbLb0EES1D_EEDaS18_S19_EUlS18_E_NS1_11comp_targetILNS1_3genE9ELNS1_11target_archE1100ELNS1_3gpuE3ELNS1_3repE0EEENS1_30default_config_static_selectorELNS0_4arch9wavefront6targetE1EEEvT1_,"axG",@progbits,_ZN7rocprim17ROCPRIM_400000_NS6detail17trampoline_kernelINS0_14default_configENS1_25partition_config_selectorILNS1_17partition_subalgoE8ExNS0_10empty_typeEbEEZZNS1_14partition_implILS5_8ELb0ES3_jN6thrust23THRUST_200600_302600_NS6detail15normal_iteratorINSA_10device_ptrIxEEEEPS6_PKS6_NS0_5tupleIJNSA_16discard_iteratorINSA_11use_defaultEEES6_EEENSJ_IJSG_SG_EEENS0_18inequality_wrapperINSA_8equal_toIxEEEEPmJS6_EEE10hipError_tPvRmT3_T4_T5_T6_T7_T9_mT8_P12ihipStream_tbDpT10_ENKUlT_T0_E_clISt17integral_constantIbLb0EES1D_EEDaS18_S19_EUlS18_E_NS1_11comp_targetILNS1_3genE9ELNS1_11target_archE1100ELNS1_3gpuE3ELNS1_3repE0EEENS1_30default_config_static_selectorELNS0_4arch9wavefront6targetE1EEEvT1_,comdat
	.protected	_ZN7rocprim17ROCPRIM_400000_NS6detail17trampoline_kernelINS0_14default_configENS1_25partition_config_selectorILNS1_17partition_subalgoE8ExNS0_10empty_typeEbEEZZNS1_14partition_implILS5_8ELb0ES3_jN6thrust23THRUST_200600_302600_NS6detail15normal_iteratorINSA_10device_ptrIxEEEEPS6_PKS6_NS0_5tupleIJNSA_16discard_iteratorINSA_11use_defaultEEES6_EEENSJ_IJSG_SG_EEENS0_18inequality_wrapperINSA_8equal_toIxEEEEPmJS6_EEE10hipError_tPvRmT3_T4_T5_T6_T7_T9_mT8_P12ihipStream_tbDpT10_ENKUlT_T0_E_clISt17integral_constantIbLb0EES1D_EEDaS18_S19_EUlS18_E_NS1_11comp_targetILNS1_3genE9ELNS1_11target_archE1100ELNS1_3gpuE3ELNS1_3repE0EEENS1_30default_config_static_selectorELNS0_4arch9wavefront6targetE1EEEvT1_ ; -- Begin function _ZN7rocprim17ROCPRIM_400000_NS6detail17trampoline_kernelINS0_14default_configENS1_25partition_config_selectorILNS1_17partition_subalgoE8ExNS0_10empty_typeEbEEZZNS1_14partition_implILS5_8ELb0ES3_jN6thrust23THRUST_200600_302600_NS6detail15normal_iteratorINSA_10device_ptrIxEEEEPS6_PKS6_NS0_5tupleIJNSA_16discard_iteratorINSA_11use_defaultEEES6_EEENSJ_IJSG_SG_EEENS0_18inequality_wrapperINSA_8equal_toIxEEEEPmJS6_EEE10hipError_tPvRmT3_T4_T5_T6_T7_T9_mT8_P12ihipStream_tbDpT10_ENKUlT_T0_E_clISt17integral_constantIbLb0EES1D_EEDaS18_S19_EUlS18_E_NS1_11comp_targetILNS1_3genE9ELNS1_11target_archE1100ELNS1_3gpuE3ELNS1_3repE0EEENS1_30default_config_static_selectorELNS0_4arch9wavefront6targetE1EEEvT1_
	.globl	_ZN7rocprim17ROCPRIM_400000_NS6detail17trampoline_kernelINS0_14default_configENS1_25partition_config_selectorILNS1_17partition_subalgoE8ExNS0_10empty_typeEbEEZZNS1_14partition_implILS5_8ELb0ES3_jN6thrust23THRUST_200600_302600_NS6detail15normal_iteratorINSA_10device_ptrIxEEEEPS6_PKS6_NS0_5tupleIJNSA_16discard_iteratorINSA_11use_defaultEEES6_EEENSJ_IJSG_SG_EEENS0_18inequality_wrapperINSA_8equal_toIxEEEEPmJS6_EEE10hipError_tPvRmT3_T4_T5_T6_T7_T9_mT8_P12ihipStream_tbDpT10_ENKUlT_T0_E_clISt17integral_constantIbLb0EES1D_EEDaS18_S19_EUlS18_E_NS1_11comp_targetILNS1_3genE9ELNS1_11target_archE1100ELNS1_3gpuE3ELNS1_3repE0EEENS1_30default_config_static_selectorELNS0_4arch9wavefront6targetE1EEEvT1_
	.p2align	8
	.type	_ZN7rocprim17ROCPRIM_400000_NS6detail17trampoline_kernelINS0_14default_configENS1_25partition_config_selectorILNS1_17partition_subalgoE8ExNS0_10empty_typeEbEEZZNS1_14partition_implILS5_8ELb0ES3_jN6thrust23THRUST_200600_302600_NS6detail15normal_iteratorINSA_10device_ptrIxEEEEPS6_PKS6_NS0_5tupleIJNSA_16discard_iteratorINSA_11use_defaultEEES6_EEENSJ_IJSG_SG_EEENS0_18inequality_wrapperINSA_8equal_toIxEEEEPmJS6_EEE10hipError_tPvRmT3_T4_T5_T6_T7_T9_mT8_P12ihipStream_tbDpT10_ENKUlT_T0_E_clISt17integral_constantIbLb0EES1D_EEDaS18_S19_EUlS18_E_NS1_11comp_targetILNS1_3genE9ELNS1_11target_archE1100ELNS1_3gpuE3ELNS1_3repE0EEENS1_30default_config_static_selectorELNS0_4arch9wavefront6targetE1EEEvT1_,@function
_ZN7rocprim17ROCPRIM_400000_NS6detail17trampoline_kernelINS0_14default_configENS1_25partition_config_selectorILNS1_17partition_subalgoE8ExNS0_10empty_typeEbEEZZNS1_14partition_implILS5_8ELb0ES3_jN6thrust23THRUST_200600_302600_NS6detail15normal_iteratorINSA_10device_ptrIxEEEEPS6_PKS6_NS0_5tupleIJNSA_16discard_iteratorINSA_11use_defaultEEES6_EEENSJ_IJSG_SG_EEENS0_18inequality_wrapperINSA_8equal_toIxEEEEPmJS6_EEE10hipError_tPvRmT3_T4_T5_T6_T7_T9_mT8_P12ihipStream_tbDpT10_ENKUlT_T0_E_clISt17integral_constantIbLb0EES1D_EEDaS18_S19_EUlS18_E_NS1_11comp_targetILNS1_3genE9ELNS1_11target_archE1100ELNS1_3gpuE3ELNS1_3repE0EEENS1_30default_config_static_selectorELNS0_4arch9wavefront6targetE1EEEvT1_: ; @_ZN7rocprim17ROCPRIM_400000_NS6detail17trampoline_kernelINS0_14default_configENS1_25partition_config_selectorILNS1_17partition_subalgoE8ExNS0_10empty_typeEbEEZZNS1_14partition_implILS5_8ELb0ES3_jN6thrust23THRUST_200600_302600_NS6detail15normal_iteratorINSA_10device_ptrIxEEEEPS6_PKS6_NS0_5tupleIJNSA_16discard_iteratorINSA_11use_defaultEEES6_EEENSJ_IJSG_SG_EEENS0_18inequality_wrapperINSA_8equal_toIxEEEEPmJS6_EEE10hipError_tPvRmT3_T4_T5_T6_T7_T9_mT8_P12ihipStream_tbDpT10_ENKUlT_T0_E_clISt17integral_constantIbLb0EES1D_EEDaS18_S19_EUlS18_E_NS1_11comp_targetILNS1_3genE9ELNS1_11target_archE1100ELNS1_3gpuE3ELNS1_3repE0EEENS1_30default_config_static_selectorELNS0_4arch9wavefront6targetE1EEEvT1_
; %bb.0:
	.section	.rodata,"a",@progbits
	.p2align	6, 0x0
	.amdhsa_kernel _ZN7rocprim17ROCPRIM_400000_NS6detail17trampoline_kernelINS0_14default_configENS1_25partition_config_selectorILNS1_17partition_subalgoE8ExNS0_10empty_typeEbEEZZNS1_14partition_implILS5_8ELb0ES3_jN6thrust23THRUST_200600_302600_NS6detail15normal_iteratorINSA_10device_ptrIxEEEEPS6_PKS6_NS0_5tupleIJNSA_16discard_iteratorINSA_11use_defaultEEES6_EEENSJ_IJSG_SG_EEENS0_18inequality_wrapperINSA_8equal_toIxEEEEPmJS6_EEE10hipError_tPvRmT3_T4_T5_T6_T7_T9_mT8_P12ihipStream_tbDpT10_ENKUlT_T0_E_clISt17integral_constantIbLb0EES1D_EEDaS18_S19_EUlS18_E_NS1_11comp_targetILNS1_3genE9ELNS1_11target_archE1100ELNS1_3gpuE3ELNS1_3repE0EEENS1_30default_config_static_selectorELNS0_4arch9wavefront6targetE1EEEvT1_
		.amdhsa_group_segment_fixed_size 0
		.amdhsa_private_segment_fixed_size 0
		.amdhsa_kernarg_size 120
		.amdhsa_user_sgpr_count 6
		.amdhsa_user_sgpr_private_segment_buffer 1
		.amdhsa_user_sgpr_dispatch_ptr 0
		.amdhsa_user_sgpr_queue_ptr 0
		.amdhsa_user_sgpr_kernarg_segment_ptr 1
		.amdhsa_user_sgpr_dispatch_id 0
		.amdhsa_user_sgpr_flat_scratch_init 0
		.amdhsa_user_sgpr_private_segment_size 0
		.amdhsa_uses_dynamic_stack 0
		.amdhsa_system_sgpr_private_segment_wavefront_offset 0
		.amdhsa_system_sgpr_workgroup_id_x 1
		.amdhsa_system_sgpr_workgroup_id_y 0
		.amdhsa_system_sgpr_workgroup_id_z 0
		.amdhsa_system_sgpr_workgroup_info 0
		.amdhsa_system_vgpr_workitem_id 0
		.amdhsa_next_free_vgpr 1
		.amdhsa_next_free_sgpr 0
		.amdhsa_reserve_vcc 0
		.amdhsa_reserve_flat_scratch 0
		.amdhsa_float_round_mode_32 0
		.amdhsa_float_round_mode_16_64 0
		.amdhsa_float_denorm_mode_32 3
		.amdhsa_float_denorm_mode_16_64 3
		.amdhsa_dx10_clamp 1
		.amdhsa_ieee_mode 1
		.amdhsa_fp16_overflow 0
		.amdhsa_exception_fp_ieee_invalid_op 0
		.amdhsa_exception_fp_denorm_src 0
		.amdhsa_exception_fp_ieee_div_zero 0
		.amdhsa_exception_fp_ieee_overflow 0
		.amdhsa_exception_fp_ieee_underflow 0
		.amdhsa_exception_fp_ieee_inexact 0
		.amdhsa_exception_int_div_zero 0
	.end_amdhsa_kernel
	.section	.text._ZN7rocprim17ROCPRIM_400000_NS6detail17trampoline_kernelINS0_14default_configENS1_25partition_config_selectorILNS1_17partition_subalgoE8ExNS0_10empty_typeEbEEZZNS1_14partition_implILS5_8ELb0ES3_jN6thrust23THRUST_200600_302600_NS6detail15normal_iteratorINSA_10device_ptrIxEEEEPS6_PKS6_NS0_5tupleIJNSA_16discard_iteratorINSA_11use_defaultEEES6_EEENSJ_IJSG_SG_EEENS0_18inequality_wrapperINSA_8equal_toIxEEEEPmJS6_EEE10hipError_tPvRmT3_T4_T5_T6_T7_T9_mT8_P12ihipStream_tbDpT10_ENKUlT_T0_E_clISt17integral_constantIbLb0EES1D_EEDaS18_S19_EUlS18_E_NS1_11comp_targetILNS1_3genE9ELNS1_11target_archE1100ELNS1_3gpuE3ELNS1_3repE0EEENS1_30default_config_static_selectorELNS0_4arch9wavefront6targetE1EEEvT1_,"axG",@progbits,_ZN7rocprim17ROCPRIM_400000_NS6detail17trampoline_kernelINS0_14default_configENS1_25partition_config_selectorILNS1_17partition_subalgoE8ExNS0_10empty_typeEbEEZZNS1_14partition_implILS5_8ELb0ES3_jN6thrust23THRUST_200600_302600_NS6detail15normal_iteratorINSA_10device_ptrIxEEEEPS6_PKS6_NS0_5tupleIJNSA_16discard_iteratorINSA_11use_defaultEEES6_EEENSJ_IJSG_SG_EEENS0_18inequality_wrapperINSA_8equal_toIxEEEEPmJS6_EEE10hipError_tPvRmT3_T4_T5_T6_T7_T9_mT8_P12ihipStream_tbDpT10_ENKUlT_T0_E_clISt17integral_constantIbLb0EES1D_EEDaS18_S19_EUlS18_E_NS1_11comp_targetILNS1_3genE9ELNS1_11target_archE1100ELNS1_3gpuE3ELNS1_3repE0EEENS1_30default_config_static_selectorELNS0_4arch9wavefront6targetE1EEEvT1_,comdat
.Lfunc_end635:
	.size	_ZN7rocprim17ROCPRIM_400000_NS6detail17trampoline_kernelINS0_14default_configENS1_25partition_config_selectorILNS1_17partition_subalgoE8ExNS0_10empty_typeEbEEZZNS1_14partition_implILS5_8ELb0ES3_jN6thrust23THRUST_200600_302600_NS6detail15normal_iteratorINSA_10device_ptrIxEEEEPS6_PKS6_NS0_5tupleIJNSA_16discard_iteratorINSA_11use_defaultEEES6_EEENSJ_IJSG_SG_EEENS0_18inequality_wrapperINSA_8equal_toIxEEEEPmJS6_EEE10hipError_tPvRmT3_T4_T5_T6_T7_T9_mT8_P12ihipStream_tbDpT10_ENKUlT_T0_E_clISt17integral_constantIbLb0EES1D_EEDaS18_S19_EUlS18_E_NS1_11comp_targetILNS1_3genE9ELNS1_11target_archE1100ELNS1_3gpuE3ELNS1_3repE0EEENS1_30default_config_static_selectorELNS0_4arch9wavefront6targetE1EEEvT1_, .Lfunc_end635-_ZN7rocprim17ROCPRIM_400000_NS6detail17trampoline_kernelINS0_14default_configENS1_25partition_config_selectorILNS1_17partition_subalgoE8ExNS0_10empty_typeEbEEZZNS1_14partition_implILS5_8ELb0ES3_jN6thrust23THRUST_200600_302600_NS6detail15normal_iteratorINSA_10device_ptrIxEEEEPS6_PKS6_NS0_5tupleIJNSA_16discard_iteratorINSA_11use_defaultEEES6_EEENSJ_IJSG_SG_EEENS0_18inequality_wrapperINSA_8equal_toIxEEEEPmJS6_EEE10hipError_tPvRmT3_T4_T5_T6_T7_T9_mT8_P12ihipStream_tbDpT10_ENKUlT_T0_E_clISt17integral_constantIbLb0EES1D_EEDaS18_S19_EUlS18_E_NS1_11comp_targetILNS1_3genE9ELNS1_11target_archE1100ELNS1_3gpuE3ELNS1_3repE0EEENS1_30default_config_static_selectorELNS0_4arch9wavefront6targetE1EEEvT1_
                                        ; -- End function
	.set _ZN7rocprim17ROCPRIM_400000_NS6detail17trampoline_kernelINS0_14default_configENS1_25partition_config_selectorILNS1_17partition_subalgoE8ExNS0_10empty_typeEbEEZZNS1_14partition_implILS5_8ELb0ES3_jN6thrust23THRUST_200600_302600_NS6detail15normal_iteratorINSA_10device_ptrIxEEEEPS6_PKS6_NS0_5tupleIJNSA_16discard_iteratorINSA_11use_defaultEEES6_EEENSJ_IJSG_SG_EEENS0_18inequality_wrapperINSA_8equal_toIxEEEEPmJS6_EEE10hipError_tPvRmT3_T4_T5_T6_T7_T9_mT8_P12ihipStream_tbDpT10_ENKUlT_T0_E_clISt17integral_constantIbLb0EES1D_EEDaS18_S19_EUlS18_E_NS1_11comp_targetILNS1_3genE9ELNS1_11target_archE1100ELNS1_3gpuE3ELNS1_3repE0EEENS1_30default_config_static_selectorELNS0_4arch9wavefront6targetE1EEEvT1_.num_vgpr, 0
	.set _ZN7rocprim17ROCPRIM_400000_NS6detail17trampoline_kernelINS0_14default_configENS1_25partition_config_selectorILNS1_17partition_subalgoE8ExNS0_10empty_typeEbEEZZNS1_14partition_implILS5_8ELb0ES3_jN6thrust23THRUST_200600_302600_NS6detail15normal_iteratorINSA_10device_ptrIxEEEEPS6_PKS6_NS0_5tupleIJNSA_16discard_iteratorINSA_11use_defaultEEES6_EEENSJ_IJSG_SG_EEENS0_18inequality_wrapperINSA_8equal_toIxEEEEPmJS6_EEE10hipError_tPvRmT3_T4_T5_T6_T7_T9_mT8_P12ihipStream_tbDpT10_ENKUlT_T0_E_clISt17integral_constantIbLb0EES1D_EEDaS18_S19_EUlS18_E_NS1_11comp_targetILNS1_3genE9ELNS1_11target_archE1100ELNS1_3gpuE3ELNS1_3repE0EEENS1_30default_config_static_selectorELNS0_4arch9wavefront6targetE1EEEvT1_.num_agpr, 0
	.set _ZN7rocprim17ROCPRIM_400000_NS6detail17trampoline_kernelINS0_14default_configENS1_25partition_config_selectorILNS1_17partition_subalgoE8ExNS0_10empty_typeEbEEZZNS1_14partition_implILS5_8ELb0ES3_jN6thrust23THRUST_200600_302600_NS6detail15normal_iteratorINSA_10device_ptrIxEEEEPS6_PKS6_NS0_5tupleIJNSA_16discard_iteratorINSA_11use_defaultEEES6_EEENSJ_IJSG_SG_EEENS0_18inequality_wrapperINSA_8equal_toIxEEEEPmJS6_EEE10hipError_tPvRmT3_T4_T5_T6_T7_T9_mT8_P12ihipStream_tbDpT10_ENKUlT_T0_E_clISt17integral_constantIbLb0EES1D_EEDaS18_S19_EUlS18_E_NS1_11comp_targetILNS1_3genE9ELNS1_11target_archE1100ELNS1_3gpuE3ELNS1_3repE0EEENS1_30default_config_static_selectorELNS0_4arch9wavefront6targetE1EEEvT1_.numbered_sgpr, 0
	.set _ZN7rocprim17ROCPRIM_400000_NS6detail17trampoline_kernelINS0_14default_configENS1_25partition_config_selectorILNS1_17partition_subalgoE8ExNS0_10empty_typeEbEEZZNS1_14partition_implILS5_8ELb0ES3_jN6thrust23THRUST_200600_302600_NS6detail15normal_iteratorINSA_10device_ptrIxEEEEPS6_PKS6_NS0_5tupleIJNSA_16discard_iteratorINSA_11use_defaultEEES6_EEENSJ_IJSG_SG_EEENS0_18inequality_wrapperINSA_8equal_toIxEEEEPmJS6_EEE10hipError_tPvRmT3_T4_T5_T6_T7_T9_mT8_P12ihipStream_tbDpT10_ENKUlT_T0_E_clISt17integral_constantIbLb0EES1D_EEDaS18_S19_EUlS18_E_NS1_11comp_targetILNS1_3genE9ELNS1_11target_archE1100ELNS1_3gpuE3ELNS1_3repE0EEENS1_30default_config_static_selectorELNS0_4arch9wavefront6targetE1EEEvT1_.num_named_barrier, 0
	.set _ZN7rocprim17ROCPRIM_400000_NS6detail17trampoline_kernelINS0_14default_configENS1_25partition_config_selectorILNS1_17partition_subalgoE8ExNS0_10empty_typeEbEEZZNS1_14partition_implILS5_8ELb0ES3_jN6thrust23THRUST_200600_302600_NS6detail15normal_iteratorINSA_10device_ptrIxEEEEPS6_PKS6_NS0_5tupleIJNSA_16discard_iteratorINSA_11use_defaultEEES6_EEENSJ_IJSG_SG_EEENS0_18inequality_wrapperINSA_8equal_toIxEEEEPmJS6_EEE10hipError_tPvRmT3_T4_T5_T6_T7_T9_mT8_P12ihipStream_tbDpT10_ENKUlT_T0_E_clISt17integral_constantIbLb0EES1D_EEDaS18_S19_EUlS18_E_NS1_11comp_targetILNS1_3genE9ELNS1_11target_archE1100ELNS1_3gpuE3ELNS1_3repE0EEENS1_30default_config_static_selectorELNS0_4arch9wavefront6targetE1EEEvT1_.private_seg_size, 0
	.set _ZN7rocprim17ROCPRIM_400000_NS6detail17trampoline_kernelINS0_14default_configENS1_25partition_config_selectorILNS1_17partition_subalgoE8ExNS0_10empty_typeEbEEZZNS1_14partition_implILS5_8ELb0ES3_jN6thrust23THRUST_200600_302600_NS6detail15normal_iteratorINSA_10device_ptrIxEEEEPS6_PKS6_NS0_5tupleIJNSA_16discard_iteratorINSA_11use_defaultEEES6_EEENSJ_IJSG_SG_EEENS0_18inequality_wrapperINSA_8equal_toIxEEEEPmJS6_EEE10hipError_tPvRmT3_T4_T5_T6_T7_T9_mT8_P12ihipStream_tbDpT10_ENKUlT_T0_E_clISt17integral_constantIbLb0EES1D_EEDaS18_S19_EUlS18_E_NS1_11comp_targetILNS1_3genE9ELNS1_11target_archE1100ELNS1_3gpuE3ELNS1_3repE0EEENS1_30default_config_static_selectorELNS0_4arch9wavefront6targetE1EEEvT1_.uses_vcc, 0
	.set _ZN7rocprim17ROCPRIM_400000_NS6detail17trampoline_kernelINS0_14default_configENS1_25partition_config_selectorILNS1_17partition_subalgoE8ExNS0_10empty_typeEbEEZZNS1_14partition_implILS5_8ELb0ES3_jN6thrust23THRUST_200600_302600_NS6detail15normal_iteratorINSA_10device_ptrIxEEEEPS6_PKS6_NS0_5tupleIJNSA_16discard_iteratorINSA_11use_defaultEEES6_EEENSJ_IJSG_SG_EEENS0_18inequality_wrapperINSA_8equal_toIxEEEEPmJS6_EEE10hipError_tPvRmT3_T4_T5_T6_T7_T9_mT8_P12ihipStream_tbDpT10_ENKUlT_T0_E_clISt17integral_constantIbLb0EES1D_EEDaS18_S19_EUlS18_E_NS1_11comp_targetILNS1_3genE9ELNS1_11target_archE1100ELNS1_3gpuE3ELNS1_3repE0EEENS1_30default_config_static_selectorELNS0_4arch9wavefront6targetE1EEEvT1_.uses_flat_scratch, 0
	.set _ZN7rocprim17ROCPRIM_400000_NS6detail17trampoline_kernelINS0_14default_configENS1_25partition_config_selectorILNS1_17partition_subalgoE8ExNS0_10empty_typeEbEEZZNS1_14partition_implILS5_8ELb0ES3_jN6thrust23THRUST_200600_302600_NS6detail15normal_iteratorINSA_10device_ptrIxEEEEPS6_PKS6_NS0_5tupleIJNSA_16discard_iteratorINSA_11use_defaultEEES6_EEENSJ_IJSG_SG_EEENS0_18inequality_wrapperINSA_8equal_toIxEEEEPmJS6_EEE10hipError_tPvRmT3_T4_T5_T6_T7_T9_mT8_P12ihipStream_tbDpT10_ENKUlT_T0_E_clISt17integral_constantIbLb0EES1D_EEDaS18_S19_EUlS18_E_NS1_11comp_targetILNS1_3genE9ELNS1_11target_archE1100ELNS1_3gpuE3ELNS1_3repE0EEENS1_30default_config_static_selectorELNS0_4arch9wavefront6targetE1EEEvT1_.has_dyn_sized_stack, 0
	.set _ZN7rocprim17ROCPRIM_400000_NS6detail17trampoline_kernelINS0_14default_configENS1_25partition_config_selectorILNS1_17partition_subalgoE8ExNS0_10empty_typeEbEEZZNS1_14partition_implILS5_8ELb0ES3_jN6thrust23THRUST_200600_302600_NS6detail15normal_iteratorINSA_10device_ptrIxEEEEPS6_PKS6_NS0_5tupleIJNSA_16discard_iteratorINSA_11use_defaultEEES6_EEENSJ_IJSG_SG_EEENS0_18inequality_wrapperINSA_8equal_toIxEEEEPmJS6_EEE10hipError_tPvRmT3_T4_T5_T6_T7_T9_mT8_P12ihipStream_tbDpT10_ENKUlT_T0_E_clISt17integral_constantIbLb0EES1D_EEDaS18_S19_EUlS18_E_NS1_11comp_targetILNS1_3genE9ELNS1_11target_archE1100ELNS1_3gpuE3ELNS1_3repE0EEENS1_30default_config_static_selectorELNS0_4arch9wavefront6targetE1EEEvT1_.has_recursion, 0
	.set _ZN7rocprim17ROCPRIM_400000_NS6detail17trampoline_kernelINS0_14default_configENS1_25partition_config_selectorILNS1_17partition_subalgoE8ExNS0_10empty_typeEbEEZZNS1_14partition_implILS5_8ELb0ES3_jN6thrust23THRUST_200600_302600_NS6detail15normal_iteratorINSA_10device_ptrIxEEEEPS6_PKS6_NS0_5tupleIJNSA_16discard_iteratorINSA_11use_defaultEEES6_EEENSJ_IJSG_SG_EEENS0_18inequality_wrapperINSA_8equal_toIxEEEEPmJS6_EEE10hipError_tPvRmT3_T4_T5_T6_T7_T9_mT8_P12ihipStream_tbDpT10_ENKUlT_T0_E_clISt17integral_constantIbLb0EES1D_EEDaS18_S19_EUlS18_E_NS1_11comp_targetILNS1_3genE9ELNS1_11target_archE1100ELNS1_3gpuE3ELNS1_3repE0EEENS1_30default_config_static_selectorELNS0_4arch9wavefront6targetE1EEEvT1_.has_indirect_call, 0
	.section	.AMDGPU.csdata,"",@progbits
; Kernel info:
; codeLenInByte = 0
; TotalNumSgprs: 4
; NumVgprs: 0
; ScratchSize: 0
; MemoryBound: 0
; FloatMode: 240
; IeeeMode: 1
; LDSByteSize: 0 bytes/workgroup (compile time only)
; SGPRBlocks: 0
; VGPRBlocks: 0
; NumSGPRsForWavesPerEU: 4
; NumVGPRsForWavesPerEU: 1
; Occupancy: 10
; WaveLimiterHint : 0
; COMPUTE_PGM_RSRC2:SCRATCH_EN: 0
; COMPUTE_PGM_RSRC2:USER_SGPR: 6
; COMPUTE_PGM_RSRC2:TRAP_HANDLER: 0
; COMPUTE_PGM_RSRC2:TGID_X_EN: 1
; COMPUTE_PGM_RSRC2:TGID_Y_EN: 0
; COMPUTE_PGM_RSRC2:TGID_Z_EN: 0
; COMPUTE_PGM_RSRC2:TIDIG_COMP_CNT: 0
	.section	.text._ZN7rocprim17ROCPRIM_400000_NS6detail17trampoline_kernelINS0_14default_configENS1_25partition_config_selectorILNS1_17partition_subalgoE8ExNS0_10empty_typeEbEEZZNS1_14partition_implILS5_8ELb0ES3_jN6thrust23THRUST_200600_302600_NS6detail15normal_iteratorINSA_10device_ptrIxEEEEPS6_PKS6_NS0_5tupleIJNSA_16discard_iteratorINSA_11use_defaultEEES6_EEENSJ_IJSG_SG_EEENS0_18inequality_wrapperINSA_8equal_toIxEEEEPmJS6_EEE10hipError_tPvRmT3_T4_T5_T6_T7_T9_mT8_P12ihipStream_tbDpT10_ENKUlT_T0_E_clISt17integral_constantIbLb0EES1D_EEDaS18_S19_EUlS18_E_NS1_11comp_targetILNS1_3genE8ELNS1_11target_archE1030ELNS1_3gpuE2ELNS1_3repE0EEENS1_30default_config_static_selectorELNS0_4arch9wavefront6targetE1EEEvT1_,"axG",@progbits,_ZN7rocprim17ROCPRIM_400000_NS6detail17trampoline_kernelINS0_14default_configENS1_25partition_config_selectorILNS1_17partition_subalgoE8ExNS0_10empty_typeEbEEZZNS1_14partition_implILS5_8ELb0ES3_jN6thrust23THRUST_200600_302600_NS6detail15normal_iteratorINSA_10device_ptrIxEEEEPS6_PKS6_NS0_5tupleIJNSA_16discard_iteratorINSA_11use_defaultEEES6_EEENSJ_IJSG_SG_EEENS0_18inequality_wrapperINSA_8equal_toIxEEEEPmJS6_EEE10hipError_tPvRmT3_T4_T5_T6_T7_T9_mT8_P12ihipStream_tbDpT10_ENKUlT_T0_E_clISt17integral_constantIbLb0EES1D_EEDaS18_S19_EUlS18_E_NS1_11comp_targetILNS1_3genE8ELNS1_11target_archE1030ELNS1_3gpuE2ELNS1_3repE0EEENS1_30default_config_static_selectorELNS0_4arch9wavefront6targetE1EEEvT1_,comdat
	.protected	_ZN7rocprim17ROCPRIM_400000_NS6detail17trampoline_kernelINS0_14default_configENS1_25partition_config_selectorILNS1_17partition_subalgoE8ExNS0_10empty_typeEbEEZZNS1_14partition_implILS5_8ELb0ES3_jN6thrust23THRUST_200600_302600_NS6detail15normal_iteratorINSA_10device_ptrIxEEEEPS6_PKS6_NS0_5tupleIJNSA_16discard_iteratorINSA_11use_defaultEEES6_EEENSJ_IJSG_SG_EEENS0_18inequality_wrapperINSA_8equal_toIxEEEEPmJS6_EEE10hipError_tPvRmT3_T4_T5_T6_T7_T9_mT8_P12ihipStream_tbDpT10_ENKUlT_T0_E_clISt17integral_constantIbLb0EES1D_EEDaS18_S19_EUlS18_E_NS1_11comp_targetILNS1_3genE8ELNS1_11target_archE1030ELNS1_3gpuE2ELNS1_3repE0EEENS1_30default_config_static_selectorELNS0_4arch9wavefront6targetE1EEEvT1_ ; -- Begin function _ZN7rocprim17ROCPRIM_400000_NS6detail17trampoline_kernelINS0_14default_configENS1_25partition_config_selectorILNS1_17partition_subalgoE8ExNS0_10empty_typeEbEEZZNS1_14partition_implILS5_8ELb0ES3_jN6thrust23THRUST_200600_302600_NS6detail15normal_iteratorINSA_10device_ptrIxEEEEPS6_PKS6_NS0_5tupleIJNSA_16discard_iteratorINSA_11use_defaultEEES6_EEENSJ_IJSG_SG_EEENS0_18inequality_wrapperINSA_8equal_toIxEEEEPmJS6_EEE10hipError_tPvRmT3_T4_T5_T6_T7_T9_mT8_P12ihipStream_tbDpT10_ENKUlT_T0_E_clISt17integral_constantIbLb0EES1D_EEDaS18_S19_EUlS18_E_NS1_11comp_targetILNS1_3genE8ELNS1_11target_archE1030ELNS1_3gpuE2ELNS1_3repE0EEENS1_30default_config_static_selectorELNS0_4arch9wavefront6targetE1EEEvT1_
	.globl	_ZN7rocprim17ROCPRIM_400000_NS6detail17trampoline_kernelINS0_14default_configENS1_25partition_config_selectorILNS1_17partition_subalgoE8ExNS0_10empty_typeEbEEZZNS1_14partition_implILS5_8ELb0ES3_jN6thrust23THRUST_200600_302600_NS6detail15normal_iteratorINSA_10device_ptrIxEEEEPS6_PKS6_NS0_5tupleIJNSA_16discard_iteratorINSA_11use_defaultEEES6_EEENSJ_IJSG_SG_EEENS0_18inequality_wrapperINSA_8equal_toIxEEEEPmJS6_EEE10hipError_tPvRmT3_T4_T5_T6_T7_T9_mT8_P12ihipStream_tbDpT10_ENKUlT_T0_E_clISt17integral_constantIbLb0EES1D_EEDaS18_S19_EUlS18_E_NS1_11comp_targetILNS1_3genE8ELNS1_11target_archE1030ELNS1_3gpuE2ELNS1_3repE0EEENS1_30default_config_static_selectorELNS0_4arch9wavefront6targetE1EEEvT1_
	.p2align	8
	.type	_ZN7rocprim17ROCPRIM_400000_NS6detail17trampoline_kernelINS0_14default_configENS1_25partition_config_selectorILNS1_17partition_subalgoE8ExNS0_10empty_typeEbEEZZNS1_14partition_implILS5_8ELb0ES3_jN6thrust23THRUST_200600_302600_NS6detail15normal_iteratorINSA_10device_ptrIxEEEEPS6_PKS6_NS0_5tupleIJNSA_16discard_iteratorINSA_11use_defaultEEES6_EEENSJ_IJSG_SG_EEENS0_18inequality_wrapperINSA_8equal_toIxEEEEPmJS6_EEE10hipError_tPvRmT3_T4_T5_T6_T7_T9_mT8_P12ihipStream_tbDpT10_ENKUlT_T0_E_clISt17integral_constantIbLb0EES1D_EEDaS18_S19_EUlS18_E_NS1_11comp_targetILNS1_3genE8ELNS1_11target_archE1030ELNS1_3gpuE2ELNS1_3repE0EEENS1_30default_config_static_selectorELNS0_4arch9wavefront6targetE1EEEvT1_,@function
_ZN7rocprim17ROCPRIM_400000_NS6detail17trampoline_kernelINS0_14default_configENS1_25partition_config_selectorILNS1_17partition_subalgoE8ExNS0_10empty_typeEbEEZZNS1_14partition_implILS5_8ELb0ES3_jN6thrust23THRUST_200600_302600_NS6detail15normal_iteratorINSA_10device_ptrIxEEEEPS6_PKS6_NS0_5tupleIJNSA_16discard_iteratorINSA_11use_defaultEEES6_EEENSJ_IJSG_SG_EEENS0_18inequality_wrapperINSA_8equal_toIxEEEEPmJS6_EEE10hipError_tPvRmT3_T4_T5_T6_T7_T9_mT8_P12ihipStream_tbDpT10_ENKUlT_T0_E_clISt17integral_constantIbLb0EES1D_EEDaS18_S19_EUlS18_E_NS1_11comp_targetILNS1_3genE8ELNS1_11target_archE1030ELNS1_3gpuE2ELNS1_3repE0EEENS1_30default_config_static_selectorELNS0_4arch9wavefront6targetE1EEEvT1_: ; @_ZN7rocprim17ROCPRIM_400000_NS6detail17trampoline_kernelINS0_14default_configENS1_25partition_config_selectorILNS1_17partition_subalgoE8ExNS0_10empty_typeEbEEZZNS1_14partition_implILS5_8ELb0ES3_jN6thrust23THRUST_200600_302600_NS6detail15normal_iteratorINSA_10device_ptrIxEEEEPS6_PKS6_NS0_5tupleIJNSA_16discard_iteratorINSA_11use_defaultEEES6_EEENSJ_IJSG_SG_EEENS0_18inequality_wrapperINSA_8equal_toIxEEEEPmJS6_EEE10hipError_tPvRmT3_T4_T5_T6_T7_T9_mT8_P12ihipStream_tbDpT10_ENKUlT_T0_E_clISt17integral_constantIbLb0EES1D_EEDaS18_S19_EUlS18_E_NS1_11comp_targetILNS1_3genE8ELNS1_11target_archE1030ELNS1_3gpuE2ELNS1_3repE0EEENS1_30default_config_static_selectorELNS0_4arch9wavefront6targetE1EEEvT1_
; %bb.0:
	.section	.rodata,"a",@progbits
	.p2align	6, 0x0
	.amdhsa_kernel _ZN7rocprim17ROCPRIM_400000_NS6detail17trampoline_kernelINS0_14default_configENS1_25partition_config_selectorILNS1_17partition_subalgoE8ExNS0_10empty_typeEbEEZZNS1_14partition_implILS5_8ELb0ES3_jN6thrust23THRUST_200600_302600_NS6detail15normal_iteratorINSA_10device_ptrIxEEEEPS6_PKS6_NS0_5tupleIJNSA_16discard_iteratorINSA_11use_defaultEEES6_EEENSJ_IJSG_SG_EEENS0_18inequality_wrapperINSA_8equal_toIxEEEEPmJS6_EEE10hipError_tPvRmT3_T4_T5_T6_T7_T9_mT8_P12ihipStream_tbDpT10_ENKUlT_T0_E_clISt17integral_constantIbLb0EES1D_EEDaS18_S19_EUlS18_E_NS1_11comp_targetILNS1_3genE8ELNS1_11target_archE1030ELNS1_3gpuE2ELNS1_3repE0EEENS1_30default_config_static_selectorELNS0_4arch9wavefront6targetE1EEEvT1_
		.amdhsa_group_segment_fixed_size 0
		.amdhsa_private_segment_fixed_size 0
		.amdhsa_kernarg_size 120
		.amdhsa_user_sgpr_count 6
		.amdhsa_user_sgpr_private_segment_buffer 1
		.amdhsa_user_sgpr_dispatch_ptr 0
		.amdhsa_user_sgpr_queue_ptr 0
		.amdhsa_user_sgpr_kernarg_segment_ptr 1
		.amdhsa_user_sgpr_dispatch_id 0
		.amdhsa_user_sgpr_flat_scratch_init 0
		.amdhsa_user_sgpr_private_segment_size 0
		.amdhsa_uses_dynamic_stack 0
		.amdhsa_system_sgpr_private_segment_wavefront_offset 0
		.amdhsa_system_sgpr_workgroup_id_x 1
		.amdhsa_system_sgpr_workgroup_id_y 0
		.amdhsa_system_sgpr_workgroup_id_z 0
		.amdhsa_system_sgpr_workgroup_info 0
		.amdhsa_system_vgpr_workitem_id 0
		.amdhsa_next_free_vgpr 1
		.amdhsa_next_free_sgpr 0
		.amdhsa_reserve_vcc 0
		.amdhsa_reserve_flat_scratch 0
		.amdhsa_float_round_mode_32 0
		.amdhsa_float_round_mode_16_64 0
		.amdhsa_float_denorm_mode_32 3
		.amdhsa_float_denorm_mode_16_64 3
		.amdhsa_dx10_clamp 1
		.amdhsa_ieee_mode 1
		.amdhsa_fp16_overflow 0
		.amdhsa_exception_fp_ieee_invalid_op 0
		.amdhsa_exception_fp_denorm_src 0
		.amdhsa_exception_fp_ieee_div_zero 0
		.amdhsa_exception_fp_ieee_overflow 0
		.amdhsa_exception_fp_ieee_underflow 0
		.amdhsa_exception_fp_ieee_inexact 0
		.amdhsa_exception_int_div_zero 0
	.end_amdhsa_kernel
	.section	.text._ZN7rocprim17ROCPRIM_400000_NS6detail17trampoline_kernelINS0_14default_configENS1_25partition_config_selectorILNS1_17partition_subalgoE8ExNS0_10empty_typeEbEEZZNS1_14partition_implILS5_8ELb0ES3_jN6thrust23THRUST_200600_302600_NS6detail15normal_iteratorINSA_10device_ptrIxEEEEPS6_PKS6_NS0_5tupleIJNSA_16discard_iteratorINSA_11use_defaultEEES6_EEENSJ_IJSG_SG_EEENS0_18inequality_wrapperINSA_8equal_toIxEEEEPmJS6_EEE10hipError_tPvRmT3_T4_T5_T6_T7_T9_mT8_P12ihipStream_tbDpT10_ENKUlT_T0_E_clISt17integral_constantIbLb0EES1D_EEDaS18_S19_EUlS18_E_NS1_11comp_targetILNS1_3genE8ELNS1_11target_archE1030ELNS1_3gpuE2ELNS1_3repE0EEENS1_30default_config_static_selectorELNS0_4arch9wavefront6targetE1EEEvT1_,"axG",@progbits,_ZN7rocprim17ROCPRIM_400000_NS6detail17trampoline_kernelINS0_14default_configENS1_25partition_config_selectorILNS1_17partition_subalgoE8ExNS0_10empty_typeEbEEZZNS1_14partition_implILS5_8ELb0ES3_jN6thrust23THRUST_200600_302600_NS6detail15normal_iteratorINSA_10device_ptrIxEEEEPS6_PKS6_NS0_5tupleIJNSA_16discard_iteratorINSA_11use_defaultEEES6_EEENSJ_IJSG_SG_EEENS0_18inequality_wrapperINSA_8equal_toIxEEEEPmJS6_EEE10hipError_tPvRmT3_T4_T5_T6_T7_T9_mT8_P12ihipStream_tbDpT10_ENKUlT_T0_E_clISt17integral_constantIbLb0EES1D_EEDaS18_S19_EUlS18_E_NS1_11comp_targetILNS1_3genE8ELNS1_11target_archE1030ELNS1_3gpuE2ELNS1_3repE0EEENS1_30default_config_static_selectorELNS0_4arch9wavefront6targetE1EEEvT1_,comdat
.Lfunc_end636:
	.size	_ZN7rocprim17ROCPRIM_400000_NS6detail17trampoline_kernelINS0_14default_configENS1_25partition_config_selectorILNS1_17partition_subalgoE8ExNS0_10empty_typeEbEEZZNS1_14partition_implILS5_8ELb0ES3_jN6thrust23THRUST_200600_302600_NS6detail15normal_iteratorINSA_10device_ptrIxEEEEPS6_PKS6_NS0_5tupleIJNSA_16discard_iteratorINSA_11use_defaultEEES6_EEENSJ_IJSG_SG_EEENS0_18inequality_wrapperINSA_8equal_toIxEEEEPmJS6_EEE10hipError_tPvRmT3_T4_T5_T6_T7_T9_mT8_P12ihipStream_tbDpT10_ENKUlT_T0_E_clISt17integral_constantIbLb0EES1D_EEDaS18_S19_EUlS18_E_NS1_11comp_targetILNS1_3genE8ELNS1_11target_archE1030ELNS1_3gpuE2ELNS1_3repE0EEENS1_30default_config_static_selectorELNS0_4arch9wavefront6targetE1EEEvT1_, .Lfunc_end636-_ZN7rocprim17ROCPRIM_400000_NS6detail17trampoline_kernelINS0_14default_configENS1_25partition_config_selectorILNS1_17partition_subalgoE8ExNS0_10empty_typeEbEEZZNS1_14partition_implILS5_8ELb0ES3_jN6thrust23THRUST_200600_302600_NS6detail15normal_iteratorINSA_10device_ptrIxEEEEPS6_PKS6_NS0_5tupleIJNSA_16discard_iteratorINSA_11use_defaultEEES6_EEENSJ_IJSG_SG_EEENS0_18inequality_wrapperINSA_8equal_toIxEEEEPmJS6_EEE10hipError_tPvRmT3_T4_T5_T6_T7_T9_mT8_P12ihipStream_tbDpT10_ENKUlT_T0_E_clISt17integral_constantIbLb0EES1D_EEDaS18_S19_EUlS18_E_NS1_11comp_targetILNS1_3genE8ELNS1_11target_archE1030ELNS1_3gpuE2ELNS1_3repE0EEENS1_30default_config_static_selectorELNS0_4arch9wavefront6targetE1EEEvT1_
                                        ; -- End function
	.set _ZN7rocprim17ROCPRIM_400000_NS6detail17trampoline_kernelINS0_14default_configENS1_25partition_config_selectorILNS1_17partition_subalgoE8ExNS0_10empty_typeEbEEZZNS1_14partition_implILS5_8ELb0ES3_jN6thrust23THRUST_200600_302600_NS6detail15normal_iteratorINSA_10device_ptrIxEEEEPS6_PKS6_NS0_5tupleIJNSA_16discard_iteratorINSA_11use_defaultEEES6_EEENSJ_IJSG_SG_EEENS0_18inequality_wrapperINSA_8equal_toIxEEEEPmJS6_EEE10hipError_tPvRmT3_T4_T5_T6_T7_T9_mT8_P12ihipStream_tbDpT10_ENKUlT_T0_E_clISt17integral_constantIbLb0EES1D_EEDaS18_S19_EUlS18_E_NS1_11comp_targetILNS1_3genE8ELNS1_11target_archE1030ELNS1_3gpuE2ELNS1_3repE0EEENS1_30default_config_static_selectorELNS0_4arch9wavefront6targetE1EEEvT1_.num_vgpr, 0
	.set _ZN7rocprim17ROCPRIM_400000_NS6detail17trampoline_kernelINS0_14default_configENS1_25partition_config_selectorILNS1_17partition_subalgoE8ExNS0_10empty_typeEbEEZZNS1_14partition_implILS5_8ELb0ES3_jN6thrust23THRUST_200600_302600_NS6detail15normal_iteratorINSA_10device_ptrIxEEEEPS6_PKS6_NS0_5tupleIJNSA_16discard_iteratorINSA_11use_defaultEEES6_EEENSJ_IJSG_SG_EEENS0_18inequality_wrapperINSA_8equal_toIxEEEEPmJS6_EEE10hipError_tPvRmT3_T4_T5_T6_T7_T9_mT8_P12ihipStream_tbDpT10_ENKUlT_T0_E_clISt17integral_constantIbLb0EES1D_EEDaS18_S19_EUlS18_E_NS1_11comp_targetILNS1_3genE8ELNS1_11target_archE1030ELNS1_3gpuE2ELNS1_3repE0EEENS1_30default_config_static_selectorELNS0_4arch9wavefront6targetE1EEEvT1_.num_agpr, 0
	.set _ZN7rocprim17ROCPRIM_400000_NS6detail17trampoline_kernelINS0_14default_configENS1_25partition_config_selectorILNS1_17partition_subalgoE8ExNS0_10empty_typeEbEEZZNS1_14partition_implILS5_8ELb0ES3_jN6thrust23THRUST_200600_302600_NS6detail15normal_iteratorINSA_10device_ptrIxEEEEPS6_PKS6_NS0_5tupleIJNSA_16discard_iteratorINSA_11use_defaultEEES6_EEENSJ_IJSG_SG_EEENS0_18inequality_wrapperINSA_8equal_toIxEEEEPmJS6_EEE10hipError_tPvRmT3_T4_T5_T6_T7_T9_mT8_P12ihipStream_tbDpT10_ENKUlT_T0_E_clISt17integral_constantIbLb0EES1D_EEDaS18_S19_EUlS18_E_NS1_11comp_targetILNS1_3genE8ELNS1_11target_archE1030ELNS1_3gpuE2ELNS1_3repE0EEENS1_30default_config_static_selectorELNS0_4arch9wavefront6targetE1EEEvT1_.numbered_sgpr, 0
	.set _ZN7rocprim17ROCPRIM_400000_NS6detail17trampoline_kernelINS0_14default_configENS1_25partition_config_selectorILNS1_17partition_subalgoE8ExNS0_10empty_typeEbEEZZNS1_14partition_implILS5_8ELb0ES3_jN6thrust23THRUST_200600_302600_NS6detail15normal_iteratorINSA_10device_ptrIxEEEEPS6_PKS6_NS0_5tupleIJNSA_16discard_iteratorINSA_11use_defaultEEES6_EEENSJ_IJSG_SG_EEENS0_18inequality_wrapperINSA_8equal_toIxEEEEPmJS6_EEE10hipError_tPvRmT3_T4_T5_T6_T7_T9_mT8_P12ihipStream_tbDpT10_ENKUlT_T0_E_clISt17integral_constantIbLb0EES1D_EEDaS18_S19_EUlS18_E_NS1_11comp_targetILNS1_3genE8ELNS1_11target_archE1030ELNS1_3gpuE2ELNS1_3repE0EEENS1_30default_config_static_selectorELNS0_4arch9wavefront6targetE1EEEvT1_.num_named_barrier, 0
	.set _ZN7rocprim17ROCPRIM_400000_NS6detail17trampoline_kernelINS0_14default_configENS1_25partition_config_selectorILNS1_17partition_subalgoE8ExNS0_10empty_typeEbEEZZNS1_14partition_implILS5_8ELb0ES3_jN6thrust23THRUST_200600_302600_NS6detail15normal_iteratorINSA_10device_ptrIxEEEEPS6_PKS6_NS0_5tupleIJNSA_16discard_iteratorINSA_11use_defaultEEES6_EEENSJ_IJSG_SG_EEENS0_18inequality_wrapperINSA_8equal_toIxEEEEPmJS6_EEE10hipError_tPvRmT3_T4_T5_T6_T7_T9_mT8_P12ihipStream_tbDpT10_ENKUlT_T0_E_clISt17integral_constantIbLb0EES1D_EEDaS18_S19_EUlS18_E_NS1_11comp_targetILNS1_3genE8ELNS1_11target_archE1030ELNS1_3gpuE2ELNS1_3repE0EEENS1_30default_config_static_selectorELNS0_4arch9wavefront6targetE1EEEvT1_.private_seg_size, 0
	.set _ZN7rocprim17ROCPRIM_400000_NS6detail17trampoline_kernelINS0_14default_configENS1_25partition_config_selectorILNS1_17partition_subalgoE8ExNS0_10empty_typeEbEEZZNS1_14partition_implILS5_8ELb0ES3_jN6thrust23THRUST_200600_302600_NS6detail15normal_iteratorINSA_10device_ptrIxEEEEPS6_PKS6_NS0_5tupleIJNSA_16discard_iteratorINSA_11use_defaultEEES6_EEENSJ_IJSG_SG_EEENS0_18inequality_wrapperINSA_8equal_toIxEEEEPmJS6_EEE10hipError_tPvRmT3_T4_T5_T6_T7_T9_mT8_P12ihipStream_tbDpT10_ENKUlT_T0_E_clISt17integral_constantIbLb0EES1D_EEDaS18_S19_EUlS18_E_NS1_11comp_targetILNS1_3genE8ELNS1_11target_archE1030ELNS1_3gpuE2ELNS1_3repE0EEENS1_30default_config_static_selectorELNS0_4arch9wavefront6targetE1EEEvT1_.uses_vcc, 0
	.set _ZN7rocprim17ROCPRIM_400000_NS6detail17trampoline_kernelINS0_14default_configENS1_25partition_config_selectorILNS1_17partition_subalgoE8ExNS0_10empty_typeEbEEZZNS1_14partition_implILS5_8ELb0ES3_jN6thrust23THRUST_200600_302600_NS6detail15normal_iteratorINSA_10device_ptrIxEEEEPS6_PKS6_NS0_5tupleIJNSA_16discard_iteratorINSA_11use_defaultEEES6_EEENSJ_IJSG_SG_EEENS0_18inequality_wrapperINSA_8equal_toIxEEEEPmJS6_EEE10hipError_tPvRmT3_T4_T5_T6_T7_T9_mT8_P12ihipStream_tbDpT10_ENKUlT_T0_E_clISt17integral_constantIbLb0EES1D_EEDaS18_S19_EUlS18_E_NS1_11comp_targetILNS1_3genE8ELNS1_11target_archE1030ELNS1_3gpuE2ELNS1_3repE0EEENS1_30default_config_static_selectorELNS0_4arch9wavefront6targetE1EEEvT1_.uses_flat_scratch, 0
	.set _ZN7rocprim17ROCPRIM_400000_NS6detail17trampoline_kernelINS0_14default_configENS1_25partition_config_selectorILNS1_17partition_subalgoE8ExNS0_10empty_typeEbEEZZNS1_14partition_implILS5_8ELb0ES3_jN6thrust23THRUST_200600_302600_NS6detail15normal_iteratorINSA_10device_ptrIxEEEEPS6_PKS6_NS0_5tupleIJNSA_16discard_iteratorINSA_11use_defaultEEES6_EEENSJ_IJSG_SG_EEENS0_18inequality_wrapperINSA_8equal_toIxEEEEPmJS6_EEE10hipError_tPvRmT3_T4_T5_T6_T7_T9_mT8_P12ihipStream_tbDpT10_ENKUlT_T0_E_clISt17integral_constantIbLb0EES1D_EEDaS18_S19_EUlS18_E_NS1_11comp_targetILNS1_3genE8ELNS1_11target_archE1030ELNS1_3gpuE2ELNS1_3repE0EEENS1_30default_config_static_selectorELNS0_4arch9wavefront6targetE1EEEvT1_.has_dyn_sized_stack, 0
	.set _ZN7rocprim17ROCPRIM_400000_NS6detail17trampoline_kernelINS0_14default_configENS1_25partition_config_selectorILNS1_17partition_subalgoE8ExNS0_10empty_typeEbEEZZNS1_14partition_implILS5_8ELb0ES3_jN6thrust23THRUST_200600_302600_NS6detail15normal_iteratorINSA_10device_ptrIxEEEEPS6_PKS6_NS0_5tupleIJNSA_16discard_iteratorINSA_11use_defaultEEES6_EEENSJ_IJSG_SG_EEENS0_18inequality_wrapperINSA_8equal_toIxEEEEPmJS6_EEE10hipError_tPvRmT3_T4_T5_T6_T7_T9_mT8_P12ihipStream_tbDpT10_ENKUlT_T0_E_clISt17integral_constantIbLb0EES1D_EEDaS18_S19_EUlS18_E_NS1_11comp_targetILNS1_3genE8ELNS1_11target_archE1030ELNS1_3gpuE2ELNS1_3repE0EEENS1_30default_config_static_selectorELNS0_4arch9wavefront6targetE1EEEvT1_.has_recursion, 0
	.set _ZN7rocprim17ROCPRIM_400000_NS6detail17trampoline_kernelINS0_14default_configENS1_25partition_config_selectorILNS1_17partition_subalgoE8ExNS0_10empty_typeEbEEZZNS1_14partition_implILS5_8ELb0ES3_jN6thrust23THRUST_200600_302600_NS6detail15normal_iteratorINSA_10device_ptrIxEEEEPS6_PKS6_NS0_5tupleIJNSA_16discard_iteratorINSA_11use_defaultEEES6_EEENSJ_IJSG_SG_EEENS0_18inequality_wrapperINSA_8equal_toIxEEEEPmJS6_EEE10hipError_tPvRmT3_T4_T5_T6_T7_T9_mT8_P12ihipStream_tbDpT10_ENKUlT_T0_E_clISt17integral_constantIbLb0EES1D_EEDaS18_S19_EUlS18_E_NS1_11comp_targetILNS1_3genE8ELNS1_11target_archE1030ELNS1_3gpuE2ELNS1_3repE0EEENS1_30default_config_static_selectorELNS0_4arch9wavefront6targetE1EEEvT1_.has_indirect_call, 0
	.section	.AMDGPU.csdata,"",@progbits
; Kernel info:
; codeLenInByte = 0
; TotalNumSgprs: 4
; NumVgprs: 0
; ScratchSize: 0
; MemoryBound: 0
; FloatMode: 240
; IeeeMode: 1
; LDSByteSize: 0 bytes/workgroup (compile time only)
; SGPRBlocks: 0
; VGPRBlocks: 0
; NumSGPRsForWavesPerEU: 4
; NumVGPRsForWavesPerEU: 1
; Occupancy: 10
; WaveLimiterHint : 0
; COMPUTE_PGM_RSRC2:SCRATCH_EN: 0
; COMPUTE_PGM_RSRC2:USER_SGPR: 6
; COMPUTE_PGM_RSRC2:TRAP_HANDLER: 0
; COMPUTE_PGM_RSRC2:TGID_X_EN: 1
; COMPUTE_PGM_RSRC2:TGID_Y_EN: 0
; COMPUTE_PGM_RSRC2:TGID_Z_EN: 0
; COMPUTE_PGM_RSRC2:TIDIG_COMP_CNT: 0
	.section	.text._ZN7rocprim17ROCPRIM_400000_NS6detail17trampoline_kernelINS0_14default_configENS1_25partition_config_selectorILNS1_17partition_subalgoE8ExNS0_10empty_typeEbEEZZNS1_14partition_implILS5_8ELb0ES3_jN6thrust23THRUST_200600_302600_NS6detail15normal_iteratorINSA_10device_ptrIxEEEEPS6_PKS6_NS0_5tupleIJNSA_16discard_iteratorINSA_11use_defaultEEES6_EEENSJ_IJSG_SG_EEENS0_18inequality_wrapperINSA_8equal_toIxEEEEPmJS6_EEE10hipError_tPvRmT3_T4_T5_T6_T7_T9_mT8_P12ihipStream_tbDpT10_ENKUlT_T0_E_clISt17integral_constantIbLb1EES1D_EEDaS18_S19_EUlS18_E_NS1_11comp_targetILNS1_3genE0ELNS1_11target_archE4294967295ELNS1_3gpuE0ELNS1_3repE0EEENS1_30default_config_static_selectorELNS0_4arch9wavefront6targetE1EEEvT1_,"axG",@progbits,_ZN7rocprim17ROCPRIM_400000_NS6detail17trampoline_kernelINS0_14default_configENS1_25partition_config_selectorILNS1_17partition_subalgoE8ExNS0_10empty_typeEbEEZZNS1_14partition_implILS5_8ELb0ES3_jN6thrust23THRUST_200600_302600_NS6detail15normal_iteratorINSA_10device_ptrIxEEEEPS6_PKS6_NS0_5tupleIJNSA_16discard_iteratorINSA_11use_defaultEEES6_EEENSJ_IJSG_SG_EEENS0_18inequality_wrapperINSA_8equal_toIxEEEEPmJS6_EEE10hipError_tPvRmT3_T4_T5_T6_T7_T9_mT8_P12ihipStream_tbDpT10_ENKUlT_T0_E_clISt17integral_constantIbLb1EES1D_EEDaS18_S19_EUlS18_E_NS1_11comp_targetILNS1_3genE0ELNS1_11target_archE4294967295ELNS1_3gpuE0ELNS1_3repE0EEENS1_30default_config_static_selectorELNS0_4arch9wavefront6targetE1EEEvT1_,comdat
	.protected	_ZN7rocprim17ROCPRIM_400000_NS6detail17trampoline_kernelINS0_14default_configENS1_25partition_config_selectorILNS1_17partition_subalgoE8ExNS0_10empty_typeEbEEZZNS1_14partition_implILS5_8ELb0ES3_jN6thrust23THRUST_200600_302600_NS6detail15normal_iteratorINSA_10device_ptrIxEEEEPS6_PKS6_NS0_5tupleIJNSA_16discard_iteratorINSA_11use_defaultEEES6_EEENSJ_IJSG_SG_EEENS0_18inequality_wrapperINSA_8equal_toIxEEEEPmJS6_EEE10hipError_tPvRmT3_T4_T5_T6_T7_T9_mT8_P12ihipStream_tbDpT10_ENKUlT_T0_E_clISt17integral_constantIbLb1EES1D_EEDaS18_S19_EUlS18_E_NS1_11comp_targetILNS1_3genE0ELNS1_11target_archE4294967295ELNS1_3gpuE0ELNS1_3repE0EEENS1_30default_config_static_selectorELNS0_4arch9wavefront6targetE1EEEvT1_ ; -- Begin function _ZN7rocprim17ROCPRIM_400000_NS6detail17trampoline_kernelINS0_14default_configENS1_25partition_config_selectorILNS1_17partition_subalgoE8ExNS0_10empty_typeEbEEZZNS1_14partition_implILS5_8ELb0ES3_jN6thrust23THRUST_200600_302600_NS6detail15normal_iteratorINSA_10device_ptrIxEEEEPS6_PKS6_NS0_5tupleIJNSA_16discard_iteratorINSA_11use_defaultEEES6_EEENSJ_IJSG_SG_EEENS0_18inequality_wrapperINSA_8equal_toIxEEEEPmJS6_EEE10hipError_tPvRmT3_T4_T5_T6_T7_T9_mT8_P12ihipStream_tbDpT10_ENKUlT_T0_E_clISt17integral_constantIbLb1EES1D_EEDaS18_S19_EUlS18_E_NS1_11comp_targetILNS1_3genE0ELNS1_11target_archE4294967295ELNS1_3gpuE0ELNS1_3repE0EEENS1_30default_config_static_selectorELNS0_4arch9wavefront6targetE1EEEvT1_
	.globl	_ZN7rocprim17ROCPRIM_400000_NS6detail17trampoline_kernelINS0_14default_configENS1_25partition_config_selectorILNS1_17partition_subalgoE8ExNS0_10empty_typeEbEEZZNS1_14partition_implILS5_8ELb0ES3_jN6thrust23THRUST_200600_302600_NS6detail15normal_iteratorINSA_10device_ptrIxEEEEPS6_PKS6_NS0_5tupleIJNSA_16discard_iteratorINSA_11use_defaultEEES6_EEENSJ_IJSG_SG_EEENS0_18inequality_wrapperINSA_8equal_toIxEEEEPmJS6_EEE10hipError_tPvRmT3_T4_T5_T6_T7_T9_mT8_P12ihipStream_tbDpT10_ENKUlT_T0_E_clISt17integral_constantIbLb1EES1D_EEDaS18_S19_EUlS18_E_NS1_11comp_targetILNS1_3genE0ELNS1_11target_archE4294967295ELNS1_3gpuE0ELNS1_3repE0EEENS1_30default_config_static_selectorELNS0_4arch9wavefront6targetE1EEEvT1_
	.p2align	8
	.type	_ZN7rocprim17ROCPRIM_400000_NS6detail17trampoline_kernelINS0_14default_configENS1_25partition_config_selectorILNS1_17partition_subalgoE8ExNS0_10empty_typeEbEEZZNS1_14partition_implILS5_8ELb0ES3_jN6thrust23THRUST_200600_302600_NS6detail15normal_iteratorINSA_10device_ptrIxEEEEPS6_PKS6_NS0_5tupleIJNSA_16discard_iteratorINSA_11use_defaultEEES6_EEENSJ_IJSG_SG_EEENS0_18inequality_wrapperINSA_8equal_toIxEEEEPmJS6_EEE10hipError_tPvRmT3_T4_T5_T6_T7_T9_mT8_P12ihipStream_tbDpT10_ENKUlT_T0_E_clISt17integral_constantIbLb1EES1D_EEDaS18_S19_EUlS18_E_NS1_11comp_targetILNS1_3genE0ELNS1_11target_archE4294967295ELNS1_3gpuE0ELNS1_3repE0EEENS1_30default_config_static_selectorELNS0_4arch9wavefront6targetE1EEEvT1_,@function
_ZN7rocprim17ROCPRIM_400000_NS6detail17trampoline_kernelINS0_14default_configENS1_25partition_config_selectorILNS1_17partition_subalgoE8ExNS0_10empty_typeEbEEZZNS1_14partition_implILS5_8ELb0ES3_jN6thrust23THRUST_200600_302600_NS6detail15normal_iteratorINSA_10device_ptrIxEEEEPS6_PKS6_NS0_5tupleIJNSA_16discard_iteratorINSA_11use_defaultEEES6_EEENSJ_IJSG_SG_EEENS0_18inequality_wrapperINSA_8equal_toIxEEEEPmJS6_EEE10hipError_tPvRmT3_T4_T5_T6_T7_T9_mT8_P12ihipStream_tbDpT10_ENKUlT_T0_E_clISt17integral_constantIbLb1EES1D_EEDaS18_S19_EUlS18_E_NS1_11comp_targetILNS1_3genE0ELNS1_11target_archE4294967295ELNS1_3gpuE0ELNS1_3repE0EEENS1_30default_config_static_selectorELNS0_4arch9wavefront6targetE1EEEvT1_: ; @_ZN7rocprim17ROCPRIM_400000_NS6detail17trampoline_kernelINS0_14default_configENS1_25partition_config_selectorILNS1_17partition_subalgoE8ExNS0_10empty_typeEbEEZZNS1_14partition_implILS5_8ELb0ES3_jN6thrust23THRUST_200600_302600_NS6detail15normal_iteratorINSA_10device_ptrIxEEEEPS6_PKS6_NS0_5tupleIJNSA_16discard_iteratorINSA_11use_defaultEEES6_EEENSJ_IJSG_SG_EEENS0_18inequality_wrapperINSA_8equal_toIxEEEEPmJS6_EEE10hipError_tPvRmT3_T4_T5_T6_T7_T9_mT8_P12ihipStream_tbDpT10_ENKUlT_T0_E_clISt17integral_constantIbLb1EES1D_EEDaS18_S19_EUlS18_E_NS1_11comp_targetILNS1_3genE0ELNS1_11target_archE4294967295ELNS1_3gpuE0ELNS1_3repE0EEENS1_30default_config_static_selectorELNS0_4arch9wavefront6targetE1EEEvT1_
; %bb.0:
	.section	.rodata,"a",@progbits
	.p2align	6, 0x0
	.amdhsa_kernel _ZN7rocprim17ROCPRIM_400000_NS6detail17trampoline_kernelINS0_14default_configENS1_25partition_config_selectorILNS1_17partition_subalgoE8ExNS0_10empty_typeEbEEZZNS1_14partition_implILS5_8ELb0ES3_jN6thrust23THRUST_200600_302600_NS6detail15normal_iteratorINSA_10device_ptrIxEEEEPS6_PKS6_NS0_5tupleIJNSA_16discard_iteratorINSA_11use_defaultEEES6_EEENSJ_IJSG_SG_EEENS0_18inequality_wrapperINSA_8equal_toIxEEEEPmJS6_EEE10hipError_tPvRmT3_T4_T5_T6_T7_T9_mT8_P12ihipStream_tbDpT10_ENKUlT_T0_E_clISt17integral_constantIbLb1EES1D_EEDaS18_S19_EUlS18_E_NS1_11comp_targetILNS1_3genE0ELNS1_11target_archE4294967295ELNS1_3gpuE0ELNS1_3repE0EEENS1_30default_config_static_selectorELNS0_4arch9wavefront6targetE1EEEvT1_
		.amdhsa_group_segment_fixed_size 0
		.amdhsa_private_segment_fixed_size 0
		.amdhsa_kernarg_size 136
		.amdhsa_user_sgpr_count 6
		.amdhsa_user_sgpr_private_segment_buffer 1
		.amdhsa_user_sgpr_dispatch_ptr 0
		.amdhsa_user_sgpr_queue_ptr 0
		.amdhsa_user_sgpr_kernarg_segment_ptr 1
		.amdhsa_user_sgpr_dispatch_id 0
		.amdhsa_user_sgpr_flat_scratch_init 0
		.amdhsa_user_sgpr_private_segment_size 0
		.amdhsa_uses_dynamic_stack 0
		.amdhsa_system_sgpr_private_segment_wavefront_offset 0
		.amdhsa_system_sgpr_workgroup_id_x 1
		.amdhsa_system_sgpr_workgroup_id_y 0
		.amdhsa_system_sgpr_workgroup_id_z 0
		.amdhsa_system_sgpr_workgroup_info 0
		.amdhsa_system_vgpr_workitem_id 0
		.amdhsa_next_free_vgpr 1
		.amdhsa_next_free_sgpr 0
		.amdhsa_reserve_vcc 0
		.amdhsa_reserve_flat_scratch 0
		.amdhsa_float_round_mode_32 0
		.amdhsa_float_round_mode_16_64 0
		.amdhsa_float_denorm_mode_32 3
		.amdhsa_float_denorm_mode_16_64 3
		.amdhsa_dx10_clamp 1
		.amdhsa_ieee_mode 1
		.amdhsa_fp16_overflow 0
		.amdhsa_exception_fp_ieee_invalid_op 0
		.amdhsa_exception_fp_denorm_src 0
		.amdhsa_exception_fp_ieee_div_zero 0
		.amdhsa_exception_fp_ieee_overflow 0
		.amdhsa_exception_fp_ieee_underflow 0
		.amdhsa_exception_fp_ieee_inexact 0
		.amdhsa_exception_int_div_zero 0
	.end_amdhsa_kernel
	.section	.text._ZN7rocprim17ROCPRIM_400000_NS6detail17trampoline_kernelINS0_14default_configENS1_25partition_config_selectorILNS1_17partition_subalgoE8ExNS0_10empty_typeEbEEZZNS1_14partition_implILS5_8ELb0ES3_jN6thrust23THRUST_200600_302600_NS6detail15normal_iteratorINSA_10device_ptrIxEEEEPS6_PKS6_NS0_5tupleIJNSA_16discard_iteratorINSA_11use_defaultEEES6_EEENSJ_IJSG_SG_EEENS0_18inequality_wrapperINSA_8equal_toIxEEEEPmJS6_EEE10hipError_tPvRmT3_T4_T5_T6_T7_T9_mT8_P12ihipStream_tbDpT10_ENKUlT_T0_E_clISt17integral_constantIbLb1EES1D_EEDaS18_S19_EUlS18_E_NS1_11comp_targetILNS1_3genE0ELNS1_11target_archE4294967295ELNS1_3gpuE0ELNS1_3repE0EEENS1_30default_config_static_selectorELNS0_4arch9wavefront6targetE1EEEvT1_,"axG",@progbits,_ZN7rocprim17ROCPRIM_400000_NS6detail17trampoline_kernelINS0_14default_configENS1_25partition_config_selectorILNS1_17partition_subalgoE8ExNS0_10empty_typeEbEEZZNS1_14partition_implILS5_8ELb0ES3_jN6thrust23THRUST_200600_302600_NS6detail15normal_iteratorINSA_10device_ptrIxEEEEPS6_PKS6_NS0_5tupleIJNSA_16discard_iteratorINSA_11use_defaultEEES6_EEENSJ_IJSG_SG_EEENS0_18inequality_wrapperINSA_8equal_toIxEEEEPmJS6_EEE10hipError_tPvRmT3_T4_T5_T6_T7_T9_mT8_P12ihipStream_tbDpT10_ENKUlT_T0_E_clISt17integral_constantIbLb1EES1D_EEDaS18_S19_EUlS18_E_NS1_11comp_targetILNS1_3genE0ELNS1_11target_archE4294967295ELNS1_3gpuE0ELNS1_3repE0EEENS1_30default_config_static_selectorELNS0_4arch9wavefront6targetE1EEEvT1_,comdat
.Lfunc_end637:
	.size	_ZN7rocprim17ROCPRIM_400000_NS6detail17trampoline_kernelINS0_14default_configENS1_25partition_config_selectorILNS1_17partition_subalgoE8ExNS0_10empty_typeEbEEZZNS1_14partition_implILS5_8ELb0ES3_jN6thrust23THRUST_200600_302600_NS6detail15normal_iteratorINSA_10device_ptrIxEEEEPS6_PKS6_NS0_5tupleIJNSA_16discard_iteratorINSA_11use_defaultEEES6_EEENSJ_IJSG_SG_EEENS0_18inequality_wrapperINSA_8equal_toIxEEEEPmJS6_EEE10hipError_tPvRmT3_T4_T5_T6_T7_T9_mT8_P12ihipStream_tbDpT10_ENKUlT_T0_E_clISt17integral_constantIbLb1EES1D_EEDaS18_S19_EUlS18_E_NS1_11comp_targetILNS1_3genE0ELNS1_11target_archE4294967295ELNS1_3gpuE0ELNS1_3repE0EEENS1_30default_config_static_selectorELNS0_4arch9wavefront6targetE1EEEvT1_, .Lfunc_end637-_ZN7rocprim17ROCPRIM_400000_NS6detail17trampoline_kernelINS0_14default_configENS1_25partition_config_selectorILNS1_17partition_subalgoE8ExNS0_10empty_typeEbEEZZNS1_14partition_implILS5_8ELb0ES3_jN6thrust23THRUST_200600_302600_NS6detail15normal_iteratorINSA_10device_ptrIxEEEEPS6_PKS6_NS0_5tupleIJNSA_16discard_iteratorINSA_11use_defaultEEES6_EEENSJ_IJSG_SG_EEENS0_18inequality_wrapperINSA_8equal_toIxEEEEPmJS6_EEE10hipError_tPvRmT3_T4_T5_T6_T7_T9_mT8_P12ihipStream_tbDpT10_ENKUlT_T0_E_clISt17integral_constantIbLb1EES1D_EEDaS18_S19_EUlS18_E_NS1_11comp_targetILNS1_3genE0ELNS1_11target_archE4294967295ELNS1_3gpuE0ELNS1_3repE0EEENS1_30default_config_static_selectorELNS0_4arch9wavefront6targetE1EEEvT1_
                                        ; -- End function
	.set _ZN7rocprim17ROCPRIM_400000_NS6detail17trampoline_kernelINS0_14default_configENS1_25partition_config_selectorILNS1_17partition_subalgoE8ExNS0_10empty_typeEbEEZZNS1_14partition_implILS5_8ELb0ES3_jN6thrust23THRUST_200600_302600_NS6detail15normal_iteratorINSA_10device_ptrIxEEEEPS6_PKS6_NS0_5tupleIJNSA_16discard_iteratorINSA_11use_defaultEEES6_EEENSJ_IJSG_SG_EEENS0_18inequality_wrapperINSA_8equal_toIxEEEEPmJS6_EEE10hipError_tPvRmT3_T4_T5_T6_T7_T9_mT8_P12ihipStream_tbDpT10_ENKUlT_T0_E_clISt17integral_constantIbLb1EES1D_EEDaS18_S19_EUlS18_E_NS1_11comp_targetILNS1_3genE0ELNS1_11target_archE4294967295ELNS1_3gpuE0ELNS1_3repE0EEENS1_30default_config_static_selectorELNS0_4arch9wavefront6targetE1EEEvT1_.num_vgpr, 0
	.set _ZN7rocprim17ROCPRIM_400000_NS6detail17trampoline_kernelINS0_14default_configENS1_25partition_config_selectorILNS1_17partition_subalgoE8ExNS0_10empty_typeEbEEZZNS1_14partition_implILS5_8ELb0ES3_jN6thrust23THRUST_200600_302600_NS6detail15normal_iteratorINSA_10device_ptrIxEEEEPS6_PKS6_NS0_5tupleIJNSA_16discard_iteratorINSA_11use_defaultEEES6_EEENSJ_IJSG_SG_EEENS0_18inequality_wrapperINSA_8equal_toIxEEEEPmJS6_EEE10hipError_tPvRmT3_T4_T5_T6_T7_T9_mT8_P12ihipStream_tbDpT10_ENKUlT_T0_E_clISt17integral_constantIbLb1EES1D_EEDaS18_S19_EUlS18_E_NS1_11comp_targetILNS1_3genE0ELNS1_11target_archE4294967295ELNS1_3gpuE0ELNS1_3repE0EEENS1_30default_config_static_selectorELNS0_4arch9wavefront6targetE1EEEvT1_.num_agpr, 0
	.set _ZN7rocprim17ROCPRIM_400000_NS6detail17trampoline_kernelINS0_14default_configENS1_25partition_config_selectorILNS1_17partition_subalgoE8ExNS0_10empty_typeEbEEZZNS1_14partition_implILS5_8ELb0ES3_jN6thrust23THRUST_200600_302600_NS6detail15normal_iteratorINSA_10device_ptrIxEEEEPS6_PKS6_NS0_5tupleIJNSA_16discard_iteratorINSA_11use_defaultEEES6_EEENSJ_IJSG_SG_EEENS0_18inequality_wrapperINSA_8equal_toIxEEEEPmJS6_EEE10hipError_tPvRmT3_T4_T5_T6_T7_T9_mT8_P12ihipStream_tbDpT10_ENKUlT_T0_E_clISt17integral_constantIbLb1EES1D_EEDaS18_S19_EUlS18_E_NS1_11comp_targetILNS1_3genE0ELNS1_11target_archE4294967295ELNS1_3gpuE0ELNS1_3repE0EEENS1_30default_config_static_selectorELNS0_4arch9wavefront6targetE1EEEvT1_.numbered_sgpr, 0
	.set _ZN7rocprim17ROCPRIM_400000_NS6detail17trampoline_kernelINS0_14default_configENS1_25partition_config_selectorILNS1_17partition_subalgoE8ExNS0_10empty_typeEbEEZZNS1_14partition_implILS5_8ELb0ES3_jN6thrust23THRUST_200600_302600_NS6detail15normal_iteratorINSA_10device_ptrIxEEEEPS6_PKS6_NS0_5tupleIJNSA_16discard_iteratorINSA_11use_defaultEEES6_EEENSJ_IJSG_SG_EEENS0_18inequality_wrapperINSA_8equal_toIxEEEEPmJS6_EEE10hipError_tPvRmT3_T4_T5_T6_T7_T9_mT8_P12ihipStream_tbDpT10_ENKUlT_T0_E_clISt17integral_constantIbLb1EES1D_EEDaS18_S19_EUlS18_E_NS1_11comp_targetILNS1_3genE0ELNS1_11target_archE4294967295ELNS1_3gpuE0ELNS1_3repE0EEENS1_30default_config_static_selectorELNS0_4arch9wavefront6targetE1EEEvT1_.num_named_barrier, 0
	.set _ZN7rocprim17ROCPRIM_400000_NS6detail17trampoline_kernelINS0_14default_configENS1_25partition_config_selectorILNS1_17partition_subalgoE8ExNS0_10empty_typeEbEEZZNS1_14partition_implILS5_8ELb0ES3_jN6thrust23THRUST_200600_302600_NS6detail15normal_iteratorINSA_10device_ptrIxEEEEPS6_PKS6_NS0_5tupleIJNSA_16discard_iteratorINSA_11use_defaultEEES6_EEENSJ_IJSG_SG_EEENS0_18inequality_wrapperINSA_8equal_toIxEEEEPmJS6_EEE10hipError_tPvRmT3_T4_T5_T6_T7_T9_mT8_P12ihipStream_tbDpT10_ENKUlT_T0_E_clISt17integral_constantIbLb1EES1D_EEDaS18_S19_EUlS18_E_NS1_11comp_targetILNS1_3genE0ELNS1_11target_archE4294967295ELNS1_3gpuE0ELNS1_3repE0EEENS1_30default_config_static_selectorELNS0_4arch9wavefront6targetE1EEEvT1_.private_seg_size, 0
	.set _ZN7rocprim17ROCPRIM_400000_NS6detail17trampoline_kernelINS0_14default_configENS1_25partition_config_selectorILNS1_17partition_subalgoE8ExNS0_10empty_typeEbEEZZNS1_14partition_implILS5_8ELb0ES3_jN6thrust23THRUST_200600_302600_NS6detail15normal_iteratorINSA_10device_ptrIxEEEEPS6_PKS6_NS0_5tupleIJNSA_16discard_iteratorINSA_11use_defaultEEES6_EEENSJ_IJSG_SG_EEENS0_18inequality_wrapperINSA_8equal_toIxEEEEPmJS6_EEE10hipError_tPvRmT3_T4_T5_T6_T7_T9_mT8_P12ihipStream_tbDpT10_ENKUlT_T0_E_clISt17integral_constantIbLb1EES1D_EEDaS18_S19_EUlS18_E_NS1_11comp_targetILNS1_3genE0ELNS1_11target_archE4294967295ELNS1_3gpuE0ELNS1_3repE0EEENS1_30default_config_static_selectorELNS0_4arch9wavefront6targetE1EEEvT1_.uses_vcc, 0
	.set _ZN7rocprim17ROCPRIM_400000_NS6detail17trampoline_kernelINS0_14default_configENS1_25partition_config_selectorILNS1_17partition_subalgoE8ExNS0_10empty_typeEbEEZZNS1_14partition_implILS5_8ELb0ES3_jN6thrust23THRUST_200600_302600_NS6detail15normal_iteratorINSA_10device_ptrIxEEEEPS6_PKS6_NS0_5tupleIJNSA_16discard_iteratorINSA_11use_defaultEEES6_EEENSJ_IJSG_SG_EEENS0_18inequality_wrapperINSA_8equal_toIxEEEEPmJS6_EEE10hipError_tPvRmT3_T4_T5_T6_T7_T9_mT8_P12ihipStream_tbDpT10_ENKUlT_T0_E_clISt17integral_constantIbLb1EES1D_EEDaS18_S19_EUlS18_E_NS1_11comp_targetILNS1_3genE0ELNS1_11target_archE4294967295ELNS1_3gpuE0ELNS1_3repE0EEENS1_30default_config_static_selectorELNS0_4arch9wavefront6targetE1EEEvT1_.uses_flat_scratch, 0
	.set _ZN7rocprim17ROCPRIM_400000_NS6detail17trampoline_kernelINS0_14default_configENS1_25partition_config_selectorILNS1_17partition_subalgoE8ExNS0_10empty_typeEbEEZZNS1_14partition_implILS5_8ELb0ES3_jN6thrust23THRUST_200600_302600_NS6detail15normal_iteratorINSA_10device_ptrIxEEEEPS6_PKS6_NS0_5tupleIJNSA_16discard_iteratorINSA_11use_defaultEEES6_EEENSJ_IJSG_SG_EEENS0_18inequality_wrapperINSA_8equal_toIxEEEEPmJS6_EEE10hipError_tPvRmT3_T4_T5_T6_T7_T9_mT8_P12ihipStream_tbDpT10_ENKUlT_T0_E_clISt17integral_constantIbLb1EES1D_EEDaS18_S19_EUlS18_E_NS1_11comp_targetILNS1_3genE0ELNS1_11target_archE4294967295ELNS1_3gpuE0ELNS1_3repE0EEENS1_30default_config_static_selectorELNS0_4arch9wavefront6targetE1EEEvT1_.has_dyn_sized_stack, 0
	.set _ZN7rocprim17ROCPRIM_400000_NS6detail17trampoline_kernelINS0_14default_configENS1_25partition_config_selectorILNS1_17partition_subalgoE8ExNS0_10empty_typeEbEEZZNS1_14partition_implILS5_8ELb0ES3_jN6thrust23THRUST_200600_302600_NS6detail15normal_iteratorINSA_10device_ptrIxEEEEPS6_PKS6_NS0_5tupleIJNSA_16discard_iteratorINSA_11use_defaultEEES6_EEENSJ_IJSG_SG_EEENS0_18inequality_wrapperINSA_8equal_toIxEEEEPmJS6_EEE10hipError_tPvRmT3_T4_T5_T6_T7_T9_mT8_P12ihipStream_tbDpT10_ENKUlT_T0_E_clISt17integral_constantIbLb1EES1D_EEDaS18_S19_EUlS18_E_NS1_11comp_targetILNS1_3genE0ELNS1_11target_archE4294967295ELNS1_3gpuE0ELNS1_3repE0EEENS1_30default_config_static_selectorELNS0_4arch9wavefront6targetE1EEEvT1_.has_recursion, 0
	.set _ZN7rocprim17ROCPRIM_400000_NS6detail17trampoline_kernelINS0_14default_configENS1_25partition_config_selectorILNS1_17partition_subalgoE8ExNS0_10empty_typeEbEEZZNS1_14partition_implILS5_8ELb0ES3_jN6thrust23THRUST_200600_302600_NS6detail15normal_iteratorINSA_10device_ptrIxEEEEPS6_PKS6_NS0_5tupleIJNSA_16discard_iteratorINSA_11use_defaultEEES6_EEENSJ_IJSG_SG_EEENS0_18inequality_wrapperINSA_8equal_toIxEEEEPmJS6_EEE10hipError_tPvRmT3_T4_T5_T6_T7_T9_mT8_P12ihipStream_tbDpT10_ENKUlT_T0_E_clISt17integral_constantIbLb1EES1D_EEDaS18_S19_EUlS18_E_NS1_11comp_targetILNS1_3genE0ELNS1_11target_archE4294967295ELNS1_3gpuE0ELNS1_3repE0EEENS1_30default_config_static_selectorELNS0_4arch9wavefront6targetE1EEEvT1_.has_indirect_call, 0
	.section	.AMDGPU.csdata,"",@progbits
; Kernel info:
; codeLenInByte = 0
; TotalNumSgprs: 4
; NumVgprs: 0
; ScratchSize: 0
; MemoryBound: 0
; FloatMode: 240
; IeeeMode: 1
; LDSByteSize: 0 bytes/workgroup (compile time only)
; SGPRBlocks: 0
; VGPRBlocks: 0
; NumSGPRsForWavesPerEU: 4
; NumVGPRsForWavesPerEU: 1
; Occupancy: 10
; WaveLimiterHint : 0
; COMPUTE_PGM_RSRC2:SCRATCH_EN: 0
; COMPUTE_PGM_RSRC2:USER_SGPR: 6
; COMPUTE_PGM_RSRC2:TRAP_HANDLER: 0
; COMPUTE_PGM_RSRC2:TGID_X_EN: 1
; COMPUTE_PGM_RSRC2:TGID_Y_EN: 0
; COMPUTE_PGM_RSRC2:TGID_Z_EN: 0
; COMPUTE_PGM_RSRC2:TIDIG_COMP_CNT: 0
	.section	.text._ZN7rocprim17ROCPRIM_400000_NS6detail17trampoline_kernelINS0_14default_configENS1_25partition_config_selectorILNS1_17partition_subalgoE8ExNS0_10empty_typeEbEEZZNS1_14partition_implILS5_8ELb0ES3_jN6thrust23THRUST_200600_302600_NS6detail15normal_iteratorINSA_10device_ptrIxEEEEPS6_PKS6_NS0_5tupleIJNSA_16discard_iteratorINSA_11use_defaultEEES6_EEENSJ_IJSG_SG_EEENS0_18inequality_wrapperINSA_8equal_toIxEEEEPmJS6_EEE10hipError_tPvRmT3_T4_T5_T6_T7_T9_mT8_P12ihipStream_tbDpT10_ENKUlT_T0_E_clISt17integral_constantIbLb1EES1D_EEDaS18_S19_EUlS18_E_NS1_11comp_targetILNS1_3genE5ELNS1_11target_archE942ELNS1_3gpuE9ELNS1_3repE0EEENS1_30default_config_static_selectorELNS0_4arch9wavefront6targetE1EEEvT1_,"axG",@progbits,_ZN7rocprim17ROCPRIM_400000_NS6detail17trampoline_kernelINS0_14default_configENS1_25partition_config_selectorILNS1_17partition_subalgoE8ExNS0_10empty_typeEbEEZZNS1_14partition_implILS5_8ELb0ES3_jN6thrust23THRUST_200600_302600_NS6detail15normal_iteratorINSA_10device_ptrIxEEEEPS6_PKS6_NS0_5tupleIJNSA_16discard_iteratorINSA_11use_defaultEEES6_EEENSJ_IJSG_SG_EEENS0_18inequality_wrapperINSA_8equal_toIxEEEEPmJS6_EEE10hipError_tPvRmT3_T4_T5_T6_T7_T9_mT8_P12ihipStream_tbDpT10_ENKUlT_T0_E_clISt17integral_constantIbLb1EES1D_EEDaS18_S19_EUlS18_E_NS1_11comp_targetILNS1_3genE5ELNS1_11target_archE942ELNS1_3gpuE9ELNS1_3repE0EEENS1_30default_config_static_selectorELNS0_4arch9wavefront6targetE1EEEvT1_,comdat
	.protected	_ZN7rocprim17ROCPRIM_400000_NS6detail17trampoline_kernelINS0_14default_configENS1_25partition_config_selectorILNS1_17partition_subalgoE8ExNS0_10empty_typeEbEEZZNS1_14partition_implILS5_8ELb0ES3_jN6thrust23THRUST_200600_302600_NS6detail15normal_iteratorINSA_10device_ptrIxEEEEPS6_PKS6_NS0_5tupleIJNSA_16discard_iteratorINSA_11use_defaultEEES6_EEENSJ_IJSG_SG_EEENS0_18inequality_wrapperINSA_8equal_toIxEEEEPmJS6_EEE10hipError_tPvRmT3_T4_T5_T6_T7_T9_mT8_P12ihipStream_tbDpT10_ENKUlT_T0_E_clISt17integral_constantIbLb1EES1D_EEDaS18_S19_EUlS18_E_NS1_11comp_targetILNS1_3genE5ELNS1_11target_archE942ELNS1_3gpuE9ELNS1_3repE0EEENS1_30default_config_static_selectorELNS0_4arch9wavefront6targetE1EEEvT1_ ; -- Begin function _ZN7rocprim17ROCPRIM_400000_NS6detail17trampoline_kernelINS0_14default_configENS1_25partition_config_selectorILNS1_17partition_subalgoE8ExNS0_10empty_typeEbEEZZNS1_14partition_implILS5_8ELb0ES3_jN6thrust23THRUST_200600_302600_NS6detail15normal_iteratorINSA_10device_ptrIxEEEEPS6_PKS6_NS0_5tupleIJNSA_16discard_iteratorINSA_11use_defaultEEES6_EEENSJ_IJSG_SG_EEENS0_18inequality_wrapperINSA_8equal_toIxEEEEPmJS6_EEE10hipError_tPvRmT3_T4_T5_T6_T7_T9_mT8_P12ihipStream_tbDpT10_ENKUlT_T0_E_clISt17integral_constantIbLb1EES1D_EEDaS18_S19_EUlS18_E_NS1_11comp_targetILNS1_3genE5ELNS1_11target_archE942ELNS1_3gpuE9ELNS1_3repE0EEENS1_30default_config_static_selectorELNS0_4arch9wavefront6targetE1EEEvT1_
	.globl	_ZN7rocprim17ROCPRIM_400000_NS6detail17trampoline_kernelINS0_14default_configENS1_25partition_config_selectorILNS1_17partition_subalgoE8ExNS0_10empty_typeEbEEZZNS1_14partition_implILS5_8ELb0ES3_jN6thrust23THRUST_200600_302600_NS6detail15normal_iteratorINSA_10device_ptrIxEEEEPS6_PKS6_NS0_5tupleIJNSA_16discard_iteratorINSA_11use_defaultEEES6_EEENSJ_IJSG_SG_EEENS0_18inequality_wrapperINSA_8equal_toIxEEEEPmJS6_EEE10hipError_tPvRmT3_T4_T5_T6_T7_T9_mT8_P12ihipStream_tbDpT10_ENKUlT_T0_E_clISt17integral_constantIbLb1EES1D_EEDaS18_S19_EUlS18_E_NS1_11comp_targetILNS1_3genE5ELNS1_11target_archE942ELNS1_3gpuE9ELNS1_3repE0EEENS1_30default_config_static_selectorELNS0_4arch9wavefront6targetE1EEEvT1_
	.p2align	8
	.type	_ZN7rocprim17ROCPRIM_400000_NS6detail17trampoline_kernelINS0_14default_configENS1_25partition_config_selectorILNS1_17partition_subalgoE8ExNS0_10empty_typeEbEEZZNS1_14partition_implILS5_8ELb0ES3_jN6thrust23THRUST_200600_302600_NS6detail15normal_iteratorINSA_10device_ptrIxEEEEPS6_PKS6_NS0_5tupleIJNSA_16discard_iteratorINSA_11use_defaultEEES6_EEENSJ_IJSG_SG_EEENS0_18inequality_wrapperINSA_8equal_toIxEEEEPmJS6_EEE10hipError_tPvRmT3_T4_T5_T6_T7_T9_mT8_P12ihipStream_tbDpT10_ENKUlT_T0_E_clISt17integral_constantIbLb1EES1D_EEDaS18_S19_EUlS18_E_NS1_11comp_targetILNS1_3genE5ELNS1_11target_archE942ELNS1_3gpuE9ELNS1_3repE0EEENS1_30default_config_static_selectorELNS0_4arch9wavefront6targetE1EEEvT1_,@function
_ZN7rocprim17ROCPRIM_400000_NS6detail17trampoline_kernelINS0_14default_configENS1_25partition_config_selectorILNS1_17partition_subalgoE8ExNS0_10empty_typeEbEEZZNS1_14partition_implILS5_8ELb0ES3_jN6thrust23THRUST_200600_302600_NS6detail15normal_iteratorINSA_10device_ptrIxEEEEPS6_PKS6_NS0_5tupleIJNSA_16discard_iteratorINSA_11use_defaultEEES6_EEENSJ_IJSG_SG_EEENS0_18inequality_wrapperINSA_8equal_toIxEEEEPmJS6_EEE10hipError_tPvRmT3_T4_T5_T6_T7_T9_mT8_P12ihipStream_tbDpT10_ENKUlT_T0_E_clISt17integral_constantIbLb1EES1D_EEDaS18_S19_EUlS18_E_NS1_11comp_targetILNS1_3genE5ELNS1_11target_archE942ELNS1_3gpuE9ELNS1_3repE0EEENS1_30default_config_static_selectorELNS0_4arch9wavefront6targetE1EEEvT1_: ; @_ZN7rocprim17ROCPRIM_400000_NS6detail17trampoline_kernelINS0_14default_configENS1_25partition_config_selectorILNS1_17partition_subalgoE8ExNS0_10empty_typeEbEEZZNS1_14partition_implILS5_8ELb0ES3_jN6thrust23THRUST_200600_302600_NS6detail15normal_iteratorINSA_10device_ptrIxEEEEPS6_PKS6_NS0_5tupleIJNSA_16discard_iteratorINSA_11use_defaultEEES6_EEENSJ_IJSG_SG_EEENS0_18inequality_wrapperINSA_8equal_toIxEEEEPmJS6_EEE10hipError_tPvRmT3_T4_T5_T6_T7_T9_mT8_P12ihipStream_tbDpT10_ENKUlT_T0_E_clISt17integral_constantIbLb1EES1D_EEDaS18_S19_EUlS18_E_NS1_11comp_targetILNS1_3genE5ELNS1_11target_archE942ELNS1_3gpuE9ELNS1_3repE0EEENS1_30default_config_static_selectorELNS0_4arch9wavefront6targetE1EEEvT1_
; %bb.0:
	.section	.rodata,"a",@progbits
	.p2align	6, 0x0
	.amdhsa_kernel _ZN7rocprim17ROCPRIM_400000_NS6detail17trampoline_kernelINS0_14default_configENS1_25partition_config_selectorILNS1_17partition_subalgoE8ExNS0_10empty_typeEbEEZZNS1_14partition_implILS5_8ELb0ES3_jN6thrust23THRUST_200600_302600_NS6detail15normal_iteratorINSA_10device_ptrIxEEEEPS6_PKS6_NS0_5tupleIJNSA_16discard_iteratorINSA_11use_defaultEEES6_EEENSJ_IJSG_SG_EEENS0_18inequality_wrapperINSA_8equal_toIxEEEEPmJS6_EEE10hipError_tPvRmT3_T4_T5_T6_T7_T9_mT8_P12ihipStream_tbDpT10_ENKUlT_T0_E_clISt17integral_constantIbLb1EES1D_EEDaS18_S19_EUlS18_E_NS1_11comp_targetILNS1_3genE5ELNS1_11target_archE942ELNS1_3gpuE9ELNS1_3repE0EEENS1_30default_config_static_selectorELNS0_4arch9wavefront6targetE1EEEvT1_
		.amdhsa_group_segment_fixed_size 0
		.amdhsa_private_segment_fixed_size 0
		.amdhsa_kernarg_size 136
		.amdhsa_user_sgpr_count 6
		.amdhsa_user_sgpr_private_segment_buffer 1
		.amdhsa_user_sgpr_dispatch_ptr 0
		.amdhsa_user_sgpr_queue_ptr 0
		.amdhsa_user_sgpr_kernarg_segment_ptr 1
		.amdhsa_user_sgpr_dispatch_id 0
		.amdhsa_user_sgpr_flat_scratch_init 0
		.amdhsa_user_sgpr_private_segment_size 0
		.amdhsa_uses_dynamic_stack 0
		.amdhsa_system_sgpr_private_segment_wavefront_offset 0
		.amdhsa_system_sgpr_workgroup_id_x 1
		.amdhsa_system_sgpr_workgroup_id_y 0
		.amdhsa_system_sgpr_workgroup_id_z 0
		.amdhsa_system_sgpr_workgroup_info 0
		.amdhsa_system_vgpr_workitem_id 0
		.amdhsa_next_free_vgpr 1
		.amdhsa_next_free_sgpr 0
		.amdhsa_reserve_vcc 0
		.amdhsa_reserve_flat_scratch 0
		.amdhsa_float_round_mode_32 0
		.amdhsa_float_round_mode_16_64 0
		.amdhsa_float_denorm_mode_32 3
		.amdhsa_float_denorm_mode_16_64 3
		.amdhsa_dx10_clamp 1
		.amdhsa_ieee_mode 1
		.amdhsa_fp16_overflow 0
		.amdhsa_exception_fp_ieee_invalid_op 0
		.amdhsa_exception_fp_denorm_src 0
		.amdhsa_exception_fp_ieee_div_zero 0
		.amdhsa_exception_fp_ieee_overflow 0
		.amdhsa_exception_fp_ieee_underflow 0
		.amdhsa_exception_fp_ieee_inexact 0
		.amdhsa_exception_int_div_zero 0
	.end_amdhsa_kernel
	.section	.text._ZN7rocprim17ROCPRIM_400000_NS6detail17trampoline_kernelINS0_14default_configENS1_25partition_config_selectorILNS1_17partition_subalgoE8ExNS0_10empty_typeEbEEZZNS1_14partition_implILS5_8ELb0ES3_jN6thrust23THRUST_200600_302600_NS6detail15normal_iteratorINSA_10device_ptrIxEEEEPS6_PKS6_NS0_5tupleIJNSA_16discard_iteratorINSA_11use_defaultEEES6_EEENSJ_IJSG_SG_EEENS0_18inequality_wrapperINSA_8equal_toIxEEEEPmJS6_EEE10hipError_tPvRmT3_T4_T5_T6_T7_T9_mT8_P12ihipStream_tbDpT10_ENKUlT_T0_E_clISt17integral_constantIbLb1EES1D_EEDaS18_S19_EUlS18_E_NS1_11comp_targetILNS1_3genE5ELNS1_11target_archE942ELNS1_3gpuE9ELNS1_3repE0EEENS1_30default_config_static_selectorELNS0_4arch9wavefront6targetE1EEEvT1_,"axG",@progbits,_ZN7rocprim17ROCPRIM_400000_NS6detail17trampoline_kernelINS0_14default_configENS1_25partition_config_selectorILNS1_17partition_subalgoE8ExNS0_10empty_typeEbEEZZNS1_14partition_implILS5_8ELb0ES3_jN6thrust23THRUST_200600_302600_NS6detail15normal_iteratorINSA_10device_ptrIxEEEEPS6_PKS6_NS0_5tupleIJNSA_16discard_iteratorINSA_11use_defaultEEES6_EEENSJ_IJSG_SG_EEENS0_18inequality_wrapperINSA_8equal_toIxEEEEPmJS6_EEE10hipError_tPvRmT3_T4_T5_T6_T7_T9_mT8_P12ihipStream_tbDpT10_ENKUlT_T0_E_clISt17integral_constantIbLb1EES1D_EEDaS18_S19_EUlS18_E_NS1_11comp_targetILNS1_3genE5ELNS1_11target_archE942ELNS1_3gpuE9ELNS1_3repE0EEENS1_30default_config_static_selectorELNS0_4arch9wavefront6targetE1EEEvT1_,comdat
.Lfunc_end638:
	.size	_ZN7rocprim17ROCPRIM_400000_NS6detail17trampoline_kernelINS0_14default_configENS1_25partition_config_selectorILNS1_17partition_subalgoE8ExNS0_10empty_typeEbEEZZNS1_14partition_implILS5_8ELb0ES3_jN6thrust23THRUST_200600_302600_NS6detail15normal_iteratorINSA_10device_ptrIxEEEEPS6_PKS6_NS0_5tupleIJNSA_16discard_iteratorINSA_11use_defaultEEES6_EEENSJ_IJSG_SG_EEENS0_18inequality_wrapperINSA_8equal_toIxEEEEPmJS6_EEE10hipError_tPvRmT3_T4_T5_T6_T7_T9_mT8_P12ihipStream_tbDpT10_ENKUlT_T0_E_clISt17integral_constantIbLb1EES1D_EEDaS18_S19_EUlS18_E_NS1_11comp_targetILNS1_3genE5ELNS1_11target_archE942ELNS1_3gpuE9ELNS1_3repE0EEENS1_30default_config_static_selectorELNS0_4arch9wavefront6targetE1EEEvT1_, .Lfunc_end638-_ZN7rocprim17ROCPRIM_400000_NS6detail17trampoline_kernelINS0_14default_configENS1_25partition_config_selectorILNS1_17partition_subalgoE8ExNS0_10empty_typeEbEEZZNS1_14partition_implILS5_8ELb0ES3_jN6thrust23THRUST_200600_302600_NS6detail15normal_iteratorINSA_10device_ptrIxEEEEPS6_PKS6_NS0_5tupleIJNSA_16discard_iteratorINSA_11use_defaultEEES6_EEENSJ_IJSG_SG_EEENS0_18inequality_wrapperINSA_8equal_toIxEEEEPmJS6_EEE10hipError_tPvRmT3_T4_T5_T6_T7_T9_mT8_P12ihipStream_tbDpT10_ENKUlT_T0_E_clISt17integral_constantIbLb1EES1D_EEDaS18_S19_EUlS18_E_NS1_11comp_targetILNS1_3genE5ELNS1_11target_archE942ELNS1_3gpuE9ELNS1_3repE0EEENS1_30default_config_static_selectorELNS0_4arch9wavefront6targetE1EEEvT1_
                                        ; -- End function
	.set _ZN7rocprim17ROCPRIM_400000_NS6detail17trampoline_kernelINS0_14default_configENS1_25partition_config_selectorILNS1_17partition_subalgoE8ExNS0_10empty_typeEbEEZZNS1_14partition_implILS5_8ELb0ES3_jN6thrust23THRUST_200600_302600_NS6detail15normal_iteratorINSA_10device_ptrIxEEEEPS6_PKS6_NS0_5tupleIJNSA_16discard_iteratorINSA_11use_defaultEEES6_EEENSJ_IJSG_SG_EEENS0_18inequality_wrapperINSA_8equal_toIxEEEEPmJS6_EEE10hipError_tPvRmT3_T4_T5_T6_T7_T9_mT8_P12ihipStream_tbDpT10_ENKUlT_T0_E_clISt17integral_constantIbLb1EES1D_EEDaS18_S19_EUlS18_E_NS1_11comp_targetILNS1_3genE5ELNS1_11target_archE942ELNS1_3gpuE9ELNS1_3repE0EEENS1_30default_config_static_selectorELNS0_4arch9wavefront6targetE1EEEvT1_.num_vgpr, 0
	.set _ZN7rocprim17ROCPRIM_400000_NS6detail17trampoline_kernelINS0_14default_configENS1_25partition_config_selectorILNS1_17partition_subalgoE8ExNS0_10empty_typeEbEEZZNS1_14partition_implILS5_8ELb0ES3_jN6thrust23THRUST_200600_302600_NS6detail15normal_iteratorINSA_10device_ptrIxEEEEPS6_PKS6_NS0_5tupleIJNSA_16discard_iteratorINSA_11use_defaultEEES6_EEENSJ_IJSG_SG_EEENS0_18inequality_wrapperINSA_8equal_toIxEEEEPmJS6_EEE10hipError_tPvRmT3_T4_T5_T6_T7_T9_mT8_P12ihipStream_tbDpT10_ENKUlT_T0_E_clISt17integral_constantIbLb1EES1D_EEDaS18_S19_EUlS18_E_NS1_11comp_targetILNS1_3genE5ELNS1_11target_archE942ELNS1_3gpuE9ELNS1_3repE0EEENS1_30default_config_static_selectorELNS0_4arch9wavefront6targetE1EEEvT1_.num_agpr, 0
	.set _ZN7rocprim17ROCPRIM_400000_NS6detail17trampoline_kernelINS0_14default_configENS1_25partition_config_selectorILNS1_17partition_subalgoE8ExNS0_10empty_typeEbEEZZNS1_14partition_implILS5_8ELb0ES3_jN6thrust23THRUST_200600_302600_NS6detail15normal_iteratorINSA_10device_ptrIxEEEEPS6_PKS6_NS0_5tupleIJNSA_16discard_iteratorINSA_11use_defaultEEES6_EEENSJ_IJSG_SG_EEENS0_18inequality_wrapperINSA_8equal_toIxEEEEPmJS6_EEE10hipError_tPvRmT3_T4_T5_T6_T7_T9_mT8_P12ihipStream_tbDpT10_ENKUlT_T0_E_clISt17integral_constantIbLb1EES1D_EEDaS18_S19_EUlS18_E_NS1_11comp_targetILNS1_3genE5ELNS1_11target_archE942ELNS1_3gpuE9ELNS1_3repE0EEENS1_30default_config_static_selectorELNS0_4arch9wavefront6targetE1EEEvT1_.numbered_sgpr, 0
	.set _ZN7rocprim17ROCPRIM_400000_NS6detail17trampoline_kernelINS0_14default_configENS1_25partition_config_selectorILNS1_17partition_subalgoE8ExNS0_10empty_typeEbEEZZNS1_14partition_implILS5_8ELb0ES3_jN6thrust23THRUST_200600_302600_NS6detail15normal_iteratorINSA_10device_ptrIxEEEEPS6_PKS6_NS0_5tupleIJNSA_16discard_iteratorINSA_11use_defaultEEES6_EEENSJ_IJSG_SG_EEENS0_18inequality_wrapperINSA_8equal_toIxEEEEPmJS6_EEE10hipError_tPvRmT3_T4_T5_T6_T7_T9_mT8_P12ihipStream_tbDpT10_ENKUlT_T0_E_clISt17integral_constantIbLb1EES1D_EEDaS18_S19_EUlS18_E_NS1_11comp_targetILNS1_3genE5ELNS1_11target_archE942ELNS1_3gpuE9ELNS1_3repE0EEENS1_30default_config_static_selectorELNS0_4arch9wavefront6targetE1EEEvT1_.num_named_barrier, 0
	.set _ZN7rocprim17ROCPRIM_400000_NS6detail17trampoline_kernelINS0_14default_configENS1_25partition_config_selectorILNS1_17partition_subalgoE8ExNS0_10empty_typeEbEEZZNS1_14partition_implILS5_8ELb0ES3_jN6thrust23THRUST_200600_302600_NS6detail15normal_iteratorINSA_10device_ptrIxEEEEPS6_PKS6_NS0_5tupleIJNSA_16discard_iteratorINSA_11use_defaultEEES6_EEENSJ_IJSG_SG_EEENS0_18inequality_wrapperINSA_8equal_toIxEEEEPmJS6_EEE10hipError_tPvRmT3_T4_T5_T6_T7_T9_mT8_P12ihipStream_tbDpT10_ENKUlT_T0_E_clISt17integral_constantIbLb1EES1D_EEDaS18_S19_EUlS18_E_NS1_11comp_targetILNS1_3genE5ELNS1_11target_archE942ELNS1_3gpuE9ELNS1_3repE0EEENS1_30default_config_static_selectorELNS0_4arch9wavefront6targetE1EEEvT1_.private_seg_size, 0
	.set _ZN7rocprim17ROCPRIM_400000_NS6detail17trampoline_kernelINS0_14default_configENS1_25partition_config_selectorILNS1_17partition_subalgoE8ExNS0_10empty_typeEbEEZZNS1_14partition_implILS5_8ELb0ES3_jN6thrust23THRUST_200600_302600_NS6detail15normal_iteratorINSA_10device_ptrIxEEEEPS6_PKS6_NS0_5tupleIJNSA_16discard_iteratorINSA_11use_defaultEEES6_EEENSJ_IJSG_SG_EEENS0_18inequality_wrapperINSA_8equal_toIxEEEEPmJS6_EEE10hipError_tPvRmT3_T4_T5_T6_T7_T9_mT8_P12ihipStream_tbDpT10_ENKUlT_T0_E_clISt17integral_constantIbLb1EES1D_EEDaS18_S19_EUlS18_E_NS1_11comp_targetILNS1_3genE5ELNS1_11target_archE942ELNS1_3gpuE9ELNS1_3repE0EEENS1_30default_config_static_selectorELNS0_4arch9wavefront6targetE1EEEvT1_.uses_vcc, 0
	.set _ZN7rocprim17ROCPRIM_400000_NS6detail17trampoline_kernelINS0_14default_configENS1_25partition_config_selectorILNS1_17partition_subalgoE8ExNS0_10empty_typeEbEEZZNS1_14partition_implILS5_8ELb0ES3_jN6thrust23THRUST_200600_302600_NS6detail15normal_iteratorINSA_10device_ptrIxEEEEPS6_PKS6_NS0_5tupleIJNSA_16discard_iteratorINSA_11use_defaultEEES6_EEENSJ_IJSG_SG_EEENS0_18inequality_wrapperINSA_8equal_toIxEEEEPmJS6_EEE10hipError_tPvRmT3_T4_T5_T6_T7_T9_mT8_P12ihipStream_tbDpT10_ENKUlT_T0_E_clISt17integral_constantIbLb1EES1D_EEDaS18_S19_EUlS18_E_NS1_11comp_targetILNS1_3genE5ELNS1_11target_archE942ELNS1_3gpuE9ELNS1_3repE0EEENS1_30default_config_static_selectorELNS0_4arch9wavefront6targetE1EEEvT1_.uses_flat_scratch, 0
	.set _ZN7rocprim17ROCPRIM_400000_NS6detail17trampoline_kernelINS0_14default_configENS1_25partition_config_selectorILNS1_17partition_subalgoE8ExNS0_10empty_typeEbEEZZNS1_14partition_implILS5_8ELb0ES3_jN6thrust23THRUST_200600_302600_NS6detail15normal_iteratorINSA_10device_ptrIxEEEEPS6_PKS6_NS0_5tupleIJNSA_16discard_iteratorINSA_11use_defaultEEES6_EEENSJ_IJSG_SG_EEENS0_18inequality_wrapperINSA_8equal_toIxEEEEPmJS6_EEE10hipError_tPvRmT3_T4_T5_T6_T7_T9_mT8_P12ihipStream_tbDpT10_ENKUlT_T0_E_clISt17integral_constantIbLb1EES1D_EEDaS18_S19_EUlS18_E_NS1_11comp_targetILNS1_3genE5ELNS1_11target_archE942ELNS1_3gpuE9ELNS1_3repE0EEENS1_30default_config_static_selectorELNS0_4arch9wavefront6targetE1EEEvT1_.has_dyn_sized_stack, 0
	.set _ZN7rocprim17ROCPRIM_400000_NS6detail17trampoline_kernelINS0_14default_configENS1_25partition_config_selectorILNS1_17partition_subalgoE8ExNS0_10empty_typeEbEEZZNS1_14partition_implILS5_8ELb0ES3_jN6thrust23THRUST_200600_302600_NS6detail15normal_iteratorINSA_10device_ptrIxEEEEPS6_PKS6_NS0_5tupleIJNSA_16discard_iteratorINSA_11use_defaultEEES6_EEENSJ_IJSG_SG_EEENS0_18inequality_wrapperINSA_8equal_toIxEEEEPmJS6_EEE10hipError_tPvRmT3_T4_T5_T6_T7_T9_mT8_P12ihipStream_tbDpT10_ENKUlT_T0_E_clISt17integral_constantIbLb1EES1D_EEDaS18_S19_EUlS18_E_NS1_11comp_targetILNS1_3genE5ELNS1_11target_archE942ELNS1_3gpuE9ELNS1_3repE0EEENS1_30default_config_static_selectorELNS0_4arch9wavefront6targetE1EEEvT1_.has_recursion, 0
	.set _ZN7rocprim17ROCPRIM_400000_NS6detail17trampoline_kernelINS0_14default_configENS1_25partition_config_selectorILNS1_17partition_subalgoE8ExNS0_10empty_typeEbEEZZNS1_14partition_implILS5_8ELb0ES3_jN6thrust23THRUST_200600_302600_NS6detail15normal_iteratorINSA_10device_ptrIxEEEEPS6_PKS6_NS0_5tupleIJNSA_16discard_iteratorINSA_11use_defaultEEES6_EEENSJ_IJSG_SG_EEENS0_18inequality_wrapperINSA_8equal_toIxEEEEPmJS6_EEE10hipError_tPvRmT3_T4_T5_T6_T7_T9_mT8_P12ihipStream_tbDpT10_ENKUlT_T0_E_clISt17integral_constantIbLb1EES1D_EEDaS18_S19_EUlS18_E_NS1_11comp_targetILNS1_3genE5ELNS1_11target_archE942ELNS1_3gpuE9ELNS1_3repE0EEENS1_30default_config_static_selectorELNS0_4arch9wavefront6targetE1EEEvT1_.has_indirect_call, 0
	.section	.AMDGPU.csdata,"",@progbits
; Kernel info:
; codeLenInByte = 0
; TotalNumSgprs: 4
; NumVgprs: 0
; ScratchSize: 0
; MemoryBound: 0
; FloatMode: 240
; IeeeMode: 1
; LDSByteSize: 0 bytes/workgroup (compile time only)
; SGPRBlocks: 0
; VGPRBlocks: 0
; NumSGPRsForWavesPerEU: 4
; NumVGPRsForWavesPerEU: 1
; Occupancy: 10
; WaveLimiterHint : 0
; COMPUTE_PGM_RSRC2:SCRATCH_EN: 0
; COMPUTE_PGM_RSRC2:USER_SGPR: 6
; COMPUTE_PGM_RSRC2:TRAP_HANDLER: 0
; COMPUTE_PGM_RSRC2:TGID_X_EN: 1
; COMPUTE_PGM_RSRC2:TGID_Y_EN: 0
; COMPUTE_PGM_RSRC2:TGID_Z_EN: 0
; COMPUTE_PGM_RSRC2:TIDIG_COMP_CNT: 0
	.section	.text._ZN7rocprim17ROCPRIM_400000_NS6detail17trampoline_kernelINS0_14default_configENS1_25partition_config_selectorILNS1_17partition_subalgoE8ExNS0_10empty_typeEbEEZZNS1_14partition_implILS5_8ELb0ES3_jN6thrust23THRUST_200600_302600_NS6detail15normal_iteratorINSA_10device_ptrIxEEEEPS6_PKS6_NS0_5tupleIJNSA_16discard_iteratorINSA_11use_defaultEEES6_EEENSJ_IJSG_SG_EEENS0_18inequality_wrapperINSA_8equal_toIxEEEEPmJS6_EEE10hipError_tPvRmT3_T4_T5_T6_T7_T9_mT8_P12ihipStream_tbDpT10_ENKUlT_T0_E_clISt17integral_constantIbLb1EES1D_EEDaS18_S19_EUlS18_E_NS1_11comp_targetILNS1_3genE4ELNS1_11target_archE910ELNS1_3gpuE8ELNS1_3repE0EEENS1_30default_config_static_selectorELNS0_4arch9wavefront6targetE1EEEvT1_,"axG",@progbits,_ZN7rocprim17ROCPRIM_400000_NS6detail17trampoline_kernelINS0_14default_configENS1_25partition_config_selectorILNS1_17partition_subalgoE8ExNS0_10empty_typeEbEEZZNS1_14partition_implILS5_8ELb0ES3_jN6thrust23THRUST_200600_302600_NS6detail15normal_iteratorINSA_10device_ptrIxEEEEPS6_PKS6_NS0_5tupleIJNSA_16discard_iteratorINSA_11use_defaultEEES6_EEENSJ_IJSG_SG_EEENS0_18inequality_wrapperINSA_8equal_toIxEEEEPmJS6_EEE10hipError_tPvRmT3_T4_T5_T6_T7_T9_mT8_P12ihipStream_tbDpT10_ENKUlT_T0_E_clISt17integral_constantIbLb1EES1D_EEDaS18_S19_EUlS18_E_NS1_11comp_targetILNS1_3genE4ELNS1_11target_archE910ELNS1_3gpuE8ELNS1_3repE0EEENS1_30default_config_static_selectorELNS0_4arch9wavefront6targetE1EEEvT1_,comdat
	.protected	_ZN7rocprim17ROCPRIM_400000_NS6detail17trampoline_kernelINS0_14default_configENS1_25partition_config_selectorILNS1_17partition_subalgoE8ExNS0_10empty_typeEbEEZZNS1_14partition_implILS5_8ELb0ES3_jN6thrust23THRUST_200600_302600_NS6detail15normal_iteratorINSA_10device_ptrIxEEEEPS6_PKS6_NS0_5tupleIJNSA_16discard_iteratorINSA_11use_defaultEEES6_EEENSJ_IJSG_SG_EEENS0_18inequality_wrapperINSA_8equal_toIxEEEEPmJS6_EEE10hipError_tPvRmT3_T4_T5_T6_T7_T9_mT8_P12ihipStream_tbDpT10_ENKUlT_T0_E_clISt17integral_constantIbLb1EES1D_EEDaS18_S19_EUlS18_E_NS1_11comp_targetILNS1_3genE4ELNS1_11target_archE910ELNS1_3gpuE8ELNS1_3repE0EEENS1_30default_config_static_selectorELNS0_4arch9wavefront6targetE1EEEvT1_ ; -- Begin function _ZN7rocprim17ROCPRIM_400000_NS6detail17trampoline_kernelINS0_14default_configENS1_25partition_config_selectorILNS1_17partition_subalgoE8ExNS0_10empty_typeEbEEZZNS1_14partition_implILS5_8ELb0ES3_jN6thrust23THRUST_200600_302600_NS6detail15normal_iteratorINSA_10device_ptrIxEEEEPS6_PKS6_NS0_5tupleIJNSA_16discard_iteratorINSA_11use_defaultEEES6_EEENSJ_IJSG_SG_EEENS0_18inequality_wrapperINSA_8equal_toIxEEEEPmJS6_EEE10hipError_tPvRmT3_T4_T5_T6_T7_T9_mT8_P12ihipStream_tbDpT10_ENKUlT_T0_E_clISt17integral_constantIbLb1EES1D_EEDaS18_S19_EUlS18_E_NS1_11comp_targetILNS1_3genE4ELNS1_11target_archE910ELNS1_3gpuE8ELNS1_3repE0EEENS1_30default_config_static_selectorELNS0_4arch9wavefront6targetE1EEEvT1_
	.globl	_ZN7rocprim17ROCPRIM_400000_NS6detail17trampoline_kernelINS0_14default_configENS1_25partition_config_selectorILNS1_17partition_subalgoE8ExNS0_10empty_typeEbEEZZNS1_14partition_implILS5_8ELb0ES3_jN6thrust23THRUST_200600_302600_NS6detail15normal_iteratorINSA_10device_ptrIxEEEEPS6_PKS6_NS0_5tupleIJNSA_16discard_iteratorINSA_11use_defaultEEES6_EEENSJ_IJSG_SG_EEENS0_18inequality_wrapperINSA_8equal_toIxEEEEPmJS6_EEE10hipError_tPvRmT3_T4_T5_T6_T7_T9_mT8_P12ihipStream_tbDpT10_ENKUlT_T0_E_clISt17integral_constantIbLb1EES1D_EEDaS18_S19_EUlS18_E_NS1_11comp_targetILNS1_3genE4ELNS1_11target_archE910ELNS1_3gpuE8ELNS1_3repE0EEENS1_30default_config_static_selectorELNS0_4arch9wavefront6targetE1EEEvT1_
	.p2align	8
	.type	_ZN7rocprim17ROCPRIM_400000_NS6detail17trampoline_kernelINS0_14default_configENS1_25partition_config_selectorILNS1_17partition_subalgoE8ExNS0_10empty_typeEbEEZZNS1_14partition_implILS5_8ELb0ES3_jN6thrust23THRUST_200600_302600_NS6detail15normal_iteratorINSA_10device_ptrIxEEEEPS6_PKS6_NS0_5tupleIJNSA_16discard_iteratorINSA_11use_defaultEEES6_EEENSJ_IJSG_SG_EEENS0_18inequality_wrapperINSA_8equal_toIxEEEEPmJS6_EEE10hipError_tPvRmT3_T4_T5_T6_T7_T9_mT8_P12ihipStream_tbDpT10_ENKUlT_T0_E_clISt17integral_constantIbLb1EES1D_EEDaS18_S19_EUlS18_E_NS1_11comp_targetILNS1_3genE4ELNS1_11target_archE910ELNS1_3gpuE8ELNS1_3repE0EEENS1_30default_config_static_selectorELNS0_4arch9wavefront6targetE1EEEvT1_,@function
_ZN7rocprim17ROCPRIM_400000_NS6detail17trampoline_kernelINS0_14default_configENS1_25partition_config_selectorILNS1_17partition_subalgoE8ExNS0_10empty_typeEbEEZZNS1_14partition_implILS5_8ELb0ES3_jN6thrust23THRUST_200600_302600_NS6detail15normal_iteratorINSA_10device_ptrIxEEEEPS6_PKS6_NS0_5tupleIJNSA_16discard_iteratorINSA_11use_defaultEEES6_EEENSJ_IJSG_SG_EEENS0_18inequality_wrapperINSA_8equal_toIxEEEEPmJS6_EEE10hipError_tPvRmT3_T4_T5_T6_T7_T9_mT8_P12ihipStream_tbDpT10_ENKUlT_T0_E_clISt17integral_constantIbLb1EES1D_EEDaS18_S19_EUlS18_E_NS1_11comp_targetILNS1_3genE4ELNS1_11target_archE910ELNS1_3gpuE8ELNS1_3repE0EEENS1_30default_config_static_selectorELNS0_4arch9wavefront6targetE1EEEvT1_: ; @_ZN7rocprim17ROCPRIM_400000_NS6detail17trampoline_kernelINS0_14default_configENS1_25partition_config_selectorILNS1_17partition_subalgoE8ExNS0_10empty_typeEbEEZZNS1_14partition_implILS5_8ELb0ES3_jN6thrust23THRUST_200600_302600_NS6detail15normal_iteratorINSA_10device_ptrIxEEEEPS6_PKS6_NS0_5tupleIJNSA_16discard_iteratorINSA_11use_defaultEEES6_EEENSJ_IJSG_SG_EEENS0_18inequality_wrapperINSA_8equal_toIxEEEEPmJS6_EEE10hipError_tPvRmT3_T4_T5_T6_T7_T9_mT8_P12ihipStream_tbDpT10_ENKUlT_T0_E_clISt17integral_constantIbLb1EES1D_EEDaS18_S19_EUlS18_E_NS1_11comp_targetILNS1_3genE4ELNS1_11target_archE910ELNS1_3gpuE8ELNS1_3repE0EEENS1_30default_config_static_selectorELNS0_4arch9wavefront6targetE1EEEvT1_
; %bb.0:
	.section	.rodata,"a",@progbits
	.p2align	6, 0x0
	.amdhsa_kernel _ZN7rocprim17ROCPRIM_400000_NS6detail17trampoline_kernelINS0_14default_configENS1_25partition_config_selectorILNS1_17partition_subalgoE8ExNS0_10empty_typeEbEEZZNS1_14partition_implILS5_8ELb0ES3_jN6thrust23THRUST_200600_302600_NS6detail15normal_iteratorINSA_10device_ptrIxEEEEPS6_PKS6_NS0_5tupleIJNSA_16discard_iteratorINSA_11use_defaultEEES6_EEENSJ_IJSG_SG_EEENS0_18inequality_wrapperINSA_8equal_toIxEEEEPmJS6_EEE10hipError_tPvRmT3_T4_T5_T6_T7_T9_mT8_P12ihipStream_tbDpT10_ENKUlT_T0_E_clISt17integral_constantIbLb1EES1D_EEDaS18_S19_EUlS18_E_NS1_11comp_targetILNS1_3genE4ELNS1_11target_archE910ELNS1_3gpuE8ELNS1_3repE0EEENS1_30default_config_static_selectorELNS0_4arch9wavefront6targetE1EEEvT1_
		.amdhsa_group_segment_fixed_size 0
		.amdhsa_private_segment_fixed_size 0
		.amdhsa_kernarg_size 136
		.amdhsa_user_sgpr_count 6
		.amdhsa_user_sgpr_private_segment_buffer 1
		.amdhsa_user_sgpr_dispatch_ptr 0
		.amdhsa_user_sgpr_queue_ptr 0
		.amdhsa_user_sgpr_kernarg_segment_ptr 1
		.amdhsa_user_sgpr_dispatch_id 0
		.amdhsa_user_sgpr_flat_scratch_init 0
		.amdhsa_user_sgpr_private_segment_size 0
		.amdhsa_uses_dynamic_stack 0
		.amdhsa_system_sgpr_private_segment_wavefront_offset 0
		.amdhsa_system_sgpr_workgroup_id_x 1
		.amdhsa_system_sgpr_workgroup_id_y 0
		.amdhsa_system_sgpr_workgroup_id_z 0
		.amdhsa_system_sgpr_workgroup_info 0
		.amdhsa_system_vgpr_workitem_id 0
		.amdhsa_next_free_vgpr 1
		.amdhsa_next_free_sgpr 0
		.amdhsa_reserve_vcc 0
		.amdhsa_reserve_flat_scratch 0
		.amdhsa_float_round_mode_32 0
		.amdhsa_float_round_mode_16_64 0
		.amdhsa_float_denorm_mode_32 3
		.amdhsa_float_denorm_mode_16_64 3
		.amdhsa_dx10_clamp 1
		.amdhsa_ieee_mode 1
		.amdhsa_fp16_overflow 0
		.amdhsa_exception_fp_ieee_invalid_op 0
		.amdhsa_exception_fp_denorm_src 0
		.amdhsa_exception_fp_ieee_div_zero 0
		.amdhsa_exception_fp_ieee_overflow 0
		.amdhsa_exception_fp_ieee_underflow 0
		.amdhsa_exception_fp_ieee_inexact 0
		.amdhsa_exception_int_div_zero 0
	.end_amdhsa_kernel
	.section	.text._ZN7rocprim17ROCPRIM_400000_NS6detail17trampoline_kernelINS0_14default_configENS1_25partition_config_selectorILNS1_17partition_subalgoE8ExNS0_10empty_typeEbEEZZNS1_14partition_implILS5_8ELb0ES3_jN6thrust23THRUST_200600_302600_NS6detail15normal_iteratorINSA_10device_ptrIxEEEEPS6_PKS6_NS0_5tupleIJNSA_16discard_iteratorINSA_11use_defaultEEES6_EEENSJ_IJSG_SG_EEENS0_18inequality_wrapperINSA_8equal_toIxEEEEPmJS6_EEE10hipError_tPvRmT3_T4_T5_T6_T7_T9_mT8_P12ihipStream_tbDpT10_ENKUlT_T0_E_clISt17integral_constantIbLb1EES1D_EEDaS18_S19_EUlS18_E_NS1_11comp_targetILNS1_3genE4ELNS1_11target_archE910ELNS1_3gpuE8ELNS1_3repE0EEENS1_30default_config_static_selectorELNS0_4arch9wavefront6targetE1EEEvT1_,"axG",@progbits,_ZN7rocprim17ROCPRIM_400000_NS6detail17trampoline_kernelINS0_14default_configENS1_25partition_config_selectorILNS1_17partition_subalgoE8ExNS0_10empty_typeEbEEZZNS1_14partition_implILS5_8ELb0ES3_jN6thrust23THRUST_200600_302600_NS6detail15normal_iteratorINSA_10device_ptrIxEEEEPS6_PKS6_NS0_5tupleIJNSA_16discard_iteratorINSA_11use_defaultEEES6_EEENSJ_IJSG_SG_EEENS0_18inequality_wrapperINSA_8equal_toIxEEEEPmJS6_EEE10hipError_tPvRmT3_T4_T5_T6_T7_T9_mT8_P12ihipStream_tbDpT10_ENKUlT_T0_E_clISt17integral_constantIbLb1EES1D_EEDaS18_S19_EUlS18_E_NS1_11comp_targetILNS1_3genE4ELNS1_11target_archE910ELNS1_3gpuE8ELNS1_3repE0EEENS1_30default_config_static_selectorELNS0_4arch9wavefront6targetE1EEEvT1_,comdat
.Lfunc_end639:
	.size	_ZN7rocprim17ROCPRIM_400000_NS6detail17trampoline_kernelINS0_14default_configENS1_25partition_config_selectorILNS1_17partition_subalgoE8ExNS0_10empty_typeEbEEZZNS1_14partition_implILS5_8ELb0ES3_jN6thrust23THRUST_200600_302600_NS6detail15normal_iteratorINSA_10device_ptrIxEEEEPS6_PKS6_NS0_5tupleIJNSA_16discard_iteratorINSA_11use_defaultEEES6_EEENSJ_IJSG_SG_EEENS0_18inequality_wrapperINSA_8equal_toIxEEEEPmJS6_EEE10hipError_tPvRmT3_T4_T5_T6_T7_T9_mT8_P12ihipStream_tbDpT10_ENKUlT_T0_E_clISt17integral_constantIbLb1EES1D_EEDaS18_S19_EUlS18_E_NS1_11comp_targetILNS1_3genE4ELNS1_11target_archE910ELNS1_3gpuE8ELNS1_3repE0EEENS1_30default_config_static_selectorELNS0_4arch9wavefront6targetE1EEEvT1_, .Lfunc_end639-_ZN7rocprim17ROCPRIM_400000_NS6detail17trampoline_kernelINS0_14default_configENS1_25partition_config_selectorILNS1_17partition_subalgoE8ExNS0_10empty_typeEbEEZZNS1_14partition_implILS5_8ELb0ES3_jN6thrust23THRUST_200600_302600_NS6detail15normal_iteratorINSA_10device_ptrIxEEEEPS6_PKS6_NS0_5tupleIJNSA_16discard_iteratorINSA_11use_defaultEEES6_EEENSJ_IJSG_SG_EEENS0_18inequality_wrapperINSA_8equal_toIxEEEEPmJS6_EEE10hipError_tPvRmT3_T4_T5_T6_T7_T9_mT8_P12ihipStream_tbDpT10_ENKUlT_T0_E_clISt17integral_constantIbLb1EES1D_EEDaS18_S19_EUlS18_E_NS1_11comp_targetILNS1_3genE4ELNS1_11target_archE910ELNS1_3gpuE8ELNS1_3repE0EEENS1_30default_config_static_selectorELNS0_4arch9wavefront6targetE1EEEvT1_
                                        ; -- End function
	.set _ZN7rocprim17ROCPRIM_400000_NS6detail17trampoline_kernelINS0_14default_configENS1_25partition_config_selectorILNS1_17partition_subalgoE8ExNS0_10empty_typeEbEEZZNS1_14partition_implILS5_8ELb0ES3_jN6thrust23THRUST_200600_302600_NS6detail15normal_iteratorINSA_10device_ptrIxEEEEPS6_PKS6_NS0_5tupleIJNSA_16discard_iteratorINSA_11use_defaultEEES6_EEENSJ_IJSG_SG_EEENS0_18inequality_wrapperINSA_8equal_toIxEEEEPmJS6_EEE10hipError_tPvRmT3_T4_T5_T6_T7_T9_mT8_P12ihipStream_tbDpT10_ENKUlT_T0_E_clISt17integral_constantIbLb1EES1D_EEDaS18_S19_EUlS18_E_NS1_11comp_targetILNS1_3genE4ELNS1_11target_archE910ELNS1_3gpuE8ELNS1_3repE0EEENS1_30default_config_static_selectorELNS0_4arch9wavefront6targetE1EEEvT1_.num_vgpr, 0
	.set _ZN7rocprim17ROCPRIM_400000_NS6detail17trampoline_kernelINS0_14default_configENS1_25partition_config_selectorILNS1_17partition_subalgoE8ExNS0_10empty_typeEbEEZZNS1_14partition_implILS5_8ELb0ES3_jN6thrust23THRUST_200600_302600_NS6detail15normal_iteratorINSA_10device_ptrIxEEEEPS6_PKS6_NS0_5tupleIJNSA_16discard_iteratorINSA_11use_defaultEEES6_EEENSJ_IJSG_SG_EEENS0_18inequality_wrapperINSA_8equal_toIxEEEEPmJS6_EEE10hipError_tPvRmT3_T4_T5_T6_T7_T9_mT8_P12ihipStream_tbDpT10_ENKUlT_T0_E_clISt17integral_constantIbLb1EES1D_EEDaS18_S19_EUlS18_E_NS1_11comp_targetILNS1_3genE4ELNS1_11target_archE910ELNS1_3gpuE8ELNS1_3repE0EEENS1_30default_config_static_selectorELNS0_4arch9wavefront6targetE1EEEvT1_.num_agpr, 0
	.set _ZN7rocprim17ROCPRIM_400000_NS6detail17trampoline_kernelINS0_14default_configENS1_25partition_config_selectorILNS1_17partition_subalgoE8ExNS0_10empty_typeEbEEZZNS1_14partition_implILS5_8ELb0ES3_jN6thrust23THRUST_200600_302600_NS6detail15normal_iteratorINSA_10device_ptrIxEEEEPS6_PKS6_NS0_5tupleIJNSA_16discard_iteratorINSA_11use_defaultEEES6_EEENSJ_IJSG_SG_EEENS0_18inequality_wrapperINSA_8equal_toIxEEEEPmJS6_EEE10hipError_tPvRmT3_T4_T5_T6_T7_T9_mT8_P12ihipStream_tbDpT10_ENKUlT_T0_E_clISt17integral_constantIbLb1EES1D_EEDaS18_S19_EUlS18_E_NS1_11comp_targetILNS1_3genE4ELNS1_11target_archE910ELNS1_3gpuE8ELNS1_3repE0EEENS1_30default_config_static_selectorELNS0_4arch9wavefront6targetE1EEEvT1_.numbered_sgpr, 0
	.set _ZN7rocprim17ROCPRIM_400000_NS6detail17trampoline_kernelINS0_14default_configENS1_25partition_config_selectorILNS1_17partition_subalgoE8ExNS0_10empty_typeEbEEZZNS1_14partition_implILS5_8ELb0ES3_jN6thrust23THRUST_200600_302600_NS6detail15normal_iteratorINSA_10device_ptrIxEEEEPS6_PKS6_NS0_5tupleIJNSA_16discard_iteratorINSA_11use_defaultEEES6_EEENSJ_IJSG_SG_EEENS0_18inequality_wrapperINSA_8equal_toIxEEEEPmJS6_EEE10hipError_tPvRmT3_T4_T5_T6_T7_T9_mT8_P12ihipStream_tbDpT10_ENKUlT_T0_E_clISt17integral_constantIbLb1EES1D_EEDaS18_S19_EUlS18_E_NS1_11comp_targetILNS1_3genE4ELNS1_11target_archE910ELNS1_3gpuE8ELNS1_3repE0EEENS1_30default_config_static_selectorELNS0_4arch9wavefront6targetE1EEEvT1_.num_named_barrier, 0
	.set _ZN7rocprim17ROCPRIM_400000_NS6detail17trampoline_kernelINS0_14default_configENS1_25partition_config_selectorILNS1_17partition_subalgoE8ExNS0_10empty_typeEbEEZZNS1_14partition_implILS5_8ELb0ES3_jN6thrust23THRUST_200600_302600_NS6detail15normal_iteratorINSA_10device_ptrIxEEEEPS6_PKS6_NS0_5tupleIJNSA_16discard_iteratorINSA_11use_defaultEEES6_EEENSJ_IJSG_SG_EEENS0_18inequality_wrapperINSA_8equal_toIxEEEEPmJS6_EEE10hipError_tPvRmT3_T4_T5_T6_T7_T9_mT8_P12ihipStream_tbDpT10_ENKUlT_T0_E_clISt17integral_constantIbLb1EES1D_EEDaS18_S19_EUlS18_E_NS1_11comp_targetILNS1_3genE4ELNS1_11target_archE910ELNS1_3gpuE8ELNS1_3repE0EEENS1_30default_config_static_selectorELNS0_4arch9wavefront6targetE1EEEvT1_.private_seg_size, 0
	.set _ZN7rocprim17ROCPRIM_400000_NS6detail17trampoline_kernelINS0_14default_configENS1_25partition_config_selectorILNS1_17partition_subalgoE8ExNS0_10empty_typeEbEEZZNS1_14partition_implILS5_8ELb0ES3_jN6thrust23THRUST_200600_302600_NS6detail15normal_iteratorINSA_10device_ptrIxEEEEPS6_PKS6_NS0_5tupleIJNSA_16discard_iteratorINSA_11use_defaultEEES6_EEENSJ_IJSG_SG_EEENS0_18inequality_wrapperINSA_8equal_toIxEEEEPmJS6_EEE10hipError_tPvRmT3_T4_T5_T6_T7_T9_mT8_P12ihipStream_tbDpT10_ENKUlT_T0_E_clISt17integral_constantIbLb1EES1D_EEDaS18_S19_EUlS18_E_NS1_11comp_targetILNS1_3genE4ELNS1_11target_archE910ELNS1_3gpuE8ELNS1_3repE0EEENS1_30default_config_static_selectorELNS0_4arch9wavefront6targetE1EEEvT1_.uses_vcc, 0
	.set _ZN7rocprim17ROCPRIM_400000_NS6detail17trampoline_kernelINS0_14default_configENS1_25partition_config_selectorILNS1_17partition_subalgoE8ExNS0_10empty_typeEbEEZZNS1_14partition_implILS5_8ELb0ES3_jN6thrust23THRUST_200600_302600_NS6detail15normal_iteratorINSA_10device_ptrIxEEEEPS6_PKS6_NS0_5tupleIJNSA_16discard_iteratorINSA_11use_defaultEEES6_EEENSJ_IJSG_SG_EEENS0_18inequality_wrapperINSA_8equal_toIxEEEEPmJS6_EEE10hipError_tPvRmT3_T4_T5_T6_T7_T9_mT8_P12ihipStream_tbDpT10_ENKUlT_T0_E_clISt17integral_constantIbLb1EES1D_EEDaS18_S19_EUlS18_E_NS1_11comp_targetILNS1_3genE4ELNS1_11target_archE910ELNS1_3gpuE8ELNS1_3repE0EEENS1_30default_config_static_selectorELNS0_4arch9wavefront6targetE1EEEvT1_.uses_flat_scratch, 0
	.set _ZN7rocprim17ROCPRIM_400000_NS6detail17trampoline_kernelINS0_14default_configENS1_25partition_config_selectorILNS1_17partition_subalgoE8ExNS0_10empty_typeEbEEZZNS1_14partition_implILS5_8ELb0ES3_jN6thrust23THRUST_200600_302600_NS6detail15normal_iteratorINSA_10device_ptrIxEEEEPS6_PKS6_NS0_5tupleIJNSA_16discard_iteratorINSA_11use_defaultEEES6_EEENSJ_IJSG_SG_EEENS0_18inequality_wrapperINSA_8equal_toIxEEEEPmJS6_EEE10hipError_tPvRmT3_T4_T5_T6_T7_T9_mT8_P12ihipStream_tbDpT10_ENKUlT_T0_E_clISt17integral_constantIbLb1EES1D_EEDaS18_S19_EUlS18_E_NS1_11comp_targetILNS1_3genE4ELNS1_11target_archE910ELNS1_3gpuE8ELNS1_3repE0EEENS1_30default_config_static_selectorELNS0_4arch9wavefront6targetE1EEEvT1_.has_dyn_sized_stack, 0
	.set _ZN7rocprim17ROCPRIM_400000_NS6detail17trampoline_kernelINS0_14default_configENS1_25partition_config_selectorILNS1_17partition_subalgoE8ExNS0_10empty_typeEbEEZZNS1_14partition_implILS5_8ELb0ES3_jN6thrust23THRUST_200600_302600_NS6detail15normal_iteratorINSA_10device_ptrIxEEEEPS6_PKS6_NS0_5tupleIJNSA_16discard_iteratorINSA_11use_defaultEEES6_EEENSJ_IJSG_SG_EEENS0_18inequality_wrapperINSA_8equal_toIxEEEEPmJS6_EEE10hipError_tPvRmT3_T4_T5_T6_T7_T9_mT8_P12ihipStream_tbDpT10_ENKUlT_T0_E_clISt17integral_constantIbLb1EES1D_EEDaS18_S19_EUlS18_E_NS1_11comp_targetILNS1_3genE4ELNS1_11target_archE910ELNS1_3gpuE8ELNS1_3repE0EEENS1_30default_config_static_selectorELNS0_4arch9wavefront6targetE1EEEvT1_.has_recursion, 0
	.set _ZN7rocprim17ROCPRIM_400000_NS6detail17trampoline_kernelINS0_14default_configENS1_25partition_config_selectorILNS1_17partition_subalgoE8ExNS0_10empty_typeEbEEZZNS1_14partition_implILS5_8ELb0ES3_jN6thrust23THRUST_200600_302600_NS6detail15normal_iteratorINSA_10device_ptrIxEEEEPS6_PKS6_NS0_5tupleIJNSA_16discard_iteratorINSA_11use_defaultEEES6_EEENSJ_IJSG_SG_EEENS0_18inequality_wrapperINSA_8equal_toIxEEEEPmJS6_EEE10hipError_tPvRmT3_T4_T5_T6_T7_T9_mT8_P12ihipStream_tbDpT10_ENKUlT_T0_E_clISt17integral_constantIbLb1EES1D_EEDaS18_S19_EUlS18_E_NS1_11comp_targetILNS1_3genE4ELNS1_11target_archE910ELNS1_3gpuE8ELNS1_3repE0EEENS1_30default_config_static_selectorELNS0_4arch9wavefront6targetE1EEEvT1_.has_indirect_call, 0
	.section	.AMDGPU.csdata,"",@progbits
; Kernel info:
; codeLenInByte = 0
; TotalNumSgprs: 4
; NumVgprs: 0
; ScratchSize: 0
; MemoryBound: 0
; FloatMode: 240
; IeeeMode: 1
; LDSByteSize: 0 bytes/workgroup (compile time only)
; SGPRBlocks: 0
; VGPRBlocks: 0
; NumSGPRsForWavesPerEU: 4
; NumVGPRsForWavesPerEU: 1
; Occupancy: 10
; WaveLimiterHint : 0
; COMPUTE_PGM_RSRC2:SCRATCH_EN: 0
; COMPUTE_PGM_RSRC2:USER_SGPR: 6
; COMPUTE_PGM_RSRC2:TRAP_HANDLER: 0
; COMPUTE_PGM_RSRC2:TGID_X_EN: 1
; COMPUTE_PGM_RSRC2:TGID_Y_EN: 0
; COMPUTE_PGM_RSRC2:TGID_Z_EN: 0
; COMPUTE_PGM_RSRC2:TIDIG_COMP_CNT: 0
	.section	.text._ZN7rocprim17ROCPRIM_400000_NS6detail17trampoline_kernelINS0_14default_configENS1_25partition_config_selectorILNS1_17partition_subalgoE8ExNS0_10empty_typeEbEEZZNS1_14partition_implILS5_8ELb0ES3_jN6thrust23THRUST_200600_302600_NS6detail15normal_iteratorINSA_10device_ptrIxEEEEPS6_PKS6_NS0_5tupleIJNSA_16discard_iteratorINSA_11use_defaultEEES6_EEENSJ_IJSG_SG_EEENS0_18inequality_wrapperINSA_8equal_toIxEEEEPmJS6_EEE10hipError_tPvRmT3_T4_T5_T6_T7_T9_mT8_P12ihipStream_tbDpT10_ENKUlT_T0_E_clISt17integral_constantIbLb1EES1D_EEDaS18_S19_EUlS18_E_NS1_11comp_targetILNS1_3genE3ELNS1_11target_archE908ELNS1_3gpuE7ELNS1_3repE0EEENS1_30default_config_static_selectorELNS0_4arch9wavefront6targetE1EEEvT1_,"axG",@progbits,_ZN7rocprim17ROCPRIM_400000_NS6detail17trampoline_kernelINS0_14default_configENS1_25partition_config_selectorILNS1_17partition_subalgoE8ExNS0_10empty_typeEbEEZZNS1_14partition_implILS5_8ELb0ES3_jN6thrust23THRUST_200600_302600_NS6detail15normal_iteratorINSA_10device_ptrIxEEEEPS6_PKS6_NS0_5tupleIJNSA_16discard_iteratorINSA_11use_defaultEEES6_EEENSJ_IJSG_SG_EEENS0_18inequality_wrapperINSA_8equal_toIxEEEEPmJS6_EEE10hipError_tPvRmT3_T4_T5_T6_T7_T9_mT8_P12ihipStream_tbDpT10_ENKUlT_T0_E_clISt17integral_constantIbLb1EES1D_EEDaS18_S19_EUlS18_E_NS1_11comp_targetILNS1_3genE3ELNS1_11target_archE908ELNS1_3gpuE7ELNS1_3repE0EEENS1_30default_config_static_selectorELNS0_4arch9wavefront6targetE1EEEvT1_,comdat
	.protected	_ZN7rocprim17ROCPRIM_400000_NS6detail17trampoline_kernelINS0_14default_configENS1_25partition_config_selectorILNS1_17partition_subalgoE8ExNS0_10empty_typeEbEEZZNS1_14partition_implILS5_8ELb0ES3_jN6thrust23THRUST_200600_302600_NS6detail15normal_iteratorINSA_10device_ptrIxEEEEPS6_PKS6_NS0_5tupleIJNSA_16discard_iteratorINSA_11use_defaultEEES6_EEENSJ_IJSG_SG_EEENS0_18inequality_wrapperINSA_8equal_toIxEEEEPmJS6_EEE10hipError_tPvRmT3_T4_T5_T6_T7_T9_mT8_P12ihipStream_tbDpT10_ENKUlT_T0_E_clISt17integral_constantIbLb1EES1D_EEDaS18_S19_EUlS18_E_NS1_11comp_targetILNS1_3genE3ELNS1_11target_archE908ELNS1_3gpuE7ELNS1_3repE0EEENS1_30default_config_static_selectorELNS0_4arch9wavefront6targetE1EEEvT1_ ; -- Begin function _ZN7rocprim17ROCPRIM_400000_NS6detail17trampoline_kernelINS0_14default_configENS1_25partition_config_selectorILNS1_17partition_subalgoE8ExNS0_10empty_typeEbEEZZNS1_14partition_implILS5_8ELb0ES3_jN6thrust23THRUST_200600_302600_NS6detail15normal_iteratorINSA_10device_ptrIxEEEEPS6_PKS6_NS0_5tupleIJNSA_16discard_iteratorINSA_11use_defaultEEES6_EEENSJ_IJSG_SG_EEENS0_18inequality_wrapperINSA_8equal_toIxEEEEPmJS6_EEE10hipError_tPvRmT3_T4_T5_T6_T7_T9_mT8_P12ihipStream_tbDpT10_ENKUlT_T0_E_clISt17integral_constantIbLb1EES1D_EEDaS18_S19_EUlS18_E_NS1_11comp_targetILNS1_3genE3ELNS1_11target_archE908ELNS1_3gpuE7ELNS1_3repE0EEENS1_30default_config_static_selectorELNS0_4arch9wavefront6targetE1EEEvT1_
	.globl	_ZN7rocprim17ROCPRIM_400000_NS6detail17trampoline_kernelINS0_14default_configENS1_25partition_config_selectorILNS1_17partition_subalgoE8ExNS0_10empty_typeEbEEZZNS1_14partition_implILS5_8ELb0ES3_jN6thrust23THRUST_200600_302600_NS6detail15normal_iteratorINSA_10device_ptrIxEEEEPS6_PKS6_NS0_5tupleIJNSA_16discard_iteratorINSA_11use_defaultEEES6_EEENSJ_IJSG_SG_EEENS0_18inequality_wrapperINSA_8equal_toIxEEEEPmJS6_EEE10hipError_tPvRmT3_T4_T5_T6_T7_T9_mT8_P12ihipStream_tbDpT10_ENKUlT_T0_E_clISt17integral_constantIbLb1EES1D_EEDaS18_S19_EUlS18_E_NS1_11comp_targetILNS1_3genE3ELNS1_11target_archE908ELNS1_3gpuE7ELNS1_3repE0EEENS1_30default_config_static_selectorELNS0_4arch9wavefront6targetE1EEEvT1_
	.p2align	8
	.type	_ZN7rocprim17ROCPRIM_400000_NS6detail17trampoline_kernelINS0_14default_configENS1_25partition_config_selectorILNS1_17partition_subalgoE8ExNS0_10empty_typeEbEEZZNS1_14partition_implILS5_8ELb0ES3_jN6thrust23THRUST_200600_302600_NS6detail15normal_iteratorINSA_10device_ptrIxEEEEPS6_PKS6_NS0_5tupleIJNSA_16discard_iteratorINSA_11use_defaultEEES6_EEENSJ_IJSG_SG_EEENS0_18inequality_wrapperINSA_8equal_toIxEEEEPmJS6_EEE10hipError_tPvRmT3_T4_T5_T6_T7_T9_mT8_P12ihipStream_tbDpT10_ENKUlT_T0_E_clISt17integral_constantIbLb1EES1D_EEDaS18_S19_EUlS18_E_NS1_11comp_targetILNS1_3genE3ELNS1_11target_archE908ELNS1_3gpuE7ELNS1_3repE0EEENS1_30default_config_static_selectorELNS0_4arch9wavefront6targetE1EEEvT1_,@function
_ZN7rocprim17ROCPRIM_400000_NS6detail17trampoline_kernelINS0_14default_configENS1_25partition_config_selectorILNS1_17partition_subalgoE8ExNS0_10empty_typeEbEEZZNS1_14partition_implILS5_8ELb0ES3_jN6thrust23THRUST_200600_302600_NS6detail15normal_iteratorINSA_10device_ptrIxEEEEPS6_PKS6_NS0_5tupleIJNSA_16discard_iteratorINSA_11use_defaultEEES6_EEENSJ_IJSG_SG_EEENS0_18inequality_wrapperINSA_8equal_toIxEEEEPmJS6_EEE10hipError_tPvRmT3_T4_T5_T6_T7_T9_mT8_P12ihipStream_tbDpT10_ENKUlT_T0_E_clISt17integral_constantIbLb1EES1D_EEDaS18_S19_EUlS18_E_NS1_11comp_targetILNS1_3genE3ELNS1_11target_archE908ELNS1_3gpuE7ELNS1_3repE0EEENS1_30default_config_static_selectorELNS0_4arch9wavefront6targetE1EEEvT1_: ; @_ZN7rocprim17ROCPRIM_400000_NS6detail17trampoline_kernelINS0_14default_configENS1_25partition_config_selectorILNS1_17partition_subalgoE8ExNS0_10empty_typeEbEEZZNS1_14partition_implILS5_8ELb0ES3_jN6thrust23THRUST_200600_302600_NS6detail15normal_iteratorINSA_10device_ptrIxEEEEPS6_PKS6_NS0_5tupleIJNSA_16discard_iteratorINSA_11use_defaultEEES6_EEENSJ_IJSG_SG_EEENS0_18inequality_wrapperINSA_8equal_toIxEEEEPmJS6_EEE10hipError_tPvRmT3_T4_T5_T6_T7_T9_mT8_P12ihipStream_tbDpT10_ENKUlT_T0_E_clISt17integral_constantIbLb1EES1D_EEDaS18_S19_EUlS18_E_NS1_11comp_targetILNS1_3genE3ELNS1_11target_archE908ELNS1_3gpuE7ELNS1_3repE0EEENS1_30default_config_static_selectorELNS0_4arch9wavefront6targetE1EEEvT1_
; %bb.0:
	.section	.rodata,"a",@progbits
	.p2align	6, 0x0
	.amdhsa_kernel _ZN7rocprim17ROCPRIM_400000_NS6detail17trampoline_kernelINS0_14default_configENS1_25partition_config_selectorILNS1_17partition_subalgoE8ExNS0_10empty_typeEbEEZZNS1_14partition_implILS5_8ELb0ES3_jN6thrust23THRUST_200600_302600_NS6detail15normal_iteratorINSA_10device_ptrIxEEEEPS6_PKS6_NS0_5tupleIJNSA_16discard_iteratorINSA_11use_defaultEEES6_EEENSJ_IJSG_SG_EEENS0_18inequality_wrapperINSA_8equal_toIxEEEEPmJS6_EEE10hipError_tPvRmT3_T4_T5_T6_T7_T9_mT8_P12ihipStream_tbDpT10_ENKUlT_T0_E_clISt17integral_constantIbLb1EES1D_EEDaS18_S19_EUlS18_E_NS1_11comp_targetILNS1_3genE3ELNS1_11target_archE908ELNS1_3gpuE7ELNS1_3repE0EEENS1_30default_config_static_selectorELNS0_4arch9wavefront6targetE1EEEvT1_
		.amdhsa_group_segment_fixed_size 0
		.amdhsa_private_segment_fixed_size 0
		.amdhsa_kernarg_size 136
		.amdhsa_user_sgpr_count 6
		.amdhsa_user_sgpr_private_segment_buffer 1
		.amdhsa_user_sgpr_dispatch_ptr 0
		.amdhsa_user_sgpr_queue_ptr 0
		.amdhsa_user_sgpr_kernarg_segment_ptr 1
		.amdhsa_user_sgpr_dispatch_id 0
		.amdhsa_user_sgpr_flat_scratch_init 0
		.amdhsa_user_sgpr_private_segment_size 0
		.amdhsa_uses_dynamic_stack 0
		.amdhsa_system_sgpr_private_segment_wavefront_offset 0
		.amdhsa_system_sgpr_workgroup_id_x 1
		.amdhsa_system_sgpr_workgroup_id_y 0
		.amdhsa_system_sgpr_workgroup_id_z 0
		.amdhsa_system_sgpr_workgroup_info 0
		.amdhsa_system_vgpr_workitem_id 0
		.amdhsa_next_free_vgpr 1
		.amdhsa_next_free_sgpr 0
		.amdhsa_reserve_vcc 0
		.amdhsa_reserve_flat_scratch 0
		.amdhsa_float_round_mode_32 0
		.amdhsa_float_round_mode_16_64 0
		.amdhsa_float_denorm_mode_32 3
		.amdhsa_float_denorm_mode_16_64 3
		.amdhsa_dx10_clamp 1
		.amdhsa_ieee_mode 1
		.amdhsa_fp16_overflow 0
		.amdhsa_exception_fp_ieee_invalid_op 0
		.amdhsa_exception_fp_denorm_src 0
		.amdhsa_exception_fp_ieee_div_zero 0
		.amdhsa_exception_fp_ieee_overflow 0
		.amdhsa_exception_fp_ieee_underflow 0
		.amdhsa_exception_fp_ieee_inexact 0
		.amdhsa_exception_int_div_zero 0
	.end_amdhsa_kernel
	.section	.text._ZN7rocprim17ROCPRIM_400000_NS6detail17trampoline_kernelINS0_14default_configENS1_25partition_config_selectorILNS1_17partition_subalgoE8ExNS0_10empty_typeEbEEZZNS1_14partition_implILS5_8ELb0ES3_jN6thrust23THRUST_200600_302600_NS6detail15normal_iteratorINSA_10device_ptrIxEEEEPS6_PKS6_NS0_5tupleIJNSA_16discard_iteratorINSA_11use_defaultEEES6_EEENSJ_IJSG_SG_EEENS0_18inequality_wrapperINSA_8equal_toIxEEEEPmJS6_EEE10hipError_tPvRmT3_T4_T5_T6_T7_T9_mT8_P12ihipStream_tbDpT10_ENKUlT_T0_E_clISt17integral_constantIbLb1EES1D_EEDaS18_S19_EUlS18_E_NS1_11comp_targetILNS1_3genE3ELNS1_11target_archE908ELNS1_3gpuE7ELNS1_3repE0EEENS1_30default_config_static_selectorELNS0_4arch9wavefront6targetE1EEEvT1_,"axG",@progbits,_ZN7rocprim17ROCPRIM_400000_NS6detail17trampoline_kernelINS0_14default_configENS1_25partition_config_selectorILNS1_17partition_subalgoE8ExNS0_10empty_typeEbEEZZNS1_14partition_implILS5_8ELb0ES3_jN6thrust23THRUST_200600_302600_NS6detail15normal_iteratorINSA_10device_ptrIxEEEEPS6_PKS6_NS0_5tupleIJNSA_16discard_iteratorINSA_11use_defaultEEES6_EEENSJ_IJSG_SG_EEENS0_18inequality_wrapperINSA_8equal_toIxEEEEPmJS6_EEE10hipError_tPvRmT3_T4_T5_T6_T7_T9_mT8_P12ihipStream_tbDpT10_ENKUlT_T0_E_clISt17integral_constantIbLb1EES1D_EEDaS18_S19_EUlS18_E_NS1_11comp_targetILNS1_3genE3ELNS1_11target_archE908ELNS1_3gpuE7ELNS1_3repE0EEENS1_30default_config_static_selectorELNS0_4arch9wavefront6targetE1EEEvT1_,comdat
.Lfunc_end640:
	.size	_ZN7rocprim17ROCPRIM_400000_NS6detail17trampoline_kernelINS0_14default_configENS1_25partition_config_selectorILNS1_17partition_subalgoE8ExNS0_10empty_typeEbEEZZNS1_14partition_implILS5_8ELb0ES3_jN6thrust23THRUST_200600_302600_NS6detail15normal_iteratorINSA_10device_ptrIxEEEEPS6_PKS6_NS0_5tupleIJNSA_16discard_iteratorINSA_11use_defaultEEES6_EEENSJ_IJSG_SG_EEENS0_18inequality_wrapperINSA_8equal_toIxEEEEPmJS6_EEE10hipError_tPvRmT3_T4_T5_T6_T7_T9_mT8_P12ihipStream_tbDpT10_ENKUlT_T0_E_clISt17integral_constantIbLb1EES1D_EEDaS18_S19_EUlS18_E_NS1_11comp_targetILNS1_3genE3ELNS1_11target_archE908ELNS1_3gpuE7ELNS1_3repE0EEENS1_30default_config_static_selectorELNS0_4arch9wavefront6targetE1EEEvT1_, .Lfunc_end640-_ZN7rocprim17ROCPRIM_400000_NS6detail17trampoline_kernelINS0_14default_configENS1_25partition_config_selectorILNS1_17partition_subalgoE8ExNS0_10empty_typeEbEEZZNS1_14partition_implILS5_8ELb0ES3_jN6thrust23THRUST_200600_302600_NS6detail15normal_iteratorINSA_10device_ptrIxEEEEPS6_PKS6_NS0_5tupleIJNSA_16discard_iteratorINSA_11use_defaultEEES6_EEENSJ_IJSG_SG_EEENS0_18inequality_wrapperINSA_8equal_toIxEEEEPmJS6_EEE10hipError_tPvRmT3_T4_T5_T6_T7_T9_mT8_P12ihipStream_tbDpT10_ENKUlT_T0_E_clISt17integral_constantIbLb1EES1D_EEDaS18_S19_EUlS18_E_NS1_11comp_targetILNS1_3genE3ELNS1_11target_archE908ELNS1_3gpuE7ELNS1_3repE0EEENS1_30default_config_static_selectorELNS0_4arch9wavefront6targetE1EEEvT1_
                                        ; -- End function
	.set _ZN7rocprim17ROCPRIM_400000_NS6detail17trampoline_kernelINS0_14default_configENS1_25partition_config_selectorILNS1_17partition_subalgoE8ExNS0_10empty_typeEbEEZZNS1_14partition_implILS5_8ELb0ES3_jN6thrust23THRUST_200600_302600_NS6detail15normal_iteratorINSA_10device_ptrIxEEEEPS6_PKS6_NS0_5tupleIJNSA_16discard_iteratorINSA_11use_defaultEEES6_EEENSJ_IJSG_SG_EEENS0_18inequality_wrapperINSA_8equal_toIxEEEEPmJS6_EEE10hipError_tPvRmT3_T4_T5_T6_T7_T9_mT8_P12ihipStream_tbDpT10_ENKUlT_T0_E_clISt17integral_constantIbLb1EES1D_EEDaS18_S19_EUlS18_E_NS1_11comp_targetILNS1_3genE3ELNS1_11target_archE908ELNS1_3gpuE7ELNS1_3repE0EEENS1_30default_config_static_selectorELNS0_4arch9wavefront6targetE1EEEvT1_.num_vgpr, 0
	.set _ZN7rocprim17ROCPRIM_400000_NS6detail17trampoline_kernelINS0_14default_configENS1_25partition_config_selectorILNS1_17partition_subalgoE8ExNS0_10empty_typeEbEEZZNS1_14partition_implILS5_8ELb0ES3_jN6thrust23THRUST_200600_302600_NS6detail15normal_iteratorINSA_10device_ptrIxEEEEPS6_PKS6_NS0_5tupleIJNSA_16discard_iteratorINSA_11use_defaultEEES6_EEENSJ_IJSG_SG_EEENS0_18inequality_wrapperINSA_8equal_toIxEEEEPmJS6_EEE10hipError_tPvRmT3_T4_T5_T6_T7_T9_mT8_P12ihipStream_tbDpT10_ENKUlT_T0_E_clISt17integral_constantIbLb1EES1D_EEDaS18_S19_EUlS18_E_NS1_11comp_targetILNS1_3genE3ELNS1_11target_archE908ELNS1_3gpuE7ELNS1_3repE0EEENS1_30default_config_static_selectorELNS0_4arch9wavefront6targetE1EEEvT1_.num_agpr, 0
	.set _ZN7rocprim17ROCPRIM_400000_NS6detail17trampoline_kernelINS0_14default_configENS1_25partition_config_selectorILNS1_17partition_subalgoE8ExNS0_10empty_typeEbEEZZNS1_14partition_implILS5_8ELb0ES3_jN6thrust23THRUST_200600_302600_NS6detail15normal_iteratorINSA_10device_ptrIxEEEEPS6_PKS6_NS0_5tupleIJNSA_16discard_iteratorINSA_11use_defaultEEES6_EEENSJ_IJSG_SG_EEENS0_18inequality_wrapperINSA_8equal_toIxEEEEPmJS6_EEE10hipError_tPvRmT3_T4_T5_T6_T7_T9_mT8_P12ihipStream_tbDpT10_ENKUlT_T0_E_clISt17integral_constantIbLb1EES1D_EEDaS18_S19_EUlS18_E_NS1_11comp_targetILNS1_3genE3ELNS1_11target_archE908ELNS1_3gpuE7ELNS1_3repE0EEENS1_30default_config_static_selectorELNS0_4arch9wavefront6targetE1EEEvT1_.numbered_sgpr, 0
	.set _ZN7rocprim17ROCPRIM_400000_NS6detail17trampoline_kernelINS0_14default_configENS1_25partition_config_selectorILNS1_17partition_subalgoE8ExNS0_10empty_typeEbEEZZNS1_14partition_implILS5_8ELb0ES3_jN6thrust23THRUST_200600_302600_NS6detail15normal_iteratorINSA_10device_ptrIxEEEEPS6_PKS6_NS0_5tupleIJNSA_16discard_iteratorINSA_11use_defaultEEES6_EEENSJ_IJSG_SG_EEENS0_18inequality_wrapperINSA_8equal_toIxEEEEPmJS6_EEE10hipError_tPvRmT3_T4_T5_T6_T7_T9_mT8_P12ihipStream_tbDpT10_ENKUlT_T0_E_clISt17integral_constantIbLb1EES1D_EEDaS18_S19_EUlS18_E_NS1_11comp_targetILNS1_3genE3ELNS1_11target_archE908ELNS1_3gpuE7ELNS1_3repE0EEENS1_30default_config_static_selectorELNS0_4arch9wavefront6targetE1EEEvT1_.num_named_barrier, 0
	.set _ZN7rocprim17ROCPRIM_400000_NS6detail17trampoline_kernelINS0_14default_configENS1_25partition_config_selectorILNS1_17partition_subalgoE8ExNS0_10empty_typeEbEEZZNS1_14partition_implILS5_8ELb0ES3_jN6thrust23THRUST_200600_302600_NS6detail15normal_iteratorINSA_10device_ptrIxEEEEPS6_PKS6_NS0_5tupleIJNSA_16discard_iteratorINSA_11use_defaultEEES6_EEENSJ_IJSG_SG_EEENS0_18inequality_wrapperINSA_8equal_toIxEEEEPmJS6_EEE10hipError_tPvRmT3_T4_T5_T6_T7_T9_mT8_P12ihipStream_tbDpT10_ENKUlT_T0_E_clISt17integral_constantIbLb1EES1D_EEDaS18_S19_EUlS18_E_NS1_11comp_targetILNS1_3genE3ELNS1_11target_archE908ELNS1_3gpuE7ELNS1_3repE0EEENS1_30default_config_static_selectorELNS0_4arch9wavefront6targetE1EEEvT1_.private_seg_size, 0
	.set _ZN7rocprim17ROCPRIM_400000_NS6detail17trampoline_kernelINS0_14default_configENS1_25partition_config_selectorILNS1_17partition_subalgoE8ExNS0_10empty_typeEbEEZZNS1_14partition_implILS5_8ELb0ES3_jN6thrust23THRUST_200600_302600_NS6detail15normal_iteratorINSA_10device_ptrIxEEEEPS6_PKS6_NS0_5tupleIJNSA_16discard_iteratorINSA_11use_defaultEEES6_EEENSJ_IJSG_SG_EEENS0_18inequality_wrapperINSA_8equal_toIxEEEEPmJS6_EEE10hipError_tPvRmT3_T4_T5_T6_T7_T9_mT8_P12ihipStream_tbDpT10_ENKUlT_T0_E_clISt17integral_constantIbLb1EES1D_EEDaS18_S19_EUlS18_E_NS1_11comp_targetILNS1_3genE3ELNS1_11target_archE908ELNS1_3gpuE7ELNS1_3repE0EEENS1_30default_config_static_selectorELNS0_4arch9wavefront6targetE1EEEvT1_.uses_vcc, 0
	.set _ZN7rocprim17ROCPRIM_400000_NS6detail17trampoline_kernelINS0_14default_configENS1_25partition_config_selectorILNS1_17partition_subalgoE8ExNS0_10empty_typeEbEEZZNS1_14partition_implILS5_8ELb0ES3_jN6thrust23THRUST_200600_302600_NS6detail15normal_iteratorINSA_10device_ptrIxEEEEPS6_PKS6_NS0_5tupleIJNSA_16discard_iteratorINSA_11use_defaultEEES6_EEENSJ_IJSG_SG_EEENS0_18inequality_wrapperINSA_8equal_toIxEEEEPmJS6_EEE10hipError_tPvRmT3_T4_T5_T6_T7_T9_mT8_P12ihipStream_tbDpT10_ENKUlT_T0_E_clISt17integral_constantIbLb1EES1D_EEDaS18_S19_EUlS18_E_NS1_11comp_targetILNS1_3genE3ELNS1_11target_archE908ELNS1_3gpuE7ELNS1_3repE0EEENS1_30default_config_static_selectorELNS0_4arch9wavefront6targetE1EEEvT1_.uses_flat_scratch, 0
	.set _ZN7rocprim17ROCPRIM_400000_NS6detail17trampoline_kernelINS0_14default_configENS1_25partition_config_selectorILNS1_17partition_subalgoE8ExNS0_10empty_typeEbEEZZNS1_14partition_implILS5_8ELb0ES3_jN6thrust23THRUST_200600_302600_NS6detail15normal_iteratorINSA_10device_ptrIxEEEEPS6_PKS6_NS0_5tupleIJNSA_16discard_iteratorINSA_11use_defaultEEES6_EEENSJ_IJSG_SG_EEENS0_18inequality_wrapperINSA_8equal_toIxEEEEPmJS6_EEE10hipError_tPvRmT3_T4_T5_T6_T7_T9_mT8_P12ihipStream_tbDpT10_ENKUlT_T0_E_clISt17integral_constantIbLb1EES1D_EEDaS18_S19_EUlS18_E_NS1_11comp_targetILNS1_3genE3ELNS1_11target_archE908ELNS1_3gpuE7ELNS1_3repE0EEENS1_30default_config_static_selectorELNS0_4arch9wavefront6targetE1EEEvT1_.has_dyn_sized_stack, 0
	.set _ZN7rocprim17ROCPRIM_400000_NS6detail17trampoline_kernelINS0_14default_configENS1_25partition_config_selectorILNS1_17partition_subalgoE8ExNS0_10empty_typeEbEEZZNS1_14partition_implILS5_8ELb0ES3_jN6thrust23THRUST_200600_302600_NS6detail15normal_iteratorINSA_10device_ptrIxEEEEPS6_PKS6_NS0_5tupleIJNSA_16discard_iteratorINSA_11use_defaultEEES6_EEENSJ_IJSG_SG_EEENS0_18inequality_wrapperINSA_8equal_toIxEEEEPmJS6_EEE10hipError_tPvRmT3_T4_T5_T6_T7_T9_mT8_P12ihipStream_tbDpT10_ENKUlT_T0_E_clISt17integral_constantIbLb1EES1D_EEDaS18_S19_EUlS18_E_NS1_11comp_targetILNS1_3genE3ELNS1_11target_archE908ELNS1_3gpuE7ELNS1_3repE0EEENS1_30default_config_static_selectorELNS0_4arch9wavefront6targetE1EEEvT1_.has_recursion, 0
	.set _ZN7rocprim17ROCPRIM_400000_NS6detail17trampoline_kernelINS0_14default_configENS1_25partition_config_selectorILNS1_17partition_subalgoE8ExNS0_10empty_typeEbEEZZNS1_14partition_implILS5_8ELb0ES3_jN6thrust23THRUST_200600_302600_NS6detail15normal_iteratorINSA_10device_ptrIxEEEEPS6_PKS6_NS0_5tupleIJNSA_16discard_iteratorINSA_11use_defaultEEES6_EEENSJ_IJSG_SG_EEENS0_18inequality_wrapperINSA_8equal_toIxEEEEPmJS6_EEE10hipError_tPvRmT3_T4_T5_T6_T7_T9_mT8_P12ihipStream_tbDpT10_ENKUlT_T0_E_clISt17integral_constantIbLb1EES1D_EEDaS18_S19_EUlS18_E_NS1_11comp_targetILNS1_3genE3ELNS1_11target_archE908ELNS1_3gpuE7ELNS1_3repE0EEENS1_30default_config_static_selectorELNS0_4arch9wavefront6targetE1EEEvT1_.has_indirect_call, 0
	.section	.AMDGPU.csdata,"",@progbits
; Kernel info:
; codeLenInByte = 0
; TotalNumSgprs: 4
; NumVgprs: 0
; ScratchSize: 0
; MemoryBound: 0
; FloatMode: 240
; IeeeMode: 1
; LDSByteSize: 0 bytes/workgroup (compile time only)
; SGPRBlocks: 0
; VGPRBlocks: 0
; NumSGPRsForWavesPerEU: 4
; NumVGPRsForWavesPerEU: 1
; Occupancy: 10
; WaveLimiterHint : 0
; COMPUTE_PGM_RSRC2:SCRATCH_EN: 0
; COMPUTE_PGM_RSRC2:USER_SGPR: 6
; COMPUTE_PGM_RSRC2:TRAP_HANDLER: 0
; COMPUTE_PGM_RSRC2:TGID_X_EN: 1
; COMPUTE_PGM_RSRC2:TGID_Y_EN: 0
; COMPUTE_PGM_RSRC2:TGID_Z_EN: 0
; COMPUTE_PGM_RSRC2:TIDIG_COMP_CNT: 0
	.section	.text._ZN7rocprim17ROCPRIM_400000_NS6detail17trampoline_kernelINS0_14default_configENS1_25partition_config_selectorILNS1_17partition_subalgoE8ExNS0_10empty_typeEbEEZZNS1_14partition_implILS5_8ELb0ES3_jN6thrust23THRUST_200600_302600_NS6detail15normal_iteratorINSA_10device_ptrIxEEEEPS6_PKS6_NS0_5tupleIJNSA_16discard_iteratorINSA_11use_defaultEEES6_EEENSJ_IJSG_SG_EEENS0_18inequality_wrapperINSA_8equal_toIxEEEEPmJS6_EEE10hipError_tPvRmT3_T4_T5_T6_T7_T9_mT8_P12ihipStream_tbDpT10_ENKUlT_T0_E_clISt17integral_constantIbLb1EES1D_EEDaS18_S19_EUlS18_E_NS1_11comp_targetILNS1_3genE2ELNS1_11target_archE906ELNS1_3gpuE6ELNS1_3repE0EEENS1_30default_config_static_selectorELNS0_4arch9wavefront6targetE1EEEvT1_,"axG",@progbits,_ZN7rocprim17ROCPRIM_400000_NS6detail17trampoline_kernelINS0_14default_configENS1_25partition_config_selectorILNS1_17partition_subalgoE8ExNS0_10empty_typeEbEEZZNS1_14partition_implILS5_8ELb0ES3_jN6thrust23THRUST_200600_302600_NS6detail15normal_iteratorINSA_10device_ptrIxEEEEPS6_PKS6_NS0_5tupleIJNSA_16discard_iteratorINSA_11use_defaultEEES6_EEENSJ_IJSG_SG_EEENS0_18inequality_wrapperINSA_8equal_toIxEEEEPmJS6_EEE10hipError_tPvRmT3_T4_T5_T6_T7_T9_mT8_P12ihipStream_tbDpT10_ENKUlT_T0_E_clISt17integral_constantIbLb1EES1D_EEDaS18_S19_EUlS18_E_NS1_11comp_targetILNS1_3genE2ELNS1_11target_archE906ELNS1_3gpuE6ELNS1_3repE0EEENS1_30default_config_static_selectorELNS0_4arch9wavefront6targetE1EEEvT1_,comdat
	.protected	_ZN7rocprim17ROCPRIM_400000_NS6detail17trampoline_kernelINS0_14default_configENS1_25partition_config_selectorILNS1_17partition_subalgoE8ExNS0_10empty_typeEbEEZZNS1_14partition_implILS5_8ELb0ES3_jN6thrust23THRUST_200600_302600_NS6detail15normal_iteratorINSA_10device_ptrIxEEEEPS6_PKS6_NS0_5tupleIJNSA_16discard_iteratorINSA_11use_defaultEEES6_EEENSJ_IJSG_SG_EEENS0_18inequality_wrapperINSA_8equal_toIxEEEEPmJS6_EEE10hipError_tPvRmT3_T4_T5_T6_T7_T9_mT8_P12ihipStream_tbDpT10_ENKUlT_T0_E_clISt17integral_constantIbLb1EES1D_EEDaS18_S19_EUlS18_E_NS1_11comp_targetILNS1_3genE2ELNS1_11target_archE906ELNS1_3gpuE6ELNS1_3repE0EEENS1_30default_config_static_selectorELNS0_4arch9wavefront6targetE1EEEvT1_ ; -- Begin function _ZN7rocprim17ROCPRIM_400000_NS6detail17trampoline_kernelINS0_14default_configENS1_25partition_config_selectorILNS1_17partition_subalgoE8ExNS0_10empty_typeEbEEZZNS1_14partition_implILS5_8ELb0ES3_jN6thrust23THRUST_200600_302600_NS6detail15normal_iteratorINSA_10device_ptrIxEEEEPS6_PKS6_NS0_5tupleIJNSA_16discard_iteratorINSA_11use_defaultEEES6_EEENSJ_IJSG_SG_EEENS0_18inequality_wrapperINSA_8equal_toIxEEEEPmJS6_EEE10hipError_tPvRmT3_T4_T5_T6_T7_T9_mT8_P12ihipStream_tbDpT10_ENKUlT_T0_E_clISt17integral_constantIbLb1EES1D_EEDaS18_S19_EUlS18_E_NS1_11comp_targetILNS1_3genE2ELNS1_11target_archE906ELNS1_3gpuE6ELNS1_3repE0EEENS1_30default_config_static_selectorELNS0_4arch9wavefront6targetE1EEEvT1_
	.globl	_ZN7rocprim17ROCPRIM_400000_NS6detail17trampoline_kernelINS0_14default_configENS1_25partition_config_selectorILNS1_17partition_subalgoE8ExNS0_10empty_typeEbEEZZNS1_14partition_implILS5_8ELb0ES3_jN6thrust23THRUST_200600_302600_NS6detail15normal_iteratorINSA_10device_ptrIxEEEEPS6_PKS6_NS0_5tupleIJNSA_16discard_iteratorINSA_11use_defaultEEES6_EEENSJ_IJSG_SG_EEENS0_18inequality_wrapperINSA_8equal_toIxEEEEPmJS6_EEE10hipError_tPvRmT3_T4_T5_T6_T7_T9_mT8_P12ihipStream_tbDpT10_ENKUlT_T0_E_clISt17integral_constantIbLb1EES1D_EEDaS18_S19_EUlS18_E_NS1_11comp_targetILNS1_3genE2ELNS1_11target_archE906ELNS1_3gpuE6ELNS1_3repE0EEENS1_30default_config_static_selectorELNS0_4arch9wavefront6targetE1EEEvT1_
	.p2align	8
	.type	_ZN7rocprim17ROCPRIM_400000_NS6detail17trampoline_kernelINS0_14default_configENS1_25partition_config_selectorILNS1_17partition_subalgoE8ExNS0_10empty_typeEbEEZZNS1_14partition_implILS5_8ELb0ES3_jN6thrust23THRUST_200600_302600_NS6detail15normal_iteratorINSA_10device_ptrIxEEEEPS6_PKS6_NS0_5tupleIJNSA_16discard_iteratorINSA_11use_defaultEEES6_EEENSJ_IJSG_SG_EEENS0_18inequality_wrapperINSA_8equal_toIxEEEEPmJS6_EEE10hipError_tPvRmT3_T4_T5_T6_T7_T9_mT8_P12ihipStream_tbDpT10_ENKUlT_T0_E_clISt17integral_constantIbLb1EES1D_EEDaS18_S19_EUlS18_E_NS1_11comp_targetILNS1_3genE2ELNS1_11target_archE906ELNS1_3gpuE6ELNS1_3repE0EEENS1_30default_config_static_selectorELNS0_4arch9wavefront6targetE1EEEvT1_,@function
_ZN7rocprim17ROCPRIM_400000_NS6detail17trampoline_kernelINS0_14default_configENS1_25partition_config_selectorILNS1_17partition_subalgoE8ExNS0_10empty_typeEbEEZZNS1_14partition_implILS5_8ELb0ES3_jN6thrust23THRUST_200600_302600_NS6detail15normal_iteratorINSA_10device_ptrIxEEEEPS6_PKS6_NS0_5tupleIJNSA_16discard_iteratorINSA_11use_defaultEEES6_EEENSJ_IJSG_SG_EEENS0_18inequality_wrapperINSA_8equal_toIxEEEEPmJS6_EEE10hipError_tPvRmT3_T4_T5_T6_T7_T9_mT8_P12ihipStream_tbDpT10_ENKUlT_T0_E_clISt17integral_constantIbLb1EES1D_EEDaS18_S19_EUlS18_E_NS1_11comp_targetILNS1_3genE2ELNS1_11target_archE906ELNS1_3gpuE6ELNS1_3repE0EEENS1_30default_config_static_selectorELNS0_4arch9wavefront6targetE1EEEvT1_: ; @_ZN7rocprim17ROCPRIM_400000_NS6detail17trampoline_kernelINS0_14default_configENS1_25partition_config_selectorILNS1_17partition_subalgoE8ExNS0_10empty_typeEbEEZZNS1_14partition_implILS5_8ELb0ES3_jN6thrust23THRUST_200600_302600_NS6detail15normal_iteratorINSA_10device_ptrIxEEEEPS6_PKS6_NS0_5tupleIJNSA_16discard_iteratorINSA_11use_defaultEEES6_EEENSJ_IJSG_SG_EEENS0_18inequality_wrapperINSA_8equal_toIxEEEEPmJS6_EEE10hipError_tPvRmT3_T4_T5_T6_T7_T9_mT8_P12ihipStream_tbDpT10_ENKUlT_T0_E_clISt17integral_constantIbLb1EES1D_EEDaS18_S19_EUlS18_E_NS1_11comp_targetILNS1_3genE2ELNS1_11target_archE906ELNS1_3gpuE6ELNS1_3repE0EEENS1_30default_config_static_selectorELNS0_4arch9wavefront6targetE1EEEvT1_
; %bb.0:
	s_endpgm
	.section	.rodata,"a",@progbits
	.p2align	6, 0x0
	.amdhsa_kernel _ZN7rocprim17ROCPRIM_400000_NS6detail17trampoline_kernelINS0_14default_configENS1_25partition_config_selectorILNS1_17partition_subalgoE8ExNS0_10empty_typeEbEEZZNS1_14partition_implILS5_8ELb0ES3_jN6thrust23THRUST_200600_302600_NS6detail15normal_iteratorINSA_10device_ptrIxEEEEPS6_PKS6_NS0_5tupleIJNSA_16discard_iteratorINSA_11use_defaultEEES6_EEENSJ_IJSG_SG_EEENS0_18inequality_wrapperINSA_8equal_toIxEEEEPmJS6_EEE10hipError_tPvRmT3_T4_T5_T6_T7_T9_mT8_P12ihipStream_tbDpT10_ENKUlT_T0_E_clISt17integral_constantIbLb1EES1D_EEDaS18_S19_EUlS18_E_NS1_11comp_targetILNS1_3genE2ELNS1_11target_archE906ELNS1_3gpuE6ELNS1_3repE0EEENS1_30default_config_static_selectorELNS0_4arch9wavefront6targetE1EEEvT1_
		.amdhsa_group_segment_fixed_size 0
		.amdhsa_private_segment_fixed_size 0
		.amdhsa_kernarg_size 136
		.amdhsa_user_sgpr_count 6
		.amdhsa_user_sgpr_private_segment_buffer 1
		.amdhsa_user_sgpr_dispatch_ptr 0
		.amdhsa_user_sgpr_queue_ptr 0
		.amdhsa_user_sgpr_kernarg_segment_ptr 1
		.amdhsa_user_sgpr_dispatch_id 0
		.amdhsa_user_sgpr_flat_scratch_init 0
		.amdhsa_user_sgpr_private_segment_size 0
		.amdhsa_uses_dynamic_stack 0
		.amdhsa_system_sgpr_private_segment_wavefront_offset 0
		.amdhsa_system_sgpr_workgroup_id_x 1
		.amdhsa_system_sgpr_workgroup_id_y 0
		.amdhsa_system_sgpr_workgroup_id_z 0
		.amdhsa_system_sgpr_workgroup_info 0
		.amdhsa_system_vgpr_workitem_id 0
		.amdhsa_next_free_vgpr 1
		.amdhsa_next_free_sgpr 0
		.amdhsa_reserve_vcc 0
		.amdhsa_reserve_flat_scratch 0
		.amdhsa_float_round_mode_32 0
		.amdhsa_float_round_mode_16_64 0
		.amdhsa_float_denorm_mode_32 3
		.amdhsa_float_denorm_mode_16_64 3
		.amdhsa_dx10_clamp 1
		.amdhsa_ieee_mode 1
		.amdhsa_fp16_overflow 0
		.amdhsa_exception_fp_ieee_invalid_op 0
		.amdhsa_exception_fp_denorm_src 0
		.amdhsa_exception_fp_ieee_div_zero 0
		.amdhsa_exception_fp_ieee_overflow 0
		.amdhsa_exception_fp_ieee_underflow 0
		.amdhsa_exception_fp_ieee_inexact 0
		.amdhsa_exception_int_div_zero 0
	.end_amdhsa_kernel
	.section	.text._ZN7rocprim17ROCPRIM_400000_NS6detail17trampoline_kernelINS0_14default_configENS1_25partition_config_selectorILNS1_17partition_subalgoE8ExNS0_10empty_typeEbEEZZNS1_14partition_implILS5_8ELb0ES3_jN6thrust23THRUST_200600_302600_NS6detail15normal_iteratorINSA_10device_ptrIxEEEEPS6_PKS6_NS0_5tupleIJNSA_16discard_iteratorINSA_11use_defaultEEES6_EEENSJ_IJSG_SG_EEENS0_18inequality_wrapperINSA_8equal_toIxEEEEPmJS6_EEE10hipError_tPvRmT3_T4_T5_T6_T7_T9_mT8_P12ihipStream_tbDpT10_ENKUlT_T0_E_clISt17integral_constantIbLb1EES1D_EEDaS18_S19_EUlS18_E_NS1_11comp_targetILNS1_3genE2ELNS1_11target_archE906ELNS1_3gpuE6ELNS1_3repE0EEENS1_30default_config_static_selectorELNS0_4arch9wavefront6targetE1EEEvT1_,"axG",@progbits,_ZN7rocprim17ROCPRIM_400000_NS6detail17trampoline_kernelINS0_14default_configENS1_25partition_config_selectorILNS1_17partition_subalgoE8ExNS0_10empty_typeEbEEZZNS1_14partition_implILS5_8ELb0ES3_jN6thrust23THRUST_200600_302600_NS6detail15normal_iteratorINSA_10device_ptrIxEEEEPS6_PKS6_NS0_5tupleIJNSA_16discard_iteratorINSA_11use_defaultEEES6_EEENSJ_IJSG_SG_EEENS0_18inequality_wrapperINSA_8equal_toIxEEEEPmJS6_EEE10hipError_tPvRmT3_T4_T5_T6_T7_T9_mT8_P12ihipStream_tbDpT10_ENKUlT_T0_E_clISt17integral_constantIbLb1EES1D_EEDaS18_S19_EUlS18_E_NS1_11comp_targetILNS1_3genE2ELNS1_11target_archE906ELNS1_3gpuE6ELNS1_3repE0EEENS1_30default_config_static_selectorELNS0_4arch9wavefront6targetE1EEEvT1_,comdat
.Lfunc_end641:
	.size	_ZN7rocprim17ROCPRIM_400000_NS6detail17trampoline_kernelINS0_14default_configENS1_25partition_config_selectorILNS1_17partition_subalgoE8ExNS0_10empty_typeEbEEZZNS1_14partition_implILS5_8ELb0ES3_jN6thrust23THRUST_200600_302600_NS6detail15normal_iteratorINSA_10device_ptrIxEEEEPS6_PKS6_NS0_5tupleIJNSA_16discard_iteratorINSA_11use_defaultEEES6_EEENSJ_IJSG_SG_EEENS0_18inequality_wrapperINSA_8equal_toIxEEEEPmJS6_EEE10hipError_tPvRmT3_T4_T5_T6_T7_T9_mT8_P12ihipStream_tbDpT10_ENKUlT_T0_E_clISt17integral_constantIbLb1EES1D_EEDaS18_S19_EUlS18_E_NS1_11comp_targetILNS1_3genE2ELNS1_11target_archE906ELNS1_3gpuE6ELNS1_3repE0EEENS1_30default_config_static_selectorELNS0_4arch9wavefront6targetE1EEEvT1_, .Lfunc_end641-_ZN7rocprim17ROCPRIM_400000_NS6detail17trampoline_kernelINS0_14default_configENS1_25partition_config_selectorILNS1_17partition_subalgoE8ExNS0_10empty_typeEbEEZZNS1_14partition_implILS5_8ELb0ES3_jN6thrust23THRUST_200600_302600_NS6detail15normal_iteratorINSA_10device_ptrIxEEEEPS6_PKS6_NS0_5tupleIJNSA_16discard_iteratorINSA_11use_defaultEEES6_EEENSJ_IJSG_SG_EEENS0_18inequality_wrapperINSA_8equal_toIxEEEEPmJS6_EEE10hipError_tPvRmT3_T4_T5_T6_T7_T9_mT8_P12ihipStream_tbDpT10_ENKUlT_T0_E_clISt17integral_constantIbLb1EES1D_EEDaS18_S19_EUlS18_E_NS1_11comp_targetILNS1_3genE2ELNS1_11target_archE906ELNS1_3gpuE6ELNS1_3repE0EEENS1_30default_config_static_selectorELNS0_4arch9wavefront6targetE1EEEvT1_
                                        ; -- End function
	.set _ZN7rocprim17ROCPRIM_400000_NS6detail17trampoline_kernelINS0_14default_configENS1_25partition_config_selectorILNS1_17partition_subalgoE8ExNS0_10empty_typeEbEEZZNS1_14partition_implILS5_8ELb0ES3_jN6thrust23THRUST_200600_302600_NS6detail15normal_iteratorINSA_10device_ptrIxEEEEPS6_PKS6_NS0_5tupleIJNSA_16discard_iteratorINSA_11use_defaultEEES6_EEENSJ_IJSG_SG_EEENS0_18inequality_wrapperINSA_8equal_toIxEEEEPmJS6_EEE10hipError_tPvRmT3_T4_T5_T6_T7_T9_mT8_P12ihipStream_tbDpT10_ENKUlT_T0_E_clISt17integral_constantIbLb1EES1D_EEDaS18_S19_EUlS18_E_NS1_11comp_targetILNS1_3genE2ELNS1_11target_archE906ELNS1_3gpuE6ELNS1_3repE0EEENS1_30default_config_static_selectorELNS0_4arch9wavefront6targetE1EEEvT1_.num_vgpr, 0
	.set _ZN7rocprim17ROCPRIM_400000_NS6detail17trampoline_kernelINS0_14default_configENS1_25partition_config_selectorILNS1_17partition_subalgoE8ExNS0_10empty_typeEbEEZZNS1_14partition_implILS5_8ELb0ES3_jN6thrust23THRUST_200600_302600_NS6detail15normal_iteratorINSA_10device_ptrIxEEEEPS6_PKS6_NS0_5tupleIJNSA_16discard_iteratorINSA_11use_defaultEEES6_EEENSJ_IJSG_SG_EEENS0_18inequality_wrapperINSA_8equal_toIxEEEEPmJS6_EEE10hipError_tPvRmT3_T4_T5_T6_T7_T9_mT8_P12ihipStream_tbDpT10_ENKUlT_T0_E_clISt17integral_constantIbLb1EES1D_EEDaS18_S19_EUlS18_E_NS1_11comp_targetILNS1_3genE2ELNS1_11target_archE906ELNS1_3gpuE6ELNS1_3repE0EEENS1_30default_config_static_selectorELNS0_4arch9wavefront6targetE1EEEvT1_.num_agpr, 0
	.set _ZN7rocprim17ROCPRIM_400000_NS6detail17trampoline_kernelINS0_14default_configENS1_25partition_config_selectorILNS1_17partition_subalgoE8ExNS0_10empty_typeEbEEZZNS1_14partition_implILS5_8ELb0ES3_jN6thrust23THRUST_200600_302600_NS6detail15normal_iteratorINSA_10device_ptrIxEEEEPS6_PKS6_NS0_5tupleIJNSA_16discard_iteratorINSA_11use_defaultEEES6_EEENSJ_IJSG_SG_EEENS0_18inequality_wrapperINSA_8equal_toIxEEEEPmJS6_EEE10hipError_tPvRmT3_T4_T5_T6_T7_T9_mT8_P12ihipStream_tbDpT10_ENKUlT_T0_E_clISt17integral_constantIbLb1EES1D_EEDaS18_S19_EUlS18_E_NS1_11comp_targetILNS1_3genE2ELNS1_11target_archE906ELNS1_3gpuE6ELNS1_3repE0EEENS1_30default_config_static_selectorELNS0_4arch9wavefront6targetE1EEEvT1_.numbered_sgpr, 0
	.set _ZN7rocprim17ROCPRIM_400000_NS6detail17trampoline_kernelINS0_14default_configENS1_25partition_config_selectorILNS1_17partition_subalgoE8ExNS0_10empty_typeEbEEZZNS1_14partition_implILS5_8ELb0ES3_jN6thrust23THRUST_200600_302600_NS6detail15normal_iteratorINSA_10device_ptrIxEEEEPS6_PKS6_NS0_5tupleIJNSA_16discard_iteratorINSA_11use_defaultEEES6_EEENSJ_IJSG_SG_EEENS0_18inequality_wrapperINSA_8equal_toIxEEEEPmJS6_EEE10hipError_tPvRmT3_T4_T5_T6_T7_T9_mT8_P12ihipStream_tbDpT10_ENKUlT_T0_E_clISt17integral_constantIbLb1EES1D_EEDaS18_S19_EUlS18_E_NS1_11comp_targetILNS1_3genE2ELNS1_11target_archE906ELNS1_3gpuE6ELNS1_3repE0EEENS1_30default_config_static_selectorELNS0_4arch9wavefront6targetE1EEEvT1_.num_named_barrier, 0
	.set _ZN7rocprim17ROCPRIM_400000_NS6detail17trampoline_kernelINS0_14default_configENS1_25partition_config_selectorILNS1_17partition_subalgoE8ExNS0_10empty_typeEbEEZZNS1_14partition_implILS5_8ELb0ES3_jN6thrust23THRUST_200600_302600_NS6detail15normal_iteratorINSA_10device_ptrIxEEEEPS6_PKS6_NS0_5tupleIJNSA_16discard_iteratorINSA_11use_defaultEEES6_EEENSJ_IJSG_SG_EEENS0_18inequality_wrapperINSA_8equal_toIxEEEEPmJS6_EEE10hipError_tPvRmT3_T4_T5_T6_T7_T9_mT8_P12ihipStream_tbDpT10_ENKUlT_T0_E_clISt17integral_constantIbLb1EES1D_EEDaS18_S19_EUlS18_E_NS1_11comp_targetILNS1_3genE2ELNS1_11target_archE906ELNS1_3gpuE6ELNS1_3repE0EEENS1_30default_config_static_selectorELNS0_4arch9wavefront6targetE1EEEvT1_.private_seg_size, 0
	.set _ZN7rocprim17ROCPRIM_400000_NS6detail17trampoline_kernelINS0_14default_configENS1_25partition_config_selectorILNS1_17partition_subalgoE8ExNS0_10empty_typeEbEEZZNS1_14partition_implILS5_8ELb0ES3_jN6thrust23THRUST_200600_302600_NS6detail15normal_iteratorINSA_10device_ptrIxEEEEPS6_PKS6_NS0_5tupleIJNSA_16discard_iteratorINSA_11use_defaultEEES6_EEENSJ_IJSG_SG_EEENS0_18inequality_wrapperINSA_8equal_toIxEEEEPmJS6_EEE10hipError_tPvRmT3_T4_T5_T6_T7_T9_mT8_P12ihipStream_tbDpT10_ENKUlT_T0_E_clISt17integral_constantIbLb1EES1D_EEDaS18_S19_EUlS18_E_NS1_11comp_targetILNS1_3genE2ELNS1_11target_archE906ELNS1_3gpuE6ELNS1_3repE0EEENS1_30default_config_static_selectorELNS0_4arch9wavefront6targetE1EEEvT1_.uses_vcc, 0
	.set _ZN7rocprim17ROCPRIM_400000_NS6detail17trampoline_kernelINS0_14default_configENS1_25partition_config_selectorILNS1_17partition_subalgoE8ExNS0_10empty_typeEbEEZZNS1_14partition_implILS5_8ELb0ES3_jN6thrust23THRUST_200600_302600_NS6detail15normal_iteratorINSA_10device_ptrIxEEEEPS6_PKS6_NS0_5tupleIJNSA_16discard_iteratorINSA_11use_defaultEEES6_EEENSJ_IJSG_SG_EEENS0_18inequality_wrapperINSA_8equal_toIxEEEEPmJS6_EEE10hipError_tPvRmT3_T4_T5_T6_T7_T9_mT8_P12ihipStream_tbDpT10_ENKUlT_T0_E_clISt17integral_constantIbLb1EES1D_EEDaS18_S19_EUlS18_E_NS1_11comp_targetILNS1_3genE2ELNS1_11target_archE906ELNS1_3gpuE6ELNS1_3repE0EEENS1_30default_config_static_selectorELNS0_4arch9wavefront6targetE1EEEvT1_.uses_flat_scratch, 0
	.set _ZN7rocprim17ROCPRIM_400000_NS6detail17trampoline_kernelINS0_14default_configENS1_25partition_config_selectorILNS1_17partition_subalgoE8ExNS0_10empty_typeEbEEZZNS1_14partition_implILS5_8ELb0ES3_jN6thrust23THRUST_200600_302600_NS6detail15normal_iteratorINSA_10device_ptrIxEEEEPS6_PKS6_NS0_5tupleIJNSA_16discard_iteratorINSA_11use_defaultEEES6_EEENSJ_IJSG_SG_EEENS0_18inequality_wrapperINSA_8equal_toIxEEEEPmJS6_EEE10hipError_tPvRmT3_T4_T5_T6_T7_T9_mT8_P12ihipStream_tbDpT10_ENKUlT_T0_E_clISt17integral_constantIbLb1EES1D_EEDaS18_S19_EUlS18_E_NS1_11comp_targetILNS1_3genE2ELNS1_11target_archE906ELNS1_3gpuE6ELNS1_3repE0EEENS1_30default_config_static_selectorELNS0_4arch9wavefront6targetE1EEEvT1_.has_dyn_sized_stack, 0
	.set _ZN7rocprim17ROCPRIM_400000_NS6detail17trampoline_kernelINS0_14default_configENS1_25partition_config_selectorILNS1_17partition_subalgoE8ExNS0_10empty_typeEbEEZZNS1_14partition_implILS5_8ELb0ES3_jN6thrust23THRUST_200600_302600_NS6detail15normal_iteratorINSA_10device_ptrIxEEEEPS6_PKS6_NS0_5tupleIJNSA_16discard_iteratorINSA_11use_defaultEEES6_EEENSJ_IJSG_SG_EEENS0_18inequality_wrapperINSA_8equal_toIxEEEEPmJS6_EEE10hipError_tPvRmT3_T4_T5_T6_T7_T9_mT8_P12ihipStream_tbDpT10_ENKUlT_T0_E_clISt17integral_constantIbLb1EES1D_EEDaS18_S19_EUlS18_E_NS1_11comp_targetILNS1_3genE2ELNS1_11target_archE906ELNS1_3gpuE6ELNS1_3repE0EEENS1_30default_config_static_selectorELNS0_4arch9wavefront6targetE1EEEvT1_.has_recursion, 0
	.set _ZN7rocprim17ROCPRIM_400000_NS6detail17trampoline_kernelINS0_14default_configENS1_25partition_config_selectorILNS1_17partition_subalgoE8ExNS0_10empty_typeEbEEZZNS1_14partition_implILS5_8ELb0ES3_jN6thrust23THRUST_200600_302600_NS6detail15normal_iteratorINSA_10device_ptrIxEEEEPS6_PKS6_NS0_5tupleIJNSA_16discard_iteratorINSA_11use_defaultEEES6_EEENSJ_IJSG_SG_EEENS0_18inequality_wrapperINSA_8equal_toIxEEEEPmJS6_EEE10hipError_tPvRmT3_T4_T5_T6_T7_T9_mT8_P12ihipStream_tbDpT10_ENKUlT_T0_E_clISt17integral_constantIbLb1EES1D_EEDaS18_S19_EUlS18_E_NS1_11comp_targetILNS1_3genE2ELNS1_11target_archE906ELNS1_3gpuE6ELNS1_3repE0EEENS1_30default_config_static_selectorELNS0_4arch9wavefront6targetE1EEEvT1_.has_indirect_call, 0
	.section	.AMDGPU.csdata,"",@progbits
; Kernel info:
; codeLenInByte = 4
; TotalNumSgprs: 4
; NumVgprs: 0
; ScratchSize: 0
; MemoryBound: 0
; FloatMode: 240
; IeeeMode: 1
; LDSByteSize: 0 bytes/workgroup (compile time only)
; SGPRBlocks: 0
; VGPRBlocks: 0
; NumSGPRsForWavesPerEU: 4
; NumVGPRsForWavesPerEU: 1
; Occupancy: 10
; WaveLimiterHint : 0
; COMPUTE_PGM_RSRC2:SCRATCH_EN: 0
; COMPUTE_PGM_RSRC2:USER_SGPR: 6
; COMPUTE_PGM_RSRC2:TRAP_HANDLER: 0
; COMPUTE_PGM_RSRC2:TGID_X_EN: 1
; COMPUTE_PGM_RSRC2:TGID_Y_EN: 0
; COMPUTE_PGM_RSRC2:TGID_Z_EN: 0
; COMPUTE_PGM_RSRC2:TIDIG_COMP_CNT: 0
	.section	.text._ZN7rocprim17ROCPRIM_400000_NS6detail17trampoline_kernelINS0_14default_configENS1_25partition_config_selectorILNS1_17partition_subalgoE8ExNS0_10empty_typeEbEEZZNS1_14partition_implILS5_8ELb0ES3_jN6thrust23THRUST_200600_302600_NS6detail15normal_iteratorINSA_10device_ptrIxEEEEPS6_PKS6_NS0_5tupleIJNSA_16discard_iteratorINSA_11use_defaultEEES6_EEENSJ_IJSG_SG_EEENS0_18inequality_wrapperINSA_8equal_toIxEEEEPmJS6_EEE10hipError_tPvRmT3_T4_T5_T6_T7_T9_mT8_P12ihipStream_tbDpT10_ENKUlT_T0_E_clISt17integral_constantIbLb1EES1D_EEDaS18_S19_EUlS18_E_NS1_11comp_targetILNS1_3genE10ELNS1_11target_archE1200ELNS1_3gpuE4ELNS1_3repE0EEENS1_30default_config_static_selectorELNS0_4arch9wavefront6targetE1EEEvT1_,"axG",@progbits,_ZN7rocprim17ROCPRIM_400000_NS6detail17trampoline_kernelINS0_14default_configENS1_25partition_config_selectorILNS1_17partition_subalgoE8ExNS0_10empty_typeEbEEZZNS1_14partition_implILS5_8ELb0ES3_jN6thrust23THRUST_200600_302600_NS6detail15normal_iteratorINSA_10device_ptrIxEEEEPS6_PKS6_NS0_5tupleIJNSA_16discard_iteratorINSA_11use_defaultEEES6_EEENSJ_IJSG_SG_EEENS0_18inequality_wrapperINSA_8equal_toIxEEEEPmJS6_EEE10hipError_tPvRmT3_T4_T5_T6_T7_T9_mT8_P12ihipStream_tbDpT10_ENKUlT_T0_E_clISt17integral_constantIbLb1EES1D_EEDaS18_S19_EUlS18_E_NS1_11comp_targetILNS1_3genE10ELNS1_11target_archE1200ELNS1_3gpuE4ELNS1_3repE0EEENS1_30default_config_static_selectorELNS0_4arch9wavefront6targetE1EEEvT1_,comdat
	.protected	_ZN7rocprim17ROCPRIM_400000_NS6detail17trampoline_kernelINS0_14default_configENS1_25partition_config_selectorILNS1_17partition_subalgoE8ExNS0_10empty_typeEbEEZZNS1_14partition_implILS5_8ELb0ES3_jN6thrust23THRUST_200600_302600_NS6detail15normal_iteratorINSA_10device_ptrIxEEEEPS6_PKS6_NS0_5tupleIJNSA_16discard_iteratorINSA_11use_defaultEEES6_EEENSJ_IJSG_SG_EEENS0_18inequality_wrapperINSA_8equal_toIxEEEEPmJS6_EEE10hipError_tPvRmT3_T4_T5_T6_T7_T9_mT8_P12ihipStream_tbDpT10_ENKUlT_T0_E_clISt17integral_constantIbLb1EES1D_EEDaS18_S19_EUlS18_E_NS1_11comp_targetILNS1_3genE10ELNS1_11target_archE1200ELNS1_3gpuE4ELNS1_3repE0EEENS1_30default_config_static_selectorELNS0_4arch9wavefront6targetE1EEEvT1_ ; -- Begin function _ZN7rocprim17ROCPRIM_400000_NS6detail17trampoline_kernelINS0_14default_configENS1_25partition_config_selectorILNS1_17partition_subalgoE8ExNS0_10empty_typeEbEEZZNS1_14partition_implILS5_8ELb0ES3_jN6thrust23THRUST_200600_302600_NS6detail15normal_iteratorINSA_10device_ptrIxEEEEPS6_PKS6_NS0_5tupleIJNSA_16discard_iteratorINSA_11use_defaultEEES6_EEENSJ_IJSG_SG_EEENS0_18inequality_wrapperINSA_8equal_toIxEEEEPmJS6_EEE10hipError_tPvRmT3_T4_T5_T6_T7_T9_mT8_P12ihipStream_tbDpT10_ENKUlT_T0_E_clISt17integral_constantIbLb1EES1D_EEDaS18_S19_EUlS18_E_NS1_11comp_targetILNS1_3genE10ELNS1_11target_archE1200ELNS1_3gpuE4ELNS1_3repE0EEENS1_30default_config_static_selectorELNS0_4arch9wavefront6targetE1EEEvT1_
	.globl	_ZN7rocprim17ROCPRIM_400000_NS6detail17trampoline_kernelINS0_14default_configENS1_25partition_config_selectorILNS1_17partition_subalgoE8ExNS0_10empty_typeEbEEZZNS1_14partition_implILS5_8ELb0ES3_jN6thrust23THRUST_200600_302600_NS6detail15normal_iteratorINSA_10device_ptrIxEEEEPS6_PKS6_NS0_5tupleIJNSA_16discard_iteratorINSA_11use_defaultEEES6_EEENSJ_IJSG_SG_EEENS0_18inequality_wrapperINSA_8equal_toIxEEEEPmJS6_EEE10hipError_tPvRmT3_T4_T5_T6_T7_T9_mT8_P12ihipStream_tbDpT10_ENKUlT_T0_E_clISt17integral_constantIbLb1EES1D_EEDaS18_S19_EUlS18_E_NS1_11comp_targetILNS1_3genE10ELNS1_11target_archE1200ELNS1_3gpuE4ELNS1_3repE0EEENS1_30default_config_static_selectorELNS0_4arch9wavefront6targetE1EEEvT1_
	.p2align	8
	.type	_ZN7rocprim17ROCPRIM_400000_NS6detail17trampoline_kernelINS0_14default_configENS1_25partition_config_selectorILNS1_17partition_subalgoE8ExNS0_10empty_typeEbEEZZNS1_14partition_implILS5_8ELb0ES3_jN6thrust23THRUST_200600_302600_NS6detail15normal_iteratorINSA_10device_ptrIxEEEEPS6_PKS6_NS0_5tupleIJNSA_16discard_iteratorINSA_11use_defaultEEES6_EEENSJ_IJSG_SG_EEENS0_18inequality_wrapperINSA_8equal_toIxEEEEPmJS6_EEE10hipError_tPvRmT3_T4_T5_T6_T7_T9_mT8_P12ihipStream_tbDpT10_ENKUlT_T0_E_clISt17integral_constantIbLb1EES1D_EEDaS18_S19_EUlS18_E_NS1_11comp_targetILNS1_3genE10ELNS1_11target_archE1200ELNS1_3gpuE4ELNS1_3repE0EEENS1_30default_config_static_selectorELNS0_4arch9wavefront6targetE1EEEvT1_,@function
_ZN7rocprim17ROCPRIM_400000_NS6detail17trampoline_kernelINS0_14default_configENS1_25partition_config_selectorILNS1_17partition_subalgoE8ExNS0_10empty_typeEbEEZZNS1_14partition_implILS5_8ELb0ES3_jN6thrust23THRUST_200600_302600_NS6detail15normal_iteratorINSA_10device_ptrIxEEEEPS6_PKS6_NS0_5tupleIJNSA_16discard_iteratorINSA_11use_defaultEEES6_EEENSJ_IJSG_SG_EEENS0_18inequality_wrapperINSA_8equal_toIxEEEEPmJS6_EEE10hipError_tPvRmT3_T4_T5_T6_T7_T9_mT8_P12ihipStream_tbDpT10_ENKUlT_T0_E_clISt17integral_constantIbLb1EES1D_EEDaS18_S19_EUlS18_E_NS1_11comp_targetILNS1_3genE10ELNS1_11target_archE1200ELNS1_3gpuE4ELNS1_3repE0EEENS1_30default_config_static_selectorELNS0_4arch9wavefront6targetE1EEEvT1_: ; @_ZN7rocprim17ROCPRIM_400000_NS6detail17trampoline_kernelINS0_14default_configENS1_25partition_config_selectorILNS1_17partition_subalgoE8ExNS0_10empty_typeEbEEZZNS1_14partition_implILS5_8ELb0ES3_jN6thrust23THRUST_200600_302600_NS6detail15normal_iteratorINSA_10device_ptrIxEEEEPS6_PKS6_NS0_5tupleIJNSA_16discard_iteratorINSA_11use_defaultEEES6_EEENSJ_IJSG_SG_EEENS0_18inequality_wrapperINSA_8equal_toIxEEEEPmJS6_EEE10hipError_tPvRmT3_T4_T5_T6_T7_T9_mT8_P12ihipStream_tbDpT10_ENKUlT_T0_E_clISt17integral_constantIbLb1EES1D_EEDaS18_S19_EUlS18_E_NS1_11comp_targetILNS1_3genE10ELNS1_11target_archE1200ELNS1_3gpuE4ELNS1_3repE0EEENS1_30default_config_static_selectorELNS0_4arch9wavefront6targetE1EEEvT1_
; %bb.0:
	.section	.rodata,"a",@progbits
	.p2align	6, 0x0
	.amdhsa_kernel _ZN7rocprim17ROCPRIM_400000_NS6detail17trampoline_kernelINS0_14default_configENS1_25partition_config_selectorILNS1_17partition_subalgoE8ExNS0_10empty_typeEbEEZZNS1_14partition_implILS5_8ELb0ES3_jN6thrust23THRUST_200600_302600_NS6detail15normal_iteratorINSA_10device_ptrIxEEEEPS6_PKS6_NS0_5tupleIJNSA_16discard_iteratorINSA_11use_defaultEEES6_EEENSJ_IJSG_SG_EEENS0_18inequality_wrapperINSA_8equal_toIxEEEEPmJS6_EEE10hipError_tPvRmT3_T4_T5_T6_T7_T9_mT8_P12ihipStream_tbDpT10_ENKUlT_T0_E_clISt17integral_constantIbLb1EES1D_EEDaS18_S19_EUlS18_E_NS1_11comp_targetILNS1_3genE10ELNS1_11target_archE1200ELNS1_3gpuE4ELNS1_3repE0EEENS1_30default_config_static_selectorELNS0_4arch9wavefront6targetE1EEEvT1_
		.amdhsa_group_segment_fixed_size 0
		.amdhsa_private_segment_fixed_size 0
		.amdhsa_kernarg_size 136
		.amdhsa_user_sgpr_count 6
		.amdhsa_user_sgpr_private_segment_buffer 1
		.amdhsa_user_sgpr_dispatch_ptr 0
		.amdhsa_user_sgpr_queue_ptr 0
		.amdhsa_user_sgpr_kernarg_segment_ptr 1
		.amdhsa_user_sgpr_dispatch_id 0
		.amdhsa_user_sgpr_flat_scratch_init 0
		.amdhsa_user_sgpr_private_segment_size 0
		.amdhsa_uses_dynamic_stack 0
		.amdhsa_system_sgpr_private_segment_wavefront_offset 0
		.amdhsa_system_sgpr_workgroup_id_x 1
		.amdhsa_system_sgpr_workgroup_id_y 0
		.amdhsa_system_sgpr_workgroup_id_z 0
		.amdhsa_system_sgpr_workgroup_info 0
		.amdhsa_system_vgpr_workitem_id 0
		.amdhsa_next_free_vgpr 1
		.amdhsa_next_free_sgpr 0
		.amdhsa_reserve_vcc 0
		.amdhsa_reserve_flat_scratch 0
		.amdhsa_float_round_mode_32 0
		.amdhsa_float_round_mode_16_64 0
		.amdhsa_float_denorm_mode_32 3
		.amdhsa_float_denorm_mode_16_64 3
		.amdhsa_dx10_clamp 1
		.amdhsa_ieee_mode 1
		.amdhsa_fp16_overflow 0
		.amdhsa_exception_fp_ieee_invalid_op 0
		.amdhsa_exception_fp_denorm_src 0
		.amdhsa_exception_fp_ieee_div_zero 0
		.amdhsa_exception_fp_ieee_overflow 0
		.amdhsa_exception_fp_ieee_underflow 0
		.amdhsa_exception_fp_ieee_inexact 0
		.amdhsa_exception_int_div_zero 0
	.end_amdhsa_kernel
	.section	.text._ZN7rocprim17ROCPRIM_400000_NS6detail17trampoline_kernelINS0_14default_configENS1_25partition_config_selectorILNS1_17partition_subalgoE8ExNS0_10empty_typeEbEEZZNS1_14partition_implILS5_8ELb0ES3_jN6thrust23THRUST_200600_302600_NS6detail15normal_iteratorINSA_10device_ptrIxEEEEPS6_PKS6_NS0_5tupleIJNSA_16discard_iteratorINSA_11use_defaultEEES6_EEENSJ_IJSG_SG_EEENS0_18inequality_wrapperINSA_8equal_toIxEEEEPmJS6_EEE10hipError_tPvRmT3_T4_T5_T6_T7_T9_mT8_P12ihipStream_tbDpT10_ENKUlT_T0_E_clISt17integral_constantIbLb1EES1D_EEDaS18_S19_EUlS18_E_NS1_11comp_targetILNS1_3genE10ELNS1_11target_archE1200ELNS1_3gpuE4ELNS1_3repE0EEENS1_30default_config_static_selectorELNS0_4arch9wavefront6targetE1EEEvT1_,"axG",@progbits,_ZN7rocprim17ROCPRIM_400000_NS6detail17trampoline_kernelINS0_14default_configENS1_25partition_config_selectorILNS1_17partition_subalgoE8ExNS0_10empty_typeEbEEZZNS1_14partition_implILS5_8ELb0ES3_jN6thrust23THRUST_200600_302600_NS6detail15normal_iteratorINSA_10device_ptrIxEEEEPS6_PKS6_NS0_5tupleIJNSA_16discard_iteratorINSA_11use_defaultEEES6_EEENSJ_IJSG_SG_EEENS0_18inequality_wrapperINSA_8equal_toIxEEEEPmJS6_EEE10hipError_tPvRmT3_T4_T5_T6_T7_T9_mT8_P12ihipStream_tbDpT10_ENKUlT_T0_E_clISt17integral_constantIbLb1EES1D_EEDaS18_S19_EUlS18_E_NS1_11comp_targetILNS1_3genE10ELNS1_11target_archE1200ELNS1_3gpuE4ELNS1_3repE0EEENS1_30default_config_static_selectorELNS0_4arch9wavefront6targetE1EEEvT1_,comdat
.Lfunc_end642:
	.size	_ZN7rocprim17ROCPRIM_400000_NS6detail17trampoline_kernelINS0_14default_configENS1_25partition_config_selectorILNS1_17partition_subalgoE8ExNS0_10empty_typeEbEEZZNS1_14partition_implILS5_8ELb0ES3_jN6thrust23THRUST_200600_302600_NS6detail15normal_iteratorINSA_10device_ptrIxEEEEPS6_PKS6_NS0_5tupleIJNSA_16discard_iteratorINSA_11use_defaultEEES6_EEENSJ_IJSG_SG_EEENS0_18inequality_wrapperINSA_8equal_toIxEEEEPmJS6_EEE10hipError_tPvRmT3_T4_T5_T6_T7_T9_mT8_P12ihipStream_tbDpT10_ENKUlT_T0_E_clISt17integral_constantIbLb1EES1D_EEDaS18_S19_EUlS18_E_NS1_11comp_targetILNS1_3genE10ELNS1_11target_archE1200ELNS1_3gpuE4ELNS1_3repE0EEENS1_30default_config_static_selectorELNS0_4arch9wavefront6targetE1EEEvT1_, .Lfunc_end642-_ZN7rocprim17ROCPRIM_400000_NS6detail17trampoline_kernelINS0_14default_configENS1_25partition_config_selectorILNS1_17partition_subalgoE8ExNS0_10empty_typeEbEEZZNS1_14partition_implILS5_8ELb0ES3_jN6thrust23THRUST_200600_302600_NS6detail15normal_iteratorINSA_10device_ptrIxEEEEPS6_PKS6_NS0_5tupleIJNSA_16discard_iteratorINSA_11use_defaultEEES6_EEENSJ_IJSG_SG_EEENS0_18inequality_wrapperINSA_8equal_toIxEEEEPmJS6_EEE10hipError_tPvRmT3_T4_T5_T6_T7_T9_mT8_P12ihipStream_tbDpT10_ENKUlT_T0_E_clISt17integral_constantIbLb1EES1D_EEDaS18_S19_EUlS18_E_NS1_11comp_targetILNS1_3genE10ELNS1_11target_archE1200ELNS1_3gpuE4ELNS1_3repE0EEENS1_30default_config_static_selectorELNS0_4arch9wavefront6targetE1EEEvT1_
                                        ; -- End function
	.set _ZN7rocprim17ROCPRIM_400000_NS6detail17trampoline_kernelINS0_14default_configENS1_25partition_config_selectorILNS1_17partition_subalgoE8ExNS0_10empty_typeEbEEZZNS1_14partition_implILS5_8ELb0ES3_jN6thrust23THRUST_200600_302600_NS6detail15normal_iteratorINSA_10device_ptrIxEEEEPS6_PKS6_NS0_5tupleIJNSA_16discard_iteratorINSA_11use_defaultEEES6_EEENSJ_IJSG_SG_EEENS0_18inequality_wrapperINSA_8equal_toIxEEEEPmJS6_EEE10hipError_tPvRmT3_T4_T5_T6_T7_T9_mT8_P12ihipStream_tbDpT10_ENKUlT_T0_E_clISt17integral_constantIbLb1EES1D_EEDaS18_S19_EUlS18_E_NS1_11comp_targetILNS1_3genE10ELNS1_11target_archE1200ELNS1_3gpuE4ELNS1_3repE0EEENS1_30default_config_static_selectorELNS0_4arch9wavefront6targetE1EEEvT1_.num_vgpr, 0
	.set _ZN7rocprim17ROCPRIM_400000_NS6detail17trampoline_kernelINS0_14default_configENS1_25partition_config_selectorILNS1_17partition_subalgoE8ExNS0_10empty_typeEbEEZZNS1_14partition_implILS5_8ELb0ES3_jN6thrust23THRUST_200600_302600_NS6detail15normal_iteratorINSA_10device_ptrIxEEEEPS6_PKS6_NS0_5tupleIJNSA_16discard_iteratorINSA_11use_defaultEEES6_EEENSJ_IJSG_SG_EEENS0_18inequality_wrapperINSA_8equal_toIxEEEEPmJS6_EEE10hipError_tPvRmT3_T4_T5_T6_T7_T9_mT8_P12ihipStream_tbDpT10_ENKUlT_T0_E_clISt17integral_constantIbLb1EES1D_EEDaS18_S19_EUlS18_E_NS1_11comp_targetILNS1_3genE10ELNS1_11target_archE1200ELNS1_3gpuE4ELNS1_3repE0EEENS1_30default_config_static_selectorELNS0_4arch9wavefront6targetE1EEEvT1_.num_agpr, 0
	.set _ZN7rocprim17ROCPRIM_400000_NS6detail17trampoline_kernelINS0_14default_configENS1_25partition_config_selectorILNS1_17partition_subalgoE8ExNS0_10empty_typeEbEEZZNS1_14partition_implILS5_8ELb0ES3_jN6thrust23THRUST_200600_302600_NS6detail15normal_iteratorINSA_10device_ptrIxEEEEPS6_PKS6_NS0_5tupleIJNSA_16discard_iteratorINSA_11use_defaultEEES6_EEENSJ_IJSG_SG_EEENS0_18inequality_wrapperINSA_8equal_toIxEEEEPmJS6_EEE10hipError_tPvRmT3_T4_T5_T6_T7_T9_mT8_P12ihipStream_tbDpT10_ENKUlT_T0_E_clISt17integral_constantIbLb1EES1D_EEDaS18_S19_EUlS18_E_NS1_11comp_targetILNS1_3genE10ELNS1_11target_archE1200ELNS1_3gpuE4ELNS1_3repE0EEENS1_30default_config_static_selectorELNS0_4arch9wavefront6targetE1EEEvT1_.numbered_sgpr, 0
	.set _ZN7rocprim17ROCPRIM_400000_NS6detail17trampoline_kernelINS0_14default_configENS1_25partition_config_selectorILNS1_17partition_subalgoE8ExNS0_10empty_typeEbEEZZNS1_14partition_implILS5_8ELb0ES3_jN6thrust23THRUST_200600_302600_NS6detail15normal_iteratorINSA_10device_ptrIxEEEEPS6_PKS6_NS0_5tupleIJNSA_16discard_iteratorINSA_11use_defaultEEES6_EEENSJ_IJSG_SG_EEENS0_18inequality_wrapperINSA_8equal_toIxEEEEPmJS6_EEE10hipError_tPvRmT3_T4_T5_T6_T7_T9_mT8_P12ihipStream_tbDpT10_ENKUlT_T0_E_clISt17integral_constantIbLb1EES1D_EEDaS18_S19_EUlS18_E_NS1_11comp_targetILNS1_3genE10ELNS1_11target_archE1200ELNS1_3gpuE4ELNS1_3repE0EEENS1_30default_config_static_selectorELNS0_4arch9wavefront6targetE1EEEvT1_.num_named_barrier, 0
	.set _ZN7rocprim17ROCPRIM_400000_NS6detail17trampoline_kernelINS0_14default_configENS1_25partition_config_selectorILNS1_17partition_subalgoE8ExNS0_10empty_typeEbEEZZNS1_14partition_implILS5_8ELb0ES3_jN6thrust23THRUST_200600_302600_NS6detail15normal_iteratorINSA_10device_ptrIxEEEEPS6_PKS6_NS0_5tupleIJNSA_16discard_iteratorINSA_11use_defaultEEES6_EEENSJ_IJSG_SG_EEENS0_18inequality_wrapperINSA_8equal_toIxEEEEPmJS6_EEE10hipError_tPvRmT3_T4_T5_T6_T7_T9_mT8_P12ihipStream_tbDpT10_ENKUlT_T0_E_clISt17integral_constantIbLb1EES1D_EEDaS18_S19_EUlS18_E_NS1_11comp_targetILNS1_3genE10ELNS1_11target_archE1200ELNS1_3gpuE4ELNS1_3repE0EEENS1_30default_config_static_selectorELNS0_4arch9wavefront6targetE1EEEvT1_.private_seg_size, 0
	.set _ZN7rocprim17ROCPRIM_400000_NS6detail17trampoline_kernelINS0_14default_configENS1_25partition_config_selectorILNS1_17partition_subalgoE8ExNS0_10empty_typeEbEEZZNS1_14partition_implILS5_8ELb0ES3_jN6thrust23THRUST_200600_302600_NS6detail15normal_iteratorINSA_10device_ptrIxEEEEPS6_PKS6_NS0_5tupleIJNSA_16discard_iteratorINSA_11use_defaultEEES6_EEENSJ_IJSG_SG_EEENS0_18inequality_wrapperINSA_8equal_toIxEEEEPmJS6_EEE10hipError_tPvRmT3_T4_T5_T6_T7_T9_mT8_P12ihipStream_tbDpT10_ENKUlT_T0_E_clISt17integral_constantIbLb1EES1D_EEDaS18_S19_EUlS18_E_NS1_11comp_targetILNS1_3genE10ELNS1_11target_archE1200ELNS1_3gpuE4ELNS1_3repE0EEENS1_30default_config_static_selectorELNS0_4arch9wavefront6targetE1EEEvT1_.uses_vcc, 0
	.set _ZN7rocprim17ROCPRIM_400000_NS6detail17trampoline_kernelINS0_14default_configENS1_25partition_config_selectorILNS1_17partition_subalgoE8ExNS0_10empty_typeEbEEZZNS1_14partition_implILS5_8ELb0ES3_jN6thrust23THRUST_200600_302600_NS6detail15normal_iteratorINSA_10device_ptrIxEEEEPS6_PKS6_NS0_5tupleIJNSA_16discard_iteratorINSA_11use_defaultEEES6_EEENSJ_IJSG_SG_EEENS0_18inequality_wrapperINSA_8equal_toIxEEEEPmJS6_EEE10hipError_tPvRmT3_T4_T5_T6_T7_T9_mT8_P12ihipStream_tbDpT10_ENKUlT_T0_E_clISt17integral_constantIbLb1EES1D_EEDaS18_S19_EUlS18_E_NS1_11comp_targetILNS1_3genE10ELNS1_11target_archE1200ELNS1_3gpuE4ELNS1_3repE0EEENS1_30default_config_static_selectorELNS0_4arch9wavefront6targetE1EEEvT1_.uses_flat_scratch, 0
	.set _ZN7rocprim17ROCPRIM_400000_NS6detail17trampoline_kernelINS0_14default_configENS1_25partition_config_selectorILNS1_17partition_subalgoE8ExNS0_10empty_typeEbEEZZNS1_14partition_implILS5_8ELb0ES3_jN6thrust23THRUST_200600_302600_NS6detail15normal_iteratorINSA_10device_ptrIxEEEEPS6_PKS6_NS0_5tupleIJNSA_16discard_iteratorINSA_11use_defaultEEES6_EEENSJ_IJSG_SG_EEENS0_18inequality_wrapperINSA_8equal_toIxEEEEPmJS6_EEE10hipError_tPvRmT3_T4_T5_T6_T7_T9_mT8_P12ihipStream_tbDpT10_ENKUlT_T0_E_clISt17integral_constantIbLb1EES1D_EEDaS18_S19_EUlS18_E_NS1_11comp_targetILNS1_3genE10ELNS1_11target_archE1200ELNS1_3gpuE4ELNS1_3repE0EEENS1_30default_config_static_selectorELNS0_4arch9wavefront6targetE1EEEvT1_.has_dyn_sized_stack, 0
	.set _ZN7rocprim17ROCPRIM_400000_NS6detail17trampoline_kernelINS0_14default_configENS1_25partition_config_selectorILNS1_17partition_subalgoE8ExNS0_10empty_typeEbEEZZNS1_14partition_implILS5_8ELb0ES3_jN6thrust23THRUST_200600_302600_NS6detail15normal_iteratorINSA_10device_ptrIxEEEEPS6_PKS6_NS0_5tupleIJNSA_16discard_iteratorINSA_11use_defaultEEES6_EEENSJ_IJSG_SG_EEENS0_18inequality_wrapperINSA_8equal_toIxEEEEPmJS6_EEE10hipError_tPvRmT3_T4_T5_T6_T7_T9_mT8_P12ihipStream_tbDpT10_ENKUlT_T0_E_clISt17integral_constantIbLb1EES1D_EEDaS18_S19_EUlS18_E_NS1_11comp_targetILNS1_3genE10ELNS1_11target_archE1200ELNS1_3gpuE4ELNS1_3repE0EEENS1_30default_config_static_selectorELNS0_4arch9wavefront6targetE1EEEvT1_.has_recursion, 0
	.set _ZN7rocprim17ROCPRIM_400000_NS6detail17trampoline_kernelINS0_14default_configENS1_25partition_config_selectorILNS1_17partition_subalgoE8ExNS0_10empty_typeEbEEZZNS1_14partition_implILS5_8ELb0ES3_jN6thrust23THRUST_200600_302600_NS6detail15normal_iteratorINSA_10device_ptrIxEEEEPS6_PKS6_NS0_5tupleIJNSA_16discard_iteratorINSA_11use_defaultEEES6_EEENSJ_IJSG_SG_EEENS0_18inequality_wrapperINSA_8equal_toIxEEEEPmJS6_EEE10hipError_tPvRmT3_T4_T5_T6_T7_T9_mT8_P12ihipStream_tbDpT10_ENKUlT_T0_E_clISt17integral_constantIbLb1EES1D_EEDaS18_S19_EUlS18_E_NS1_11comp_targetILNS1_3genE10ELNS1_11target_archE1200ELNS1_3gpuE4ELNS1_3repE0EEENS1_30default_config_static_selectorELNS0_4arch9wavefront6targetE1EEEvT1_.has_indirect_call, 0
	.section	.AMDGPU.csdata,"",@progbits
; Kernel info:
; codeLenInByte = 0
; TotalNumSgprs: 4
; NumVgprs: 0
; ScratchSize: 0
; MemoryBound: 0
; FloatMode: 240
; IeeeMode: 1
; LDSByteSize: 0 bytes/workgroup (compile time only)
; SGPRBlocks: 0
; VGPRBlocks: 0
; NumSGPRsForWavesPerEU: 4
; NumVGPRsForWavesPerEU: 1
; Occupancy: 10
; WaveLimiterHint : 0
; COMPUTE_PGM_RSRC2:SCRATCH_EN: 0
; COMPUTE_PGM_RSRC2:USER_SGPR: 6
; COMPUTE_PGM_RSRC2:TRAP_HANDLER: 0
; COMPUTE_PGM_RSRC2:TGID_X_EN: 1
; COMPUTE_PGM_RSRC2:TGID_Y_EN: 0
; COMPUTE_PGM_RSRC2:TGID_Z_EN: 0
; COMPUTE_PGM_RSRC2:TIDIG_COMP_CNT: 0
	.section	.text._ZN7rocprim17ROCPRIM_400000_NS6detail17trampoline_kernelINS0_14default_configENS1_25partition_config_selectorILNS1_17partition_subalgoE8ExNS0_10empty_typeEbEEZZNS1_14partition_implILS5_8ELb0ES3_jN6thrust23THRUST_200600_302600_NS6detail15normal_iteratorINSA_10device_ptrIxEEEEPS6_PKS6_NS0_5tupleIJNSA_16discard_iteratorINSA_11use_defaultEEES6_EEENSJ_IJSG_SG_EEENS0_18inequality_wrapperINSA_8equal_toIxEEEEPmJS6_EEE10hipError_tPvRmT3_T4_T5_T6_T7_T9_mT8_P12ihipStream_tbDpT10_ENKUlT_T0_E_clISt17integral_constantIbLb1EES1D_EEDaS18_S19_EUlS18_E_NS1_11comp_targetILNS1_3genE9ELNS1_11target_archE1100ELNS1_3gpuE3ELNS1_3repE0EEENS1_30default_config_static_selectorELNS0_4arch9wavefront6targetE1EEEvT1_,"axG",@progbits,_ZN7rocprim17ROCPRIM_400000_NS6detail17trampoline_kernelINS0_14default_configENS1_25partition_config_selectorILNS1_17partition_subalgoE8ExNS0_10empty_typeEbEEZZNS1_14partition_implILS5_8ELb0ES3_jN6thrust23THRUST_200600_302600_NS6detail15normal_iteratorINSA_10device_ptrIxEEEEPS6_PKS6_NS0_5tupleIJNSA_16discard_iteratorINSA_11use_defaultEEES6_EEENSJ_IJSG_SG_EEENS0_18inequality_wrapperINSA_8equal_toIxEEEEPmJS6_EEE10hipError_tPvRmT3_T4_T5_T6_T7_T9_mT8_P12ihipStream_tbDpT10_ENKUlT_T0_E_clISt17integral_constantIbLb1EES1D_EEDaS18_S19_EUlS18_E_NS1_11comp_targetILNS1_3genE9ELNS1_11target_archE1100ELNS1_3gpuE3ELNS1_3repE0EEENS1_30default_config_static_selectorELNS0_4arch9wavefront6targetE1EEEvT1_,comdat
	.protected	_ZN7rocprim17ROCPRIM_400000_NS6detail17trampoline_kernelINS0_14default_configENS1_25partition_config_selectorILNS1_17partition_subalgoE8ExNS0_10empty_typeEbEEZZNS1_14partition_implILS5_8ELb0ES3_jN6thrust23THRUST_200600_302600_NS6detail15normal_iteratorINSA_10device_ptrIxEEEEPS6_PKS6_NS0_5tupleIJNSA_16discard_iteratorINSA_11use_defaultEEES6_EEENSJ_IJSG_SG_EEENS0_18inequality_wrapperINSA_8equal_toIxEEEEPmJS6_EEE10hipError_tPvRmT3_T4_T5_T6_T7_T9_mT8_P12ihipStream_tbDpT10_ENKUlT_T0_E_clISt17integral_constantIbLb1EES1D_EEDaS18_S19_EUlS18_E_NS1_11comp_targetILNS1_3genE9ELNS1_11target_archE1100ELNS1_3gpuE3ELNS1_3repE0EEENS1_30default_config_static_selectorELNS0_4arch9wavefront6targetE1EEEvT1_ ; -- Begin function _ZN7rocprim17ROCPRIM_400000_NS6detail17trampoline_kernelINS0_14default_configENS1_25partition_config_selectorILNS1_17partition_subalgoE8ExNS0_10empty_typeEbEEZZNS1_14partition_implILS5_8ELb0ES3_jN6thrust23THRUST_200600_302600_NS6detail15normal_iteratorINSA_10device_ptrIxEEEEPS6_PKS6_NS0_5tupleIJNSA_16discard_iteratorINSA_11use_defaultEEES6_EEENSJ_IJSG_SG_EEENS0_18inequality_wrapperINSA_8equal_toIxEEEEPmJS6_EEE10hipError_tPvRmT3_T4_T5_T6_T7_T9_mT8_P12ihipStream_tbDpT10_ENKUlT_T0_E_clISt17integral_constantIbLb1EES1D_EEDaS18_S19_EUlS18_E_NS1_11comp_targetILNS1_3genE9ELNS1_11target_archE1100ELNS1_3gpuE3ELNS1_3repE0EEENS1_30default_config_static_selectorELNS0_4arch9wavefront6targetE1EEEvT1_
	.globl	_ZN7rocprim17ROCPRIM_400000_NS6detail17trampoline_kernelINS0_14default_configENS1_25partition_config_selectorILNS1_17partition_subalgoE8ExNS0_10empty_typeEbEEZZNS1_14partition_implILS5_8ELb0ES3_jN6thrust23THRUST_200600_302600_NS6detail15normal_iteratorINSA_10device_ptrIxEEEEPS6_PKS6_NS0_5tupleIJNSA_16discard_iteratorINSA_11use_defaultEEES6_EEENSJ_IJSG_SG_EEENS0_18inequality_wrapperINSA_8equal_toIxEEEEPmJS6_EEE10hipError_tPvRmT3_T4_T5_T6_T7_T9_mT8_P12ihipStream_tbDpT10_ENKUlT_T0_E_clISt17integral_constantIbLb1EES1D_EEDaS18_S19_EUlS18_E_NS1_11comp_targetILNS1_3genE9ELNS1_11target_archE1100ELNS1_3gpuE3ELNS1_3repE0EEENS1_30default_config_static_selectorELNS0_4arch9wavefront6targetE1EEEvT1_
	.p2align	8
	.type	_ZN7rocprim17ROCPRIM_400000_NS6detail17trampoline_kernelINS0_14default_configENS1_25partition_config_selectorILNS1_17partition_subalgoE8ExNS0_10empty_typeEbEEZZNS1_14partition_implILS5_8ELb0ES3_jN6thrust23THRUST_200600_302600_NS6detail15normal_iteratorINSA_10device_ptrIxEEEEPS6_PKS6_NS0_5tupleIJNSA_16discard_iteratorINSA_11use_defaultEEES6_EEENSJ_IJSG_SG_EEENS0_18inequality_wrapperINSA_8equal_toIxEEEEPmJS6_EEE10hipError_tPvRmT3_T4_T5_T6_T7_T9_mT8_P12ihipStream_tbDpT10_ENKUlT_T0_E_clISt17integral_constantIbLb1EES1D_EEDaS18_S19_EUlS18_E_NS1_11comp_targetILNS1_3genE9ELNS1_11target_archE1100ELNS1_3gpuE3ELNS1_3repE0EEENS1_30default_config_static_selectorELNS0_4arch9wavefront6targetE1EEEvT1_,@function
_ZN7rocprim17ROCPRIM_400000_NS6detail17trampoline_kernelINS0_14default_configENS1_25partition_config_selectorILNS1_17partition_subalgoE8ExNS0_10empty_typeEbEEZZNS1_14partition_implILS5_8ELb0ES3_jN6thrust23THRUST_200600_302600_NS6detail15normal_iteratorINSA_10device_ptrIxEEEEPS6_PKS6_NS0_5tupleIJNSA_16discard_iteratorINSA_11use_defaultEEES6_EEENSJ_IJSG_SG_EEENS0_18inequality_wrapperINSA_8equal_toIxEEEEPmJS6_EEE10hipError_tPvRmT3_T4_T5_T6_T7_T9_mT8_P12ihipStream_tbDpT10_ENKUlT_T0_E_clISt17integral_constantIbLb1EES1D_EEDaS18_S19_EUlS18_E_NS1_11comp_targetILNS1_3genE9ELNS1_11target_archE1100ELNS1_3gpuE3ELNS1_3repE0EEENS1_30default_config_static_selectorELNS0_4arch9wavefront6targetE1EEEvT1_: ; @_ZN7rocprim17ROCPRIM_400000_NS6detail17trampoline_kernelINS0_14default_configENS1_25partition_config_selectorILNS1_17partition_subalgoE8ExNS0_10empty_typeEbEEZZNS1_14partition_implILS5_8ELb0ES3_jN6thrust23THRUST_200600_302600_NS6detail15normal_iteratorINSA_10device_ptrIxEEEEPS6_PKS6_NS0_5tupleIJNSA_16discard_iteratorINSA_11use_defaultEEES6_EEENSJ_IJSG_SG_EEENS0_18inequality_wrapperINSA_8equal_toIxEEEEPmJS6_EEE10hipError_tPvRmT3_T4_T5_T6_T7_T9_mT8_P12ihipStream_tbDpT10_ENKUlT_T0_E_clISt17integral_constantIbLb1EES1D_EEDaS18_S19_EUlS18_E_NS1_11comp_targetILNS1_3genE9ELNS1_11target_archE1100ELNS1_3gpuE3ELNS1_3repE0EEENS1_30default_config_static_selectorELNS0_4arch9wavefront6targetE1EEEvT1_
; %bb.0:
	.section	.rodata,"a",@progbits
	.p2align	6, 0x0
	.amdhsa_kernel _ZN7rocprim17ROCPRIM_400000_NS6detail17trampoline_kernelINS0_14default_configENS1_25partition_config_selectorILNS1_17partition_subalgoE8ExNS0_10empty_typeEbEEZZNS1_14partition_implILS5_8ELb0ES3_jN6thrust23THRUST_200600_302600_NS6detail15normal_iteratorINSA_10device_ptrIxEEEEPS6_PKS6_NS0_5tupleIJNSA_16discard_iteratorINSA_11use_defaultEEES6_EEENSJ_IJSG_SG_EEENS0_18inequality_wrapperINSA_8equal_toIxEEEEPmJS6_EEE10hipError_tPvRmT3_T4_T5_T6_T7_T9_mT8_P12ihipStream_tbDpT10_ENKUlT_T0_E_clISt17integral_constantIbLb1EES1D_EEDaS18_S19_EUlS18_E_NS1_11comp_targetILNS1_3genE9ELNS1_11target_archE1100ELNS1_3gpuE3ELNS1_3repE0EEENS1_30default_config_static_selectorELNS0_4arch9wavefront6targetE1EEEvT1_
		.amdhsa_group_segment_fixed_size 0
		.amdhsa_private_segment_fixed_size 0
		.amdhsa_kernarg_size 136
		.amdhsa_user_sgpr_count 6
		.amdhsa_user_sgpr_private_segment_buffer 1
		.amdhsa_user_sgpr_dispatch_ptr 0
		.amdhsa_user_sgpr_queue_ptr 0
		.amdhsa_user_sgpr_kernarg_segment_ptr 1
		.amdhsa_user_sgpr_dispatch_id 0
		.amdhsa_user_sgpr_flat_scratch_init 0
		.amdhsa_user_sgpr_private_segment_size 0
		.amdhsa_uses_dynamic_stack 0
		.amdhsa_system_sgpr_private_segment_wavefront_offset 0
		.amdhsa_system_sgpr_workgroup_id_x 1
		.amdhsa_system_sgpr_workgroup_id_y 0
		.amdhsa_system_sgpr_workgroup_id_z 0
		.amdhsa_system_sgpr_workgroup_info 0
		.amdhsa_system_vgpr_workitem_id 0
		.amdhsa_next_free_vgpr 1
		.amdhsa_next_free_sgpr 0
		.amdhsa_reserve_vcc 0
		.amdhsa_reserve_flat_scratch 0
		.amdhsa_float_round_mode_32 0
		.amdhsa_float_round_mode_16_64 0
		.amdhsa_float_denorm_mode_32 3
		.amdhsa_float_denorm_mode_16_64 3
		.amdhsa_dx10_clamp 1
		.amdhsa_ieee_mode 1
		.amdhsa_fp16_overflow 0
		.amdhsa_exception_fp_ieee_invalid_op 0
		.amdhsa_exception_fp_denorm_src 0
		.amdhsa_exception_fp_ieee_div_zero 0
		.amdhsa_exception_fp_ieee_overflow 0
		.amdhsa_exception_fp_ieee_underflow 0
		.amdhsa_exception_fp_ieee_inexact 0
		.amdhsa_exception_int_div_zero 0
	.end_amdhsa_kernel
	.section	.text._ZN7rocprim17ROCPRIM_400000_NS6detail17trampoline_kernelINS0_14default_configENS1_25partition_config_selectorILNS1_17partition_subalgoE8ExNS0_10empty_typeEbEEZZNS1_14partition_implILS5_8ELb0ES3_jN6thrust23THRUST_200600_302600_NS6detail15normal_iteratorINSA_10device_ptrIxEEEEPS6_PKS6_NS0_5tupleIJNSA_16discard_iteratorINSA_11use_defaultEEES6_EEENSJ_IJSG_SG_EEENS0_18inequality_wrapperINSA_8equal_toIxEEEEPmJS6_EEE10hipError_tPvRmT3_T4_T5_T6_T7_T9_mT8_P12ihipStream_tbDpT10_ENKUlT_T0_E_clISt17integral_constantIbLb1EES1D_EEDaS18_S19_EUlS18_E_NS1_11comp_targetILNS1_3genE9ELNS1_11target_archE1100ELNS1_3gpuE3ELNS1_3repE0EEENS1_30default_config_static_selectorELNS0_4arch9wavefront6targetE1EEEvT1_,"axG",@progbits,_ZN7rocprim17ROCPRIM_400000_NS6detail17trampoline_kernelINS0_14default_configENS1_25partition_config_selectorILNS1_17partition_subalgoE8ExNS0_10empty_typeEbEEZZNS1_14partition_implILS5_8ELb0ES3_jN6thrust23THRUST_200600_302600_NS6detail15normal_iteratorINSA_10device_ptrIxEEEEPS6_PKS6_NS0_5tupleIJNSA_16discard_iteratorINSA_11use_defaultEEES6_EEENSJ_IJSG_SG_EEENS0_18inequality_wrapperINSA_8equal_toIxEEEEPmJS6_EEE10hipError_tPvRmT3_T4_T5_T6_T7_T9_mT8_P12ihipStream_tbDpT10_ENKUlT_T0_E_clISt17integral_constantIbLb1EES1D_EEDaS18_S19_EUlS18_E_NS1_11comp_targetILNS1_3genE9ELNS1_11target_archE1100ELNS1_3gpuE3ELNS1_3repE0EEENS1_30default_config_static_selectorELNS0_4arch9wavefront6targetE1EEEvT1_,comdat
.Lfunc_end643:
	.size	_ZN7rocprim17ROCPRIM_400000_NS6detail17trampoline_kernelINS0_14default_configENS1_25partition_config_selectorILNS1_17partition_subalgoE8ExNS0_10empty_typeEbEEZZNS1_14partition_implILS5_8ELb0ES3_jN6thrust23THRUST_200600_302600_NS6detail15normal_iteratorINSA_10device_ptrIxEEEEPS6_PKS6_NS0_5tupleIJNSA_16discard_iteratorINSA_11use_defaultEEES6_EEENSJ_IJSG_SG_EEENS0_18inequality_wrapperINSA_8equal_toIxEEEEPmJS6_EEE10hipError_tPvRmT3_T4_T5_T6_T7_T9_mT8_P12ihipStream_tbDpT10_ENKUlT_T0_E_clISt17integral_constantIbLb1EES1D_EEDaS18_S19_EUlS18_E_NS1_11comp_targetILNS1_3genE9ELNS1_11target_archE1100ELNS1_3gpuE3ELNS1_3repE0EEENS1_30default_config_static_selectorELNS0_4arch9wavefront6targetE1EEEvT1_, .Lfunc_end643-_ZN7rocprim17ROCPRIM_400000_NS6detail17trampoline_kernelINS0_14default_configENS1_25partition_config_selectorILNS1_17partition_subalgoE8ExNS0_10empty_typeEbEEZZNS1_14partition_implILS5_8ELb0ES3_jN6thrust23THRUST_200600_302600_NS6detail15normal_iteratorINSA_10device_ptrIxEEEEPS6_PKS6_NS0_5tupleIJNSA_16discard_iteratorINSA_11use_defaultEEES6_EEENSJ_IJSG_SG_EEENS0_18inequality_wrapperINSA_8equal_toIxEEEEPmJS6_EEE10hipError_tPvRmT3_T4_T5_T6_T7_T9_mT8_P12ihipStream_tbDpT10_ENKUlT_T0_E_clISt17integral_constantIbLb1EES1D_EEDaS18_S19_EUlS18_E_NS1_11comp_targetILNS1_3genE9ELNS1_11target_archE1100ELNS1_3gpuE3ELNS1_3repE0EEENS1_30default_config_static_selectorELNS0_4arch9wavefront6targetE1EEEvT1_
                                        ; -- End function
	.set _ZN7rocprim17ROCPRIM_400000_NS6detail17trampoline_kernelINS0_14default_configENS1_25partition_config_selectorILNS1_17partition_subalgoE8ExNS0_10empty_typeEbEEZZNS1_14partition_implILS5_8ELb0ES3_jN6thrust23THRUST_200600_302600_NS6detail15normal_iteratorINSA_10device_ptrIxEEEEPS6_PKS6_NS0_5tupleIJNSA_16discard_iteratorINSA_11use_defaultEEES6_EEENSJ_IJSG_SG_EEENS0_18inequality_wrapperINSA_8equal_toIxEEEEPmJS6_EEE10hipError_tPvRmT3_T4_T5_T6_T7_T9_mT8_P12ihipStream_tbDpT10_ENKUlT_T0_E_clISt17integral_constantIbLb1EES1D_EEDaS18_S19_EUlS18_E_NS1_11comp_targetILNS1_3genE9ELNS1_11target_archE1100ELNS1_3gpuE3ELNS1_3repE0EEENS1_30default_config_static_selectorELNS0_4arch9wavefront6targetE1EEEvT1_.num_vgpr, 0
	.set _ZN7rocprim17ROCPRIM_400000_NS6detail17trampoline_kernelINS0_14default_configENS1_25partition_config_selectorILNS1_17partition_subalgoE8ExNS0_10empty_typeEbEEZZNS1_14partition_implILS5_8ELb0ES3_jN6thrust23THRUST_200600_302600_NS6detail15normal_iteratorINSA_10device_ptrIxEEEEPS6_PKS6_NS0_5tupleIJNSA_16discard_iteratorINSA_11use_defaultEEES6_EEENSJ_IJSG_SG_EEENS0_18inequality_wrapperINSA_8equal_toIxEEEEPmJS6_EEE10hipError_tPvRmT3_T4_T5_T6_T7_T9_mT8_P12ihipStream_tbDpT10_ENKUlT_T0_E_clISt17integral_constantIbLb1EES1D_EEDaS18_S19_EUlS18_E_NS1_11comp_targetILNS1_3genE9ELNS1_11target_archE1100ELNS1_3gpuE3ELNS1_3repE0EEENS1_30default_config_static_selectorELNS0_4arch9wavefront6targetE1EEEvT1_.num_agpr, 0
	.set _ZN7rocprim17ROCPRIM_400000_NS6detail17trampoline_kernelINS0_14default_configENS1_25partition_config_selectorILNS1_17partition_subalgoE8ExNS0_10empty_typeEbEEZZNS1_14partition_implILS5_8ELb0ES3_jN6thrust23THRUST_200600_302600_NS6detail15normal_iteratorINSA_10device_ptrIxEEEEPS6_PKS6_NS0_5tupleIJNSA_16discard_iteratorINSA_11use_defaultEEES6_EEENSJ_IJSG_SG_EEENS0_18inequality_wrapperINSA_8equal_toIxEEEEPmJS6_EEE10hipError_tPvRmT3_T4_T5_T6_T7_T9_mT8_P12ihipStream_tbDpT10_ENKUlT_T0_E_clISt17integral_constantIbLb1EES1D_EEDaS18_S19_EUlS18_E_NS1_11comp_targetILNS1_3genE9ELNS1_11target_archE1100ELNS1_3gpuE3ELNS1_3repE0EEENS1_30default_config_static_selectorELNS0_4arch9wavefront6targetE1EEEvT1_.numbered_sgpr, 0
	.set _ZN7rocprim17ROCPRIM_400000_NS6detail17trampoline_kernelINS0_14default_configENS1_25partition_config_selectorILNS1_17partition_subalgoE8ExNS0_10empty_typeEbEEZZNS1_14partition_implILS5_8ELb0ES3_jN6thrust23THRUST_200600_302600_NS6detail15normal_iteratorINSA_10device_ptrIxEEEEPS6_PKS6_NS0_5tupleIJNSA_16discard_iteratorINSA_11use_defaultEEES6_EEENSJ_IJSG_SG_EEENS0_18inequality_wrapperINSA_8equal_toIxEEEEPmJS6_EEE10hipError_tPvRmT3_T4_T5_T6_T7_T9_mT8_P12ihipStream_tbDpT10_ENKUlT_T0_E_clISt17integral_constantIbLb1EES1D_EEDaS18_S19_EUlS18_E_NS1_11comp_targetILNS1_3genE9ELNS1_11target_archE1100ELNS1_3gpuE3ELNS1_3repE0EEENS1_30default_config_static_selectorELNS0_4arch9wavefront6targetE1EEEvT1_.num_named_barrier, 0
	.set _ZN7rocprim17ROCPRIM_400000_NS6detail17trampoline_kernelINS0_14default_configENS1_25partition_config_selectorILNS1_17partition_subalgoE8ExNS0_10empty_typeEbEEZZNS1_14partition_implILS5_8ELb0ES3_jN6thrust23THRUST_200600_302600_NS6detail15normal_iteratorINSA_10device_ptrIxEEEEPS6_PKS6_NS0_5tupleIJNSA_16discard_iteratorINSA_11use_defaultEEES6_EEENSJ_IJSG_SG_EEENS0_18inequality_wrapperINSA_8equal_toIxEEEEPmJS6_EEE10hipError_tPvRmT3_T4_T5_T6_T7_T9_mT8_P12ihipStream_tbDpT10_ENKUlT_T0_E_clISt17integral_constantIbLb1EES1D_EEDaS18_S19_EUlS18_E_NS1_11comp_targetILNS1_3genE9ELNS1_11target_archE1100ELNS1_3gpuE3ELNS1_3repE0EEENS1_30default_config_static_selectorELNS0_4arch9wavefront6targetE1EEEvT1_.private_seg_size, 0
	.set _ZN7rocprim17ROCPRIM_400000_NS6detail17trampoline_kernelINS0_14default_configENS1_25partition_config_selectorILNS1_17partition_subalgoE8ExNS0_10empty_typeEbEEZZNS1_14partition_implILS5_8ELb0ES3_jN6thrust23THRUST_200600_302600_NS6detail15normal_iteratorINSA_10device_ptrIxEEEEPS6_PKS6_NS0_5tupleIJNSA_16discard_iteratorINSA_11use_defaultEEES6_EEENSJ_IJSG_SG_EEENS0_18inequality_wrapperINSA_8equal_toIxEEEEPmJS6_EEE10hipError_tPvRmT3_T4_T5_T6_T7_T9_mT8_P12ihipStream_tbDpT10_ENKUlT_T0_E_clISt17integral_constantIbLb1EES1D_EEDaS18_S19_EUlS18_E_NS1_11comp_targetILNS1_3genE9ELNS1_11target_archE1100ELNS1_3gpuE3ELNS1_3repE0EEENS1_30default_config_static_selectorELNS0_4arch9wavefront6targetE1EEEvT1_.uses_vcc, 0
	.set _ZN7rocprim17ROCPRIM_400000_NS6detail17trampoline_kernelINS0_14default_configENS1_25partition_config_selectorILNS1_17partition_subalgoE8ExNS0_10empty_typeEbEEZZNS1_14partition_implILS5_8ELb0ES3_jN6thrust23THRUST_200600_302600_NS6detail15normal_iteratorINSA_10device_ptrIxEEEEPS6_PKS6_NS0_5tupleIJNSA_16discard_iteratorINSA_11use_defaultEEES6_EEENSJ_IJSG_SG_EEENS0_18inequality_wrapperINSA_8equal_toIxEEEEPmJS6_EEE10hipError_tPvRmT3_T4_T5_T6_T7_T9_mT8_P12ihipStream_tbDpT10_ENKUlT_T0_E_clISt17integral_constantIbLb1EES1D_EEDaS18_S19_EUlS18_E_NS1_11comp_targetILNS1_3genE9ELNS1_11target_archE1100ELNS1_3gpuE3ELNS1_3repE0EEENS1_30default_config_static_selectorELNS0_4arch9wavefront6targetE1EEEvT1_.uses_flat_scratch, 0
	.set _ZN7rocprim17ROCPRIM_400000_NS6detail17trampoline_kernelINS0_14default_configENS1_25partition_config_selectorILNS1_17partition_subalgoE8ExNS0_10empty_typeEbEEZZNS1_14partition_implILS5_8ELb0ES3_jN6thrust23THRUST_200600_302600_NS6detail15normal_iteratorINSA_10device_ptrIxEEEEPS6_PKS6_NS0_5tupleIJNSA_16discard_iteratorINSA_11use_defaultEEES6_EEENSJ_IJSG_SG_EEENS0_18inequality_wrapperINSA_8equal_toIxEEEEPmJS6_EEE10hipError_tPvRmT3_T4_T5_T6_T7_T9_mT8_P12ihipStream_tbDpT10_ENKUlT_T0_E_clISt17integral_constantIbLb1EES1D_EEDaS18_S19_EUlS18_E_NS1_11comp_targetILNS1_3genE9ELNS1_11target_archE1100ELNS1_3gpuE3ELNS1_3repE0EEENS1_30default_config_static_selectorELNS0_4arch9wavefront6targetE1EEEvT1_.has_dyn_sized_stack, 0
	.set _ZN7rocprim17ROCPRIM_400000_NS6detail17trampoline_kernelINS0_14default_configENS1_25partition_config_selectorILNS1_17partition_subalgoE8ExNS0_10empty_typeEbEEZZNS1_14partition_implILS5_8ELb0ES3_jN6thrust23THRUST_200600_302600_NS6detail15normal_iteratorINSA_10device_ptrIxEEEEPS6_PKS6_NS0_5tupleIJNSA_16discard_iteratorINSA_11use_defaultEEES6_EEENSJ_IJSG_SG_EEENS0_18inequality_wrapperINSA_8equal_toIxEEEEPmJS6_EEE10hipError_tPvRmT3_T4_T5_T6_T7_T9_mT8_P12ihipStream_tbDpT10_ENKUlT_T0_E_clISt17integral_constantIbLb1EES1D_EEDaS18_S19_EUlS18_E_NS1_11comp_targetILNS1_3genE9ELNS1_11target_archE1100ELNS1_3gpuE3ELNS1_3repE0EEENS1_30default_config_static_selectorELNS0_4arch9wavefront6targetE1EEEvT1_.has_recursion, 0
	.set _ZN7rocprim17ROCPRIM_400000_NS6detail17trampoline_kernelINS0_14default_configENS1_25partition_config_selectorILNS1_17partition_subalgoE8ExNS0_10empty_typeEbEEZZNS1_14partition_implILS5_8ELb0ES3_jN6thrust23THRUST_200600_302600_NS6detail15normal_iteratorINSA_10device_ptrIxEEEEPS6_PKS6_NS0_5tupleIJNSA_16discard_iteratorINSA_11use_defaultEEES6_EEENSJ_IJSG_SG_EEENS0_18inequality_wrapperINSA_8equal_toIxEEEEPmJS6_EEE10hipError_tPvRmT3_T4_T5_T6_T7_T9_mT8_P12ihipStream_tbDpT10_ENKUlT_T0_E_clISt17integral_constantIbLb1EES1D_EEDaS18_S19_EUlS18_E_NS1_11comp_targetILNS1_3genE9ELNS1_11target_archE1100ELNS1_3gpuE3ELNS1_3repE0EEENS1_30default_config_static_selectorELNS0_4arch9wavefront6targetE1EEEvT1_.has_indirect_call, 0
	.section	.AMDGPU.csdata,"",@progbits
; Kernel info:
; codeLenInByte = 0
; TotalNumSgprs: 4
; NumVgprs: 0
; ScratchSize: 0
; MemoryBound: 0
; FloatMode: 240
; IeeeMode: 1
; LDSByteSize: 0 bytes/workgroup (compile time only)
; SGPRBlocks: 0
; VGPRBlocks: 0
; NumSGPRsForWavesPerEU: 4
; NumVGPRsForWavesPerEU: 1
; Occupancy: 10
; WaveLimiterHint : 0
; COMPUTE_PGM_RSRC2:SCRATCH_EN: 0
; COMPUTE_PGM_RSRC2:USER_SGPR: 6
; COMPUTE_PGM_RSRC2:TRAP_HANDLER: 0
; COMPUTE_PGM_RSRC2:TGID_X_EN: 1
; COMPUTE_PGM_RSRC2:TGID_Y_EN: 0
; COMPUTE_PGM_RSRC2:TGID_Z_EN: 0
; COMPUTE_PGM_RSRC2:TIDIG_COMP_CNT: 0
	.section	.text._ZN7rocprim17ROCPRIM_400000_NS6detail17trampoline_kernelINS0_14default_configENS1_25partition_config_selectorILNS1_17partition_subalgoE8ExNS0_10empty_typeEbEEZZNS1_14partition_implILS5_8ELb0ES3_jN6thrust23THRUST_200600_302600_NS6detail15normal_iteratorINSA_10device_ptrIxEEEEPS6_PKS6_NS0_5tupleIJNSA_16discard_iteratorINSA_11use_defaultEEES6_EEENSJ_IJSG_SG_EEENS0_18inequality_wrapperINSA_8equal_toIxEEEEPmJS6_EEE10hipError_tPvRmT3_T4_T5_T6_T7_T9_mT8_P12ihipStream_tbDpT10_ENKUlT_T0_E_clISt17integral_constantIbLb1EES1D_EEDaS18_S19_EUlS18_E_NS1_11comp_targetILNS1_3genE8ELNS1_11target_archE1030ELNS1_3gpuE2ELNS1_3repE0EEENS1_30default_config_static_selectorELNS0_4arch9wavefront6targetE1EEEvT1_,"axG",@progbits,_ZN7rocprim17ROCPRIM_400000_NS6detail17trampoline_kernelINS0_14default_configENS1_25partition_config_selectorILNS1_17partition_subalgoE8ExNS0_10empty_typeEbEEZZNS1_14partition_implILS5_8ELb0ES3_jN6thrust23THRUST_200600_302600_NS6detail15normal_iteratorINSA_10device_ptrIxEEEEPS6_PKS6_NS0_5tupleIJNSA_16discard_iteratorINSA_11use_defaultEEES6_EEENSJ_IJSG_SG_EEENS0_18inequality_wrapperINSA_8equal_toIxEEEEPmJS6_EEE10hipError_tPvRmT3_T4_T5_T6_T7_T9_mT8_P12ihipStream_tbDpT10_ENKUlT_T0_E_clISt17integral_constantIbLb1EES1D_EEDaS18_S19_EUlS18_E_NS1_11comp_targetILNS1_3genE8ELNS1_11target_archE1030ELNS1_3gpuE2ELNS1_3repE0EEENS1_30default_config_static_selectorELNS0_4arch9wavefront6targetE1EEEvT1_,comdat
	.protected	_ZN7rocprim17ROCPRIM_400000_NS6detail17trampoline_kernelINS0_14default_configENS1_25partition_config_selectorILNS1_17partition_subalgoE8ExNS0_10empty_typeEbEEZZNS1_14partition_implILS5_8ELb0ES3_jN6thrust23THRUST_200600_302600_NS6detail15normal_iteratorINSA_10device_ptrIxEEEEPS6_PKS6_NS0_5tupleIJNSA_16discard_iteratorINSA_11use_defaultEEES6_EEENSJ_IJSG_SG_EEENS0_18inequality_wrapperINSA_8equal_toIxEEEEPmJS6_EEE10hipError_tPvRmT3_T4_T5_T6_T7_T9_mT8_P12ihipStream_tbDpT10_ENKUlT_T0_E_clISt17integral_constantIbLb1EES1D_EEDaS18_S19_EUlS18_E_NS1_11comp_targetILNS1_3genE8ELNS1_11target_archE1030ELNS1_3gpuE2ELNS1_3repE0EEENS1_30default_config_static_selectorELNS0_4arch9wavefront6targetE1EEEvT1_ ; -- Begin function _ZN7rocprim17ROCPRIM_400000_NS6detail17trampoline_kernelINS0_14default_configENS1_25partition_config_selectorILNS1_17partition_subalgoE8ExNS0_10empty_typeEbEEZZNS1_14partition_implILS5_8ELb0ES3_jN6thrust23THRUST_200600_302600_NS6detail15normal_iteratorINSA_10device_ptrIxEEEEPS6_PKS6_NS0_5tupleIJNSA_16discard_iteratorINSA_11use_defaultEEES6_EEENSJ_IJSG_SG_EEENS0_18inequality_wrapperINSA_8equal_toIxEEEEPmJS6_EEE10hipError_tPvRmT3_T4_T5_T6_T7_T9_mT8_P12ihipStream_tbDpT10_ENKUlT_T0_E_clISt17integral_constantIbLb1EES1D_EEDaS18_S19_EUlS18_E_NS1_11comp_targetILNS1_3genE8ELNS1_11target_archE1030ELNS1_3gpuE2ELNS1_3repE0EEENS1_30default_config_static_selectorELNS0_4arch9wavefront6targetE1EEEvT1_
	.globl	_ZN7rocprim17ROCPRIM_400000_NS6detail17trampoline_kernelINS0_14default_configENS1_25partition_config_selectorILNS1_17partition_subalgoE8ExNS0_10empty_typeEbEEZZNS1_14partition_implILS5_8ELb0ES3_jN6thrust23THRUST_200600_302600_NS6detail15normal_iteratorINSA_10device_ptrIxEEEEPS6_PKS6_NS0_5tupleIJNSA_16discard_iteratorINSA_11use_defaultEEES6_EEENSJ_IJSG_SG_EEENS0_18inequality_wrapperINSA_8equal_toIxEEEEPmJS6_EEE10hipError_tPvRmT3_T4_T5_T6_T7_T9_mT8_P12ihipStream_tbDpT10_ENKUlT_T0_E_clISt17integral_constantIbLb1EES1D_EEDaS18_S19_EUlS18_E_NS1_11comp_targetILNS1_3genE8ELNS1_11target_archE1030ELNS1_3gpuE2ELNS1_3repE0EEENS1_30default_config_static_selectorELNS0_4arch9wavefront6targetE1EEEvT1_
	.p2align	8
	.type	_ZN7rocprim17ROCPRIM_400000_NS6detail17trampoline_kernelINS0_14default_configENS1_25partition_config_selectorILNS1_17partition_subalgoE8ExNS0_10empty_typeEbEEZZNS1_14partition_implILS5_8ELb0ES3_jN6thrust23THRUST_200600_302600_NS6detail15normal_iteratorINSA_10device_ptrIxEEEEPS6_PKS6_NS0_5tupleIJNSA_16discard_iteratorINSA_11use_defaultEEES6_EEENSJ_IJSG_SG_EEENS0_18inequality_wrapperINSA_8equal_toIxEEEEPmJS6_EEE10hipError_tPvRmT3_T4_T5_T6_T7_T9_mT8_P12ihipStream_tbDpT10_ENKUlT_T0_E_clISt17integral_constantIbLb1EES1D_EEDaS18_S19_EUlS18_E_NS1_11comp_targetILNS1_3genE8ELNS1_11target_archE1030ELNS1_3gpuE2ELNS1_3repE0EEENS1_30default_config_static_selectorELNS0_4arch9wavefront6targetE1EEEvT1_,@function
_ZN7rocprim17ROCPRIM_400000_NS6detail17trampoline_kernelINS0_14default_configENS1_25partition_config_selectorILNS1_17partition_subalgoE8ExNS0_10empty_typeEbEEZZNS1_14partition_implILS5_8ELb0ES3_jN6thrust23THRUST_200600_302600_NS6detail15normal_iteratorINSA_10device_ptrIxEEEEPS6_PKS6_NS0_5tupleIJNSA_16discard_iteratorINSA_11use_defaultEEES6_EEENSJ_IJSG_SG_EEENS0_18inequality_wrapperINSA_8equal_toIxEEEEPmJS6_EEE10hipError_tPvRmT3_T4_T5_T6_T7_T9_mT8_P12ihipStream_tbDpT10_ENKUlT_T0_E_clISt17integral_constantIbLb1EES1D_EEDaS18_S19_EUlS18_E_NS1_11comp_targetILNS1_3genE8ELNS1_11target_archE1030ELNS1_3gpuE2ELNS1_3repE0EEENS1_30default_config_static_selectorELNS0_4arch9wavefront6targetE1EEEvT1_: ; @_ZN7rocprim17ROCPRIM_400000_NS6detail17trampoline_kernelINS0_14default_configENS1_25partition_config_selectorILNS1_17partition_subalgoE8ExNS0_10empty_typeEbEEZZNS1_14partition_implILS5_8ELb0ES3_jN6thrust23THRUST_200600_302600_NS6detail15normal_iteratorINSA_10device_ptrIxEEEEPS6_PKS6_NS0_5tupleIJNSA_16discard_iteratorINSA_11use_defaultEEES6_EEENSJ_IJSG_SG_EEENS0_18inequality_wrapperINSA_8equal_toIxEEEEPmJS6_EEE10hipError_tPvRmT3_T4_T5_T6_T7_T9_mT8_P12ihipStream_tbDpT10_ENKUlT_T0_E_clISt17integral_constantIbLb1EES1D_EEDaS18_S19_EUlS18_E_NS1_11comp_targetILNS1_3genE8ELNS1_11target_archE1030ELNS1_3gpuE2ELNS1_3repE0EEENS1_30default_config_static_selectorELNS0_4arch9wavefront6targetE1EEEvT1_
; %bb.0:
	.section	.rodata,"a",@progbits
	.p2align	6, 0x0
	.amdhsa_kernel _ZN7rocprim17ROCPRIM_400000_NS6detail17trampoline_kernelINS0_14default_configENS1_25partition_config_selectorILNS1_17partition_subalgoE8ExNS0_10empty_typeEbEEZZNS1_14partition_implILS5_8ELb0ES3_jN6thrust23THRUST_200600_302600_NS6detail15normal_iteratorINSA_10device_ptrIxEEEEPS6_PKS6_NS0_5tupleIJNSA_16discard_iteratorINSA_11use_defaultEEES6_EEENSJ_IJSG_SG_EEENS0_18inequality_wrapperINSA_8equal_toIxEEEEPmJS6_EEE10hipError_tPvRmT3_T4_T5_T6_T7_T9_mT8_P12ihipStream_tbDpT10_ENKUlT_T0_E_clISt17integral_constantIbLb1EES1D_EEDaS18_S19_EUlS18_E_NS1_11comp_targetILNS1_3genE8ELNS1_11target_archE1030ELNS1_3gpuE2ELNS1_3repE0EEENS1_30default_config_static_selectorELNS0_4arch9wavefront6targetE1EEEvT1_
		.amdhsa_group_segment_fixed_size 0
		.amdhsa_private_segment_fixed_size 0
		.amdhsa_kernarg_size 136
		.amdhsa_user_sgpr_count 6
		.amdhsa_user_sgpr_private_segment_buffer 1
		.amdhsa_user_sgpr_dispatch_ptr 0
		.amdhsa_user_sgpr_queue_ptr 0
		.amdhsa_user_sgpr_kernarg_segment_ptr 1
		.amdhsa_user_sgpr_dispatch_id 0
		.amdhsa_user_sgpr_flat_scratch_init 0
		.amdhsa_user_sgpr_private_segment_size 0
		.amdhsa_uses_dynamic_stack 0
		.amdhsa_system_sgpr_private_segment_wavefront_offset 0
		.amdhsa_system_sgpr_workgroup_id_x 1
		.amdhsa_system_sgpr_workgroup_id_y 0
		.amdhsa_system_sgpr_workgroup_id_z 0
		.amdhsa_system_sgpr_workgroup_info 0
		.amdhsa_system_vgpr_workitem_id 0
		.amdhsa_next_free_vgpr 1
		.amdhsa_next_free_sgpr 0
		.amdhsa_reserve_vcc 0
		.amdhsa_reserve_flat_scratch 0
		.amdhsa_float_round_mode_32 0
		.amdhsa_float_round_mode_16_64 0
		.amdhsa_float_denorm_mode_32 3
		.amdhsa_float_denorm_mode_16_64 3
		.amdhsa_dx10_clamp 1
		.amdhsa_ieee_mode 1
		.amdhsa_fp16_overflow 0
		.amdhsa_exception_fp_ieee_invalid_op 0
		.amdhsa_exception_fp_denorm_src 0
		.amdhsa_exception_fp_ieee_div_zero 0
		.amdhsa_exception_fp_ieee_overflow 0
		.amdhsa_exception_fp_ieee_underflow 0
		.amdhsa_exception_fp_ieee_inexact 0
		.amdhsa_exception_int_div_zero 0
	.end_amdhsa_kernel
	.section	.text._ZN7rocprim17ROCPRIM_400000_NS6detail17trampoline_kernelINS0_14default_configENS1_25partition_config_selectorILNS1_17partition_subalgoE8ExNS0_10empty_typeEbEEZZNS1_14partition_implILS5_8ELb0ES3_jN6thrust23THRUST_200600_302600_NS6detail15normal_iteratorINSA_10device_ptrIxEEEEPS6_PKS6_NS0_5tupleIJNSA_16discard_iteratorINSA_11use_defaultEEES6_EEENSJ_IJSG_SG_EEENS0_18inequality_wrapperINSA_8equal_toIxEEEEPmJS6_EEE10hipError_tPvRmT3_T4_T5_T6_T7_T9_mT8_P12ihipStream_tbDpT10_ENKUlT_T0_E_clISt17integral_constantIbLb1EES1D_EEDaS18_S19_EUlS18_E_NS1_11comp_targetILNS1_3genE8ELNS1_11target_archE1030ELNS1_3gpuE2ELNS1_3repE0EEENS1_30default_config_static_selectorELNS0_4arch9wavefront6targetE1EEEvT1_,"axG",@progbits,_ZN7rocprim17ROCPRIM_400000_NS6detail17trampoline_kernelINS0_14default_configENS1_25partition_config_selectorILNS1_17partition_subalgoE8ExNS0_10empty_typeEbEEZZNS1_14partition_implILS5_8ELb0ES3_jN6thrust23THRUST_200600_302600_NS6detail15normal_iteratorINSA_10device_ptrIxEEEEPS6_PKS6_NS0_5tupleIJNSA_16discard_iteratorINSA_11use_defaultEEES6_EEENSJ_IJSG_SG_EEENS0_18inequality_wrapperINSA_8equal_toIxEEEEPmJS6_EEE10hipError_tPvRmT3_T4_T5_T6_T7_T9_mT8_P12ihipStream_tbDpT10_ENKUlT_T0_E_clISt17integral_constantIbLb1EES1D_EEDaS18_S19_EUlS18_E_NS1_11comp_targetILNS1_3genE8ELNS1_11target_archE1030ELNS1_3gpuE2ELNS1_3repE0EEENS1_30default_config_static_selectorELNS0_4arch9wavefront6targetE1EEEvT1_,comdat
.Lfunc_end644:
	.size	_ZN7rocprim17ROCPRIM_400000_NS6detail17trampoline_kernelINS0_14default_configENS1_25partition_config_selectorILNS1_17partition_subalgoE8ExNS0_10empty_typeEbEEZZNS1_14partition_implILS5_8ELb0ES3_jN6thrust23THRUST_200600_302600_NS6detail15normal_iteratorINSA_10device_ptrIxEEEEPS6_PKS6_NS0_5tupleIJNSA_16discard_iteratorINSA_11use_defaultEEES6_EEENSJ_IJSG_SG_EEENS0_18inequality_wrapperINSA_8equal_toIxEEEEPmJS6_EEE10hipError_tPvRmT3_T4_T5_T6_T7_T9_mT8_P12ihipStream_tbDpT10_ENKUlT_T0_E_clISt17integral_constantIbLb1EES1D_EEDaS18_S19_EUlS18_E_NS1_11comp_targetILNS1_3genE8ELNS1_11target_archE1030ELNS1_3gpuE2ELNS1_3repE0EEENS1_30default_config_static_selectorELNS0_4arch9wavefront6targetE1EEEvT1_, .Lfunc_end644-_ZN7rocprim17ROCPRIM_400000_NS6detail17trampoline_kernelINS0_14default_configENS1_25partition_config_selectorILNS1_17partition_subalgoE8ExNS0_10empty_typeEbEEZZNS1_14partition_implILS5_8ELb0ES3_jN6thrust23THRUST_200600_302600_NS6detail15normal_iteratorINSA_10device_ptrIxEEEEPS6_PKS6_NS0_5tupleIJNSA_16discard_iteratorINSA_11use_defaultEEES6_EEENSJ_IJSG_SG_EEENS0_18inequality_wrapperINSA_8equal_toIxEEEEPmJS6_EEE10hipError_tPvRmT3_T4_T5_T6_T7_T9_mT8_P12ihipStream_tbDpT10_ENKUlT_T0_E_clISt17integral_constantIbLb1EES1D_EEDaS18_S19_EUlS18_E_NS1_11comp_targetILNS1_3genE8ELNS1_11target_archE1030ELNS1_3gpuE2ELNS1_3repE0EEENS1_30default_config_static_selectorELNS0_4arch9wavefront6targetE1EEEvT1_
                                        ; -- End function
	.set _ZN7rocprim17ROCPRIM_400000_NS6detail17trampoline_kernelINS0_14default_configENS1_25partition_config_selectorILNS1_17partition_subalgoE8ExNS0_10empty_typeEbEEZZNS1_14partition_implILS5_8ELb0ES3_jN6thrust23THRUST_200600_302600_NS6detail15normal_iteratorINSA_10device_ptrIxEEEEPS6_PKS6_NS0_5tupleIJNSA_16discard_iteratorINSA_11use_defaultEEES6_EEENSJ_IJSG_SG_EEENS0_18inequality_wrapperINSA_8equal_toIxEEEEPmJS6_EEE10hipError_tPvRmT3_T4_T5_T6_T7_T9_mT8_P12ihipStream_tbDpT10_ENKUlT_T0_E_clISt17integral_constantIbLb1EES1D_EEDaS18_S19_EUlS18_E_NS1_11comp_targetILNS1_3genE8ELNS1_11target_archE1030ELNS1_3gpuE2ELNS1_3repE0EEENS1_30default_config_static_selectorELNS0_4arch9wavefront6targetE1EEEvT1_.num_vgpr, 0
	.set _ZN7rocprim17ROCPRIM_400000_NS6detail17trampoline_kernelINS0_14default_configENS1_25partition_config_selectorILNS1_17partition_subalgoE8ExNS0_10empty_typeEbEEZZNS1_14partition_implILS5_8ELb0ES3_jN6thrust23THRUST_200600_302600_NS6detail15normal_iteratorINSA_10device_ptrIxEEEEPS6_PKS6_NS0_5tupleIJNSA_16discard_iteratorINSA_11use_defaultEEES6_EEENSJ_IJSG_SG_EEENS0_18inequality_wrapperINSA_8equal_toIxEEEEPmJS6_EEE10hipError_tPvRmT3_T4_T5_T6_T7_T9_mT8_P12ihipStream_tbDpT10_ENKUlT_T0_E_clISt17integral_constantIbLb1EES1D_EEDaS18_S19_EUlS18_E_NS1_11comp_targetILNS1_3genE8ELNS1_11target_archE1030ELNS1_3gpuE2ELNS1_3repE0EEENS1_30default_config_static_selectorELNS0_4arch9wavefront6targetE1EEEvT1_.num_agpr, 0
	.set _ZN7rocprim17ROCPRIM_400000_NS6detail17trampoline_kernelINS0_14default_configENS1_25partition_config_selectorILNS1_17partition_subalgoE8ExNS0_10empty_typeEbEEZZNS1_14partition_implILS5_8ELb0ES3_jN6thrust23THRUST_200600_302600_NS6detail15normal_iteratorINSA_10device_ptrIxEEEEPS6_PKS6_NS0_5tupleIJNSA_16discard_iteratorINSA_11use_defaultEEES6_EEENSJ_IJSG_SG_EEENS0_18inequality_wrapperINSA_8equal_toIxEEEEPmJS6_EEE10hipError_tPvRmT3_T4_T5_T6_T7_T9_mT8_P12ihipStream_tbDpT10_ENKUlT_T0_E_clISt17integral_constantIbLb1EES1D_EEDaS18_S19_EUlS18_E_NS1_11comp_targetILNS1_3genE8ELNS1_11target_archE1030ELNS1_3gpuE2ELNS1_3repE0EEENS1_30default_config_static_selectorELNS0_4arch9wavefront6targetE1EEEvT1_.numbered_sgpr, 0
	.set _ZN7rocprim17ROCPRIM_400000_NS6detail17trampoline_kernelINS0_14default_configENS1_25partition_config_selectorILNS1_17partition_subalgoE8ExNS0_10empty_typeEbEEZZNS1_14partition_implILS5_8ELb0ES3_jN6thrust23THRUST_200600_302600_NS6detail15normal_iteratorINSA_10device_ptrIxEEEEPS6_PKS6_NS0_5tupleIJNSA_16discard_iteratorINSA_11use_defaultEEES6_EEENSJ_IJSG_SG_EEENS0_18inequality_wrapperINSA_8equal_toIxEEEEPmJS6_EEE10hipError_tPvRmT3_T4_T5_T6_T7_T9_mT8_P12ihipStream_tbDpT10_ENKUlT_T0_E_clISt17integral_constantIbLb1EES1D_EEDaS18_S19_EUlS18_E_NS1_11comp_targetILNS1_3genE8ELNS1_11target_archE1030ELNS1_3gpuE2ELNS1_3repE0EEENS1_30default_config_static_selectorELNS0_4arch9wavefront6targetE1EEEvT1_.num_named_barrier, 0
	.set _ZN7rocprim17ROCPRIM_400000_NS6detail17trampoline_kernelINS0_14default_configENS1_25partition_config_selectorILNS1_17partition_subalgoE8ExNS0_10empty_typeEbEEZZNS1_14partition_implILS5_8ELb0ES3_jN6thrust23THRUST_200600_302600_NS6detail15normal_iteratorINSA_10device_ptrIxEEEEPS6_PKS6_NS0_5tupleIJNSA_16discard_iteratorINSA_11use_defaultEEES6_EEENSJ_IJSG_SG_EEENS0_18inequality_wrapperINSA_8equal_toIxEEEEPmJS6_EEE10hipError_tPvRmT3_T4_T5_T6_T7_T9_mT8_P12ihipStream_tbDpT10_ENKUlT_T0_E_clISt17integral_constantIbLb1EES1D_EEDaS18_S19_EUlS18_E_NS1_11comp_targetILNS1_3genE8ELNS1_11target_archE1030ELNS1_3gpuE2ELNS1_3repE0EEENS1_30default_config_static_selectorELNS0_4arch9wavefront6targetE1EEEvT1_.private_seg_size, 0
	.set _ZN7rocprim17ROCPRIM_400000_NS6detail17trampoline_kernelINS0_14default_configENS1_25partition_config_selectorILNS1_17partition_subalgoE8ExNS0_10empty_typeEbEEZZNS1_14partition_implILS5_8ELb0ES3_jN6thrust23THRUST_200600_302600_NS6detail15normal_iteratorINSA_10device_ptrIxEEEEPS6_PKS6_NS0_5tupleIJNSA_16discard_iteratorINSA_11use_defaultEEES6_EEENSJ_IJSG_SG_EEENS0_18inequality_wrapperINSA_8equal_toIxEEEEPmJS6_EEE10hipError_tPvRmT3_T4_T5_T6_T7_T9_mT8_P12ihipStream_tbDpT10_ENKUlT_T0_E_clISt17integral_constantIbLb1EES1D_EEDaS18_S19_EUlS18_E_NS1_11comp_targetILNS1_3genE8ELNS1_11target_archE1030ELNS1_3gpuE2ELNS1_3repE0EEENS1_30default_config_static_selectorELNS0_4arch9wavefront6targetE1EEEvT1_.uses_vcc, 0
	.set _ZN7rocprim17ROCPRIM_400000_NS6detail17trampoline_kernelINS0_14default_configENS1_25partition_config_selectorILNS1_17partition_subalgoE8ExNS0_10empty_typeEbEEZZNS1_14partition_implILS5_8ELb0ES3_jN6thrust23THRUST_200600_302600_NS6detail15normal_iteratorINSA_10device_ptrIxEEEEPS6_PKS6_NS0_5tupleIJNSA_16discard_iteratorINSA_11use_defaultEEES6_EEENSJ_IJSG_SG_EEENS0_18inequality_wrapperINSA_8equal_toIxEEEEPmJS6_EEE10hipError_tPvRmT3_T4_T5_T6_T7_T9_mT8_P12ihipStream_tbDpT10_ENKUlT_T0_E_clISt17integral_constantIbLb1EES1D_EEDaS18_S19_EUlS18_E_NS1_11comp_targetILNS1_3genE8ELNS1_11target_archE1030ELNS1_3gpuE2ELNS1_3repE0EEENS1_30default_config_static_selectorELNS0_4arch9wavefront6targetE1EEEvT1_.uses_flat_scratch, 0
	.set _ZN7rocprim17ROCPRIM_400000_NS6detail17trampoline_kernelINS0_14default_configENS1_25partition_config_selectorILNS1_17partition_subalgoE8ExNS0_10empty_typeEbEEZZNS1_14partition_implILS5_8ELb0ES3_jN6thrust23THRUST_200600_302600_NS6detail15normal_iteratorINSA_10device_ptrIxEEEEPS6_PKS6_NS0_5tupleIJNSA_16discard_iteratorINSA_11use_defaultEEES6_EEENSJ_IJSG_SG_EEENS0_18inequality_wrapperINSA_8equal_toIxEEEEPmJS6_EEE10hipError_tPvRmT3_T4_T5_T6_T7_T9_mT8_P12ihipStream_tbDpT10_ENKUlT_T0_E_clISt17integral_constantIbLb1EES1D_EEDaS18_S19_EUlS18_E_NS1_11comp_targetILNS1_3genE8ELNS1_11target_archE1030ELNS1_3gpuE2ELNS1_3repE0EEENS1_30default_config_static_selectorELNS0_4arch9wavefront6targetE1EEEvT1_.has_dyn_sized_stack, 0
	.set _ZN7rocprim17ROCPRIM_400000_NS6detail17trampoline_kernelINS0_14default_configENS1_25partition_config_selectorILNS1_17partition_subalgoE8ExNS0_10empty_typeEbEEZZNS1_14partition_implILS5_8ELb0ES3_jN6thrust23THRUST_200600_302600_NS6detail15normal_iteratorINSA_10device_ptrIxEEEEPS6_PKS6_NS0_5tupleIJNSA_16discard_iteratorINSA_11use_defaultEEES6_EEENSJ_IJSG_SG_EEENS0_18inequality_wrapperINSA_8equal_toIxEEEEPmJS6_EEE10hipError_tPvRmT3_T4_T5_T6_T7_T9_mT8_P12ihipStream_tbDpT10_ENKUlT_T0_E_clISt17integral_constantIbLb1EES1D_EEDaS18_S19_EUlS18_E_NS1_11comp_targetILNS1_3genE8ELNS1_11target_archE1030ELNS1_3gpuE2ELNS1_3repE0EEENS1_30default_config_static_selectorELNS0_4arch9wavefront6targetE1EEEvT1_.has_recursion, 0
	.set _ZN7rocprim17ROCPRIM_400000_NS6detail17trampoline_kernelINS0_14default_configENS1_25partition_config_selectorILNS1_17partition_subalgoE8ExNS0_10empty_typeEbEEZZNS1_14partition_implILS5_8ELb0ES3_jN6thrust23THRUST_200600_302600_NS6detail15normal_iteratorINSA_10device_ptrIxEEEEPS6_PKS6_NS0_5tupleIJNSA_16discard_iteratorINSA_11use_defaultEEES6_EEENSJ_IJSG_SG_EEENS0_18inequality_wrapperINSA_8equal_toIxEEEEPmJS6_EEE10hipError_tPvRmT3_T4_T5_T6_T7_T9_mT8_P12ihipStream_tbDpT10_ENKUlT_T0_E_clISt17integral_constantIbLb1EES1D_EEDaS18_S19_EUlS18_E_NS1_11comp_targetILNS1_3genE8ELNS1_11target_archE1030ELNS1_3gpuE2ELNS1_3repE0EEENS1_30default_config_static_selectorELNS0_4arch9wavefront6targetE1EEEvT1_.has_indirect_call, 0
	.section	.AMDGPU.csdata,"",@progbits
; Kernel info:
; codeLenInByte = 0
; TotalNumSgprs: 4
; NumVgprs: 0
; ScratchSize: 0
; MemoryBound: 0
; FloatMode: 240
; IeeeMode: 1
; LDSByteSize: 0 bytes/workgroup (compile time only)
; SGPRBlocks: 0
; VGPRBlocks: 0
; NumSGPRsForWavesPerEU: 4
; NumVGPRsForWavesPerEU: 1
; Occupancy: 10
; WaveLimiterHint : 0
; COMPUTE_PGM_RSRC2:SCRATCH_EN: 0
; COMPUTE_PGM_RSRC2:USER_SGPR: 6
; COMPUTE_PGM_RSRC2:TRAP_HANDLER: 0
; COMPUTE_PGM_RSRC2:TGID_X_EN: 1
; COMPUTE_PGM_RSRC2:TGID_Y_EN: 0
; COMPUTE_PGM_RSRC2:TGID_Z_EN: 0
; COMPUTE_PGM_RSRC2:TIDIG_COMP_CNT: 0
	.section	.text._ZN7rocprim17ROCPRIM_400000_NS6detail17trampoline_kernelINS0_14default_configENS1_25partition_config_selectorILNS1_17partition_subalgoE8ExNS0_10empty_typeEbEEZZNS1_14partition_implILS5_8ELb0ES3_jN6thrust23THRUST_200600_302600_NS6detail15normal_iteratorINSA_10device_ptrIxEEEEPS6_PKS6_NS0_5tupleIJNSA_16discard_iteratorINSA_11use_defaultEEES6_EEENSJ_IJSG_SG_EEENS0_18inequality_wrapperINSA_8equal_toIxEEEEPmJS6_EEE10hipError_tPvRmT3_T4_T5_T6_T7_T9_mT8_P12ihipStream_tbDpT10_ENKUlT_T0_E_clISt17integral_constantIbLb1EES1C_IbLb0EEEEDaS18_S19_EUlS18_E_NS1_11comp_targetILNS1_3genE0ELNS1_11target_archE4294967295ELNS1_3gpuE0ELNS1_3repE0EEENS1_30default_config_static_selectorELNS0_4arch9wavefront6targetE1EEEvT1_,"axG",@progbits,_ZN7rocprim17ROCPRIM_400000_NS6detail17trampoline_kernelINS0_14default_configENS1_25partition_config_selectorILNS1_17partition_subalgoE8ExNS0_10empty_typeEbEEZZNS1_14partition_implILS5_8ELb0ES3_jN6thrust23THRUST_200600_302600_NS6detail15normal_iteratorINSA_10device_ptrIxEEEEPS6_PKS6_NS0_5tupleIJNSA_16discard_iteratorINSA_11use_defaultEEES6_EEENSJ_IJSG_SG_EEENS0_18inequality_wrapperINSA_8equal_toIxEEEEPmJS6_EEE10hipError_tPvRmT3_T4_T5_T6_T7_T9_mT8_P12ihipStream_tbDpT10_ENKUlT_T0_E_clISt17integral_constantIbLb1EES1C_IbLb0EEEEDaS18_S19_EUlS18_E_NS1_11comp_targetILNS1_3genE0ELNS1_11target_archE4294967295ELNS1_3gpuE0ELNS1_3repE0EEENS1_30default_config_static_selectorELNS0_4arch9wavefront6targetE1EEEvT1_,comdat
	.protected	_ZN7rocprim17ROCPRIM_400000_NS6detail17trampoline_kernelINS0_14default_configENS1_25partition_config_selectorILNS1_17partition_subalgoE8ExNS0_10empty_typeEbEEZZNS1_14partition_implILS5_8ELb0ES3_jN6thrust23THRUST_200600_302600_NS6detail15normal_iteratorINSA_10device_ptrIxEEEEPS6_PKS6_NS0_5tupleIJNSA_16discard_iteratorINSA_11use_defaultEEES6_EEENSJ_IJSG_SG_EEENS0_18inequality_wrapperINSA_8equal_toIxEEEEPmJS6_EEE10hipError_tPvRmT3_T4_T5_T6_T7_T9_mT8_P12ihipStream_tbDpT10_ENKUlT_T0_E_clISt17integral_constantIbLb1EES1C_IbLb0EEEEDaS18_S19_EUlS18_E_NS1_11comp_targetILNS1_3genE0ELNS1_11target_archE4294967295ELNS1_3gpuE0ELNS1_3repE0EEENS1_30default_config_static_selectorELNS0_4arch9wavefront6targetE1EEEvT1_ ; -- Begin function _ZN7rocprim17ROCPRIM_400000_NS6detail17trampoline_kernelINS0_14default_configENS1_25partition_config_selectorILNS1_17partition_subalgoE8ExNS0_10empty_typeEbEEZZNS1_14partition_implILS5_8ELb0ES3_jN6thrust23THRUST_200600_302600_NS6detail15normal_iteratorINSA_10device_ptrIxEEEEPS6_PKS6_NS0_5tupleIJNSA_16discard_iteratorINSA_11use_defaultEEES6_EEENSJ_IJSG_SG_EEENS0_18inequality_wrapperINSA_8equal_toIxEEEEPmJS6_EEE10hipError_tPvRmT3_T4_T5_T6_T7_T9_mT8_P12ihipStream_tbDpT10_ENKUlT_T0_E_clISt17integral_constantIbLb1EES1C_IbLb0EEEEDaS18_S19_EUlS18_E_NS1_11comp_targetILNS1_3genE0ELNS1_11target_archE4294967295ELNS1_3gpuE0ELNS1_3repE0EEENS1_30default_config_static_selectorELNS0_4arch9wavefront6targetE1EEEvT1_
	.globl	_ZN7rocprim17ROCPRIM_400000_NS6detail17trampoline_kernelINS0_14default_configENS1_25partition_config_selectorILNS1_17partition_subalgoE8ExNS0_10empty_typeEbEEZZNS1_14partition_implILS5_8ELb0ES3_jN6thrust23THRUST_200600_302600_NS6detail15normal_iteratorINSA_10device_ptrIxEEEEPS6_PKS6_NS0_5tupleIJNSA_16discard_iteratorINSA_11use_defaultEEES6_EEENSJ_IJSG_SG_EEENS0_18inequality_wrapperINSA_8equal_toIxEEEEPmJS6_EEE10hipError_tPvRmT3_T4_T5_T6_T7_T9_mT8_P12ihipStream_tbDpT10_ENKUlT_T0_E_clISt17integral_constantIbLb1EES1C_IbLb0EEEEDaS18_S19_EUlS18_E_NS1_11comp_targetILNS1_3genE0ELNS1_11target_archE4294967295ELNS1_3gpuE0ELNS1_3repE0EEENS1_30default_config_static_selectorELNS0_4arch9wavefront6targetE1EEEvT1_
	.p2align	8
	.type	_ZN7rocprim17ROCPRIM_400000_NS6detail17trampoline_kernelINS0_14default_configENS1_25partition_config_selectorILNS1_17partition_subalgoE8ExNS0_10empty_typeEbEEZZNS1_14partition_implILS5_8ELb0ES3_jN6thrust23THRUST_200600_302600_NS6detail15normal_iteratorINSA_10device_ptrIxEEEEPS6_PKS6_NS0_5tupleIJNSA_16discard_iteratorINSA_11use_defaultEEES6_EEENSJ_IJSG_SG_EEENS0_18inequality_wrapperINSA_8equal_toIxEEEEPmJS6_EEE10hipError_tPvRmT3_T4_T5_T6_T7_T9_mT8_P12ihipStream_tbDpT10_ENKUlT_T0_E_clISt17integral_constantIbLb1EES1C_IbLb0EEEEDaS18_S19_EUlS18_E_NS1_11comp_targetILNS1_3genE0ELNS1_11target_archE4294967295ELNS1_3gpuE0ELNS1_3repE0EEENS1_30default_config_static_selectorELNS0_4arch9wavefront6targetE1EEEvT1_,@function
_ZN7rocprim17ROCPRIM_400000_NS6detail17trampoline_kernelINS0_14default_configENS1_25partition_config_selectorILNS1_17partition_subalgoE8ExNS0_10empty_typeEbEEZZNS1_14partition_implILS5_8ELb0ES3_jN6thrust23THRUST_200600_302600_NS6detail15normal_iteratorINSA_10device_ptrIxEEEEPS6_PKS6_NS0_5tupleIJNSA_16discard_iteratorINSA_11use_defaultEEES6_EEENSJ_IJSG_SG_EEENS0_18inequality_wrapperINSA_8equal_toIxEEEEPmJS6_EEE10hipError_tPvRmT3_T4_T5_T6_T7_T9_mT8_P12ihipStream_tbDpT10_ENKUlT_T0_E_clISt17integral_constantIbLb1EES1C_IbLb0EEEEDaS18_S19_EUlS18_E_NS1_11comp_targetILNS1_3genE0ELNS1_11target_archE4294967295ELNS1_3gpuE0ELNS1_3repE0EEENS1_30default_config_static_selectorELNS0_4arch9wavefront6targetE1EEEvT1_: ; @_ZN7rocprim17ROCPRIM_400000_NS6detail17trampoline_kernelINS0_14default_configENS1_25partition_config_selectorILNS1_17partition_subalgoE8ExNS0_10empty_typeEbEEZZNS1_14partition_implILS5_8ELb0ES3_jN6thrust23THRUST_200600_302600_NS6detail15normal_iteratorINSA_10device_ptrIxEEEEPS6_PKS6_NS0_5tupleIJNSA_16discard_iteratorINSA_11use_defaultEEES6_EEENSJ_IJSG_SG_EEENS0_18inequality_wrapperINSA_8equal_toIxEEEEPmJS6_EEE10hipError_tPvRmT3_T4_T5_T6_T7_T9_mT8_P12ihipStream_tbDpT10_ENKUlT_T0_E_clISt17integral_constantIbLb1EES1C_IbLb0EEEEDaS18_S19_EUlS18_E_NS1_11comp_targetILNS1_3genE0ELNS1_11target_archE4294967295ELNS1_3gpuE0ELNS1_3repE0EEENS1_30default_config_static_selectorELNS0_4arch9wavefront6targetE1EEEvT1_
; %bb.0:
	.section	.rodata,"a",@progbits
	.p2align	6, 0x0
	.amdhsa_kernel _ZN7rocprim17ROCPRIM_400000_NS6detail17trampoline_kernelINS0_14default_configENS1_25partition_config_selectorILNS1_17partition_subalgoE8ExNS0_10empty_typeEbEEZZNS1_14partition_implILS5_8ELb0ES3_jN6thrust23THRUST_200600_302600_NS6detail15normal_iteratorINSA_10device_ptrIxEEEEPS6_PKS6_NS0_5tupleIJNSA_16discard_iteratorINSA_11use_defaultEEES6_EEENSJ_IJSG_SG_EEENS0_18inequality_wrapperINSA_8equal_toIxEEEEPmJS6_EEE10hipError_tPvRmT3_T4_T5_T6_T7_T9_mT8_P12ihipStream_tbDpT10_ENKUlT_T0_E_clISt17integral_constantIbLb1EES1C_IbLb0EEEEDaS18_S19_EUlS18_E_NS1_11comp_targetILNS1_3genE0ELNS1_11target_archE4294967295ELNS1_3gpuE0ELNS1_3repE0EEENS1_30default_config_static_selectorELNS0_4arch9wavefront6targetE1EEEvT1_
		.amdhsa_group_segment_fixed_size 0
		.amdhsa_private_segment_fixed_size 0
		.amdhsa_kernarg_size 120
		.amdhsa_user_sgpr_count 6
		.amdhsa_user_sgpr_private_segment_buffer 1
		.amdhsa_user_sgpr_dispatch_ptr 0
		.amdhsa_user_sgpr_queue_ptr 0
		.amdhsa_user_sgpr_kernarg_segment_ptr 1
		.amdhsa_user_sgpr_dispatch_id 0
		.amdhsa_user_sgpr_flat_scratch_init 0
		.amdhsa_user_sgpr_private_segment_size 0
		.amdhsa_uses_dynamic_stack 0
		.amdhsa_system_sgpr_private_segment_wavefront_offset 0
		.amdhsa_system_sgpr_workgroup_id_x 1
		.amdhsa_system_sgpr_workgroup_id_y 0
		.amdhsa_system_sgpr_workgroup_id_z 0
		.amdhsa_system_sgpr_workgroup_info 0
		.amdhsa_system_vgpr_workitem_id 0
		.amdhsa_next_free_vgpr 1
		.amdhsa_next_free_sgpr 0
		.amdhsa_reserve_vcc 0
		.amdhsa_reserve_flat_scratch 0
		.amdhsa_float_round_mode_32 0
		.amdhsa_float_round_mode_16_64 0
		.amdhsa_float_denorm_mode_32 3
		.amdhsa_float_denorm_mode_16_64 3
		.amdhsa_dx10_clamp 1
		.amdhsa_ieee_mode 1
		.amdhsa_fp16_overflow 0
		.amdhsa_exception_fp_ieee_invalid_op 0
		.amdhsa_exception_fp_denorm_src 0
		.amdhsa_exception_fp_ieee_div_zero 0
		.amdhsa_exception_fp_ieee_overflow 0
		.amdhsa_exception_fp_ieee_underflow 0
		.amdhsa_exception_fp_ieee_inexact 0
		.amdhsa_exception_int_div_zero 0
	.end_amdhsa_kernel
	.section	.text._ZN7rocprim17ROCPRIM_400000_NS6detail17trampoline_kernelINS0_14default_configENS1_25partition_config_selectorILNS1_17partition_subalgoE8ExNS0_10empty_typeEbEEZZNS1_14partition_implILS5_8ELb0ES3_jN6thrust23THRUST_200600_302600_NS6detail15normal_iteratorINSA_10device_ptrIxEEEEPS6_PKS6_NS0_5tupleIJNSA_16discard_iteratorINSA_11use_defaultEEES6_EEENSJ_IJSG_SG_EEENS0_18inequality_wrapperINSA_8equal_toIxEEEEPmJS6_EEE10hipError_tPvRmT3_T4_T5_T6_T7_T9_mT8_P12ihipStream_tbDpT10_ENKUlT_T0_E_clISt17integral_constantIbLb1EES1C_IbLb0EEEEDaS18_S19_EUlS18_E_NS1_11comp_targetILNS1_3genE0ELNS1_11target_archE4294967295ELNS1_3gpuE0ELNS1_3repE0EEENS1_30default_config_static_selectorELNS0_4arch9wavefront6targetE1EEEvT1_,"axG",@progbits,_ZN7rocprim17ROCPRIM_400000_NS6detail17trampoline_kernelINS0_14default_configENS1_25partition_config_selectorILNS1_17partition_subalgoE8ExNS0_10empty_typeEbEEZZNS1_14partition_implILS5_8ELb0ES3_jN6thrust23THRUST_200600_302600_NS6detail15normal_iteratorINSA_10device_ptrIxEEEEPS6_PKS6_NS0_5tupleIJNSA_16discard_iteratorINSA_11use_defaultEEES6_EEENSJ_IJSG_SG_EEENS0_18inequality_wrapperINSA_8equal_toIxEEEEPmJS6_EEE10hipError_tPvRmT3_T4_T5_T6_T7_T9_mT8_P12ihipStream_tbDpT10_ENKUlT_T0_E_clISt17integral_constantIbLb1EES1C_IbLb0EEEEDaS18_S19_EUlS18_E_NS1_11comp_targetILNS1_3genE0ELNS1_11target_archE4294967295ELNS1_3gpuE0ELNS1_3repE0EEENS1_30default_config_static_selectorELNS0_4arch9wavefront6targetE1EEEvT1_,comdat
.Lfunc_end645:
	.size	_ZN7rocprim17ROCPRIM_400000_NS6detail17trampoline_kernelINS0_14default_configENS1_25partition_config_selectorILNS1_17partition_subalgoE8ExNS0_10empty_typeEbEEZZNS1_14partition_implILS5_8ELb0ES3_jN6thrust23THRUST_200600_302600_NS6detail15normal_iteratorINSA_10device_ptrIxEEEEPS6_PKS6_NS0_5tupleIJNSA_16discard_iteratorINSA_11use_defaultEEES6_EEENSJ_IJSG_SG_EEENS0_18inequality_wrapperINSA_8equal_toIxEEEEPmJS6_EEE10hipError_tPvRmT3_T4_T5_T6_T7_T9_mT8_P12ihipStream_tbDpT10_ENKUlT_T0_E_clISt17integral_constantIbLb1EES1C_IbLb0EEEEDaS18_S19_EUlS18_E_NS1_11comp_targetILNS1_3genE0ELNS1_11target_archE4294967295ELNS1_3gpuE0ELNS1_3repE0EEENS1_30default_config_static_selectorELNS0_4arch9wavefront6targetE1EEEvT1_, .Lfunc_end645-_ZN7rocprim17ROCPRIM_400000_NS6detail17trampoline_kernelINS0_14default_configENS1_25partition_config_selectorILNS1_17partition_subalgoE8ExNS0_10empty_typeEbEEZZNS1_14partition_implILS5_8ELb0ES3_jN6thrust23THRUST_200600_302600_NS6detail15normal_iteratorINSA_10device_ptrIxEEEEPS6_PKS6_NS0_5tupleIJNSA_16discard_iteratorINSA_11use_defaultEEES6_EEENSJ_IJSG_SG_EEENS0_18inequality_wrapperINSA_8equal_toIxEEEEPmJS6_EEE10hipError_tPvRmT3_T4_T5_T6_T7_T9_mT8_P12ihipStream_tbDpT10_ENKUlT_T0_E_clISt17integral_constantIbLb1EES1C_IbLb0EEEEDaS18_S19_EUlS18_E_NS1_11comp_targetILNS1_3genE0ELNS1_11target_archE4294967295ELNS1_3gpuE0ELNS1_3repE0EEENS1_30default_config_static_selectorELNS0_4arch9wavefront6targetE1EEEvT1_
                                        ; -- End function
	.set _ZN7rocprim17ROCPRIM_400000_NS6detail17trampoline_kernelINS0_14default_configENS1_25partition_config_selectorILNS1_17partition_subalgoE8ExNS0_10empty_typeEbEEZZNS1_14partition_implILS5_8ELb0ES3_jN6thrust23THRUST_200600_302600_NS6detail15normal_iteratorINSA_10device_ptrIxEEEEPS6_PKS6_NS0_5tupleIJNSA_16discard_iteratorINSA_11use_defaultEEES6_EEENSJ_IJSG_SG_EEENS0_18inequality_wrapperINSA_8equal_toIxEEEEPmJS6_EEE10hipError_tPvRmT3_T4_T5_T6_T7_T9_mT8_P12ihipStream_tbDpT10_ENKUlT_T0_E_clISt17integral_constantIbLb1EES1C_IbLb0EEEEDaS18_S19_EUlS18_E_NS1_11comp_targetILNS1_3genE0ELNS1_11target_archE4294967295ELNS1_3gpuE0ELNS1_3repE0EEENS1_30default_config_static_selectorELNS0_4arch9wavefront6targetE1EEEvT1_.num_vgpr, 0
	.set _ZN7rocprim17ROCPRIM_400000_NS6detail17trampoline_kernelINS0_14default_configENS1_25partition_config_selectorILNS1_17partition_subalgoE8ExNS0_10empty_typeEbEEZZNS1_14partition_implILS5_8ELb0ES3_jN6thrust23THRUST_200600_302600_NS6detail15normal_iteratorINSA_10device_ptrIxEEEEPS6_PKS6_NS0_5tupleIJNSA_16discard_iteratorINSA_11use_defaultEEES6_EEENSJ_IJSG_SG_EEENS0_18inequality_wrapperINSA_8equal_toIxEEEEPmJS6_EEE10hipError_tPvRmT3_T4_T5_T6_T7_T9_mT8_P12ihipStream_tbDpT10_ENKUlT_T0_E_clISt17integral_constantIbLb1EES1C_IbLb0EEEEDaS18_S19_EUlS18_E_NS1_11comp_targetILNS1_3genE0ELNS1_11target_archE4294967295ELNS1_3gpuE0ELNS1_3repE0EEENS1_30default_config_static_selectorELNS0_4arch9wavefront6targetE1EEEvT1_.num_agpr, 0
	.set _ZN7rocprim17ROCPRIM_400000_NS6detail17trampoline_kernelINS0_14default_configENS1_25partition_config_selectorILNS1_17partition_subalgoE8ExNS0_10empty_typeEbEEZZNS1_14partition_implILS5_8ELb0ES3_jN6thrust23THRUST_200600_302600_NS6detail15normal_iteratorINSA_10device_ptrIxEEEEPS6_PKS6_NS0_5tupleIJNSA_16discard_iteratorINSA_11use_defaultEEES6_EEENSJ_IJSG_SG_EEENS0_18inequality_wrapperINSA_8equal_toIxEEEEPmJS6_EEE10hipError_tPvRmT3_T4_T5_T6_T7_T9_mT8_P12ihipStream_tbDpT10_ENKUlT_T0_E_clISt17integral_constantIbLb1EES1C_IbLb0EEEEDaS18_S19_EUlS18_E_NS1_11comp_targetILNS1_3genE0ELNS1_11target_archE4294967295ELNS1_3gpuE0ELNS1_3repE0EEENS1_30default_config_static_selectorELNS0_4arch9wavefront6targetE1EEEvT1_.numbered_sgpr, 0
	.set _ZN7rocprim17ROCPRIM_400000_NS6detail17trampoline_kernelINS0_14default_configENS1_25partition_config_selectorILNS1_17partition_subalgoE8ExNS0_10empty_typeEbEEZZNS1_14partition_implILS5_8ELb0ES3_jN6thrust23THRUST_200600_302600_NS6detail15normal_iteratorINSA_10device_ptrIxEEEEPS6_PKS6_NS0_5tupleIJNSA_16discard_iteratorINSA_11use_defaultEEES6_EEENSJ_IJSG_SG_EEENS0_18inequality_wrapperINSA_8equal_toIxEEEEPmJS6_EEE10hipError_tPvRmT3_T4_T5_T6_T7_T9_mT8_P12ihipStream_tbDpT10_ENKUlT_T0_E_clISt17integral_constantIbLb1EES1C_IbLb0EEEEDaS18_S19_EUlS18_E_NS1_11comp_targetILNS1_3genE0ELNS1_11target_archE4294967295ELNS1_3gpuE0ELNS1_3repE0EEENS1_30default_config_static_selectorELNS0_4arch9wavefront6targetE1EEEvT1_.num_named_barrier, 0
	.set _ZN7rocprim17ROCPRIM_400000_NS6detail17trampoline_kernelINS0_14default_configENS1_25partition_config_selectorILNS1_17partition_subalgoE8ExNS0_10empty_typeEbEEZZNS1_14partition_implILS5_8ELb0ES3_jN6thrust23THRUST_200600_302600_NS6detail15normal_iteratorINSA_10device_ptrIxEEEEPS6_PKS6_NS0_5tupleIJNSA_16discard_iteratorINSA_11use_defaultEEES6_EEENSJ_IJSG_SG_EEENS0_18inequality_wrapperINSA_8equal_toIxEEEEPmJS6_EEE10hipError_tPvRmT3_T4_T5_T6_T7_T9_mT8_P12ihipStream_tbDpT10_ENKUlT_T0_E_clISt17integral_constantIbLb1EES1C_IbLb0EEEEDaS18_S19_EUlS18_E_NS1_11comp_targetILNS1_3genE0ELNS1_11target_archE4294967295ELNS1_3gpuE0ELNS1_3repE0EEENS1_30default_config_static_selectorELNS0_4arch9wavefront6targetE1EEEvT1_.private_seg_size, 0
	.set _ZN7rocprim17ROCPRIM_400000_NS6detail17trampoline_kernelINS0_14default_configENS1_25partition_config_selectorILNS1_17partition_subalgoE8ExNS0_10empty_typeEbEEZZNS1_14partition_implILS5_8ELb0ES3_jN6thrust23THRUST_200600_302600_NS6detail15normal_iteratorINSA_10device_ptrIxEEEEPS6_PKS6_NS0_5tupleIJNSA_16discard_iteratorINSA_11use_defaultEEES6_EEENSJ_IJSG_SG_EEENS0_18inequality_wrapperINSA_8equal_toIxEEEEPmJS6_EEE10hipError_tPvRmT3_T4_T5_T6_T7_T9_mT8_P12ihipStream_tbDpT10_ENKUlT_T0_E_clISt17integral_constantIbLb1EES1C_IbLb0EEEEDaS18_S19_EUlS18_E_NS1_11comp_targetILNS1_3genE0ELNS1_11target_archE4294967295ELNS1_3gpuE0ELNS1_3repE0EEENS1_30default_config_static_selectorELNS0_4arch9wavefront6targetE1EEEvT1_.uses_vcc, 0
	.set _ZN7rocprim17ROCPRIM_400000_NS6detail17trampoline_kernelINS0_14default_configENS1_25partition_config_selectorILNS1_17partition_subalgoE8ExNS0_10empty_typeEbEEZZNS1_14partition_implILS5_8ELb0ES3_jN6thrust23THRUST_200600_302600_NS6detail15normal_iteratorINSA_10device_ptrIxEEEEPS6_PKS6_NS0_5tupleIJNSA_16discard_iteratorINSA_11use_defaultEEES6_EEENSJ_IJSG_SG_EEENS0_18inequality_wrapperINSA_8equal_toIxEEEEPmJS6_EEE10hipError_tPvRmT3_T4_T5_T6_T7_T9_mT8_P12ihipStream_tbDpT10_ENKUlT_T0_E_clISt17integral_constantIbLb1EES1C_IbLb0EEEEDaS18_S19_EUlS18_E_NS1_11comp_targetILNS1_3genE0ELNS1_11target_archE4294967295ELNS1_3gpuE0ELNS1_3repE0EEENS1_30default_config_static_selectorELNS0_4arch9wavefront6targetE1EEEvT1_.uses_flat_scratch, 0
	.set _ZN7rocprim17ROCPRIM_400000_NS6detail17trampoline_kernelINS0_14default_configENS1_25partition_config_selectorILNS1_17partition_subalgoE8ExNS0_10empty_typeEbEEZZNS1_14partition_implILS5_8ELb0ES3_jN6thrust23THRUST_200600_302600_NS6detail15normal_iteratorINSA_10device_ptrIxEEEEPS6_PKS6_NS0_5tupleIJNSA_16discard_iteratorINSA_11use_defaultEEES6_EEENSJ_IJSG_SG_EEENS0_18inequality_wrapperINSA_8equal_toIxEEEEPmJS6_EEE10hipError_tPvRmT3_T4_T5_T6_T7_T9_mT8_P12ihipStream_tbDpT10_ENKUlT_T0_E_clISt17integral_constantIbLb1EES1C_IbLb0EEEEDaS18_S19_EUlS18_E_NS1_11comp_targetILNS1_3genE0ELNS1_11target_archE4294967295ELNS1_3gpuE0ELNS1_3repE0EEENS1_30default_config_static_selectorELNS0_4arch9wavefront6targetE1EEEvT1_.has_dyn_sized_stack, 0
	.set _ZN7rocprim17ROCPRIM_400000_NS6detail17trampoline_kernelINS0_14default_configENS1_25partition_config_selectorILNS1_17partition_subalgoE8ExNS0_10empty_typeEbEEZZNS1_14partition_implILS5_8ELb0ES3_jN6thrust23THRUST_200600_302600_NS6detail15normal_iteratorINSA_10device_ptrIxEEEEPS6_PKS6_NS0_5tupleIJNSA_16discard_iteratorINSA_11use_defaultEEES6_EEENSJ_IJSG_SG_EEENS0_18inequality_wrapperINSA_8equal_toIxEEEEPmJS6_EEE10hipError_tPvRmT3_T4_T5_T6_T7_T9_mT8_P12ihipStream_tbDpT10_ENKUlT_T0_E_clISt17integral_constantIbLb1EES1C_IbLb0EEEEDaS18_S19_EUlS18_E_NS1_11comp_targetILNS1_3genE0ELNS1_11target_archE4294967295ELNS1_3gpuE0ELNS1_3repE0EEENS1_30default_config_static_selectorELNS0_4arch9wavefront6targetE1EEEvT1_.has_recursion, 0
	.set _ZN7rocprim17ROCPRIM_400000_NS6detail17trampoline_kernelINS0_14default_configENS1_25partition_config_selectorILNS1_17partition_subalgoE8ExNS0_10empty_typeEbEEZZNS1_14partition_implILS5_8ELb0ES3_jN6thrust23THRUST_200600_302600_NS6detail15normal_iteratorINSA_10device_ptrIxEEEEPS6_PKS6_NS0_5tupleIJNSA_16discard_iteratorINSA_11use_defaultEEES6_EEENSJ_IJSG_SG_EEENS0_18inequality_wrapperINSA_8equal_toIxEEEEPmJS6_EEE10hipError_tPvRmT3_T4_T5_T6_T7_T9_mT8_P12ihipStream_tbDpT10_ENKUlT_T0_E_clISt17integral_constantIbLb1EES1C_IbLb0EEEEDaS18_S19_EUlS18_E_NS1_11comp_targetILNS1_3genE0ELNS1_11target_archE4294967295ELNS1_3gpuE0ELNS1_3repE0EEENS1_30default_config_static_selectorELNS0_4arch9wavefront6targetE1EEEvT1_.has_indirect_call, 0
	.section	.AMDGPU.csdata,"",@progbits
; Kernel info:
; codeLenInByte = 0
; TotalNumSgprs: 4
; NumVgprs: 0
; ScratchSize: 0
; MemoryBound: 0
; FloatMode: 240
; IeeeMode: 1
; LDSByteSize: 0 bytes/workgroup (compile time only)
; SGPRBlocks: 0
; VGPRBlocks: 0
; NumSGPRsForWavesPerEU: 4
; NumVGPRsForWavesPerEU: 1
; Occupancy: 10
; WaveLimiterHint : 0
; COMPUTE_PGM_RSRC2:SCRATCH_EN: 0
; COMPUTE_PGM_RSRC2:USER_SGPR: 6
; COMPUTE_PGM_RSRC2:TRAP_HANDLER: 0
; COMPUTE_PGM_RSRC2:TGID_X_EN: 1
; COMPUTE_PGM_RSRC2:TGID_Y_EN: 0
; COMPUTE_PGM_RSRC2:TGID_Z_EN: 0
; COMPUTE_PGM_RSRC2:TIDIG_COMP_CNT: 0
	.section	.text._ZN7rocprim17ROCPRIM_400000_NS6detail17trampoline_kernelINS0_14default_configENS1_25partition_config_selectorILNS1_17partition_subalgoE8ExNS0_10empty_typeEbEEZZNS1_14partition_implILS5_8ELb0ES3_jN6thrust23THRUST_200600_302600_NS6detail15normal_iteratorINSA_10device_ptrIxEEEEPS6_PKS6_NS0_5tupleIJNSA_16discard_iteratorINSA_11use_defaultEEES6_EEENSJ_IJSG_SG_EEENS0_18inequality_wrapperINSA_8equal_toIxEEEEPmJS6_EEE10hipError_tPvRmT3_T4_T5_T6_T7_T9_mT8_P12ihipStream_tbDpT10_ENKUlT_T0_E_clISt17integral_constantIbLb1EES1C_IbLb0EEEEDaS18_S19_EUlS18_E_NS1_11comp_targetILNS1_3genE5ELNS1_11target_archE942ELNS1_3gpuE9ELNS1_3repE0EEENS1_30default_config_static_selectorELNS0_4arch9wavefront6targetE1EEEvT1_,"axG",@progbits,_ZN7rocprim17ROCPRIM_400000_NS6detail17trampoline_kernelINS0_14default_configENS1_25partition_config_selectorILNS1_17partition_subalgoE8ExNS0_10empty_typeEbEEZZNS1_14partition_implILS5_8ELb0ES3_jN6thrust23THRUST_200600_302600_NS6detail15normal_iteratorINSA_10device_ptrIxEEEEPS6_PKS6_NS0_5tupleIJNSA_16discard_iteratorINSA_11use_defaultEEES6_EEENSJ_IJSG_SG_EEENS0_18inequality_wrapperINSA_8equal_toIxEEEEPmJS6_EEE10hipError_tPvRmT3_T4_T5_T6_T7_T9_mT8_P12ihipStream_tbDpT10_ENKUlT_T0_E_clISt17integral_constantIbLb1EES1C_IbLb0EEEEDaS18_S19_EUlS18_E_NS1_11comp_targetILNS1_3genE5ELNS1_11target_archE942ELNS1_3gpuE9ELNS1_3repE0EEENS1_30default_config_static_selectorELNS0_4arch9wavefront6targetE1EEEvT1_,comdat
	.protected	_ZN7rocprim17ROCPRIM_400000_NS6detail17trampoline_kernelINS0_14default_configENS1_25partition_config_selectorILNS1_17partition_subalgoE8ExNS0_10empty_typeEbEEZZNS1_14partition_implILS5_8ELb0ES3_jN6thrust23THRUST_200600_302600_NS6detail15normal_iteratorINSA_10device_ptrIxEEEEPS6_PKS6_NS0_5tupleIJNSA_16discard_iteratorINSA_11use_defaultEEES6_EEENSJ_IJSG_SG_EEENS0_18inequality_wrapperINSA_8equal_toIxEEEEPmJS6_EEE10hipError_tPvRmT3_T4_T5_T6_T7_T9_mT8_P12ihipStream_tbDpT10_ENKUlT_T0_E_clISt17integral_constantIbLb1EES1C_IbLb0EEEEDaS18_S19_EUlS18_E_NS1_11comp_targetILNS1_3genE5ELNS1_11target_archE942ELNS1_3gpuE9ELNS1_3repE0EEENS1_30default_config_static_selectorELNS0_4arch9wavefront6targetE1EEEvT1_ ; -- Begin function _ZN7rocprim17ROCPRIM_400000_NS6detail17trampoline_kernelINS0_14default_configENS1_25partition_config_selectorILNS1_17partition_subalgoE8ExNS0_10empty_typeEbEEZZNS1_14partition_implILS5_8ELb0ES3_jN6thrust23THRUST_200600_302600_NS6detail15normal_iteratorINSA_10device_ptrIxEEEEPS6_PKS6_NS0_5tupleIJNSA_16discard_iteratorINSA_11use_defaultEEES6_EEENSJ_IJSG_SG_EEENS0_18inequality_wrapperINSA_8equal_toIxEEEEPmJS6_EEE10hipError_tPvRmT3_T4_T5_T6_T7_T9_mT8_P12ihipStream_tbDpT10_ENKUlT_T0_E_clISt17integral_constantIbLb1EES1C_IbLb0EEEEDaS18_S19_EUlS18_E_NS1_11comp_targetILNS1_3genE5ELNS1_11target_archE942ELNS1_3gpuE9ELNS1_3repE0EEENS1_30default_config_static_selectorELNS0_4arch9wavefront6targetE1EEEvT1_
	.globl	_ZN7rocprim17ROCPRIM_400000_NS6detail17trampoline_kernelINS0_14default_configENS1_25partition_config_selectorILNS1_17partition_subalgoE8ExNS0_10empty_typeEbEEZZNS1_14partition_implILS5_8ELb0ES3_jN6thrust23THRUST_200600_302600_NS6detail15normal_iteratorINSA_10device_ptrIxEEEEPS6_PKS6_NS0_5tupleIJNSA_16discard_iteratorINSA_11use_defaultEEES6_EEENSJ_IJSG_SG_EEENS0_18inequality_wrapperINSA_8equal_toIxEEEEPmJS6_EEE10hipError_tPvRmT3_T4_T5_T6_T7_T9_mT8_P12ihipStream_tbDpT10_ENKUlT_T0_E_clISt17integral_constantIbLb1EES1C_IbLb0EEEEDaS18_S19_EUlS18_E_NS1_11comp_targetILNS1_3genE5ELNS1_11target_archE942ELNS1_3gpuE9ELNS1_3repE0EEENS1_30default_config_static_selectorELNS0_4arch9wavefront6targetE1EEEvT1_
	.p2align	8
	.type	_ZN7rocprim17ROCPRIM_400000_NS6detail17trampoline_kernelINS0_14default_configENS1_25partition_config_selectorILNS1_17partition_subalgoE8ExNS0_10empty_typeEbEEZZNS1_14partition_implILS5_8ELb0ES3_jN6thrust23THRUST_200600_302600_NS6detail15normal_iteratorINSA_10device_ptrIxEEEEPS6_PKS6_NS0_5tupleIJNSA_16discard_iteratorINSA_11use_defaultEEES6_EEENSJ_IJSG_SG_EEENS0_18inequality_wrapperINSA_8equal_toIxEEEEPmJS6_EEE10hipError_tPvRmT3_T4_T5_T6_T7_T9_mT8_P12ihipStream_tbDpT10_ENKUlT_T0_E_clISt17integral_constantIbLb1EES1C_IbLb0EEEEDaS18_S19_EUlS18_E_NS1_11comp_targetILNS1_3genE5ELNS1_11target_archE942ELNS1_3gpuE9ELNS1_3repE0EEENS1_30default_config_static_selectorELNS0_4arch9wavefront6targetE1EEEvT1_,@function
_ZN7rocprim17ROCPRIM_400000_NS6detail17trampoline_kernelINS0_14default_configENS1_25partition_config_selectorILNS1_17partition_subalgoE8ExNS0_10empty_typeEbEEZZNS1_14partition_implILS5_8ELb0ES3_jN6thrust23THRUST_200600_302600_NS6detail15normal_iteratorINSA_10device_ptrIxEEEEPS6_PKS6_NS0_5tupleIJNSA_16discard_iteratorINSA_11use_defaultEEES6_EEENSJ_IJSG_SG_EEENS0_18inequality_wrapperINSA_8equal_toIxEEEEPmJS6_EEE10hipError_tPvRmT3_T4_T5_T6_T7_T9_mT8_P12ihipStream_tbDpT10_ENKUlT_T0_E_clISt17integral_constantIbLb1EES1C_IbLb0EEEEDaS18_S19_EUlS18_E_NS1_11comp_targetILNS1_3genE5ELNS1_11target_archE942ELNS1_3gpuE9ELNS1_3repE0EEENS1_30default_config_static_selectorELNS0_4arch9wavefront6targetE1EEEvT1_: ; @_ZN7rocprim17ROCPRIM_400000_NS6detail17trampoline_kernelINS0_14default_configENS1_25partition_config_selectorILNS1_17partition_subalgoE8ExNS0_10empty_typeEbEEZZNS1_14partition_implILS5_8ELb0ES3_jN6thrust23THRUST_200600_302600_NS6detail15normal_iteratorINSA_10device_ptrIxEEEEPS6_PKS6_NS0_5tupleIJNSA_16discard_iteratorINSA_11use_defaultEEES6_EEENSJ_IJSG_SG_EEENS0_18inequality_wrapperINSA_8equal_toIxEEEEPmJS6_EEE10hipError_tPvRmT3_T4_T5_T6_T7_T9_mT8_P12ihipStream_tbDpT10_ENKUlT_T0_E_clISt17integral_constantIbLb1EES1C_IbLb0EEEEDaS18_S19_EUlS18_E_NS1_11comp_targetILNS1_3genE5ELNS1_11target_archE942ELNS1_3gpuE9ELNS1_3repE0EEENS1_30default_config_static_selectorELNS0_4arch9wavefront6targetE1EEEvT1_
; %bb.0:
	.section	.rodata,"a",@progbits
	.p2align	6, 0x0
	.amdhsa_kernel _ZN7rocprim17ROCPRIM_400000_NS6detail17trampoline_kernelINS0_14default_configENS1_25partition_config_selectorILNS1_17partition_subalgoE8ExNS0_10empty_typeEbEEZZNS1_14partition_implILS5_8ELb0ES3_jN6thrust23THRUST_200600_302600_NS6detail15normal_iteratorINSA_10device_ptrIxEEEEPS6_PKS6_NS0_5tupleIJNSA_16discard_iteratorINSA_11use_defaultEEES6_EEENSJ_IJSG_SG_EEENS0_18inequality_wrapperINSA_8equal_toIxEEEEPmJS6_EEE10hipError_tPvRmT3_T4_T5_T6_T7_T9_mT8_P12ihipStream_tbDpT10_ENKUlT_T0_E_clISt17integral_constantIbLb1EES1C_IbLb0EEEEDaS18_S19_EUlS18_E_NS1_11comp_targetILNS1_3genE5ELNS1_11target_archE942ELNS1_3gpuE9ELNS1_3repE0EEENS1_30default_config_static_selectorELNS0_4arch9wavefront6targetE1EEEvT1_
		.amdhsa_group_segment_fixed_size 0
		.amdhsa_private_segment_fixed_size 0
		.amdhsa_kernarg_size 120
		.amdhsa_user_sgpr_count 6
		.amdhsa_user_sgpr_private_segment_buffer 1
		.amdhsa_user_sgpr_dispatch_ptr 0
		.amdhsa_user_sgpr_queue_ptr 0
		.amdhsa_user_sgpr_kernarg_segment_ptr 1
		.amdhsa_user_sgpr_dispatch_id 0
		.amdhsa_user_sgpr_flat_scratch_init 0
		.amdhsa_user_sgpr_private_segment_size 0
		.amdhsa_uses_dynamic_stack 0
		.amdhsa_system_sgpr_private_segment_wavefront_offset 0
		.amdhsa_system_sgpr_workgroup_id_x 1
		.amdhsa_system_sgpr_workgroup_id_y 0
		.amdhsa_system_sgpr_workgroup_id_z 0
		.amdhsa_system_sgpr_workgroup_info 0
		.amdhsa_system_vgpr_workitem_id 0
		.amdhsa_next_free_vgpr 1
		.amdhsa_next_free_sgpr 0
		.amdhsa_reserve_vcc 0
		.amdhsa_reserve_flat_scratch 0
		.amdhsa_float_round_mode_32 0
		.amdhsa_float_round_mode_16_64 0
		.amdhsa_float_denorm_mode_32 3
		.amdhsa_float_denorm_mode_16_64 3
		.amdhsa_dx10_clamp 1
		.amdhsa_ieee_mode 1
		.amdhsa_fp16_overflow 0
		.amdhsa_exception_fp_ieee_invalid_op 0
		.amdhsa_exception_fp_denorm_src 0
		.amdhsa_exception_fp_ieee_div_zero 0
		.amdhsa_exception_fp_ieee_overflow 0
		.amdhsa_exception_fp_ieee_underflow 0
		.amdhsa_exception_fp_ieee_inexact 0
		.amdhsa_exception_int_div_zero 0
	.end_amdhsa_kernel
	.section	.text._ZN7rocprim17ROCPRIM_400000_NS6detail17trampoline_kernelINS0_14default_configENS1_25partition_config_selectorILNS1_17partition_subalgoE8ExNS0_10empty_typeEbEEZZNS1_14partition_implILS5_8ELb0ES3_jN6thrust23THRUST_200600_302600_NS6detail15normal_iteratorINSA_10device_ptrIxEEEEPS6_PKS6_NS0_5tupleIJNSA_16discard_iteratorINSA_11use_defaultEEES6_EEENSJ_IJSG_SG_EEENS0_18inequality_wrapperINSA_8equal_toIxEEEEPmJS6_EEE10hipError_tPvRmT3_T4_T5_T6_T7_T9_mT8_P12ihipStream_tbDpT10_ENKUlT_T0_E_clISt17integral_constantIbLb1EES1C_IbLb0EEEEDaS18_S19_EUlS18_E_NS1_11comp_targetILNS1_3genE5ELNS1_11target_archE942ELNS1_3gpuE9ELNS1_3repE0EEENS1_30default_config_static_selectorELNS0_4arch9wavefront6targetE1EEEvT1_,"axG",@progbits,_ZN7rocprim17ROCPRIM_400000_NS6detail17trampoline_kernelINS0_14default_configENS1_25partition_config_selectorILNS1_17partition_subalgoE8ExNS0_10empty_typeEbEEZZNS1_14partition_implILS5_8ELb0ES3_jN6thrust23THRUST_200600_302600_NS6detail15normal_iteratorINSA_10device_ptrIxEEEEPS6_PKS6_NS0_5tupleIJNSA_16discard_iteratorINSA_11use_defaultEEES6_EEENSJ_IJSG_SG_EEENS0_18inequality_wrapperINSA_8equal_toIxEEEEPmJS6_EEE10hipError_tPvRmT3_T4_T5_T6_T7_T9_mT8_P12ihipStream_tbDpT10_ENKUlT_T0_E_clISt17integral_constantIbLb1EES1C_IbLb0EEEEDaS18_S19_EUlS18_E_NS1_11comp_targetILNS1_3genE5ELNS1_11target_archE942ELNS1_3gpuE9ELNS1_3repE0EEENS1_30default_config_static_selectorELNS0_4arch9wavefront6targetE1EEEvT1_,comdat
.Lfunc_end646:
	.size	_ZN7rocprim17ROCPRIM_400000_NS6detail17trampoline_kernelINS0_14default_configENS1_25partition_config_selectorILNS1_17partition_subalgoE8ExNS0_10empty_typeEbEEZZNS1_14partition_implILS5_8ELb0ES3_jN6thrust23THRUST_200600_302600_NS6detail15normal_iteratorINSA_10device_ptrIxEEEEPS6_PKS6_NS0_5tupleIJNSA_16discard_iteratorINSA_11use_defaultEEES6_EEENSJ_IJSG_SG_EEENS0_18inequality_wrapperINSA_8equal_toIxEEEEPmJS6_EEE10hipError_tPvRmT3_T4_T5_T6_T7_T9_mT8_P12ihipStream_tbDpT10_ENKUlT_T0_E_clISt17integral_constantIbLb1EES1C_IbLb0EEEEDaS18_S19_EUlS18_E_NS1_11comp_targetILNS1_3genE5ELNS1_11target_archE942ELNS1_3gpuE9ELNS1_3repE0EEENS1_30default_config_static_selectorELNS0_4arch9wavefront6targetE1EEEvT1_, .Lfunc_end646-_ZN7rocprim17ROCPRIM_400000_NS6detail17trampoline_kernelINS0_14default_configENS1_25partition_config_selectorILNS1_17partition_subalgoE8ExNS0_10empty_typeEbEEZZNS1_14partition_implILS5_8ELb0ES3_jN6thrust23THRUST_200600_302600_NS6detail15normal_iteratorINSA_10device_ptrIxEEEEPS6_PKS6_NS0_5tupleIJNSA_16discard_iteratorINSA_11use_defaultEEES6_EEENSJ_IJSG_SG_EEENS0_18inequality_wrapperINSA_8equal_toIxEEEEPmJS6_EEE10hipError_tPvRmT3_T4_T5_T6_T7_T9_mT8_P12ihipStream_tbDpT10_ENKUlT_T0_E_clISt17integral_constantIbLb1EES1C_IbLb0EEEEDaS18_S19_EUlS18_E_NS1_11comp_targetILNS1_3genE5ELNS1_11target_archE942ELNS1_3gpuE9ELNS1_3repE0EEENS1_30default_config_static_selectorELNS0_4arch9wavefront6targetE1EEEvT1_
                                        ; -- End function
	.set _ZN7rocprim17ROCPRIM_400000_NS6detail17trampoline_kernelINS0_14default_configENS1_25partition_config_selectorILNS1_17partition_subalgoE8ExNS0_10empty_typeEbEEZZNS1_14partition_implILS5_8ELb0ES3_jN6thrust23THRUST_200600_302600_NS6detail15normal_iteratorINSA_10device_ptrIxEEEEPS6_PKS6_NS0_5tupleIJNSA_16discard_iteratorINSA_11use_defaultEEES6_EEENSJ_IJSG_SG_EEENS0_18inequality_wrapperINSA_8equal_toIxEEEEPmJS6_EEE10hipError_tPvRmT3_T4_T5_T6_T7_T9_mT8_P12ihipStream_tbDpT10_ENKUlT_T0_E_clISt17integral_constantIbLb1EES1C_IbLb0EEEEDaS18_S19_EUlS18_E_NS1_11comp_targetILNS1_3genE5ELNS1_11target_archE942ELNS1_3gpuE9ELNS1_3repE0EEENS1_30default_config_static_selectorELNS0_4arch9wavefront6targetE1EEEvT1_.num_vgpr, 0
	.set _ZN7rocprim17ROCPRIM_400000_NS6detail17trampoline_kernelINS0_14default_configENS1_25partition_config_selectorILNS1_17partition_subalgoE8ExNS0_10empty_typeEbEEZZNS1_14partition_implILS5_8ELb0ES3_jN6thrust23THRUST_200600_302600_NS6detail15normal_iteratorINSA_10device_ptrIxEEEEPS6_PKS6_NS0_5tupleIJNSA_16discard_iteratorINSA_11use_defaultEEES6_EEENSJ_IJSG_SG_EEENS0_18inequality_wrapperINSA_8equal_toIxEEEEPmJS6_EEE10hipError_tPvRmT3_T4_T5_T6_T7_T9_mT8_P12ihipStream_tbDpT10_ENKUlT_T0_E_clISt17integral_constantIbLb1EES1C_IbLb0EEEEDaS18_S19_EUlS18_E_NS1_11comp_targetILNS1_3genE5ELNS1_11target_archE942ELNS1_3gpuE9ELNS1_3repE0EEENS1_30default_config_static_selectorELNS0_4arch9wavefront6targetE1EEEvT1_.num_agpr, 0
	.set _ZN7rocprim17ROCPRIM_400000_NS6detail17trampoline_kernelINS0_14default_configENS1_25partition_config_selectorILNS1_17partition_subalgoE8ExNS0_10empty_typeEbEEZZNS1_14partition_implILS5_8ELb0ES3_jN6thrust23THRUST_200600_302600_NS6detail15normal_iteratorINSA_10device_ptrIxEEEEPS6_PKS6_NS0_5tupleIJNSA_16discard_iteratorINSA_11use_defaultEEES6_EEENSJ_IJSG_SG_EEENS0_18inequality_wrapperINSA_8equal_toIxEEEEPmJS6_EEE10hipError_tPvRmT3_T4_T5_T6_T7_T9_mT8_P12ihipStream_tbDpT10_ENKUlT_T0_E_clISt17integral_constantIbLb1EES1C_IbLb0EEEEDaS18_S19_EUlS18_E_NS1_11comp_targetILNS1_3genE5ELNS1_11target_archE942ELNS1_3gpuE9ELNS1_3repE0EEENS1_30default_config_static_selectorELNS0_4arch9wavefront6targetE1EEEvT1_.numbered_sgpr, 0
	.set _ZN7rocprim17ROCPRIM_400000_NS6detail17trampoline_kernelINS0_14default_configENS1_25partition_config_selectorILNS1_17partition_subalgoE8ExNS0_10empty_typeEbEEZZNS1_14partition_implILS5_8ELb0ES3_jN6thrust23THRUST_200600_302600_NS6detail15normal_iteratorINSA_10device_ptrIxEEEEPS6_PKS6_NS0_5tupleIJNSA_16discard_iteratorINSA_11use_defaultEEES6_EEENSJ_IJSG_SG_EEENS0_18inequality_wrapperINSA_8equal_toIxEEEEPmJS6_EEE10hipError_tPvRmT3_T4_T5_T6_T7_T9_mT8_P12ihipStream_tbDpT10_ENKUlT_T0_E_clISt17integral_constantIbLb1EES1C_IbLb0EEEEDaS18_S19_EUlS18_E_NS1_11comp_targetILNS1_3genE5ELNS1_11target_archE942ELNS1_3gpuE9ELNS1_3repE0EEENS1_30default_config_static_selectorELNS0_4arch9wavefront6targetE1EEEvT1_.num_named_barrier, 0
	.set _ZN7rocprim17ROCPRIM_400000_NS6detail17trampoline_kernelINS0_14default_configENS1_25partition_config_selectorILNS1_17partition_subalgoE8ExNS0_10empty_typeEbEEZZNS1_14partition_implILS5_8ELb0ES3_jN6thrust23THRUST_200600_302600_NS6detail15normal_iteratorINSA_10device_ptrIxEEEEPS6_PKS6_NS0_5tupleIJNSA_16discard_iteratorINSA_11use_defaultEEES6_EEENSJ_IJSG_SG_EEENS0_18inequality_wrapperINSA_8equal_toIxEEEEPmJS6_EEE10hipError_tPvRmT3_T4_T5_T6_T7_T9_mT8_P12ihipStream_tbDpT10_ENKUlT_T0_E_clISt17integral_constantIbLb1EES1C_IbLb0EEEEDaS18_S19_EUlS18_E_NS1_11comp_targetILNS1_3genE5ELNS1_11target_archE942ELNS1_3gpuE9ELNS1_3repE0EEENS1_30default_config_static_selectorELNS0_4arch9wavefront6targetE1EEEvT1_.private_seg_size, 0
	.set _ZN7rocprim17ROCPRIM_400000_NS6detail17trampoline_kernelINS0_14default_configENS1_25partition_config_selectorILNS1_17partition_subalgoE8ExNS0_10empty_typeEbEEZZNS1_14partition_implILS5_8ELb0ES3_jN6thrust23THRUST_200600_302600_NS6detail15normal_iteratorINSA_10device_ptrIxEEEEPS6_PKS6_NS0_5tupleIJNSA_16discard_iteratorINSA_11use_defaultEEES6_EEENSJ_IJSG_SG_EEENS0_18inequality_wrapperINSA_8equal_toIxEEEEPmJS6_EEE10hipError_tPvRmT3_T4_T5_T6_T7_T9_mT8_P12ihipStream_tbDpT10_ENKUlT_T0_E_clISt17integral_constantIbLb1EES1C_IbLb0EEEEDaS18_S19_EUlS18_E_NS1_11comp_targetILNS1_3genE5ELNS1_11target_archE942ELNS1_3gpuE9ELNS1_3repE0EEENS1_30default_config_static_selectorELNS0_4arch9wavefront6targetE1EEEvT1_.uses_vcc, 0
	.set _ZN7rocprim17ROCPRIM_400000_NS6detail17trampoline_kernelINS0_14default_configENS1_25partition_config_selectorILNS1_17partition_subalgoE8ExNS0_10empty_typeEbEEZZNS1_14partition_implILS5_8ELb0ES3_jN6thrust23THRUST_200600_302600_NS6detail15normal_iteratorINSA_10device_ptrIxEEEEPS6_PKS6_NS0_5tupleIJNSA_16discard_iteratorINSA_11use_defaultEEES6_EEENSJ_IJSG_SG_EEENS0_18inequality_wrapperINSA_8equal_toIxEEEEPmJS6_EEE10hipError_tPvRmT3_T4_T5_T6_T7_T9_mT8_P12ihipStream_tbDpT10_ENKUlT_T0_E_clISt17integral_constantIbLb1EES1C_IbLb0EEEEDaS18_S19_EUlS18_E_NS1_11comp_targetILNS1_3genE5ELNS1_11target_archE942ELNS1_3gpuE9ELNS1_3repE0EEENS1_30default_config_static_selectorELNS0_4arch9wavefront6targetE1EEEvT1_.uses_flat_scratch, 0
	.set _ZN7rocprim17ROCPRIM_400000_NS6detail17trampoline_kernelINS0_14default_configENS1_25partition_config_selectorILNS1_17partition_subalgoE8ExNS0_10empty_typeEbEEZZNS1_14partition_implILS5_8ELb0ES3_jN6thrust23THRUST_200600_302600_NS6detail15normal_iteratorINSA_10device_ptrIxEEEEPS6_PKS6_NS0_5tupleIJNSA_16discard_iteratorINSA_11use_defaultEEES6_EEENSJ_IJSG_SG_EEENS0_18inequality_wrapperINSA_8equal_toIxEEEEPmJS6_EEE10hipError_tPvRmT3_T4_T5_T6_T7_T9_mT8_P12ihipStream_tbDpT10_ENKUlT_T0_E_clISt17integral_constantIbLb1EES1C_IbLb0EEEEDaS18_S19_EUlS18_E_NS1_11comp_targetILNS1_3genE5ELNS1_11target_archE942ELNS1_3gpuE9ELNS1_3repE0EEENS1_30default_config_static_selectorELNS0_4arch9wavefront6targetE1EEEvT1_.has_dyn_sized_stack, 0
	.set _ZN7rocprim17ROCPRIM_400000_NS6detail17trampoline_kernelINS0_14default_configENS1_25partition_config_selectorILNS1_17partition_subalgoE8ExNS0_10empty_typeEbEEZZNS1_14partition_implILS5_8ELb0ES3_jN6thrust23THRUST_200600_302600_NS6detail15normal_iteratorINSA_10device_ptrIxEEEEPS6_PKS6_NS0_5tupleIJNSA_16discard_iteratorINSA_11use_defaultEEES6_EEENSJ_IJSG_SG_EEENS0_18inequality_wrapperINSA_8equal_toIxEEEEPmJS6_EEE10hipError_tPvRmT3_T4_T5_T6_T7_T9_mT8_P12ihipStream_tbDpT10_ENKUlT_T0_E_clISt17integral_constantIbLb1EES1C_IbLb0EEEEDaS18_S19_EUlS18_E_NS1_11comp_targetILNS1_3genE5ELNS1_11target_archE942ELNS1_3gpuE9ELNS1_3repE0EEENS1_30default_config_static_selectorELNS0_4arch9wavefront6targetE1EEEvT1_.has_recursion, 0
	.set _ZN7rocprim17ROCPRIM_400000_NS6detail17trampoline_kernelINS0_14default_configENS1_25partition_config_selectorILNS1_17partition_subalgoE8ExNS0_10empty_typeEbEEZZNS1_14partition_implILS5_8ELb0ES3_jN6thrust23THRUST_200600_302600_NS6detail15normal_iteratorINSA_10device_ptrIxEEEEPS6_PKS6_NS0_5tupleIJNSA_16discard_iteratorINSA_11use_defaultEEES6_EEENSJ_IJSG_SG_EEENS0_18inequality_wrapperINSA_8equal_toIxEEEEPmJS6_EEE10hipError_tPvRmT3_T4_T5_T6_T7_T9_mT8_P12ihipStream_tbDpT10_ENKUlT_T0_E_clISt17integral_constantIbLb1EES1C_IbLb0EEEEDaS18_S19_EUlS18_E_NS1_11comp_targetILNS1_3genE5ELNS1_11target_archE942ELNS1_3gpuE9ELNS1_3repE0EEENS1_30default_config_static_selectorELNS0_4arch9wavefront6targetE1EEEvT1_.has_indirect_call, 0
	.section	.AMDGPU.csdata,"",@progbits
; Kernel info:
; codeLenInByte = 0
; TotalNumSgprs: 4
; NumVgprs: 0
; ScratchSize: 0
; MemoryBound: 0
; FloatMode: 240
; IeeeMode: 1
; LDSByteSize: 0 bytes/workgroup (compile time only)
; SGPRBlocks: 0
; VGPRBlocks: 0
; NumSGPRsForWavesPerEU: 4
; NumVGPRsForWavesPerEU: 1
; Occupancy: 10
; WaveLimiterHint : 0
; COMPUTE_PGM_RSRC2:SCRATCH_EN: 0
; COMPUTE_PGM_RSRC2:USER_SGPR: 6
; COMPUTE_PGM_RSRC2:TRAP_HANDLER: 0
; COMPUTE_PGM_RSRC2:TGID_X_EN: 1
; COMPUTE_PGM_RSRC2:TGID_Y_EN: 0
; COMPUTE_PGM_RSRC2:TGID_Z_EN: 0
; COMPUTE_PGM_RSRC2:TIDIG_COMP_CNT: 0
	.section	.text._ZN7rocprim17ROCPRIM_400000_NS6detail17trampoline_kernelINS0_14default_configENS1_25partition_config_selectorILNS1_17partition_subalgoE8ExNS0_10empty_typeEbEEZZNS1_14partition_implILS5_8ELb0ES3_jN6thrust23THRUST_200600_302600_NS6detail15normal_iteratorINSA_10device_ptrIxEEEEPS6_PKS6_NS0_5tupleIJNSA_16discard_iteratorINSA_11use_defaultEEES6_EEENSJ_IJSG_SG_EEENS0_18inequality_wrapperINSA_8equal_toIxEEEEPmJS6_EEE10hipError_tPvRmT3_T4_T5_T6_T7_T9_mT8_P12ihipStream_tbDpT10_ENKUlT_T0_E_clISt17integral_constantIbLb1EES1C_IbLb0EEEEDaS18_S19_EUlS18_E_NS1_11comp_targetILNS1_3genE4ELNS1_11target_archE910ELNS1_3gpuE8ELNS1_3repE0EEENS1_30default_config_static_selectorELNS0_4arch9wavefront6targetE1EEEvT1_,"axG",@progbits,_ZN7rocprim17ROCPRIM_400000_NS6detail17trampoline_kernelINS0_14default_configENS1_25partition_config_selectorILNS1_17partition_subalgoE8ExNS0_10empty_typeEbEEZZNS1_14partition_implILS5_8ELb0ES3_jN6thrust23THRUST_200600_302600_NS6detail15normal_iteratorINSA_10device_ptrIxEEEEPS6_PKS6_NS0_5tupleIJNSA_16discard_iteratorINSA_11use_defaultEEES6_EEENSJ_IJSG_SG_EEENS0_18inequality_wrapperINSA_8equal_toIxEEEEPmJS6_EEE10hipError_tPvRmT3_T4_T5_T6_T7_T9_mT8_P12ihipStream_tbDpT10_ENKUlT_T0_E_clISt17integral_constantIbLb1EES1C_IbLb0EEEEDaS18_S19_EUlS18_E_NS1_11comp_targetILNS1_3genE4ELNS1_11target_archE910ELNS1_3gpuE8ELNS1_3repE0EEENS1_30default_config_static_selectorELNS0_4arch9wavefront6targetE1EEEvT1_,comdat
	.protected	_ZN7rocprim17ROCPRIM_400000_NS6detail17trampoline_kernelINS0_14default_configENS1_25partition_config_selectorILNS1_17partition_subalgoE8ExNS0_10empty_typeEbEEZZNS1_14partition_implILS5_8ELb0ES3_jN6thrust23THRUST_200600_302600_NS6detail15normal_iteratorINSA_10device_ptrIxEEEEPS6_PKS6_NS0_5tupleIJNSA_16discard_iteratorINSA_11use_defaultEEES6_EEENSJ_IJSG_SG_EEENS0_18inequality_wrapperINSA_8equal_toIxEEEEPmJS6_EEE10hipError_tPvRmT3_T4_T5_T6_T7_T9_mT8_P12ihipStream_tbDpT10_ENKUlT_T0_E_clISt17integral_constantIbLb1EES1C_IbLb0EEEEDaS18_S19_EUlS18_E_NS1_11comp_targetILNS1_3genE4ELNS1_11target_archE910ELNS1_3gpuE8ELNS1_3repE0EEENS1_30default_config_static_selectorELNS0_4arch9wavefront6targetE1EEEvT1_ ; -- Begin function _ZN7rocprim17ROCPRIM_400000_NS6detail17trampoline_kernelINS0_14default_configENS1_25partition_config_selectorILNS1_17partition_subalgoE8ExNS0_10empty_typeEbEEZZNS1_14partition_implILS5_8ELb0ES3_jN6thrust23THRUST_200600_302600_NS6detail15normal_iteratorINSA_10device_ptrIxEEEEPS6_PKS6_NS0_5tupleIJNSA_16discard_iteratorINSA_11use_defaultEEES6_EEENSJ_IJSG_SG_EEENS0_18inequality_wrapperINSA_8equal_toIxEEEEPmJS6_EEE10hipError_tPvRmT3_T4_T5_T6_T7_T9_mT8_P12ihipStream_tbDpT10_ENKUlT_T0_E_clISt17integral_constantIbLb1EES1C_IbLb0EEEEDaS18_S19_EUlS18_E_NS1_11comp_targetILNS1_3genE4ELNS1_11target_archE910ELNS1_3gpuE8ELNS1_3repE0EEENS1_30default_config_static_selectorELNS0_4arch9wavefront6targetE1EEEvT1_
	.globl	_ZN7rocprim17ROCPRIM_400000_NS6detail17trampoline_kernelINS0_14default_configENS1_25partition_config_selectorILNS1_17partition_subalgoE8ExNS0_10empty_typeEbEEZZNS1_14partition_implILS5_8ELb0ES3_jN6thrust23THRUST_200600_302600_NS6detail15normal_iteratorINSA_10device_ptrIxEEEEPS6_PKS6_NS0_5tupleIJNSA_16discard_iteratorINSA_11use_defaultEEES6_EEENSJ_IJSG_SG_EEENS0_18inequality_wrapperINSA_8equal_toIxEEEEPmJS6_EEE10hipError_tPvRmT3_T4_T5_T6_T7_T9_mT8_P12ihipStream_tbDpT10_ENKUlT_T0_E_clISt17integral_constantIbLb1EES1C_IbLb0EEEEDaS18_S19_EUlS18_E_NS1_11comp_targetILNS1_3genE4ELNS1_11target_archE910ELNS1_3gpuE8ELNS1_3repE0EEENS1_30default_config_static_selectorELNS0_4arch9wavefront6targetE1EEEvT1_
	.p2align	8
	.type	_ZN7rocprim17ROCPRIM_400000_NS6detail17trampoline_kernelINS0_14default_configENS1_25partition_config_selectorILNS1_17partition_subalgoE8ExNS0_10empty_typeEbEEZZNS1_14partition_implILS5_8ELb0ES3_jN6thrust23THRUST_200600_302600_NS6detail15normal_iteratorINSA_10device_ptrIxEEEEPS6_PKS6_NS0_5tupleIJNSA_16discard_iteratorINSA_11use_defaultEEES6_EEENSJ_IJSG_SG_EEENS0_18inequality_wrapperINSA_8equal_toIxEEEEPmJS6_EEE10hipError_tPvRmT3_T4_T5_T6_T7_T9_mT8_P12ihipStream_tbDpT10_ENKUlT_T0_E_clISt17integral_constantIbLb1EES1C_IbLb0EEEEDaS18_S19_EUlS18_E_NS1_11comp_targetILNS1_3genE4ELNS1_11target_archE910ELNS1_3gpuE8ELNS1_3repE0EEENS1_30default_config_static_selectorELNS0_4arch9wavefront6targetE1EEEvT1_,@function
_ZN7rocprim17ROCPRIM_400000_NS6detail17trampoline_kernelINS0_14default_configENS1_25partition_config_selectorILNS1_17partition_subalgoE8ExNS0_10empty_typeEbEEZZNS1_14partition_implILS5_8ELb0ES3_jN6thrust23THRUST_200600_302600_NS6detail15normal_iteratorINSA_10device_ptrIxEEEEPS6_PKS6_NS0_5tupleIJNSA_16discard_iteratorINSA_11use_defaultEEES6_EEENSJ_IJSG_SG_EEENS0_18inequality_wrapperINSA_8equal_toIxEEEEPmJS6_EEE10hipError_tPvRmT3_T4_T5_T6_T7_T9_mT8_P12ihipStream_tbDpT10_ENKUlT_T0_E_clISt17integral_constantIbLb1EES1C_IbLb0EEEEDaS18_S19_EUlS18_E_NS1_11comp_targetILNS1_3genE4ELNS1_11target_archE910ELNS1_3gpuE8ELNS1_3repE0EEENS1_30default_config_static_selectorELNS0_4arch9wavefront6targetE1EEEvT1_: ; @_ZN7rocprim17ROCPRIM_400000_NS6detail17trampoline_kernelINS0_14default_configENS1_25partition_config_selectorILNS1_17partition_subalgoE8ExNS0_10empty_typeEbEEZZNS1_14partition_implILS5_8ELb0ES3_jN6thrust23THRUST_200600_302600_NS6detail15normal_iteratorINSA_10device_ptrIxEEEEPS6_PKS6_NS0_5tupleIJNSA_16discard_iteratorINSA_11use_defaultEEES6_EEENSJ_IJSG_SG_EEENS0_18inequality_wrapperINSA_8equal_toIxEEEEPmJS6_EEE10hipError_tPvRmT3_T4_T5_T6_T7_T9_mT8_P12ihipStream_tbDpT10_ENKUlT_T0_E_clISt17integral_constantIbLb1EES1C_IbLb0EEEEDaS18_S19_EUlS18_E_NS1_11comp_targetILNS1_3genE4ELNS1_11target_archE910ELNS1_3gpuE8ELNS1_3repE0EEENS1_30default_config_static_selectorELNS0_4arch9wavefront6targetE1EEEvT1_
; %bb.0:
	.section	.rodata,"a",@progbits
	.p2align	6, 0x0
	.amdhsa_kernel _ZN7rocprim17ROCPRIM_400000_NS6detail17trampoline_kernelINS0_14default_configENS1_25partition_config_selectorILNS1_17partition_subalgoE8ExNS0_10empty_typeEbEEZZNS1_14partition_implILS5_8ELb0ES3_jN6thrust23THRUST_200600_302600_NS6detail15normal_iteratorINSA_10device_ptrIxEEEEPS6_PKS6_NS0_5tupleIJNSA_16discard_iteratorINSA_11use_defaultEEES6_EEENSJ_IJSG_SG_EEENS0_18inequality_wrapperINSA_8equal_toIxEEEEPmJS6_EEE10hipError_tPvRmT3_T4_T5_T6_T7_T9_mT8_P12ihipStream_tbDpT10_ENKUlT_T0_E_clISt17integral_constantIbLb1EES1C_IbLb0EEEEDaS18_S19_EUlS18_E_NS1_11comp_targetILNS1_3genE4ELNS1_11target_archE910ELNS1_3gpuE8ELNS1_3repE0EEENS1_30default_config_static_selectorELNS0_4arch9wavefront6targetE1EEEvT1_
		.amdhsa_group_segment_fixed_size 0
		.amdhsa_private_segment_fixed_size 0
		.amdhsa_kernarg_size 120
		.amdhsa_user_sgpr_count 6
		.amdhsa_user_sgpr_private_segment_buffer 1
		.amdhsa_user_sgpr_dispatch_ptr 0
		.amdhsa_user_sgpr_queue_ptr 0
		.amdhsa_user_sgpr_kernarg_segment_ptr 1
		.amdhsa_user_sgpr_dispatch_id 0
		.amdhsa_user_sgpr_flat_scratch_init 0
		.amdhsa_user_sgpr_private_segment_size 0
		.amdhsa_uses_dynamic_stack 0
		.amdhsa_system_sgpr_private_segment_wavefront_offset 0
		.amdhsa_system_sgpr_workgroup_id_x 1
		.amdhsa_system_sgpr_workgroup_id_y 0
		.amdhsa_system_sgpr_workgroup_id_z 0
		.amdhsa_system_sgpr_workgroup_info 0
		.amdhsa_system_vgpr_workitem_id 0
		.amdhsa_next_free_vgpr 1
		.amdhsa_next_free_sgpr 0
		.amdhsa_reserve_vcc 0
		.amdhsa_reserve_flat_scratch 0
		.amdhsa_float_round_mode_32 0
		.amdhsa_float_round_mode_16_64 0
		.amdhsa_float_denorm_mode_32 3
		.amdhsa_float_denorm_mode_16_64 3
		.amdhsa_dx10_clamp 1
		.amdhsa_ieee_mode 1
		.amdhsa_fp16_overflow 0
		.amdhsa_exception_fp_ieee_invalid_op 0
		.amdhsa_exception_fp_denorm_src 0
		.amdhsa_exception_fp_ieee_div_zero 0
		.amdhsa_exception_fp_ieee_overflow 0
		.amdhsa_exception_fp_ieee_underflow 0
		.amdhsa_exception_fp_ieee_inexact 0
		.amdhsa_exception_int_div_zero 0
	.end_amdhsa_kernel
	.section	.text._ZN7rocprim17ROCPRIM_400000_NS6detail17trampoline_kernelINS0_14default_configENS1_25partition_config_selectorILNS1_17partition_subalgoE8ExNS0_10empty_typeEbEEZZNS1_14partition_implILS5_8ELb0ES3_jN6thrust23THRUST_200600_302600_NS6detail15normal_iteratorINSA_10device_ptrIxEEEEPS6_PKS6_NS0_5tupleIJNSA_16discard_iteratorINSA_11use_defaultEEES6_EEENSJ_IJSG_SG_EEENS0_18inequality_wrapperINSA_8equal_toIxEEEEPmJS6_EEE10hipError_tPvRmT3_T4_T5_T6_T7_T9_mT8_P12ihipStream_tbDpT10_ENKUlT_T0_E_clISt17integral_constantIbLb1EES1C_IbLb0EEEEDaS18_S19_EUlS18_E_NS1_11comp_targetILNS1_3genE4ELNS1_11target_archE910ELNS1_3gpuE8ELNS1_3repE0EEENS1_30default_config_static_selectorELNS0_4arch9wavefront6targetE1EEEvT1_,"axG",@progbits,_ZN7rocprim17ROCPRIM_400000_NS6detail17trampoline_kernelINS0_14default_configENS1_25partition_config_selectorILNS1_17partition_subalgoE8ExNS0_10empty_typeEbEEZZNS1_14partition_implILS5_8ELb0ES3_jN6thrust23THRUST_200600_302600_NS6detail15normal_iteratorINSA_10device_ptrIxEEEEPS6_PKS6_NS0_5tupleIJNSA_16discard_iteratorINSA_11use_defaultEEES6_EEENSJ_IJSG_SG_EEENS0_18inequality_wrapperINSA_8equal_toIxEEEEPmJS6_EEE10hipError_tPvRmT3_T4_T5_T6_T7_T9_mT8_P12ihipStream_tbDpT10_ENKUlT_T0_E_clISt17integral_constantIbLb1EES1C_IbLb0EEEEDaS18_S19_EUlS18_E_NS1_11comp_targetILNS1_3genE4ELNS1_11target_archE910ELNS1_3gpuE8ELNS1_3repE0EEENS1_30default_config_static_selectorELNS0_4arch9wavefront6targetE1EEEvT1_,comdat
.Lfunc_end647:
	.size	_ZN7rocprim17ROCPRIM_400000_NS6detail17trampoline_kernelINS0_14default_configENS1_25partition_config_selectorILNS1_17partition_subalgoE8ExNS0_10empty_typeEbEEZZNS1_14partition_implILS5_8ELb0ES3_jN6thrust23THRUST_200600_302600_NS6detail15normal_iteratorINSA_10device_ptrIxEEEEPS6_PKS6_NS0_5tupleIJNSA_16discard_iteratorINSA_11use_defaultEEES6_EEENSJ_IJSG_SG_EEENS0_18inequality_wrapperINSA_8equal_toIxEEEEPmJS6_EEE10hipError_tPvRmT3_T4_T5_T6_T7_T9_mT8_P12ihipStream_tbDpT10_ENKUlT_T0_E_clISt17integral_constantIbLb1EES1C_IbLb0EEEEDaS18_S19_EUlS18_E_NS1_11comp_targetILNS1_3genE4ELNS1_11target_archE910ELNS1_3gpuE8ELNS1_3repE0EEENS1_30default_config_static_selectorELNS0_4arch9wavefront6targetE1EEEvT1_, .Lfunc_end647-_ZN7rocprim17ROCPRIM_400000_NS6detail17trampoline_kernelINS0_14default_configENS1_25partition_config_selectorILNS1_17partition_subalgoE8ExNS0_10empty_typeEbEEZZNS1_14partition_implILS5_8ELb0ES3_jN6thrust23THRUST_200600_302600_NS6detail15normal_iteratorINSA_10device_ptrIxEEEEPS6_PKS6_NS0_5tupleIJNSA_16discard_iteratorINSA_11use_defaultEEES6_EEENSJ_IJSG_SG_EEENS0_18inequality_wrapperINSA_8equal_toIxEEEEPmJS6_EEE10hipError_tPvRmT3_T4_T5_T6_T7_T9_mT8_P12ihipStream_tbDpT10_ENKUlT_T0_E_clISt17integral_constantIbLb1EES1C_IbLb0EEEEDaS18_S19_EUlS18_E_NS1_11comp_targetILNS1_3genE4ELNS1_11target_archE910ELNS1_3gpuE8ELNS1_3repE0EEENS1_30default_config_static_selectorELNS0_4arch9wavefront6targetE1EEEvT1_
                                        ; -- End function
	.set _ZN7rocprim17ROCPRIM_400000_NS6detail17trampoline_kernelINS0_14default_configENS1_25partition_config_selectorILNS1_17partition_subalgoE8ExNS0_10empty_typeEbEEZZNS1_14partition_implILS5_8ELb0ES3_jN6thrust23THRUST_200600_302600_NS6detail15normal_iteratorINSA_10device_ptrIxEEEEPS6_PKS6_NS0_5tupleIJNSA_16discard_iteratorINSA_11use_defaultEEES6_EEENSJ_IJSG_SG_EEENS0_18inequality_wrapperINSA_8equal_toIxEEEEPmJS6_EEE10hipError_tPvRmT3_T4_T5_T6_T7_T9_mT8_P12ihipStream_tbDpT10_ENKUlT_T0_E_clISt17integral_constantIbLb1EES1C_IbLb0EEEEDaS18_S19_EUlS18_E_NS1_11comp_targetILNS1_3genE4ELNS1_11target_archE910ELNS1_3gpuE8ELNS1_3repE0EEENS1_30default_config_static_selectorELNS0_4arch9wavefront6targetE1EEEvT1_.num_vgpr, 0
	.set _ZN7rocprim17ROCPRIM_400000_NS6detail17trampoline_kernelINS0_14default_configENS1_25partition_config_selectorILNS1_17partition_subalgoE8ExNS0_10empty_typeEbEEZZNS1_14partition_implILS5_8ELb0ES3_jN6thrust23THRUST_200600_302600_NS6detail15normal_iteratorINSA_10device_ptrIxEEEEPS6_PKS6_NS0_5tupleIJNSA_16discard_iteratorINSA_11use_defaultEEES6_EEENSJ_IJSG_SG_EEENS0_18inequality_wrapperINSA_8equal_toIxEEEEPmJS6_EEE10hipError_tPvRmT3_T4_T5_T6_T7_T9_mT8_P12ihipStream_tbDpT10_ENKUlT_T0_E_clISt17integral_constantIbLb1EES1C_IbLb0EEEEDaS18_S19_EUlS18_E_NS1_11comp_targetILNS1_3genE4ELNS1_11target_archE910ELNS1_3gpuE8ELNS1_3repE0EEENS1_30default_config_static_selectorELNS0_4arch9wavefront6targetE1EEEvT1_.num_agpr, 0
	.set _ZN7rocprim17ROCPRIM_400000_NS6detail17trampoline_kernelINS0_14default_configENS1_25partition_config_selectorILNS1_17partition_subalgoE8ExNS0_10empty_typeEbEEZZNS1_14partition_implILS5_8ELb0ES3_jN6thrust23THRUST_200600_302600_NS6detail15normal_iteratorINSA_10device_ptrIxEEEEPS6_PKS6_NS0_5tupleIJNSA_16discard_iteratorINSA_11use_defaultEEES6_EEENSJ_IJSG_SG_EEENS0_18inequality_wrapperINSA_8equal_toIxEEEEPmJS6_EEE10hipError_tPvRmT3_T4_T5_T6_T7_T9_mT8_P12ihipStream_tbDpT10_ENKUlT_T0_E_clISt17integral_constantIbLb1EES1C_IbLb0EEEEDaS18_S19_EUlS18_E_NS1_11comp_targetILNS1_3genE4ELNS1_11target_archE910ELNS1_3gpuE8ELNS1_3repE0EEENS1_30default_config_static_selectorELNS0_4arch9wavefront6targetE1EEEvT1_.numbered_sgpr, 0
	.set _ZN7rocprim17ROCPRIM_400000_NS6detail17trampoline_kernelINS0_14default_configENS1_25partition_config_selectorILNS1_17partition_subalgoE8ExNS0_10empty_typeEbEEZZNS1_14partition_implILS5_8ELb0ES3_jN6thrust23THRUST_200600_302600_NS6detail15normal_iteratorINSA_10device_ptrIxEEEEPS6_PKS6_NS0_5tupleIJNSA_16discard_iteratorINSA_11use_defaultEEES6_EEENSJ_IJSG_SG_EEENS0_18inequality_wrapperINSA_8equal_toIxEEEEPmJS6_EEE10hipError_tPvRmT3_T4_T5_T6_T7_T9_mT8_P12ihipStream_tbDpT10_ENKUlT_T0_E_clISt17integral_constantIbLb1EES1C_IbLb0EEEEDaS18_S19_EUlS18_E_NS1_11comp_targetILNS1_3genE4ELNS1_11target_archE910ELNS1_3gpuE8ELNS1_3repE0EEENS1_30default_config_static_selectorELNS0_4arch9wavefront6targetE1EEEvT1_.num_named_barrier, 0
	.set _ZN7rocprim17ROCPRIM_400000_NS6detail17trampoline_kernelINS0_14default_configENS1_25partition_config_selectorILNS1_17partition_subalgoE8ExNS0_10empty_typeEbEEZZNS1_14partition_implILS5_8ELb0ES3_jN6thrust23THRUST_200600_302600_NS6detail15normal_iteratorINSA_10device_ptrIxEEEEPS6_PKS6_NS0_5tupleIJNSA_16discard_iteratorINSA_11use_defaultEEES6_EEENSJ_IJSG_SG_EEENS0_18inequality_wrapperINSA_8equal_toIxEEEEPmJS6_EEE10hipError_tPvRmT3_T4_T5_T6_T7_T9_mT8_P12ihipStream_tbDpT10_ENKUlT_T0_E_clISt17integral_constantIbLb1EES1C_IbLb0EEEEDaS18_S19_EUlS18_E_NS1_11comp_targetILNS1_3genE4ELNS1_11target_archE910ELNS1_3gpuE8ELNS1_3repE0EEENS1_30default_config_static_selectorELNS0_4arch9wavefront6targetE1EEEvT1_.private_seg_size, 0
	.set _ZN7rocprim17ROCPRIM_400000_NS6detail17trampoline_kernelINS0_14default_configENS1_25partition_config_selectorILNS1_17partition_subalgoE8ExNS0_10empty_typeEbEEZZNS1_14partition_implILS5_8ELb0ES3_jN6thrust23THRUST_200600_302600_NS6detail15normal_iteratorINSA_10device_ptrIxEEEEPS6_PKS6_NS0_5tupleIJNSA_16discard_iteratorINSA_11use_defaultEEES6_EEENSJ_IJSG_SG_EEENS0_18inequality_wrapperINSA_8equal_toIxEEEEPmJS6_EEE10hipError_tPvRmT3_T4_T5_T6_T7_T9_mT8_P12ihipStream_tbDpT10_ENKUlT_T0_E_clISt17integral_constantIbLb1EES1C_IbLb0EEEEDaS18_S19_EUlS18_E_NS1_11comp_targetILNS1_3genE4ELNS1_11target_archE910ELNS1_3gpuE8ELNS1_3repE0EEENS1_30default_config_static_selectorELNS0_4arch9wavefront6targetE1EEEvT1_.uses_vcc, 0
	.set _ZN7rocprim17ROCPRIM_400000_NS6detail17trampoline_kernelINS0_14default_configENS1_25partition_config_selectorILNS1_17partition_subalgoE8ExNS0_10empty_typeEbEEZZNS1_14partition_implILS5_8ELb0ES3_jN6thrust23THRUST_200600_302600_NS6detail15normal_iteratorINSA_10device_ptrIxEEEEPS6_PKS6_NS0_5tupleIJNSA_16discard_iteratorINSA_11use_defaultEEES6_EEENSJ_IJSG_SG_EEENS0_18inequality_wrapperINSA_8equal_toIxEEEEPmJS6_EEE10hipError_tPvRmT3_T4_T5_T6_T7_T9_mT8_P12ihipStream_tbDpT10_ENKUlT_T0_E_clISt17integral_constantIbLb1EES1C_IbLb0EEEEDaS18_S19_EUlS18_E_NS1_11comp_targetILNS1_3genE4ELNS1_11target_archE910ELNS1_3gpuE8ELNS1_3repE0EEENS1_30default_config_static_selectorELNS0_4arch9wavefront6targetE1EEEvT1_.uses_flat_scratch, 0
	.set _ZN7rocprim17ROCPRIM_400000_NS6detail17trampoline_kernelINS0_14default_configENS1_25partition_config_selectorILNS1_17partition_subalgoE8ExNS0_10empty_typeEbEEZZNS1_14partition_implILS5_8ELb0ES3_jN6thrust23THRUST_200600_302600_NS6detail15normal_iteratorINSA_10device_ptrIxEEEEPS6_PKS6_NS0_5tupleIJNSA_16discard_iteratorINSA_11use_defaultEEES6_EEENSJ_IJSG_SG_EEENS0_18inequality_wrapperINSA_8equal_toIxEEEEPmJS6_EEE10hipError_tPvRmT3_T4_T5_T6_T7_T9_mT8_P12ihipStream_tbDpT10_ENKUlT_T0_E_clISt17integral_constantIbLb1EES1C_IbLb0EEEEDaS18_S19_EUlS18_E_NS1_11comp_targetILNS1_3genE4ELNS1_11target_archE910ELNS1_3gpuE8ELNS1_3repE0EEENS1_30default_config_static_selectorELNS0_4arch9wavefront6targetE1EEEvT1_.has_dyn_sized_stack, 0
	.set _ZN7rocprim17ROCPRIM_400000_NS6detail17trampoline_kernelINS0_14default_configENS1_25partition_config_selectorILNS1_17partition_subalgoE8ExNS0_10empty_typeEbEEZZNS1_14partition_implILS5_8ELb0ES3_jN6thrust23THRUST_200600_302600_NS6detail15normal_iteratorINSA_10device_ptrIxEEEEPS6_PKS6_NS0_5tupleIJNSA_16discard_iteratorINSA_11use_defaultEEES6_EEENSJ_IJSG_SG_EEENS0_18inequality_wrapperINSA_8equal_toIxEEEEPmJS6_EEE10hipError_tPvRmT3_T4_T5_T6_T7_T9_mT8_P12ihipStream_tbDpT10_ENKUlT_T0_E_clISt17integral_constantIbLb1EES1C_IbLb0EEEEDaS18_S19_EUlS18_E_NS1_11comp_targetILNS1_3genE4ELNS1_11target_archE910ELNS1_3gpuE8ELNS1_3repE0EEENS1_30default_config_static_selectorELNS0_4arch9wavefront6targetE1EEEvT1_.has_recursion, 0
	.set _ZN7rocprim17ROCPRIM_400000_NS6detail17trampoline_kernelINS0_14default_configENS1_25partition_config_selectorILNS1_17partition_subalgoE8ExNS0_10empty_typeEbEEZZNS1_14partition_implILS5_8ELb0ES3_jN6thrust23THRUST_200600_302600_NS6detail15normal_iteratorINSA_10device_ptrIxEEEEPS6_PKS6_NS0_5tupleIJNSA_16discard_iteratorINSA_11use_defaultEEES6_EEENSJ_IJSG_SG_EEENS0_18inequality_wrapperINSA_8equal_toIxEEEEPmJS6_EEE10hipError_tPvRmT3_T4_T5_T6_T7_T9_mT8_P12ihipStream_tbDpT10_ENKUlT_T0_E_clISt17integral_constantIbLb1EES1C_IbLb0EEEEDaS18_S19_EUlS18_E_NS1_11comp_targetILNS1_3genE4ELNS1_11target_archE910ELNS1_3gpuE8ELNS1_3repE0EEENS1_30default_config_static_selectorELNS0_4arch9wavefront6targetE1EEEvT1_.has_indirect_call, 0
	.section	.AMDGPU.csdata,"",@progbits
; Kernel info:
; codeLenInByte = 0
; TotalNumSgprs: 4
; NumVgprs: 0
; ScratchSize: 0
; MemoryBound: 0
; FloatMode: 240
; IeeeMode: 1
; LDSByteSize: 0 bytes/workgroup (compile time only)
; SGPRBlocks: 0
; VGPRBlocks: 0
; NumSGPRsForWavesPerEU: 4
; NumVGPRsForWavesPerEU: 1
; Occupancy: 10
; WaveLimiterHint : 0
; COMPUTE_PGM_RSRC2:SCRATCH_EN: 0
; COMPUTE_PGM_RSRC2:USER_SGPR: 6
; COMPUTE_PGM_RSRC2:TRAP_HANDLER: 0
; COMPUTE_PGM_RSRC2:TGID_X_EN: 1
; COMPUTE_PGM_RSRC2:TGID_Y_EN: 0
; COMPUTE_PGM_RSRC2:TGID_Z_EN: 0
; COMPUTE_PGM_RSRC2:TIDIG_COMP_CNT: 0
	.section	.text._ZN7rocprim17ROCPRIM_400000_NS6detail17trampoline_kernelINS0_14default_configENS1_25partition_config_selectorILNS1_17partition_subalgoE8ExNS0_10empty_typeEbEEZZNS1_14partition_implILS5_8ELb0ES3_jN6thrust23THRUST_200600_302600_NS6detail15normal_iteratorINSA_10device_ptrIxEEEEPS6_PKS6_NS0_5tupleIJNSA_16discard_iteratorINSA_11use_defaultEEES6_EEENSJ_IJSG_SG_EEENS0_18inequality_wrapperINSA_8equal_toIxEEEEPmJS6_EEE10hipError_tPvRmT3_T4_T5_T6_T7_T9_mT8_P12ihipStream_tbDpT10_ENKUlT_T0_E_clISt17integral_constantIbLb1EES1C_IbLb0EEEEDaS18_S19_EUlS18_E_NS1_11comp_targetILNS1_3genE3ELNS1_11target_archE908ELNS1_3gpuE7ELNS1_3repE0EEENS1_30default_config_static_selectorELNS0_4arch9wavefront6targetE1EEEvT1_,"axG",@progbits,_ZN7rocprim17ROCPRIM_400000_NS6detail17trampoline_kernelINS0_14default_configENS1_25partition_config_selectorILNS1_17partition_subalgoE8ExNS0_10empty_typeEbEEZZNS1_14partition_implILS5_8ELb0ES3_jN6thrust23THRUST_200600_302600_NS6detail15normal_iteratorINSA_10device_ptrIxEEEEPS6_PKS6_NS0_5tupleIJNSA_16discard_iteratorINSA_11use_defaultEEES6_EEENSJ_IJSG_SG_EEENS0_18inequality_wrapperINSA_8equal_toIxEEEEPmJS6_EEE10hipError_tPvRmT3_T4_T5_T6_T7_T9_mT8_P12ihipStream_tbDpT10_ENKUlT_T0_E_clISt17integral_constantIbLb1EES1C_IbLb0EEEEDaS18_S19_EUlS18_E_NS1_11comp_targetILNS1_3genE3ELNS1_11target_archE908ELNS1_3gpuE7ELNS1_3repE0EEENS1_30default_config_static_selectorELNS0_4arch9wavefront6targetE1EEEvT1_,comdat
	.protected	_ZN7rocprim17ROCPRIM_400000_NS6detail17trampoline_kernelINS0_14default_configENS1_25partition_config_selectorILNS1_17partition_subalgoE8ExNS0_10empty_typeEbEEZZNS1_14partition_implILS5_8ELb0ES3_jN6thrust23THRUST_200600_302600_NS6detail15normal_iteratorINSA_10device_ptrIxEEEEPS6_PKS6_NS0_5tupleIJNSA_16discard_iteratorINSA_11use_defaultEEES6_EEENSJ_IJSG_SG_EEENS0_18inequality_wrapperINSA_8equal_toIxEEEEPmJS6_EEE10hipError_tPvRmT3_T4_T5_T6_T7_T9_mT8_P12ihipStream_tbDpT10_ENKUlT_T0_E_clISt17integral_constantIbLb1EES1C_IbLb0EEEEDaS18_S19_EUlS18_E_NS1_11comp_targetILNS1_3genE3ELNS1_11target_archE908ELNS1_3gpuE7ELNS1_3repE0EEENS1_30default_config_static_selectorELNS0_4arch9wavefront6targetE1EEEvT1_ ; -- Begin function _ZN7rocprim17ROCPRIM_400000_NS6detail17trampoline_kernelINS0_14default_configENS1_25partition_config_selectorILNS1_17partition_subalgoE8ExNS0_10empty_typeEbEEZZNS1_14partition_implILS5_8ELb0ES3_jN6thrust23THRUST_200600_302600_NS6detail15normal_iteratorINSA_10device_ptrIxEEEEPS6_PKS6_NS0_5tupleIJNSA_16discard_iteratorINSA_11use_defaultEEES6_EEENSJ_IJSG_SG_EEENS0_18inequality_wrapperINSA_8equal_toIxEEEEPmJS6_EEE10hipError_tPvRmT3_T4_T5_T6_T7_T9_mT8_P12ihipStream_tbDpT10_ENKUlT_T0_E_clISt17integral_constantIbLb1EES1C_IbLb0EEEEDaS18_S19_EUlS18_E_NS1_11comp_targetILNS1_3genE3ELNS1_11target_archE908ELNS1_3gpuE7ELNS1_3repE0EEENS1_30default_config_static_selectorELNS0_4arch9wavefront6targetE1EEEvT1_
	.globl	_ZN7rocprim17ROCPRIM_400000_NS6detail17trampoline_kernelINS0_14default_configENS1_25partition_config_selectorILNS1_17partition_subalgoE8ExNS0_10empty_typeEbEEZZNS1_14partition_implILS5_8ELb0ES3_jN6thrust23THRUST_200600_302600_NS6detail15normal_iteratorINSA_10device_ptrIxEEEEPS6_PKS6_NS0_5tupleIJNSA_16discard_iteratorINSA_11use_defaultEEES6_EEENSJ_IJSG_SG_EEENS0_18inequality_wrapperINSA_8equal_toIxEEEEPmJS6_EEE10hipError_tPvRmT3_T4_T5_T6_T7_T9_mT8_P12ihipStream_tbDpT10_ENKUlT_T0_E_clISt17integral_constantIbLb1EES1C_IbLb0EEEEDaS18_S19_EUlS18_E_NS1_11comp_targetILNS1_3genE3ELNS1_11target_archE908ELNS1_3gpuE7ELNS1_3repE0EEENS1_30default_config_static_selectorELNS0_4arch9wavefront6targetE1EEEvT1_
	.p2align	8
	.type	_ZN7rocprim17ROCPRIM_400000_NS6detail17trampoline_kernelINS0_14default_configENS1_25partition_config_selectorILNS1_17partition_subalgoE8ExNS0_10empty_typeEbEEZZNS1_14partition_implILS5_8ELb0ES3_jN6thrust23THRUST_200600_302600_NS6detail15normal_iteratorINSA_10device_ptrIxEEEEPS6_PKS6_NS0_5tupleIJNSA_16discard_iteratorINSA_11use_defaultEEES6_EEENSJ_IJSG_SG_EEENS0_18inequality_wrapperINSA_8equal_toIxEEEEPmJS6_EEE10hipError_tPvRmT3_T4_T5_T6_T7_T9_mT8_P12ihipStream_tbDpT10_ENKUlT_T0_E_clISt17integral_constantIbLb1EES1C_IbLb0EEEEDaS18_S19_EUlS18_E_NS1_11comp_targetILNS1_3genE3ELNS1_11target_archE908ELNS1_3gpuE7ELNS1_3repE0EEENS1_30default_config_static_selectorELNS0_4arch9wavefront6targetE1EEEvT1_,@function
_ZN7rocprim17ROCPRIM_400000_NS6detail17trampoline_kernelINS0_14default_configENS1_25partition_config_selectorILNS1_17partition_subalgoE8ExNS0_10empty_typeEbEEZZNS1_14partition_implILS5_8ELb0ES3_jN6thrust23THRUST_200600_302600_NS6detail15normal_iteratorINSA_10device_ptrIxEEEEPS6_PKS6_NS0_5tupleIJNSA_16discard_iteratorINSA_11use_defaultEEES6_EEENSJ_IJSG_SG_EEENS0_18inequality_wrapperINSA_8equal_toIxEEEEPmJS6_EEE10hipError_tPvRmT3_T4_T5_T6_T7_T9_mT8_P12ihipStream_tbDpT10_ENKUlT_T0_E_clISt17integral_constantIbLb1EES1C_IbLb0EEEEDaS18_S19_EUlS18_E_NS1_11comp_targetILNS1_3genE3ELNS1_11target_archE908ELNS1_3gpuE7ELNS1_3repE0EEENS1_30default_config_static_selectorELNS0_4arch9wavefront6targetE1EEEvT1_: ; @_ZN7rocprim17ROCPRIM_400000_NS6detail17trampoline_kernelINS0_14default_configENS1_25partition_config_selectorILNS1_17partition_subalgoE8ExNS0_10empty_typeEbEEZZNS1_14partition_implILS5_8ELb0ES3_jN6thrust23THRUST_200600_302600_NS6detail15normal_iteratorINSA_10device_ptrIxEEEEPS6_PKS6_NS0_5tupleIJNSA_16discard_iteratorINSA_11use_defaultEEES6_EEENSJ_IJSG_SG_EEENS0_18inequality_wrapperINSA_8equal_toIxEEEEPmJS6_EEE10hipError_tPvRmT3_T4_T5_T6_T7_T9_mT8_P12ihipStream_tbDpT10_ENKUlT_T0_E_clISt17integral_constantIbLb1EES1C_IbLb0EEEEDaS18_S19_EUlS18_E_NS1_11comp_targetILNS1_3genE3ELNS1_11target_archE908ELNS1_3gpuE7ELNS1_3repE0EEENS1_30default_config_static_selectorELNS0_4arch9wavefront6targetE1EEEvT1_
; %bb.0:
	.section	.rodata,"a",@progbits
	.p2align	6, 0x0
	.amdhsa_kernel _ZN7rocprim17ROCPRIM_400000_NS6detail17trampoline_kernelINS0_14default_configENS1_25partition_config_selectorILNS1_17partition_subalgoE8ExNS0_10empty_typeEbEEZZNS1_14partition_implILS5_8ELb0ES3_jN6thrust23THRUST_200600_302600_NS6detail15normal_iteratorINSA_10device_ptrIxEEEEPS6_PKS6_NS0_5tupleIJNSA_16discard_iteratorINSA_11use_defaultEEES6_EEENSJ_IJSG_SG_EEENS0_18inequality_wrapperINSA_8equal_toIxEEEEPmJS6_EEE10hipError_tPvRmT3_T4_T5_T6_T7_T9_mT8_P12ihipStream_tbDpT10_ENKUlT_T0_E_clISt17integral_constantIbLb1EES1C_IbLb0EEEEDaS18_S19_EUlS18_E_NS1_11comp_targetILNS1_3genE3ELNS1_11target_archE908ELNS1_3gpuE7ELNS1_3repE0EEENS1_30default_config_static_selectorELNS0_4arch9wavefront6targetE1EEEvT1_
		.amdhsa_group_segment_fixed_size 0
		.amdhsa_private_segment_fixed_size 0
		.amdhsa_kernarg_size 120
		.amdhsa_user_sgpr_count 6
		.amdhsa_user_sgpr_private_segment_buffer 1
		.amdhsa_user_sgpr_dispatch_ptr 0
		.amdhsa_user_sgpr_queue_ptr 0
		.amdhsa_user_sgpr_kernarg_segment_ptr 1
		.amdhsa_user_sgpr_dispatch_id 0
		.amdhsa_user_sgpr_flat_scratch_init 0
		.amdhsa_user_sgpr_private_segment_size 0
		.amdhsa_uses_dynamic_stack 0
		.amdhsa_system_sgpr_private_segment_wavefront_offset 0
		.amdhsa_system_sgpr_workgroup_id_x 1
		.amdhsa_system_sgpr_workgroup_id_y 0
		.amdhsa_system_sgpr_workgroup_id_z 0
		.amdhsa_system_sgpr_workgroup_info 0
		.amdhsa_system_vgpr_workitem_id 0
		.amdhsa_next_free_vgpr 1
		.amdhsa_next_free_sgpr 0
		.amdhsa_reserve_vcc 0
		.amdhsa_reserve_flat_scratch 0
		.amdhsa_float_round_mode_32 0
		.amdhsa_float_round_mode_16_64 0
		.amdhsa_float_denorm_mode_32 3
		.amdhsa_float_denorm_mode_16_64 3
		.amdhsa_dx10_clamp 1
		.amdhsa_ieee_mode 1
		.amdhsa_fp16_overflow 0
		.amdhsa_exception_fp_ieee_invalid_op 0
		.amdhsa_exception_fp_denorm_src 0
		.amdhsa_exception_fp_ieee_div_zero 0
		.amdhsa_exception_fp_ieee_overflow 0
		.amdhsa_exception_fp_ieee_underflow 0
		.amdhsa_exception_fp_ieee_inexact 0
		.amdhsa_exception_int_div_zero 0
	.end_amdhsa_kernel
	.section	.text._ZN7rocprim17ROCPRIM_400000_NS6detail17trampoline_kernelINS0_14default_configENS1_25partition_config_selectorILNS1_17partition_subalgoE8ExNS0_10empty_typeEbEEZZNS1_14partition_implILS5_8ELb0ES3_jN6thrust23THRUST_200600_302600_NS6detail15normal_iteratorINSA_10device_ptrIxEEEEPS6_PKS6_NS0_5tupleIJNSA_16discard_iteratorINSA_11use_defaultEEES6_EEENSJ_IJSG_SG_EEENS0_18inequality_wrapperINSA_8equal_toIxEEEEPmJS6_EEE10hipError_tPvRmT3_T4_T5_T6_T7_T9_mT8_P12ihipStream_tbDpT10_ENKUlT_T0_E_clISt17integral_constantIbLb1EES1C_IbLb0EEEEDaS18_S19_EUlS18_E_NS1_11comp_targetILNS1_3genE3ELNS1_11target_archE908ELNS1_3gpuE7ELNS1_3repE0EEENS1_30default_config_static_selectorELNS0_4arch9wavefront6targetE1EEEvT1_,"axG",@progbits,_ZN7rocprim17ROCPRIM_400000_NS6detail17trampoline_kernelINS0_14default_configENS1_25partition_config_selectorILNS1_17partition_subalgoE8ExNS0_10empty_typeEbEEZZNS1_14partition_implILS5_8ELb0ES3_jN6thrust23THRUST_200600_302600_NS6detail15normal_iteratorINSA_10device_ptrIxEEEEPS6_PKS6_NS0_5tupleIJNSA_16discard_iteratorINSA_11use_defaultEEES6_EEENSJ_IJSG_SG_EEENS0_18inequality_wrapperINSA_8equal_toIxEEEEPmJS6_EEE10hipError_tPvRmT3_T4_T5_T6_T7_T9_mT8_P12ihipStream_tbDpT10_ENKUlT_T0_E_clISt17integral_constantIbLb1EES1C_IbLb0EEEEDaS18_S19_EUlS18_E_NS1_11comp_targetILNS1_3genE3ELNS1_11target_archE908ELNS1_3gpuE7ELNS1_3repE0EEENS1_30default_config_static_selectorELNS0_4arch9wavefront6targetE1EEEvT1_,comdat
.Lfunc_end648:
	.size	_ZN7rocprim17ROCPRIM_400000_NS6detail17trampoline_kernelINS0_14default_configENS1_25partition_config_selectorILNS1_17partition_subalgoE8ExNS0_10empty_typeEbEEZZNS1_14partition_implILS5_8ELb0ES3_jN6thrust23THRUST_200600_302600_NS6detail15normal_iteratorINSA_10device_ptrIxEEEEPS6_PKS6_NS0_5tupleIJNSA_16discard_iteratorINSA_11use_defaultEEES6_EEENSJ_IJSG_SG_EEENS0_18inequality_wrapperINSA_8equal_toIxEEEEPmJS6_EEE10hipError_tPvRmT3_T4_T5_T6_T7_T9_mT8_P12ihipStream_tbDpT10_ENKUlT_T0_E_clISt17integral_constantIbLb1EES1C_IbLb0EEEEDaS18_S19_EUlS18_E_NS1_11comp_targetILNS1_3genE3ELNS1_11target_archE908ELNS1_3gpuE7ELNS1_3repE0EEENS1_30default_config_static_selectorELNS0_4arch9wavefront6targetE1EEEvT1_, .Lfunc_end648-_ZN7rocprim17ROCPRIM_400000_NS6detail17trampoline_kernelINS0_14default_configENS1_25partition_config_selectorILNS1_17partition_subalgoE8ExNS0_10empty_typeEbEEZZNS1_14partition_implILS5_8ELb0ES3_jN6thrust23THRUST_200600_302600_NS6detail15normal_iteratorINSA_10device_ptrIxEEEEPS6_PKS6_NS0_5tupleIJNSA_16discard_iteratorINSA_11use_defaultEEES6_EEENSJ_IJSG_SG_EEENS0_18inequality_wrapperINSA_8equal_toIxEEEEPmJS6_EEE10hipError_tPvRmT3_T4_T5_T6_T7_T9_mT8_P12ihipStream_tbDpT10_ENKUlT_T0_E_clISt17integral_constantIbLb1EES1C_IbLb0EEEEDaS18_S19_EUlS18_E_NS1_11comp_targetILNS1_3genE3ELNS1_11target_archE908ELNS1_3gpuE7ELNS1_3repE0EEENS1_30default_config_static_selectorELNS0_4arch9wavefront6targetE1EEEvT1_
                                        ; -- End function
	.set _ZN7rocprim17ROCPRIM_400000_NS6detail17trampoline_kernelINS0_14default_configENS1_25partition_config_selectorILNS1_17partition_subalgoE8ExNS0_10empty_typeEbEEZZNS1_14partition_implILS5_8ELb0ES3_jN6thrust23THRUST_200600_302600_NS6detail15normal_iteratorINSA_10device_ptrIxEEEEPS6_PKS6_NS0_5tupleIJNSA_16discard_iteratorINSA_11use_defaultEEES6_EEENSJ_IJSG_SG_EEENS0_18inequality_wrapperINSA_8equal_toIxEEEEPmJS6_EEE10hipError_tPvRmT3_T4_T5_T6_T7_T9_mT8_P12ihipStream_tbDpT10_ENKUlT_T0_E_clISt17integral_constantIbLb1EES1C_IbLb0EEEEDaS18_S19_EUlS18_E_NS1_11comp_targetILNS1_3genE3ELNS1_11target_archE908ELNS1_3gpuE7ELNS1_3repE0EEENS1_30default_config_static_selectorELNS0_4arch9wavefront6targetE1EEEvT1_.num_vgpr, 0
	.set _ZN7rocprim17ROCPRIM_400000_NS6detail17trampoline_kernelINS0_14default_configENS1_25partition_config_selectorILNS1_17partition_subalgoE8ExNS0_10empty_typeEbEEZZNS1_14partition_implILS5_8ELb0ES3_jN6thrust23THRUST_200600_302600_NS6detail15normal_iteratorINSA_10device_ptrIxEEEEPS6_PKS6_NS0_5tupleIJNSA_16discard_iteratorINSA_11use_defaultEEES6_EEENSJ_IJSG_SG_EEENS0_18inequality_wrapperINSA_8equal_toIxEEEEPmJS6_EEE10hipError_tPvRmT3_T4_T5_T6_T7_T9_mT8_P12ihipStream_tbDpT10_ENKUlT_T0_E_clISt17integral_constantIbLb1EES1C_IbLb0EEEEDaS18_S19_EUlS18_E_NS1_11comp_targetILNS1_3genE3ELNS1_11target_archE908ELNS1_3gpuE7ELNS1_3repE0EEENS1_30default_config_static_selectorELNS0_4arch9wavefront6targetE1EEEvT1_.num_agpr, 0
	.set _ZN7rocprim17ROCPRIM_400000_NS6detail17trampoline_kernelINS0_14default_configENS1_25partition_config_selectorILNS1_17partition_subalgoE8ExNS0_10empty_typeEbEEZZNS1_14partition_implILS5_8ELb0ES3_jN6thrust23THRUST_200600_302600_NS6detail15normal_iteratorINSA_10device_ptrIxEEEEPS6_PKS6_NS0_5tupleIJNSA_16discard_iteratorINSA_11use_defaultEEES6_EEENSJ_IJSG_SG_EEENS0_18inequality_wrapperINSA_8equal_toIxEEEEPmJS6_EEE10hipError_tPvRmT3_T4_T5_T6_T7_T9_mT8_P12ihipStream_tbDpT10_ENKUlT_T0_E_clISt17integral_constantIbLb1EES1C_IbLb0EEEEDaS18_S19_EUlS18_E_NS1_11comp_targetILNS1_3genE3ELNS1_11target_archE908ELNS1_3gpuE7ELNS1_3repE0EEENS1_30default_config_static_selectorELNS0_4arch9wavefront6targetE1EEEvT1_.numbered_sgpr, 0
	.set _ZN7rocprim17ROCPRIM_400000_NS6detail17trampoline_kernelINS0_14default_configENS1_25partition_config_selectorILNS1_17partition_subalgoE8ExNS0_10empty_typeEbEEZZNS1_14partition_implILS5_8ELb0ES3_jN6thrust23THRUST_200600_302600_NS6detail15normal_iteratorINSA_10device_ptrIxEEEEPS6_PKS6_NS0_5tupleIJNSA_16discard_iteratorINSA_11use_defaultEEES6_EEENSJ_IJSG_SG_EEENS0_18inequality_wrapperINSA_8equal_toIxEEEEPmJS6_EEE10hipError_tPvRmT3_T4_T5_T6_T7_T9_mT8_P12ihipStream_tbDpT10_ENKUlT_T0_E_clISt17integral_constantIbLb1EES1C_IbLb0EEEEDaS18_S19_EUlS18_E_NS1_11comp_targetILNS1_3genE3ELNS1_11target_archE908ELNS1_3gpuE7ELNS1_3repE0EEENS1_30default_config_static_selectorELNS0_4arch9wavefront6targetE1EEEvT1_.num_named_barrier, 0
	.set _ZN7rocprim17ROCPRIM_400000_NS6detail17trampoline_kernelINS0_14default_configENS1_25partition_config_selectorILNS1_17partition_subalgoE8ExNS0_10empty_typeEbEEZZNS1_14partition_implILS5_8ELb0ES3_jN6thrust23THRUST_200600_302600_NS6detail15normal_iteratorINSA_10device_ptrIxEEEEPS6_PKS6_NS0_5tupleIJNSA_16discard_iteratorINSA_11use_defaultEEES6_EEENSJ_IJSG_SG_EEENS0_18inequality_wrapperINSA_8equal_toIxEEEEPmJS6_EEE10hipError_tPvRmT3_T4_T5_T6_T7_T9_mT8_P12ihipStream_tbDpT10_ENKUlT_T0_E_clISt17integral_constantIbLb1EES1C_IbLb0EEEEDaS18_S19_EUlS18_E_NS1_11comp_targetILNS1_3genE3ELNS1_11target_archE908ELNS1_3gpuE7ELNS1_3repE0EEENS1_30default_config_static_selectorELNS0_4arch9wavefront6targetE1EEEvT1_.private_seg_size, 0
	.set _ZN7rocprim17ROCPRIM_400000_NS6detail17trampoline_kernelINS0_14default_configENS1_25partition_config_selectorILNS1_17partition_subalgoE8ExNS0_10empty_typeEbEEZZNS1_14partition_implILS5_8ELb0ES3_jN6thrust23THRUST_200600_302600_NS6detail15normal_iteratorINSA_10device_ptrIxEEEEPS6_PKS6_NS0_5tupleIJNSA_16discard_iteratorINSA_11use_defaultEEES6_EEENSJ_IJSG_SG_EEENS0_18inequality_wrapperINSA_8equal_toIxEEEEPmJS6_EEE10hipError_tPvRmT3_T4_T5_T6_T7_T9_mT8_P12ihipStream_tbDpT10_ENKUlT_T0_E_clISt17integral_constantIbLb1EES1C_IbLb0EEEEDaS18_S19_EUlS18_E_NS1_11comp_targetILNS1_3genE3ELNS1_11target_archE908ELNS1_3gpuE7ELNS1_3repE0EEENS1_30default_config_static_selectorELNS0_4arch9wavefront6targetE1EEEvT1_.uses_vcc, 0
	.set _ZN7rocprim17ROCPRIM_400000_NS6detail17trampoline_kernelINS0_14default_configENS1_25partition_config_selectorILNS1_17partition_subalgoE8ExNS0_10empty_typeEbEEZZNS1_14partition_implILS5_8ELb0ES3_jN6thrust23THRUST_200600_302600_NS6detail15normal_iteratorINSA_10device_ptrIxEEEEPS6_PKS6_NS0_5tupleIJNSA_16discard_iteratorINSA_11use_defaultEEES6_EEENSJ_IJSG_SG_EEENS0_18inequality_wrapperINSA_8equal_toIxEEEEPmJS6_EEE10hipError_tPvRmT3_T4_T5_T6_T7_T9_mT8_P12ihipStream_tbDpT10_ENKUlT_T0_E_clISt17integral_constantIbLb1EES1C_IbLb0EEEEDaS18_S19_EUlS18_E_NS1_11comp_targetILNS1_3genE3ELNS1_11target_archE908ELNS1_3gpuE7ELNS1_3repE0EEENS1_30default_config_static_selectorELNS0_4arch9wavefront6targetE1EEEvT1_.uses_flat_scratch, 0
	.set _ZN7rocprim17ROCPRIM_400000_NS6detail17trampoline_kernelINS0_14default_configENS1_25partition_config_selectorILNS1_17partition_subalgoE8ExNS0_10empty_typeEbEEZZNS1_14partition_implILS5_8ELb0ES3_jN6thrust23THRUST_200600_302600_NS6detail15normal_iteratorINSA_10device_ptrIxEEEEPS6_PKS6_NS0_5tupleIJNSA_16discard_iteratorINSA_11use_defaultEEES6_EEENSJ_IJSG_SG_EEENS0_18inequality_wrapperINSA_8equal_toIxEEEEPmJS6_EEE10hipError_tPvRmT3_T4_T5_T6_T7_T9_mT8_P12ihipStream_tbDpT10_ENKUlT_T0_E_clISt17integral_constantIbLb1EES1C_IbLb0EEEEDaS18_S19_EUlS18_E_NS1_11comp_targetILNS1_3genE3ELNS1_11target_archE908ELNS1_3gpuE7ELNS1_3repE0EEENS1_30default_config_static_selectorELNS0_4arch9wavefront6targetE1EEEvT1_.has_dyn_sized_stack, 0
	.set _ZN7rocprim17ROCPRIM_400000_NS6detail17trampoline_kernelINS0_14default_configENS1_25partition_config_selectorILNS1_17partition_subalgoE8ExNS0_10empty_typeEbEEZZNS1_14partition_implILS5_8ELb0ES3_jN6thrust23THRUST_200600_302600_NS6detail15normal_iteratorINSA_10device_ptrIxEEEEPS6_PKS6_NS0_5tupleIJNSA_16discard_iteratorINSA_11use_defaultEEES6_EEENSJ_IJSG_SG_EEENS0_18inequality_wrapperINSA_8equal_toIxEEEEPmJS6_EEE10hipError_tPvRmT3_T4_T5_T6_T7_T9_mT8_P12ihipStream_tbDpT10_ENKUlT_T0_E_clISt17integral_constantIbLb1EES1C_IbLb0EEEEDaS18_S19_EUlS18_E_NS1_11comp_targetILNS1_3genE3ELNS1_11target_archE908ELNS1_3gpuE7ELNS1_3repE0EEENS1_30default_config_static_selectorELNS0_4arch9wavefront6targetE1EEEvT1_.has_recursion, 0
	.set _ZN7rocprim17ROCPRIM_400000_NS6detail17trampoline_kernelINS0_14default_configENS1_25partition_config_selectorILNS1_17partition_subalgoE8ExNS0_10empty_typeEbEEZZNS1_14partition_implILS5_8ELb0ES3_jN6thrust23THRUST_200600_302600_NS6detail15normal_iteratorINSA_10device_ptrIxEEEEPS6_PKS6_NS0_5tupleIJNSA_16discard_iteratorINSA_11use_defaultEEES6_EEENSJ_IJSG_SG_EEENS0_18inequality_wrapperINSA_8equal_toIxEEEEPmJS6_EEE10hipError_tPvRmT3_T4_T5_T6_T7_T9_mT8_P12ihipStream_tbDpT10_ENKUlT_T0_E_clISt17integral_constantIbLb1EES1C_IbLb0EEEEDaS18_S19_EUlS18_E_NS1_11comp_targetILNS1_3genE3ELNS1_11target_archE908ELNS1_3gpuE7ELNS1_3repE0EEENS1_30default_config_static_selectorELNS0_4arch9wavefront6targetE1EEEvT1_.has_indirect_call, 0
	.section	.AMDGPU.csdata,"",@progbits
; Kernel info:
; codeLenInByte = 0
; TotalNumSgprs: 4
; NumVgprs: 0
; ScratchSize: 0
; MemoryBound: 0
; FloatMode: 240
; IeeeMode: 1
; LDSByteSize: 0 bytes/workgroup (compile time only)
; SGPRBlocks: 0
; VGPRBlocks: 0
; NumSGPRsForWavesPerEU: 4
; NumVGPRsForWavesPerEU: 1
; Occupancy: 10
; WaveLimiterHint : 0
; COMPUTE_PGM_RSRC2:SCRATCH_EN: 0
; COMPUTE_PGM_RSRC2:USER_SGPR: 6
; COMPUTE_PGM_RSRC2:TRAP_HANDLER: 0
; COMPUTE_PGM_RSRC2:TGID_X_EN: 1
; COMPUTE_PGM_RSRC2:TGID_Y_EN: 0
; COMPUTE_PGM_RSRC2:TGID_Z_EN: 0
; COMPUTE_PGM_RSRC2:TIDIG_COMP_CNT: 0
	.section	.text._ZN7rocprim17ROCPRIM_400000_NS6detail17trampoline_kernelINS0_14default_configENS1_25partition_config_selectorILNS1_17partition_subalgoE8ExNS0_10empty_typeEbEEZZNS1_14partition_implILS5_8ELb0ES3_jN6thrust23THRUST_200600_302600_NS6detail15normal_iteratorINSA_10device_ptrIxEEEEPS6_PKS6_NS0_5tupleIJNSA_16discard_iteratorINSA_11use_defaultEEES6_EEENSJ_IJSG_SG_EEENS0_18inequality_wrapperINSA_8equal_toIxEEEEPmJS6_EEE10hipError_tPvRmT3_T4_T5_T6_T7_T9_mT8_P12ihipStream_tbDpT10_ENKUlT_T0_E_clISt17integral_constantIbLb1EES1C_IbLb0EEEEDaS18_S19_EUlS18_E_NS1_11comp_targetILNS1_3genE2ELNS1_11target_archE906ELNS1_3gpuE6ELNS1_3repE0EEENS1_30default_config_static_selectorELNS0_4arch9wavefront6targetE1EEEvT1_,"axG",@progbits,_ZN7rocprim17ROCPRIM_400000_NS6detail17trampoline_kernelINS0_14default_configENS1_25partition_config_selectorILNS1_17partition_subalgoE8ExNS0_10empty_typeEbEEZZNS1_14partition_implILS5_8ELb0ES3_jN6thrust23THRUST_200600_302600_NS6detail15normal_iteratorINSA_10device_ptrIxEEEEPS6_PKS6_NS0_5tupleIJNSA_16discard_iteratorINSA_11use_defaultEEES6_EEENSJ_IJSG_SG_EEENS0_18inequality_wrapperINSA_8equal_toIxEEEEPmJS6_EEE10hipError_tPvRmT3_T4_T5_T6_T7_T9_mT8_P12ihipStream_tbDpT10_ENKUlT_T0_E_clISt17integral_constantIbLb1EES1C_IbLb0EEEEDaS18_S19_EUlS18_E_NS1_11comp_targetILNS1_3genE2ELNS1_11target_archE906ELNS1_3gpuE6ELNS1_3repE0EEENS1_30default_config_static_selectorELNS0_4arch9wavefront6targetE1EEEvT1_,comdat
	.protected	_ZN7rocprim17ROCPRIM_400000_NS6detail17trampoline_kernelINS0_14default_configENS1_25partition_config_selectorILNS1_17partition_subalgoE8ExNS0_10empty_typeEbEEZZNS1_14partition_implILS5_8ELb0ES3_jN6thrust23THRUST_200600_302600_NS6detail15normal_iteratorINSA_10device_ptrIxEEEEPS6_PKS6_NS0_5tupleIJNSA_16discard_iteratorINSA_11use_defaultEEES6_EEENSJ_IJSG_SG_EEENS0_18inequality_wrapperINSA_8equal_toIxEEEEPmJS6_EEE10hipError_tPvRmT3_T4_T5_T6_T7_T9_mT8_P12ihipStream_tbDpT10_ENKUlT_T0_E_clISt17integral_constantIbLb1EES1C_IbLb0EEEEDaS18_S19_EUlS18_E_NS1_11comp_targetILNS1_3genE2ELNS1_11target_archE906ELNS1_3gpuE6ELNS1_3repE0EEENS1_30default_config_static_selectorELNS0_4arch9wavefront6targetE1EEEvT1_ ; -- Begin function _ZN7rocprim17ROCPRIM_400000_NS6detail17trampoline_kernelINS0_14default_configENS1_25partition_config_selectorILNS1_17partition_subalgoE8ExNS0_10empty_typeEbEEZZNS1_14partition_implILS5_8ELb0ES3_jN6thrust23THRUST_200600_302600_NS6detail15normal_iteratorINSA_10device_ptrIxEEEEPS6_PKS6_NS0_5tupleIJNSA_16discard_iteratorINSA_11use_defaultEEES6_EEENSJ_IJSG_SG_EEENS0_18inequality_wrapperINSA_8equal_toIxEEEEPmJS6_EEE10hipError_tPvRmT3_T4_T5_T6_T7_T9_mT8_P12ihipStream_tbDpT10_ENKUlT_T0_E_clISt17integral_constantIbLb1EES1C_IbLb0EEEEDaS18_S19_EUlS18_E_NS1_11comp_targetILNS1_3genE2ELNS1_11target_archE906ELNS1_3gpuE6ELNS1_3repE0EEENS1_30default_config_static_selectorELNS0_4arch9wavefront6targetE1EEEvT1_
	.globl	_ZN7rocprim17ROCPRIM_400000_NS6detail17trampoline_kernelINS0_14default_configENS1_25partition_config_selectorILNS1_17partition_subalgoE8ExNS0_10empty_typeEbEEZZNS1_14partition_implILS5_8ELb0ES3_jN6thrust23THRUST_200600_302600_NS6detail15normal_iteratorINSA_10device_ptrIxEEEEPS6_PKS6_NS0_5tupleIJNSA_16discard_iteratorINSA_11use_defaultEEES6_EEENSJ_IJSG_SG_EEENS0_18inequality_wrapperINSA_8equal_toIxEEEEPmJS6_EEE10hipError_tPvRmT3_T4_T5_T6_T7_T9_mT8_P12ihipStream_tbDpT10_ENKUlT_T0_E_clISt17integral_constantIbLb1EES1C_IbLb0EEEEDaS18_S19_EUlS18_E_NS1_11comp_targetILNS1_3genE2ELNS1_11target_archE906ELNS1_3gpuE6ELNS1_3repE0EEENS1_30default_config_static_selectorELNS0_4arch9wavefront6targetE1EEEvT1_
	.p2align	8
	.type	_ZN7rocprim17ROCPRIM_400000_NS6detail17trampoline_kernelINS0_14default_configENS1_25partition_config_selectorILNS1_17partition_subalgoE8ExNS0_10empty_typeEbEEZZNS1_14partition_implILS5_8ELb0ES3_jN6thrust23THRUST_200600_302600_NS6detail15normal_iteratorINSA_10device_ptrIxEEEEPS6_PKS6_NS0_5tupleIJNSA_16discard_iteratorINSA_11use_defaultEEES6_EEENSJ_IJSG_SG_EEENS0_18inequality_wrapperINSA_8equal_toIxEEEEPmJS6_EEE10hipError_tPvRmT3_T4_T5_T6_T7_T9_mT8_P12ihipStream_tbDpT10_ENKUlT_T0_E_clISt17integral_constantIbLb1EES1C_IbLb0EEEEDaS18_S19_EUlS18_E_NS1_11comp_targetILNS1_3genE2ELNS1_11target_archE906ELNS1_3gpuE6ELNS1_3repE0EEENS1_30default_config_static_selectorELNS0_4arch9wavefront6targetE1EEEvT1_,@function
_ZN7rocprim17ROCPRIM_400000_NS6detail17trampoline_kernelINS0_14default_configENS1_25partition_config_selectorILNS1_17partition_subalgoE8ExNS0_10empty_typeEbEEZZNS1_14partition_implILS5_8ELb0ES3_jN6thrust23THRUST_200600_302600_NS6detail15normal_iteratorINSA_10device_ptrIxEEEEPS6_PKS6_NS0_5tupleIJNSA_16discard_iteratorINSA_11use_defaultEEES6_EEENSJ_IJSG_SG_EEENS0_18inequality_wrapperINSA_8equal_toIxEEEEPmJS6_EEE10hipError_tPvRmT3_T4_T5_T6_T7_T9_mT8_P12ihipStream_tbDpT10_ENKUlT_T0_E_clISt17integral_constantIbLb1EES1C_IbLb0EEEEDaS18_S19_EUlS18_E_NS1_11comp_targetILNS1_3genE2ELNS1_11target_archE906ELNS1_3gpuE6ELNS1_3repE0EEENS1_30default_config_static_selectorELNS0_4arch9wavefront6targetE1EEEvT1_: ; @_ZN7rocprim17ROCPRIM_400000_NS6detail17trampoline_kernelINS0_14default_configENS1_25partition_config_selectorILNS1_17partition_subalgoE8ExNS0_10empty_typeEbEEZZNS1_14partition_implILS5_8ELb0ES3_jN6thrust23THRUST_200600_302600_NS6detail15normal_iteratorINSA_10device_ptrIxEEEEPS6_PKS6_NS0_5tupleIJNSA_16discard_iteratorINSA_11use_defaultEEES6_EEENSJ_IJSG_SG_EEENS0_18inequality_wrapperINSA_8equal_toIxEEEEPmJS6_EEE10hipError_tPvRmT3_T4_T5_T6_T7_T9_mT8_P12ihipStream_tbDpT10_ENKUlT_T0_E_clISt17integral_constantIbLb1EES1C_IbLb0EEEEDaS18_S19_EUlS18_E_NS1_11comp_targetILNS1_3genE2ELNS1_11target_archE906ELNS1_3gpuE6ELNS1_3repE0EEENS1_30default_config_static_selectorELNS0_4arch9wavefront6targetE1EEEvT1_
; %bb.0:
	s_endpgm
	.section	.rodata,"a",@progbits
	.p2align	6, 0x0
	.amdhsa_kernel _ZN7rocprim17ROCPRIM_400000_NS6detail17trampoline_kernelINS0_14default_configENS1_25partition_config_selectorILNS1_17partition_subalgoE8ExNS0_10empty_typeEbEEZZNS1_14partition_implILS5_8ELb0ES3_jN6thrust23THRUST_200600_302600_NS6detail15normal_iteratorINSA_10device_ptrIxEEEEPS6_PKS6_NS0_5tupleIJNSA_16discard_iteratorINSA_11use_defaultEEES6_EEENSJ_IJSG_SG_EEENS0_18inequality_wrapperINSA_8equal_toIxEEEEPmJS6_EEE10hipError_tPvRmT3_T4_T5_T6_T7_T9_mT8_P12ihipStream_tbDpT10_ENKUlT_T0_E_clISt17integral_constantIbLb1EES1C_IbLb0EEEEDaS18_S19_EUlS18_E_NS1_11comp_targetILNS1_3genE2ELNS1_11target_archE906ELNS1_3gpuE6ELNS1_3repE0EEENS1_30default_config_static_selectorELNS0_4arch9wavefront6targetE1EEEvT1_
		.amdhsa_group_segment_fixed_size 0
		.amdhsa_private_segment_fixed_size 0
		.amdhsa_kernarg_size 120
		.amdhsa_user_sgpr_count 6
		.amdhsa_user_sgpr_private_segment_buffer 1
		.amdhsa_user_sgpr_dispatch_ptr 0
		.amdhsa_user_sgpr_queue_ptr 0
		.amdhsa_user_sgpr_kernarg_segment_ptr 1
		.amdhsa_user_sgpr_dispatch_id 0
		.amdhsa_user_sgpr_flat_scratch_init 0
		.amdhsa_user_sgpr_private_segment_size 0
		.amdhsa_uses_dynamic_stack 0
		.amdhsa_system_sgpr_private_segment_wavefront_offset 0
		.amdhsa_system_sgpr_workgroup_id_x 1
		.amdhsa_system_sgpr_workgroup_id_y 0
		.amdhsa_system_sgpr_workgroup_id_z 0
		.amdhsa_system_sgpr_workgroup_info 0
		.amdhsa_system_vgpr_workitem_id 0
		.amdhsa_next_free_vgpr 1
		.amdhsa_next_free_sgpr 0
		.amdhsa_reserve_vcc 0
		.amdhsa_reserve_flat_scratch 0
		.amdhsa_float_round_mode_32 0
		.amdhsa_float_round_mode_16_64 0
		.amdhsa_float_denorm_mode_32 3
		.amdhsa_float_denorm_mode_16_64 3
		.amdhsa_dx10_clamp 1
		.amdhsa_ieee_mode 1
		.amdhsa_fp16_overflow 0
		.amdhsa_exception_fp_ieee_invalid_op 0
		.amdhsa_exception_fp_denorm_src 0
		.amdhsa_exception_fp_ieee_div_zero 0
		.amdhsa_exception_fp_ieee_overflow 0
		.amdhsa_exception_fp_ieee_underflow 0
		.amdhsa_exception_fp_ieee_inexact 0
		.amdhsa_exception_int_div_zero 0
	.end_amdhsa_kernel
	.section	.text._ZN7rocprim17ROCPRIM_400000_NS6detail17trampoline_kernelINS0_14default_configENS1_25partition_config_selectorILNS1_17partition_subalgoE8ExNS0_10empty_typeEbEEZZNS1_14partition_implILS5_8ELb0ES3_jN6thrust23THRUST_200600_302600_NS6detail15normal_iteratorINSA_10device_ptrIxEEEEPS6_PKS6_NS0_5tupleIJNSA_16discard_iteratorINSA_11use_defaultEEES6_EEENSJ_IJSG_SG_EEENS0_18inequality_wrapperINSA_8equal_toIxEEEEPmJS6_EEE10hipError_tPvRmT3_T4_T5_T6_T7_T9_mT8_P12ihipStream_tbDpT10_ENKUlT_T0_E_clISt17integral_constantIbLb1EES1C_IbLb0EEEEDaS18_S19_EUlS18_E_NS1_11comp_targetILNS1_3genE2ELNS1_11target_archE906ELNS1_3gpuE6ELNS1_3repE0EEENS1_30default_config_static_selectorELNS0_4arch9wavefront6targetE1EEEvT1_,"axG",@progbits,_ZN7rocprim17ROCPRIM_400000_NS6detail17trampoline_kernelINS0_14default_configENS1_25partition_config_selectorILNS1_17partition_subalgoE8ExNS0_10empty_typeEbEEZZNS1_14partition_implILS5_8ELb0ES3_jN6thrust23THRUST_200600_302600_NS6detail15normal_iteratorINSA_10device_ptrIxEEEEPS6_PKS6_NS0_5tupleIJNSA_16discard_iteratorINSA_11use_defaultEEES6_EEENSJ_IJSG_SG_EEENS0_18inequality_wrapperINSA_8equal_toIxEEEEPmJS6_EEE10hipError_tPvRmT3_T4_T5_T6_T7_T9_mT8_P12ihipStream_tbDpT10_ENKUlT_T0_E_clISt17integral_constantIbLb1EES1C_IbLb0EEEEDaS18_S19_EUlS18_E_NS1_11comp_targetILNS1_3genE2ELNS1_11target_archE906ELNS1_3gpuE6ELNS1_3repE0EEENS1_30default_config_static_selectorELNS0_4arch9wavefront6targetE1EEEvT1_,comdat
.Lfunc_end649:
	.size	_ZN7rocprim17ROCPRIM_400000_NS6detail17trampoline_kernelINS0_14default_configENS1_25partition_config_selectorILNS1_17partition_subalgoE8ExNS0_10empty_typeEbEEZZNS1_14partition_implILS5_8ELb0ES3_jN6thrust23THRUST_200600_302600_NS6detail15normal_iteratorINSA_10device_ptrIxEEEEPS6_PKS6_NS0_5tupleIJNSA_16discard_iteratorINSA_11use_defaultEEES6_EEENSJ_IJSG_SG_EEENS0_18inequality_wrapperINSA_8equal_toIxEEEEPmJS6_EEE10hipError_tPvRmT3_T4_T5_T6_T7_T9_mT8_P12ihipStream_tbDpT10_ENKUlT_T0_E_clISt17integral_constantIbLb1EES1C_IbLb0EEEEDaS18_S19_EUlS18_E_NS1_11comp_targetILNS1_3genE2ELNS1_11target_archE906ELNS1_3gpuE6ELNS1_3repE0EEENS1_30default_config_static_selectorELNS0_4arch9wavefront6targetE1EEEvT1_, .Lfunc_end649-_ZN7rocprim17ROCPRIM_400000_NS6detail17trampoline_kernelINS0_14default_configENS1_25partition_config_selectorILNS1_17partition_subalgoE8ExNS0_10empty_typeEbEEZZNS1_14partition_implILS5_8ELb0ES3_jN6thrust23THRUST_200600_302600_NS6detail15normal_iteratorINSA_10device_ptrIxEEEEPS6_PKS6_NS0_5tupleIJNSA_16discard_iteratorINSA_11use_defaultEEES6_EEENSJ_IJSG_SG_EEENS0_18inequality_wrapperINSA_8equal_toIxEEEEPmJS6_EEE10hipError_tPvRmT3_T4_T5_T6_T7_T9_mT8_P12ihipStream_tbDpT10_ENKUlT_T0_E_clISt17integral_constantIbLb1EES1C_IbLb0EEEEDaS18_S19_EUlS18_E_NS1_11comp_targetILNS1_3genE2ELNS1_11target_archE906ELNS1_3gpuE6ELNS1_3repE0EEENS1_30default_config_static_selectorELNS0_4arch9wavefront6targetE1EEEvT1_
                                        ; -- End function
	.set _ZN7rocprim17ROCPRIM_400000_NS6detail17trampoline_kernelINS0_14default_configENS1_25partition_config_selectorILNS1_17partition_subalgoE8ExNS0_10empty_typeEbEEZZNS1_14partition_implILS5_8ELb0ES3_jN6thrust23THRUST_200600_302600_NS6detail15normal_iteratorINSA_10device_ptrIxEEEEPS6_PKS6_NS0_5tupleIJNSA_16discard_iteratorINSA_11use_defaultEEES6_EEENSJ_IJSG_SG_EEENS0_18inequality_wrapperINSA_8equal_toIxEEEEPmJS6_EEE10hipError_tPvRmT3_T4_T5_T6_T7_T9_mT8_P12ihipStream_tbDpT10_ENKUlT_T0_E_clISt17integral_constantIbLb1EES1C_IbLb0EEEEDaS18_S19_EUlS18_E_NS1_11comp_targetILNS1_3genE2ELNS1_11target_archE906ELNS1_3gpuE6ELNS1_3repE0EEENS1_30default_config_static_selectorELNS0_4arch9wavefront6targetE1EEEvT1_.num_vgpr, 0
	.set _ZN7rocprim17ROCPRIM_400000_NS6detail17trampoline_kernelINS0_14default_configENS1_25partition_config_selectorILNS1_17partition_subalgoE8ExNS0_10empty_typeEbEEZZNS1_14partition_implILS5_8ELb0ES3_jN6thrust23THRUST_200600_302600_NS6detail15normal_iteratorINSA_10device_ptrIxEEEEPS6_PKS6_NS0_5tupleIJNSA_16discard_iteratorINSA_11use_defaultEEES6_EEENSJ_IJSG_SG_EEENS0_18inequality_wrapperINSA_8equal_toIxEEEEPmJS6_EEE10hipError_tPvRmT3_T4_T5_T6_T7_T9_mT8_P12ihipStream_tbDpT10_ENKUlT_T0_E_clISt17integral_constantIbLb1EES1C_IbLb0EEEEDaS18_S19_EUlS18_E_NS1_11comp_targetILNS1_3genE2ELNS1_11target_archE906ELNS1_3gpuE6ELNS1_3repE0EEENS1_30default_config_static_selectorELNS0_4arch9wavefront6targetE1EEEvT1_.num_agpr, 0
	.set _ZN7rocprim17ROCPRIM_400000_NS6detail17trampoline_kernelINS0_14default_configENS1_25partition_config_selectorILNS1_17partition_subalgoE8ExNS0_10empty_typeEbEEZZNS1_14partition_implILS5_8ELb0ES3_jN6thrust23THRUST_200600_302600_NS6detail15normal_iteratorINSA_10device_ptrIxEEEEPS6_PKS6_NS0_5tupleIJNSA_16discard_iteratorINSA_11use_defaultEEES6_EEENSJ_IJSG_SG_EEENS0_18inequality_wrapperINSA_8equal_toIxEEEEPmJS6_EEE10hipError_tPvRmT3_T4_T5_T6_T7_T9_mT8_P12ihipStream_tbDpT10_ENKUlT_T0_E_clISt17integral_constantIbLb1EES1C_IbLb0EEEEDaS18_S19_EUlS18_E_NS1_11comp_targetILNS1_3genE2ELNS1_11target_archE906ELNS1_3gpuE6ELNS1_3repE0EEENS1_30default_config_static_selectorELNS0_4arch9wavefront6targetE1EEEvT1_.numbered_sgpr, 0
	.set _ZN7rocprim17ROCPRIM_400000_NS6detail17trampoline_kernelINS0_14default_configENS1_25partition_config_selectorILNS1_17partition_subalgoE8ExNS0_10empty_typeEbEEZZNS1_14partition_implILS5_8ELb0ES3_jN6thrust23THRUST_200600_302600_NS6detail15normal_iteratorINSA_10device_ptrIxEEEEPS6_PKS6_NS0_5tupleIJNSA_16discard_iteratorINSA_11use_defaultEEES6_EEENSJ_IJSG_SG_EEENS0_18inequality_wrapperINSA_8equal_toIxEEEEPmJS6_EEE10hipError_tPvRmT3_T4_T5_T6_T7_T9_mT8_P12ihipStream_tbDpT10_ENKUlT_T0_E_clISt17integral_constantIbLb1EES1C_IbLb0EEEEDaS18_S19_EUlS18_E_NS1_11comp_targetILNS1_3genE2ELNS1_11target_archE906ELNS1_3gpuE6ELNS1_3repE0EEENS1_30default_config_static_selectorELNS0_4arch9wavefront6targetE1EEEvT1_.num_named_barrier, 0
	.set _ZN7rocprim17ROCPRIM_400000_NS6detail17trampoline_kernelINS0_14default_configENS1_25partition_config_selectorILNS1_17partition_subalgoE8ExNS0_10empty_typeEbEEZZNS1_14partition_implILS5_8ELb0ES3_jN6thrust23THRUST_200600_302600_NS6detail15normal_iteratorINSA_10device_ptrIxEEEEPS6_PKS6_NS0_5tupleIJNSA_16discard_iteratorINSA_11use_defaultEEES6_EEENSJ_IJSG_SG_EEENS0_18inequality_wrapperINSA_8equal_toIxEEEEPmJS6_EEE10hipError_tPvRmT3_T4_T5_T6_T7_T9_mT8_P12ihipStream_tbDpT10_ENKUlT_T0_E_clISt17integral_constantIbLb1EES1C_IbLb0EEEEDaS18_S19_EUlS18_E_NS1_11comp_targetILNS1_3genE2ELNS1_11target_archE906ELNS1_3gpuE6ELNS1_3repE0EEENS1_30default_config_static_selectorELNS0_4arch9wavefront6targetE1EEEvT1_.private_seg_size, 0
	.set _ZN7rocprim17ROCPRIM_400000_NS6detail17trampoline_kernelINS0_14default_configENS1_25partition_config_selectorILNS1_17partition_subalgoE8ExNS0_10empty_typeEbEEZZNS1_14partition_implILS5_8ELb0ES3_jN6thrust23THRUST_200600_302600_NS6detail15normal_iteratorINSA_10device_ptrIxEEEEPS6_PKS6_NS0_5tupleIJNSA_16discard_iteratorINSA_11use_defaultEEES6_EEENSJ_IJSG_SG_EEENS0_18inequality_wrapperINSA_8equal_toIxEEEEPmJS6_EEE10hipError_tPvRmT3_T4_T5_T6_T7_T9_mT8_P12ihipStream_tbDpT10_ENKUlT_T0_E_clISt17integral_constantIbLb1EES1C_IbLb0EEEEDaS18_S19_EUlS18_E_NS1_11comp_targetILNS1_3genE2ELNS1_11target_archE906ELNS1_3gpuE6ELNS1_3repE0EEENS1_30default_config_static_selectorELNS0_4arch9wavefront6targetE1EEEvT1_.uses_vcc, 0
	.set _ZN7rocprim17ROCPRIM_400000_NS6detail17trampoline_kernelINS0_14default_configENS1_25partition_config_selectorILNS1_17partition_subalgoE8ExNS0_10empty_typeEbEEZZNS1_14partition_implILS5_8ELb0ES3_jN6thrust23THRUST_200600_302600_NS6detail15normal_iteratorINSA_10device_ptrIxEEEEPS6_PKS6_NS0_5tupleIJNSA_16discard_iteratorINSA_11use_defaultEEES6_EEENSJ_IJSG_SG_EEENS0_18inequality_wrapperINSA_8equal_toIxEEEEPmJS6_EEE10hipError_tPvRmT3_T4_T5_T6_T7_T9_mT8_P12ihipStream_tbDpT10_ENKUlT_T0_E_clISt17integral_constantIbLb1EES1C_IbLb0EEEEDaS18_S19_EUlS18_E_NS1_11comp_targetILNS1_3genE2ELNS1_11target_archE906ELNS1_3gpuE6ELNS1_3repE0EEENS1_30default_config_static_selectorELNS0_4arch9wavefront6targetE1EEEvT1_.uses_flat_scratch, 0
	.set _ZN7rocprim17ROCPRIM_400000_NS6detail17trampoline_kernelINS0_14default_configENS1_25partition_config_selectorILNS1_17partition_subalgoE8ExNS0_10empty_typeEbEEZZNS1_14partition_implILS5_8ELb0ES3_jN6thrust23THRUST_200600_302600_NS6detail15normal_iteratorINSA_10device_ptrIxEEEEPS6_PKS6_NS0_5tupleIJNSA_16discard_iteratorINSA_11use_defaultEEES6_EEENSJ_IJSG_SG_EEENS0_18inequality_wrapperINSA_8equal_toIxEEEEPmJS6_EEE10hipError_tPvRmT3_T4_T5_T6_T7_T9_mT8_P12ihipStream_tbDpT10_ENKUlT_T0_E_clISt17integral_constantIbLb1EES1C_IbLb0EEEEDaS18_S19_EUlS18_E_NS1_11comp_targetILNS1_3genE2ELNS1_11target_archE906ELNS1_3gpuE6ELNS1_3repE0EEENS1_30default_config_static_selectorELNS0_4arch9wavefront6targetE1EEEvT1_.has_dyn_sized_stack, 0
	.set _ZN7rocprim17ROCPRIM_400000_NS6detail17trampoline_kernelINS0_14default_configENS1_25partition_config_selectorILNS1_17partition_subalgoE8ExNS0_10empty_typeEbEEZZNS1_14partition_implILS5_8ELb0ES3_jN6thrust23THRUST_200600_302600_NS6detail15normal_iteratorINSA_10device_ptrIxEEEEPS6_PKS6_NS0_5tupleIJNSA_16discard_iteratorINSA_11use_defaultEEES6_EEENSJ_IJSG_SG_EEENS0_18inequality_wrapperINSA_8equal_toIxEEEEPmJS6_EEE10hipError_tPvRmT3_T4_T5_T6_T7_T9_mT8_P12ihipStream_tbDpT10_ENKUlT_T0_E_clISt17integral_constantIbLb1EES1C_IbLb0EEEEDaS18_S19_EUlS18_E_NS1_11comp_targetILNS1_3genE2ELNS1_11target_archE906ELNS1_3gpuE6ELNS1_3repE0EEENS1_30default_config_static_selectorELNS0_4arch9wavefront6targetE1EEEvT1_.has_recursion, 0
	.set _ZN7rocprim17ROCPRIM_400000_NS6detail17trampoline_kernelINS0_14default_configENS1_25partition_config_selectorILNS1_17partition_subalgoE8ExNS0_10empty_typeEbEEZZNS1_14partition_implILS5_8ELb0ES3_jN6thrust23THRUST_200600_302600_NS6detail15normal_iteratorINSA_10device_ptrIxEEEEPS6_PKS6_NS0_5tupleIJNSA_16discard_iteratorINSA_11use_defaultEEES6_EEENSJ_IJSG_SG_EEENS0_18inequality_wrapperINSA_8equal_toIxEEEEPmJS6_EEE10hipError_tPvRmT3_T4_T5_T6_T7_T9_mT8_P12ihipStream_tbDpT10_ENKUlT_T0_E_clISt17integral_constantIbLb1EES1C_IbLb0EEEEDaS18_S19_EUlS18_E_NS1_11comp_targetILNS1_3genE2ELNS1_11target_archE906ELNS1_3gpuE6ELNS1_3repE0EEENS1_30default_config_static_selectorELNS0_4arch9wavefront6targetE1EEEvT1_.has_indirect_call, 0
	.section	.AMDGPU.csdata,"",@progbits
; Kernel info:
; codeLenInByte = 4
; TotalNumSgprs: 4
; NumVgprs: 0
; ScratchSize: 0
; MemoryBound: 0
; FloatMode: 240
; IeeeMode: 1
; LDSByteSize: 0 bytes/workgroup (compile time only)
; SGPRBlocks: 0
; VGPRBlocks: 0
; NumSGPRsForWavesPerEU: 4
; NumVGPRsForWavesPerEU: 1
; Occupancy: 10
; WaveLimiterHint : 0
; COMPUTE_PGM_RSRC2:SCRATCH_EN: 0
; COMPUTE_PGM_RSRC2:USER_SGPR: 6
; COMPUTE_PGM_RSRC2:TRAP_HANDLER: 0
; COMPUTE_PGM_RSRC2:TGID_X_EN: 1
; COMPUTE_PGM_RSRC2:TGID_Y_EN: 0
; COMPUTE_PGM_RSRC2:TGID_Z_EN: 0
; COMPUTE_PGM_RSRC2:TIDIG_COMP_CNT: 0
	.section	.text._ZN7rocprim17ROCPRIM_400000_NS6detail17trampoline_kernelINS0_14default_configENS1_25partition_config_selectorILNS1_17partition_subalgoE8ExNS0_10empty_typeEbEEZZNS1_14partition_implILS5_8ELb0ES3_jN6thrust23THRUST_200600_302600_NS6detail15normal_iteratorINSA_10device_ptrIxEEEEPS6_PKS6_NS0_5tupleIJNSA_16discard_iteratorINSA_11use_defaultEEES6_EEENSJ_IJSG_SG_EEENS0_18inequality_wrapperINSA_8equal_toIxEEEEPmJS6_EEE10hipError_tPvRmT3_T4_T5_T6_T7_T9_mT8_P12ihipStream_tbDpT10_ENKUlT_T0_E_clISt17integral_constantIbLb1EES1C_IbLb0EEEEDaS18_S19_EUlS18_E_NS1_11comp_targetILNS1_3genE10ELNS1_11target_archE1200ELNS1_3gpuE4ELNS1_3repE0EEENS1_30default_config_static_selectorELNS0_4arch9wavefront6targetE1EEEvT1_,"axG",@progbits,_ZN7rocprim17ROCPRIM_400000_NS6detail17trampoline_kernelINS0_14default_configENS1_25partition_config_selectorILNS1_17partition_subalgoE8ExNS0_10empty_typeEbEEZZNS1_14partition_implILS5_8ELb0ES3_jN6thrust23THRUST_200600_302600_NS6detail15normal_iteratorINSA_10device_ptrIxEEEEPS6_PKS6_NS0_5tupleIJNSA_16discard_iteratorINSA_11use_defaultEEES6_EEENSJ_IJSG_SG_EEENS0_18inequality_wrapperINSA_8equal_toIxEEEEPmJS6_EEE10hipError_tPvRmT3_T4_T5_T6_T7_T9_mT8_P12ihipStream_tbDpT10_ENKUlT_T0_E_clISt17integral_constantIbLb1EES1C_IbLb0EEEEDaS18_S19_EUlS18_E_NS1_11comp_targetILNS1_3genE10ELNS1_11target_archE1200ELNS1_3gpuE4ELNS1_3repE0EEENS1_30default_config_static_selectorELNS0_4arch9wavefront6targetE1EEEvT1_,comdat
	.protected	_ZN7rocprim17ROCPRIM_400000_NS6detail17trampoline_kernelINS0_14default_configENS1_25partition_config_selectorILNS1_17partition_subalgoE8ExNS0_10empty_typeEbEEZZNS1_14partition_implILS5_8ELb0ES3_jN6thrust23THRUST_200600_302600_NS6detail15normal_iteratorINSA_10device_ptrIxEEEEPS6_PKS6_NS0_5tupleIJNSA_16discard_iteratorINSA_11use_defaultEEES6_EEENSJ_IJSG_SG_EEENS0_18inequality_wrapperINSA_8equal_toIxEEEEPmJS6_EEE10hipError_tPvRmT3_T4_T5_T6_T7_T9_mT8_P12ihipStream_tbDpT10_ENKUlT_T0_E_clISt17integral_constantIbLb1EES1C_IbLb0EEEEDaS18_S19_EUlS18_E_NS1_11comp_targetILNS1_3genE10ELNS1_11target_archE1200ELNS1_3gpuE4ELNS1_3repE0EEENS1_30default_config_static_selectorELNS0_4arch9wavefront6targetE1EEEvT1_ ; -- Begin function _ZN7rocprim17ROCPRIM_400000_NS6detail17trampoline_kernelINS0_14default_configENS1_25partition_config_selectorILNS1_17partition_subalgoE8ExNS0_10empty_typeEbEEZZNS1_14partition_implILS5_8ELb0ES3_jN6thrust23THRUST_200600_302600_NS6detail15normal_iteratorINSA_10device_ptrIxEEEEPS6_PKS6_NS0_5tupleIJNSA_16discard_iteratorINSA_11use_defaultEEES6_EEENSJ_IJSG_SG_EEENS0_18inequality_wrapperINSA_8equal_toIxEEEEPmJS6_EEE10hipError_tPvRmT3_T4_T5_T6_T7_T9_mT8_P12ihipStream_tbDpT10_ENKUlT_T0_E_clISt17integral_constantIbLb1EES1C_IbLb0EEEEDaS18_S19_EUlS18_E_NS1_11comp_targetILNS1_3genE10ELNS1_11target_archE1200ELNS1_3gpuE4ELNS1_3repE0EEENS1_30default_config_static_selectorELNS0_4arch9wavefront6targetE1EEEvT1_
	.globl	_ZN7rocprim17ROCPRIM_400000_NS6detail17trampoline_kernelINS0_14default_configENS1_25partition_config_selectorILNS1_17partition_subalgoE8ExNS0_10empty_typeEbEEZZNS1_14partition_implILS5_8ELb0ES3_jN6thrust23THRUST_200600_302600_NS6detail15normal_iteratorINSA_10device_ptrIxEEEEPS6_PKS6_NS0_5tupleIJNSA_16discard_iteratorINSA_11use_defaultEEES6_EEENSJ_IJSG_SG_EEENS0_18inequality_wrapperINSA_8equal_toIxEEEEPmJS6_EEE10hipError_tPvRmT3_T4_T5_T6_T7_T9_mT8_P12ihipStream_tbDpT10_ENKUlT_T0_E_clISt17integral_constantIbLb1EES1C_IbLb0EEEEDaS18_S19_EUlS18_E_NS1_11comp_targetILNS1_3genE10ELNS1_11target_archE1200ELNS1_3gpuE4ELNS1_3repE0EEENS1_30default_config_static_selectorELNS0_4arch9wavefront6targetE1EEEvT1_
	.p2align	8
	.type	_ZN7rocprim17ROCPRIM_400000_NS6detail17trampoline_kernelINS0_14default_configENS1_25partition_config_selectorILNS1_17partition_subalgoE8ExNS0_10empty_typeEbEEZZNS1_14partition_implILS5_8ELb0ES3_jN6thrust23THRUST_200600_302600_NS6detail15normal_iteratorINSA_10device_ptrIxEEEEPS6_PKS6_NS0_5tupleIJNSA_16discard_iteratorINSA_11use_defaultEEES6_EEENSJ_IJSG_SG_EEENS0_18inequality_wrapperINSA_8equal_toIxEEEEPmJS6_EEE10hipError_tPvRmT3_T4_T5_T6_T7_T9_mT8_P12ihipStream_tbDpT10_ENKUlT_T0_E_clISt17integral_constantIbLb1EES1C_IbLb0EEEEDaS18_S19_EUlS18_E_NS1_11comp_targetILNS1_3genE10ELNS1_11target_archE1200ELNS1_3gpuE4ELNS1_3repE0EEENS1_30default_config_static_selectorELNS0_4arch9wavefront6targetE1EEEvT1_,@function
_ZN7rocprim17ROCPRIM_400000_NS6detail17trampoline_kernelINS0_14default_configENS1_25partition_config_selectorILNS1_17partition_subalgoE8ExNS0_10empty_typeEbEEZZNS1_14partition_implILS5_8ELb0ES3_jN6thrust23THRUST_200600_302600_NS6detail15normal_iteratorINSA_10device_ptrIxEEEEPS6_PKS6_NS0_5tupleIJNSA_16discard_iteratorINSA_11use_defaultEEES6_EEENSJ_IJSG_SG_EEENS0_18inequality_wrapperINSA_8equal_toIxEEEEPmJS6_EEE10hipError_tPvRmT3_T4_T5_T6_T7_T9_mT8_P12ihipStream_tbDpT10_ENKUlT_T0_E_clISt17integral_constantIbLb1EES1C_IbLb0EEEEDaS18_S19_EUlS18_E_NS1_11comp_targetILNS1_3genE10ELNS1_11target_archE1200ELNS1_3gpuE4ELNS1_3repE0EEENS1_30default_config_static_selectorELNS0_4arch9wavefront6targetE1EEEvT1_: ; @_ZN7rocprim17ROCPRIM_400000_NS6detail17trampoline_kernelINS0_14default_configENS1_25partition_config_selectorILNS1_17partition_subalgoE8ExNS0_10empty_typeEbEEZZNS1_14partition_implILS5_8ELb0ES3_jN6thrust23THRUST_200600_302600_NS6detail15normal_iteratorINSA_10device_ptrIxEEEEPS6_PKS6_NS0_5tupleIJNSA_16discard_iteratorINSA_11use_defaultEEES6_EEENSJ_IJSG_SG_EEENS0_18inequality_wrapperINSA_8equal_toIxEEEEPmJS6_EEE10hipError_tPvRmT3_T4_T5_T6_T7_T9_mT8_P12ihipStream_tbDpT10_ENKUlT_T0_E_clISt17integral_constantIbLb1EES1C_IbLb0EEEEDaS18_S19_EUlS18_E_NS1_11comp_targetILNS1_3genE10ELNS1_11target_archE1200ELNS1_3gpuE4ELNS1_3repE0EEENS1_30default_config_static_selectorELNS0_4arch9wavefront6targetE1EEEvT1_
; %bb.0:
	.section	.rodata,"a",@progbits
	.p2align	6, 0x0
	.amdhsa_kernel _ZN7rocprim17ROCPRIM_400000_NS6detail17trampoline_kernelINS0_14default_configENS1_25partition_config_selectorILNS1_17partition_subalgoE8ExNS0_10empty_typeEbEEZZNS1_14partition_implILS5_8ELb0ES3_jN6thrust23THRUST_200600_302600_NS6detail15normal_iteratorINSA_10device_ptrIxEEEEPS6_PKS6_NS0_5tupleIJNSA_16discard_iteratorINSA_11use_defaultEEES6_EEENSJ_IJSG_SG_EEENS0_18inequality_wrapperINSA_8equal_toIxEEEEPmJS6_EEE10hipError_tPvRmT3_T4_T5_T6_T7_T9_mT8_P12ihipStream_tbDpT10_ENKUlT_T0_E_clISt17integral_constantIbLb1EES1C_IbLb0EEEEDaS18_S19_EUlS18_E_NS1_11comp_targetILNS1_3genE10ELNS1_11target_archE1200ELNS1_3gpuE4ELNS1_3repE0EEENS1_30default_config_static_selectorELNS0_4arch9wavefront6targetE1EEEvT1_
		.amdhsa_group_segment_fixed_size 0
		.amdhsa_private_segment_fixed_size 0
		.amdhsa_kernarg_size 120
		.amdhsa_user_sgpr_count 6
		.amdhsa_user_sgpr_private_segment_buffer 1
		.amdhsa_user_sgpr_dispatch_ptr 0
		.amdhsa_user_sgpr_queue_ptr 0
		.amdhsa_user_sgpr_kernarg_segment_ptr 1
		.amdhsa_user_sgpr_dispatch_id 0
		.amdhsa_user_sgpr_flat_scratch_init 0
		.amdhsa_user_sgpr_private_segment_size 0
		.amdhsa_uses_dynamic_stack 0
		.amdhsa_system_sgpr_private_segment_wavefront_offset 0
		.amdhsa_system_sgpr_workgroup_id_x 1
		.amdhsa_system_sgpr_workgroup_id_y 0
		.amdhsa_system_sgpr_workgroup_id_z 0
		.amdhsa_system_sgpr_workgroup_info 0
		.amdhsa_system_vgpr_workitem_id 0
		.amdhsa_next_free_vgpr 1
		.amdhsa_next_free_sgpr 0
		.amdhsa_reserve_vcc 0
		.amdhsa_reserve_flat_scratch 0
		.amdhsa_float_round_mode_32 0
		.amdhsa_float_round_mode_16_64 0
		.amdhsa_float_denorm_mode_32 3
		.amdhsa_float_denorm_mode_16_64 3
		.amdhsa_dx10_clamp 1
		.amdhsa_ieee_mode 1
		.amdhsa_fp16_overflow 0
		.amdhsa_exception_fp_ieee_invalid_op 0
		.amdhsa_exception_fp_denorm_src 0
		.amdhsa_exception_fp_ieee_div_zero 0
		.amdhsa_exception_fp_ieee_overflow 0
		.amdhsa_exception_fp_ieee_underflow 0
		.amdhsa_exception_fp_ieee_inexact 0
		.amdhsa_exception_int_div_zero 0
	.end_amdhsa_kernel
	.section	.text._ZN7rocprim17ROCPRIM_400000_NS6detail17trampoline_kernelINS0_14default_configENS1_25partition_config_selectorILNS1_17partition_subalgoE8ExNS0_10empty_typeEbEEZZNS1_14partition_implILS5_8ELb0ES3_jN6thrust23THRUST_200600_302600_NS6detail15normal_iteratorINSA_10device_ptrIxEEEEPS6_PKS6_NS0_5tupleIJNSA_16discard_iteratorINSA_11use_defaultEEES6_EEENSJ_IJSG_SG_EEENS0_18inequality_wrapperINSA_8equal_toIxEEEEPmJS6_EEE10hipError_tPvRmT3_T4_T5_T6_T7_T9_mT8_P12ihipStream_tbDpT10_ENKUlT_T0_E_clISt17integral_constantIbLb1EES1C_IbLb0EEEEDaS18_S19_EUlS18_E_NS1_11comp_targetILNS1_3genE10ELNS1_11target_archE1200ELNS1_3gpuE4ELNS1_3repE0EEENS1_30default_config_static_selectorELNS0_4arch9wavefront6targetE1EEEvT1_,"axG",@progbits,_ZN7rocprim17ROCPRIM_400000_NS6detail17trampoline_kernelINS0_14default_configENS1_25partition_config_selectorILNS1_17partition_subalgoE8ExNS0_10empty_typeEbEEZZNS1_14partition_implILS5_8ELb0ES3_jN6thrust23THRUST_200600_302600_NS6detail15normal_iteratorINSA_10device_ptrIxEEEEPS6_PKS6_NS0_5tupleIJNSA_16discard_iteratorINSA_11use_defaultEEES6_EEENSJ_IJSG_SG_EEENS0_18inequality_wrapperINSA_8equal_toIxEEEEPmJS6_EEE10hipError_tPvRmT3_T4_T5_T6_T7_T9_mT8_P12ihipStream_tbDpT10_ENKUlT_T0_E_clISt17integral_constantIbLb1EES1C_IbLb0EEEEDaS18_S19_EUlS18_E_NS1_11comp_targetILNS1_3genE10ELNS1_11target_archE1200ELNS1_3gpuE4ELNS1_3repE0EEENS1_30default_config_static_selectorELNS0_4arch9wavefront6targetE1EEEvT1_,comdat
.Lfunc_end650:
	.size	_ZN7rocprim17ROCPRIM_400000_NS6detail17trampoline_kernelINS0_14default_configENS1_25partition_config_selectorILNS1_17partition_subalgoE8ExNS0_10empty_typeEbEEZZNS1_14partition_implILS5_8ELb0ES3_jN6thrust23THRUST_200600_302600_NS6detail15normal_iteratorINSA_10device_ptrIxEEEEPS6_PKS6_NS0_5tupleIJNSA_16discard_iteratorINSA_11use_defaultEEES6_EEENSJ_IJSG_SG_EEENS0_18inequality_wrapperINSA_8equal_toIxEEEEPmJS6_EEE10hipError_tPvRmT3_T4_T5_T6_T7_T9_mT8_P12ihipStream_tbDpT10_ENKUlT_T0_E_clISt17integral_constantIbLb1EES1C_IbLb0EEEEDaS18_S19_EUlS18_E_NS1_11comp_targetILNS1_3genE10ELNS1_11target_archE1200ELNS1_3gpuE4ELNS1_3repE0EEENS1_30default_config_static_selectorELNS0_4arch9wavefront6targetE1EEEvT1_, .Lfunc_end650-_ZN7rocprim17ROCPRIM_400000_NS6detail17trampoline_kernelINS0_14default_configENS1_25partition_config_selectorILNS1_17partition_subalgoE8ExNS0_10empty_typeEbEEZZNS1_14partition_implILS5_8ELb0ES3_jN6thrust23THRUST_200600_302600_NS6detail15normal_iteratorINSA_10device_ptrIxEEEEPS6_PKS6_NS0_5tupleIJNSA_16discard_iteratorINSA_11use_defaultEEES6_EEENSJ_IJSG_SG_EEENS0_18inequality_wrapperINSA_8equal_toIxEEEEPmJS6_EEE10hipError_tPvRmT3_T4_T5_T6_T7_T9_mT8_P12ihipStream_tbDpT10_ENKUlT_T0_E_clISt17integral_constantIbLb1EES1C_IbLb0EEEEDaS18_S19_EUlS18_E_NS1_11comp_targetILNS1_3genE10ELNS1_11target_archE1200ELNS1_3gpuE4ELNS1_3repE0EEENS1_30default_config_static_selectorELNS0_4arch9wavefront6targetE1EEEvT1_
                                        ; -- End function
	.set _ZN7rocprim17ROCPRIM_400000_NS6detail17trampoline_kernelINS0_14default_configENS1_25partition_config_selectorILNS1_17partition_subalgoE8ExNS0_10empty_typeEbEEZZNS1_14partition_implILS5_8ELb0ES3_jN6thrust23THRUST_200600_302600_NS6detail15normal_iteratorINSA_10device_ptrIxEEEEPS6_PKS6_NS0_5tupleIJNSA_16discard_iteratorINSA_11use_defaultEEES6_EEENSJ_IJSG_SG_EEENS0_18inequality_wrapperINSA_8equal_toIxEEEEPmJS6_EEE10hipError_tPvRmT3_T4_T5_T6_T7_T9_mT8_P12ihipStream_tbDpT10_ENKUlT_T0_E_clISt17integral_constantIbLb1EES1C_IbLb0EEEEDaS18_S19_EUlS18_E_NS1_11comp_targetILNS1_3genE10ELNS1_11target_archE1200ELNS1_3gpuE4ELNS1_3repE0EEENS1_30default_config_static_selectorELNS0_4arch9wavefront6targetE1EEEvT1_.num_vgpr, 0
	.set _ZN7rocprim17ROCPRIM_400000_NS6detail17trampoline_kernelINS0_14default_configENS1_25partition_config_selectorILNS1_17partition_subalgoE8ExNS0_10empty_typeEbEEZZNS1_14partition_implILS5_8ELb0ES3_jN6thrust23THRUST_200600_302600_NS6detail15normal_iteratorINSA_10device_ptrIxEEEEPS6_PKS6_NS0_5tupleIJNSA_16discard_iteratorINSA_11use_defaultEEES6_EEENSJ_IJSG_SG_EEENS0_18inequality_wrapperINSA_8equal_toIxEEEEPmJS6_EEE10hipError_tPvRmT3_T4_T5_T6_T7_T9_mT8_P12ihipStream_tbDpT10_ENKUlT_T0_E_clISt17integral_constantIbLb1EES1C_IbLb0EEEEDaS18_S19_EUlS18_E_NS1_11comp_targetILNS1_3genE10ELNS1_11target_archE1200ELNS1_3gpuE4ELNS1_3repE0EEENS1_30default_config_static_selectorELNS0_4arch9wavefront6targetE1EEEvT1_.num_agpr, 0
	.set _ZN7rocprim17ROCPRIM_400000_NS6detail17trampoline_kernelINS0_14default_configENS1_25partition_config_selectorILNS1_17partition_subalgoE8ExNS0_10empty_typeEbEEZZNS1_14partition_implILS5_8ELb0ES3_jN6thrust23THRUST_200600_302600_NS6detail15normal_iteratorINSA_10device_ptrIxEEEEPS6_PKS6_NS0_5tupleIJNSA_16discard_iteratorINSA_11use_defaultEEES6_EEENSJ_IJSG_SG_EEENS0_18inequality_wrapperINSA_8equal_toIxEEEEPmJS6_EEE10hipError_tPvRmT3_T4_T5_T6_T7_T9_mT8_P12ihipStream_tbDpT10_ENKUlT_T0_E_clISt17integral_constantIbLb1EES1C_IbLb0EEEEDaS18_S19_EUlS18_E_NS1_11comp_targetILNS1_3genE10ELNS1_11target_archE1200ELNS1_3gpuE4ELNS1_3repE0EEENS1_30default_config_static_selectorELNS0_4arch9wavefront6targetE1EEEvT1_.numbered_sgpr, 0
	.set _ZN7rocprim17ROCPRIM_400000_NS6detail17trampoline_kernelINS0_14default_configENS1_25partition_config_selectorILNS1_17partition_subalgoE8ExNS0_10empty_typeEbEEZZNS1_14partition_implILS5_8ELb0ES3_jN6thrust23THRUST_200600_302600_NS6detail15normal_iteratorINSA_10device_ptrIxEEEEPS6_PKS6_NS0_5tupleIJNSA_16discard_iteratorINSA_11use_defaultEEES6_EEENSJ_IJSG_SG_EEENS0_18inequality_wrapperINSA_8equal_toIxEEEEPmJS6_EEE10hipError_tPvRmT3_T4_T5_T6_T7_T9_mT8_P12ihipStream_tbDpT10_ENKUlT_T0_E_clISt17integral_constantIbLb1EES1C_IbLb0EEEEDaS18_S19_EUlS18_E_NS1_11comp_targetILNS1_3genE10ELNS1_11target_archE1200ELNS1_3gpuE4ELNS1_3repE0EEENS1_30default_config_static_selectorELNS0_4arch9wavefront6targetE1EEEvT1_.num_named_barrier, 0
	.set _ZN7rocprim17ROCPRIM_400000_NS6detail17trampoline_kernelINS0_14default_configENS1_25partition_config_selectorILNS1_17partition_subalgoE8ExNS0_10empty_typeEbEEZZNS1_14partition_implILS5_8ELb0ES3_jN6thrust23THRUST_200600_302600_NS6detail15normal_iteratorINSA_10device_ptrIxEEEEPS6_PKS6_NS0_5tupleIJNSA_16discard_iteratorINSA_11use_defaultEEES6_EEENSJ_IJSG_SG_EEENS0_18inequality_wrapperINSA_8equal_toIxEEEEPmJS6_EEE10hipError_tPvRmT3_T4_T5_T6_T7_T9_mT8_P12ihipStream_tbDpT10_ENKUlT_T0_E_clISt17integral_constantIbLb1EES1C_IbLb0EEEEDaS18_S19_EUlS18_E_NS1_11comp_targetILNS1_3genE10ELNS1_11target_archE1200ELNS1_3gpuE4ELNS1_3repE0EEENS1_30default_config_static_selectorELNS0_4arch9wavefront6targetE1EEEvT1_.private_seg_size, 0
	.set _ZN7rocprim17ROCPRIM_400000_NS6detail17trampoline_kernelINS0_14default_configENS1_25partition_config_selectorILNS1_17partition_subalgoE8ExNS0_10empty_typeEbEEZZNS1_14partition_implILS5_8ELb0ES3_jN6thrust23THRUST_200600_302600_NS6detail15normal_iteratorINSA_10device_ptrIxEEEEPS6_PKS6_NS0_5tupleIJNSA_16discard_iteratorINSA_11use_defaultEEES6_EEENSJ_IJSG_SG_EEENS0_18inequality_wrapperINSA_8equal_toIxEEEEPmJS6_EEE10hipError_tPvRmT3_T4_T5_T6_T7_T9_mT8_P12ihipStream_tbDpT10_ENKUlT_T0_E_clISt17integral_constantIbLb1EES1C_IbLb0EEEEDaS18_S19_EUlS18_E_NS1_11comp_targetILNS1_3genE10ELNS1_11target_archE1200ELNS1_3gpuE4ELNS1_3repE0EEENS1_30default_config_static_selectorELNS0_4arch9wavefront6targetE1EEEvT1_.uses_vcc, 0
	.set _ZN7rocprim17ROCPRIM_400000_NS6detail17trampoline_kernelINS0_14default_configENS1_25partition_config_selectorILNS1_17partition_subalgoE8ExNS0_10empty_typeEbEEZZNS1_14partition_implILS5_8ELb0ES3_jN6thrust23THRUST_200600_302600_NS6detail15normal_iteratorINSA_10device_ptrIxEEEEPS6_PKS6_NS0_5tupleIJNSA_16discard_iteratorINSA_11use_defaultEEES6_EEENSJ_IJSG_SG_EEENS0_18inequality_wrapperINSA_8equal_toIxEEEEPmJS6_EEE10hipError_tPvRmT3_T4_T5_T6_T7_T9_mT8_P12ihipStream_tbDpT10_ENKUlT_T0_E_clISt17integral_constantIbLb1EES1C_IbLb0EEEEDaS18_S19_EUlS18_E_NS1_11comp_targetILNS1_3genE10ELNS1_11target_archE1200ELNS1_3gpuE4ELNS1_3repE0EEENS1_30default_config_static_selectorELNS0_4arch9wavefront6targetE1EEEvT1_.uses_flat_scratch, 0
	.set _ZN7rocprim17ROCPRIM_400000_NS6detail17trampoline_kernelINS0_14default_configENS1_25partition_config_selectorILNS1_17partition_subalgoE8ExNS0_10empty_typeEbEEZZNS1_14partition_implILS5_8ELb0ES3_jN6thrust23THRUST_200600_302600_NS6detail15normal_iteratorINSA_10device_ptrIxEEEEPS6_PKS6_NS0_5tupleIJNSA_16discard_iteratorINSA_11use_defaultEEES6_EEENSJ_IJSG_SG_EEENS0_18inequality_wrapperINSA_8equal_toIxEEEEPmJS6_EEE10hipError_tPvRmT3_T4_T5_T6_T7_T9_mT8_P12ihipStream_tbDpT10_ENKUlT_T0_E_clISt17integral_constantIbLb1EES1C_IbLb0EEEEDaS18_S19_EUlS18_E_NS1_11comp_targetILNS1_3genE10ELNS1_11target_archE1200ELNS1_3gpuE4ELNS1_3repE0EEENS1_30default_config_static_selectorELNS0_4arch9wavefront6targetE1EEEvT1_.has_dyn_sized_stack, 0
	.set _ZN7rocprim17ROCPRIM_400000_NS6detail17trampoline_kernelINS0_14default_configENS1_25partition_config_selectorILNS1_17partition_subalgoE8ExNS0_10empty_typeEbEEZZNS1_14partition_implILS5_8ELb0ES3_jN6thrust23THRUST_200600_302600_NS6detail15normal_iteratorINSA_10device_ptrIxEEEEPS6_PKS6_NS0_5tupleIJNSA_16discard_iteratorINSA_11use_defaultEEES6_EEENSJ_IJSG_SG_EEENS0_18inequality_wrapperINSA_8equal_toIxEEEEPmJS6_EEE10hipError_tPvRmT3_T4_T5_T6_T7_T9_mT8_P12ihipStream_tbDpT10_ENKUlT_T0_E_clISt17integral_constantIbLb1EES1C_IbLb0EEEEDaS18_S19_EUlS18_E_NS1_11comp_targetILNS1_3genE10ELNS1_11target_archE1200ELNS1_3gpuE4ELNS1_3repE0EEENS1_30default_config_static_selectorELNS0_4arch9wavefront6targetE1EEEvT1_.has_recursion, 0
	.set _ZN7rocprim17ROCPRIM_400000_NS6detail17trampoline_kernelINS0_14default_configENS1_25partition_config_selectorILNS1_17partition_subalgoE8ExNS0_10empty_typeEbEEZZNS1_14partition_implILS5_8ELb0ES3_jN6thrust23THRUST_200600_302600_NS6detail15normal_iteratorINSA_10device_ptrIxEEEEPS6_PKS6_NS0_5tupleIJNSA_16discard_iteratorINSA_11use_defaultEEES6_EEENSJ_IJSG_SG_EEENS0_18inequality_wrapperINSA_8equal_toIxEEEEPmJS6_EEE10hipError_tPvRmT3_T4_T5_T6_T7_T9_mT8_P12ihipStream_tbDpT10_ENKUlT_T0_E_clISt17integral_constantIbLb1EES1C_IbLb0EEEEDaS18_S19_EUlS18_E_NS1_11comp_targetILNS1_3genE10ELNS1_11target_archE1200ELNS1_3gpuE4ELNS1_3repE0EEENS1_30default_config_static_selectorELNS0_4arch9wavefront6targetE1EEEvT1_.has_indirect_call, 0
	.section	.AMDGPU.csdata,"",@progbits
; Kernel info:
; codeLenInByte = 0
; TotalNumSgprs: 4
; NumVgprs: 0
; ScratchSize: 0
; MemoryBound: 0
; FloatMode: 240
; IeeeMode: 1
; LDSByteSize: 0 bytes/workgroup (compile time only)
; SGPRBlocks: 0
; VGPRBlocks: 0
; NumSGPRsForWavesPerEU: 4
; NumVGPRsForWavesPerEU: 1
; Occupancy: 10
; WaveLimiterHint : 0
; COMPUTE_PGM_RSRC2:SCRATCH_EN: 0
; COMPUTE_PGM_RSRC2:USER_SGPR: 6
; COMPUTE_PGM_RSRC2:TRAP_HANDLER: 0
; COMPUTE_PGM_RSRC2:TGID_X_EN: 1
; COMPUTE_PGM_RSRC2:TGID_Y_EN: 0
; COMPUTE_PGM_RSRC2:TGID_Z_EN: 0
; COMPUTE_PGM_RSRC2:TIDIG_COMP_CNT: 0
	.section	.text._ZN7rocprim17ROCPRIM_400000_NS6detail17trampoline_kernelINS0_14default_configENS1_25partition_config_selectorILNS1_17partition_subalgoE8ExNS0_10empty_typeEbEEZZNS1_14partition_implILS5_8ELb0ES3_jN6thrust23THRUST_200600_302600_NS6detail15normal_iteratorINSA_10device_ptrIxEEEEPS6_PKS6_NS0_5tupleIJNSA_16discard_iteratorINSA_11use_defaultEEES6_EEENSJ_IJSG_SG_EEENS0_18inequality_wrapperINSA_8equal_toIxEEEEPmJS6_EEE10hipError_tPvRmT3_T4_T5_T6_T7_T9_mT8_P12ihipStream_tbDpT10_ENKUlT_T0_E_clISt17integral_constantIbLb1EES1C_IbLb0EEEEDaS18_S19_EUlS18_E_NS1_11comp_targetILNS1_3genE9ELNS1_11target_archE1100ELNS1_3gpuE3ELNS1_3repE0EEENS1_30default_config_static_selectorELNS0_4arch9wavefront6targetE1EEEvT1_,"axG",@progbits,_ZN7rocprim17ROCPRIM_400000_NS6detail17trampoline_kernelINS0_14default_configENS1_25partition_config_selectorILNS1_17partition_subalgoE8ExNS0_10empty_typeEbEEZZNS1_14partition_implILS5_8ELb0ES3_jN6thrust23THRUST_200600_302600_NS6detail15normal_iteratorINSA_10device_ptrIxEEEEPS6_PKS6_NS0_5tupleIJNSA_16discard_iteratorINSA_11use_defaultEEES6_EEENSJ_IJSG_SG_EEENS0_18inequality_wrapperINSA_8equal_toIxEEEEPmJS6_EEE10hipError_tPvRmT3_T4_T5_T6_T7_T9_mT8_P12ihipStream_tbDpT10_ENKUlT_T0_E_clISt17integral_constantIbLb1EES1C_IbLb0EEEEDaS18_S19_EUlS18_E_NS1_11comp_targetILNS1_3genE9ELNS1_11target_archE1100ELNS1_3gpuE3ELNS1_3repE0EEENS1_30default_config_static_selectorELNS0_4arch9wavefront6targetE1EEEvT1_,comdat
	.protected	_ZN7rocprim17ROCPRIM_400000_NS6detail17trampoline_kernelINS0_14default_configENS1_25partition_config_selectorILNS1_17partition_subalgoE8ExNS0_10empty_typeEbEEZZNS1_14partition_implILS5_8ELb0ES3_jN6thrust23THRUST_200600_302600_NS6detail15normal_iteratorINSA_10device_ptrIxEEEEPS6_PKS6_NS0_5tupleIJNSA_16discard_iteratorINSA_11use_defaultEEES6_EEENSJ_IJSG_SG_EEENS0_18inequality_wrapperINSA_8equal_toIxEEEEPmJS6_EEE10hipError_tPvRmT3_T4_T5_T6_T7_T9_mT8_P12ihipStream_tbDpT10_ENKUlT_T0_E_clISt17integral_constantIbLb1EES1C_IbLb0EEEEDaS18_S19_EUlS18_E_NS1_11comp_targetILNS1_3genE9ELNS1_11target_archE1100ELNS1_3gpuE3ELNS1_3repE0EEENS1_30default_config_static_selectorELNS0_4arch9wavefront6targetE1EEEvT1_ ; -- Begin function _ZN7rocprim17ROCPRIM_400000_NS6detail17trampoline_kernelINS0_14default_configENS1_25partition_config_selectorILNS1_17partition_subalgoE8ExNS0_10empty_typeEbEEZZNS1_14partition_implILS5_8ELb0ES3_jN6thrust23THRUST_200600_302600_NS6detail15normal_iteratorINSA_10device_ptrIxEEEEPS6_PKS6_NS0_5tupleIJNSA_16discard_iteratorINSA_11use_defaultEEES6_EEENSJ_IJSG_SG_EEENS0_18inequality_wrapperINSA_8equal_toIxEEEEPmJS6_EEE10hipError_tPvRmT3_T4_T5_T6_T7_T9_mT8_P12ihipStream_tbDpT10_ENKUlT_T0_E_clISt17integral_constantIbLb1EES1C_IbLb0EEEEDaS18_S19_EUlS18_E_NS1_11comp_targetILNS1_3genE9ELNS1_11target_archE1100ELNS1_3gpuE3ELNS1_3repE0EEENS1_30default_config_static_selectorELNS0_4arch9wavefront6targetE1EEEvT1_
	.globl	_ZN7rocprim17ROCPRIM_400000_NS6detail17trampoline_kernelINS0_14default_configENS1_25partition_config_selectorILNS1_17partition_subalgoE8ExNS0_10empty_typeEbEEZZNS1_14partition_implILS5_8ELb0ES3_jN6thrust23THRUST_200600_302600_NS6detail15normal_iteratorINSA_10device_ptrIxEEEEPS6_PKS6_NS0_5tupleIJNSA_16discard_iteratorINSA_11use_defaultEEES6_EEENSJ_IJSG_SG_EEENS0_18inequality_wrapperINSA_8equal_toIxEEEEPmJS6_EEE10hipError_tPvRmT3_T4_T5_T6_T7_T9_mT8_P12ihipStream_tbDpT10_ENKUlT_T0_E_clISt17integral_constantIbLb1EES1C_IbLb0EEEEDaS18_S19_EUlS18_E_NS1_11comp_targetILNS1_3genE9ELNS1_11target_archE1100ELNS1_3gpuE3ELNS1_3repE0EEENS1_30default_config_static_selectorELNS0_4arch9wavefront6targetE1EEEvT1_
	.p2align	8
	.type	_ZN7rocprim17ROCPRIM_400000_NS6detail17trampoline_kernelINS0_14default_configENS1_25partition_config_selectorILNS1_17partition_subalgoE8ExNS0_10empty_typeEbEEZZNS1_14partition_implILS5_8ELb0ES3_jN6thrust23THRUST_200600_302600_NS6detail15normal_iteratorINSA_10device_ptrIxEEEEPS6_PKS6_NS0_5tupleIJNSA_16discard_iteratorINSA_11use_defaultEEES6_EEENSJ_IJSG_SG_EEENS0_18inequality_wrapperINSA_8equal_toIxEEEEPmJS6_EEE10hipError_tPvRmT3_T4_T5_T6_T7_T9_mT8_P12ihipStream_tbDpT10_ENKUlT_T0_E_clISt17integral_constantIbLb1EES1C_IbLb0EEEEDaS18_S19_EUlS18_E_NS1_11comp_targetILNS1_3genE9ELNS1_11target_archE1100ELNS1_3gpuE3ELNS1_3repE0EEENS1_30default_config_static_selectorELNS0_4arch9wavefront6targetE1EEEvT1_,@function
_ZN7rocprim17ROCPRIM_400000_NS6detail17trampoline_kernelINS0_14default_configENS1_25partition_config_selectorILNS1_17partition_subalgoE8ExNS0_10empty_typeEbEEZZNS1_14partition_implILS5_8ELb0ES3_jN6thrust23THRUST_200600_302600_NS6detail15normal_iteratorINSA_10device_ptrIxEEEEPS6_PKS6_NS0_5tupleIJNSA_16discard_iteratorINSA_11use_defaultEEES6_EEENSJ_IJSG_SG_EEENS0_18inequality_wrapperINSA_8equal_toIxEEEEPmJS6_EEE10hipError_tPvRmT3_T4_T5_T6_T7_T9_mT8_P12ihipStream_tbDpT10_ENKUlT_T0_E_clISt17integral_constantIbLb1EES1C_IbLb0EEEEDaS18_S19_EUlS18_E_NS1_11comp_targetILNS1_3genE9ELNS1_11target_archE1100ELNS1_3gpuE3ELNS1_3repE0EEENS1_30default_config_static_selectorELNS0_4arch9wavefront6targetE1EEEvT1_: ; @_ZN7rocprim17ROCPRIM_400000_NS6detail17trampoline_kernelINS0_14default_configENS1_25partition_config_selectorILNS1_17partition_subalgoE8ExNS0_10empty_typeEbEEZZNS1_14partition_implILS5_8ELb0ES3_jN6thrust23THRUST_200600_302600_NS6detail15normal_iteratorINSA_10device_ptrIxEEEEPS6_PKS6_NS0_5tupleIJNSA_16discard_iteratorINSA_11use_defaultEEES6_EEENSJ_IJSG_SG_EEENS0_18inequality_wrapperINSA_8equal_toIxEEEEPmJS6_EEE10hipError_tPvRmT3_T4_T5_T6_T7_T9_mT8_P12ihipStream_tbDpT10_ENKUlT_T0_E_clISt17integral_constantIbLb1EES1C_IbLb0EEEEDaS18_S19_EUlS18_E_NS1_11comp_targetILNS1_3genE9ELNS1_11target_archE1100ELNS1_3gpuE3ELNS1_3repE0EEENS1_30default_config_static_selectorELNS0_4arch9wavefront6targetE1EEEvT1_
; %bb.0:
	.section	.rodata,"a",@progbits
	.p2align	6, 0x0
	.amdhsa_kernel _ZN7rocprim17ROCPRIM_400000_NS6detail17trampoline_kernelINS0_14default_configENS1_25partition_config_selectorILNS1_17partition_subalgoE8ExNS0_10empty_typeEbEEZZNS1_14partition_implILS5_8ELb0ES3_jN6thrust23THRUST_200600_302600_NS6detail15normal_iteratorINSA_10device_ptrIxEEEEPS6_PKS6_NS0_5tupleIJNSA_16discard_iteratorINSA_11use_defaultEEES6_EEENSJ_IJSG_SG_EEENS0_18inequality_wrapperINSA_8equal_toIxEEEEPmJS6_EEE10hipError_tPvRmT3_T4_T5_T6_T7_T9_mT8_P12ihipStream_tbDpT10_ENKUlT_T0_E_clISt17integral_constantIbLb1EES1C_IbLb0EEEEDaS18_S19_EUlS18_E_NS1_11comp_targetILNS1_3genE9ELNS1_11target_archE1100ELNS1_3gpuE3ELNS1_3repE0EEENS1_30default_config_static_selectorELNS0_4arch9wavefront6targetE1EEEvT1_
		.amdhsa_group_segment_fixed_size 0
		.amdhsa_private_segment_fixed_size 0
		.amdhsa_kernarg_size 120
		.amdhsa_user_sgpr_count 6
		.amdhsa_user_sgpr_private_segment_buffer 1
		.amdhsa_user_sgpr_dispatch_ptr 0
		.amdhsa_user_sgpr_queue_ptr 0
		.amdhsa_user_sgpr_kernarg_segment_ptr 1
		.amdhsa_user_sgpr_dispatch_id 0
		.amdhsa_user_sgpr_flat_scratch_init 0
		.amdhsa_user_sgpr_private_segment_size 0
		.amdhsa_uses_dynamic_stack 0
		.amdhsa_system_sgpr_private_segment_wavefront_offset 0
		.amdhsa_system_sgpr_workgroup_id_x 1
		.amdhsa_system_sgpr_workgroup_id_y 0
		.amdhsa_system_sgpr_workgroup_id_z 0
		.amdhsa_system_sgpr_workgroup_info 0
		.amdhsa_system_vgpr_workitem_id 0
		.amdhsa_next_free_vgpr 1
		.amdhsa_next_free_sgpr 0
		.amdhsa_reserve_vcc 0
		.amdhsa_reserve_flat_scratch 0
		.amdhsa_float_round_mode_32 0
		.amdhsa_float_round_mode_16_64 0
		.amdhsa_float_denorm_mode_32 3
		.amdhsa_float_denorm_mode_16_64 3
		.amdhsa_dx10_clamp 1
		.amdhsa_ieee_mode 1
		.amdhsa_fp16_overflow 0
		.amdhsa_exception_fp_ieee_invalid_op 0
		.amdhsa_exception_fp_denorm_src 0
		.amdhsa_exception_fp_ieee_div_zero 0
		.amdhsa_exception_fp_ieee_overflow 0
		.amdhsa_exception_fp_ieee_underflow 0
		.amdhsa_exception_fp_ieee_inexact 0
		.amdhsa_exception_int_div_zero 0
	.end_amdhsa_kernel
	.section	.text._ZN7rocprim17ROCPRIM_400000_NS6detail17trampoline_kernelINS0_14default_configENS1_25partition_config_selectorILNS1_17partition_subalgoE8ExNS0_10empty_typeEbEEZZNS1_14partition_implILS5_8ELb0ES3_jN6thrust23THRUST_200600_302600_NS6detail15normal_iteratorINSA_10device_ptrIxEEEEPS6_PKS6_NS0_5tupleIJNSA_16discard_iteratorINSA_11use_defaultEEES6_EEENSJ_IJSG_SG_EEENS0_18inequality_wrapperINSA_8equal_toIxEEEEPmJS6_EEE10hipError_tPvRmT3_T4_T5_T6_T7_T9_mT8_P12ihipStream_tbDpT10_ENKUlT_T0_E_clISt17integral_constantIbLb1EES1C_IbLb0EEEEDaS18_S19_EUlS18_E_NS1_11comp_targetILNS1_3genE9ELNS1_11target_archE1100ELNS1_3gpuE3ELNS1_3repE0EEENS1_30default_config_static_selectorELNS0_4arch9wavefront6targetE1EEEvT1_,"axG",@progbits,_ZN7rocprim17ROCPRIM_400000_NS6detail17trampoline_kernelINS0_14default_configENS1_25partition_config_selectorILNS1_17partition_subalgoE8ExNS0_10empty_typeEbEEZZNS1_14partition_implILS5_8ELb0ES3_jN6thrust23THRUST_200600_302600_NS6detail15normal_iteratorINSA_10device_ptrIxEEEEPS6_PKS6_NS0_5tupleIJNSA_16discard_iteratorINSA_11use_defaultEEES6_EEENSJ_IJSG_SG_EEENS0_18inequality_wrapperINSA_8equal_toIxEEEEPmJS6_EEE10hipError_tPvRmT3_T4_T5_T6_T7_T9_mT8_P12ihipStream_tbDpT10_ENKUlT_T0_E_clISt17integral_constantIbLb1EES1C_IbLb0EEEEDaS18_S19_EUlS18_E_NS1_11comp_targetILNS1_3genE9ELNS1_11target_archE1100ELNS1_3gpuE3ELNS1_3repE0EEENS1_30default_config_static_selectorELNS0_4arch9wavefront6targetE1EEEvT1_,comdat
.Lfunc_end651:
	.size	_ZN7rocprim17ROCPRIM_400000_NS6detail17trampoline_kernelINS0_14default_configENS1_25partition_config_selectorILNS1_17partition_subalgoE8ExNS0_10empty_typeEbEEZZNS1_14partition_implILS5_8ELb0ES3_jN6thrust23THRUST_200600_302600_NS6detail15normal_iteratorINSA_10device_ptrIxEEEEPS6_PKS6_NS0_5tupleIJNSA_16discard_iteratorINSA_11use_defaultEEES6_EEENSJ_IJSG_SG_EEENS0_18inequality_wrapperINSA_8equal_toIxEEEEPmJS6_EEE10hipError_tPvRmT3_T4_T5_T6_T7_T9_mT8_P12ihipStream_tbDpT10_ENKUlT_T0_E_clISt17integral_constantIbLb1EES1C_IbLb0EEEEDaS18_S19_EUlS18_E_NS1_11comp_targetILNS1_3genE9ELNS1_11target_archE1100ELNS1_3gpuE3ELNS1_3repE0EEENS1_30default_config_static_selectorELNS0_4arch9wavefront6targetE1EEEvT1_, .Lfunc_end651-_ZN7rocprim17ROCPRIM_400000_NS6detail17trampoline_kernelINS0_14default_configENS1_25partition_config_selectorILNS1_17partition_subalgoE8ExNS0_10empty_typeEbEEZZNS1_14partition_implILS5_8ELb0ES3_jN6thrust23THRUST_200600_302600_NS6detail15normal_iteratorINSA_10device_ptrIxEEEEPS6_PKS6_NS0_5tupleIJNSA_16discard_iteratorINSA_11use_defaultEEES6_EEENSJ_IJSG_SG_EEENS0_18inequality_wrapperINSA_8equal_toIxEEEEPmJS6_EEE10hipError_tPvRmT3_T4_T5_T6_T7_T9_mT8_P12ihipStream_tbDpT10_ENKUlT_T0_E_clISt17integral_constantIbLb1EES1C_IbLb0EEEEDaS18_S19_EUlS18_E_NS1_11comp_targetILNS1_3genE9ELNS1_11target_archE1100ELNS1_3gpuE3ELNS1_3repE0EEENS1_30default_config_static_selectorELNS0_4arch9wavefront6targetE1EEEvT1_
                                        ; -- End function
	.set _ZN7rocprim17ROCPRIM_400000_NS6detail17trampoline_kernelINS0_14default_configENS1_25partition_config_selectorILNS1_17partition_subalgoE8ExNS0_10empty_typeEbEEZZNS1_14partition_implILS5_8ELb0ES3_jN6thrust23THRUST_200600_302600_NS6detail15normal_iteratorINSA_10device_ptrIxEEEEPS6_PKS6_NS0_5tupleIJNSA_16discard_iteratorINSA_11use_defaultEEES6_EEENSJ_IJSG_SG_EEENS0_18inequality_wrapperINSA_8equal_toIxEEEEPmJS6_EEE10hipError_tPvRmT3_T4_T5_T6_T7_T9_mT8_P12ihipStream_tbDpT10_ENKUlT_T0_E_clISt17integral_constantIbLb1EES1C_IbLb0EEEEDaS18_S19_EUlS18_E_NS1_11comp_targetILNS1_3genE9ELNS1_11target_archE1100ELNS1_3gpuE3ELNS1_3repE0EEENS1_30default_config_static_selectorELNS0_4arch9wavefront6targetE1EEEvT1_.num_vgpr, 0
	.set _ZN7rocprim17ROCPRIM_400000_NS6detail17trampoline_kernelINS0_14default_configENS1_25partition_config_selectorILNS1_17partition_subalgoE8ExNS0_10empty_typeEbEEZZNS1_14partition_implILS5_8ELb0ES3_jN6thrust23THRUST_200600_302600_NS6detail15normal_iteratorINSA_10device_ptrIxEEEEPS6_PKS6_NS0_5tupleIJNSA_16discard_iteratorINSA_11use_defaultEEES6_EEENSJ_IJSG_SG_EEENS0_18inequality_wrapperINSA_8equal_toIxEEEEPmJS6_EEE10hipError_tPvRmT3_T4_T5_T6_T7_T9_mT8_P12ihipStream_tbDpT10_ENKUlT_T0_E_clISt17integral_constantIbLb1EES1C_IbLb0EEEEDaS18_S19_EUlS18_E_NS1_11comp_targetILNS1_3genE9ELNS1_11target_archE1100ELNS1_3gpuE3ELNS1_3repE0EEENS1_30default_config_static_selectorELNS0_4arch9wavefront6targetE1EEEvT1_.num_agpr, 0
	.set _ZN7rocprim17ROCPRIM_400000_NS6detail17trampoline_kernelINS0_14default_configENS1_25partition_config_selectorILNS1_17partition_subalgoE8ExNS0_10empty_typeEbEEZZNS1_14partition_implILS5_8ELb0ES3_jN6thrust23THRUST_200600_302600_NS6detail15normal_iteratorINSA_10device_ptrIxEEEEPS6_PKS6_NS0_5tupleIJNSA_16discard_iteratorINSA_11use_defaultEEES6_EEENSJ_IJSG_SG_EEENS0_18inequality_wrapperINSA_8equal_toIxEEEEPmJS6_EEE10hipError_tPvRmT3_T4_T5_T6_T7_T9_mT8_P12ihipStream_tbDpT10_ENKUlT_T0_E_clISt17integral_constantIbLb1EES1C_IbLb0EEEEDaS18_S19_EUlS18_E_NS1_11comp_targetILNS1_3genE9ELNS1_11target_archE1100ELNS1_3gpuE3ELNS1_3repE0EEENS1_30default_config_static_selectorELNS0_4arch9wavefront6targetE1EEEvT1_.numbered_sgpr, 0
	.set _ZN7rocprim17ROCPRIM_400000_NS6detail17trampoline_kernelINS0_14default_configENS1_25partition_config_selectorILNS1_17partition_subalgoE8ExNS0_10empty_typeEbEEZZNS1_14partition_implILS5_8ELb0ES3_jN6thrust23THRUST_200600_302600_NS6detail15normal_iteratorINSA_10device_ptrIxEEEEPS6_PKS6_NS0_5tupleIJNSA_16discard_iteratorINSA_11use_defaultEEES6_EEENSJ_IJSG_SG_EEENS0_18inequality_wrapperINSA_8equal_toIxEEEEPmJS6_EEE10hipError_tPvRmT3_T4_T5_T6_T7_T9_mT8_P12ihipStream_tbDpT10_ENKUlT_T0_E_clISt17integral_constantIbLb1EES1C_IbLb0EEEEDaS18_S19_EUlS18_E_NS1_11comp_targetILNS1_3genE9ELNS1_11target_archE1100ELNS1_3gpuE3ELNS1_3repE0EEENS1_30default_config_static_selectorELNS0_4arch9wavefront6targetE1EEEvT1_.num_named_barrier, 0
	.set _ZN7rocprim17ROCPRIM_400000_NS6detail17trampoline_kernelINS0_14default_configENS1_25partition_config_selectorILNS1_17partition_subalgoE8ExNS0_10empty_typeEbEEZZNS1_14partition_implILS5_8ELb0ES3_jN6thrust23THRUST_200600_302600_NS6detail15normal_iteratorINSA_10device_ptrIxEEEEPS6_PKS6_NS0_5tupleIJNSA_16discard_iteratorINSA_11use_defaultEEES6_EEENSJ_IJSG_SG_EEENS0_18inequality_wrapperINSA_8equal_toIxEEEEPmJS6_EEE10hipError_tPvRmT3_T4_T5_T6_T7_T9_mT8_P12ihipStream_tbDpT10_ENKUlT_T0_E_clISt17integral_constantIbLb1EES1C_IbLb0EEEEDaS18_S19_EUlS18_E_NS1_11comp_targetILNS1_3genE9ELNS1_11target_archE1100ELNS1_3gpuE3ELNS1_3repE0EEENS1_30default_config_static_selectorELNS0_4arch9wavefront6targetE1EEEvT1_.private_seg_size, 0
	.set _ZN7rocprim17ROCPRIM_400000_NS6detail17trampoline_kernelINS0_14default_configENS1_25partition_config_selectorILNS1_17partition_subalgoE8ExNS0_10empty_typeEbEEZZNS1_14partition_implILS5_8ELb0ES3_jN6thrust23THRUST_200600_302600_NS6detail15normal_iteratorINSA_10device_ptrIxEEEEPS6_PKS6_NS0_5tupleIJNSA_16discard_iteratorINSA_11use_defaultEEES6_EEENSJ_IJSG_SG_EEENS0_18inequality_wrapperINSA_8equal_toIxEEEEPmJS6_EEE10hipError_tPvRmT3_T4_T5_T6_T7_T9_mT8_P12ihipStream_tbDpT10_ENKUlT_T0_E_clISt17integral_constantIbLb1EES1C_IbLb0EEEEDaS18_S19_EUlS18_E_NS1_11comp_targetILNS1_3genE9ELNS1_11target_archE1100ELNS1_3gpuE3ELNS1_3repE0EEENS1_30default_config_static_selectorELNS0_4arch9wavefront6targetE1EEEvT1_.uses_vcc, 0
	.set _ZN7rocprim17ROCPRIM_400000_NS6detail17trampoline_kernelINS0_14default_configENS1_25partition_config_selectorILNS1_17partition_subalgoE8ExNS0_10empty_typeEbEEZZNS1_14partition_implILS5_8ELb0ES3_jN6thrust23THRUST_200600_302600_NS6detail15normal_iteratorINSA_10device_ptrIxEEEEPS6_PKS6_NS0_5tupleIJNSA_16discard_iteratorINSA_11use_defaultEEES6_EEENSJ_IJSG_SG_EEENS0_18inequality_wrapperINSA_8equal_toIxEEEEPmJS6_EEE10hipError_tPvRmT3_T4_T5_T6_T7_T9_mT8_P12ihipStream_tbDpT10_ENKUlT_T0_E_clISt17integral_constantIbLb1EES1C_IbLb0EEEEDaS18_S19_EUlS18_E_NS1_11comp_targetILNS1_3genE9ELNS1_11target_archE1100ELNS1_3gpuE3ELNS1_3repE0EEENS1_30default_config_static_selectorELNS0_4arch9wavefront6targetE1EEEvT1_.uses_flat_scratch, 0
	.set _ZN7rocprim17ROCPRIM_400000_NS6detail17trampoline_kernelINS0_14default_configENS1_25partition_config_selectorILNS1_17partition_subalgoE8ExNS0_10empty_typeEbEEZZNS1_14partition_implILS5_8ELb0ES3_jN6thrust23THRUST_200600_302600_NS6detail15normal_iteratorINSA_10device_ptrIxEEEEPS6_PKS6_NS0_5tupleIJNSA_16discard_iteratorINSA_11use_defaultEEES6_EEENSJ_IJSG_SG_EEENS0_18inequality_wrapperINSA_8equal_toIxEEEEPmJS6_EEE10hipError_tPvRmT3_T4_T5_T6_T7_T9_mT8_P12ihipStream_tbDpT10_ENKUlT_T0_E_clISt17integral_constantIbLb1EES1C_IbLb0EEEEDaS18_S19_EUlS18_E_NS1_11comp_targetILNS1_3genE9ELNS1_11target_archE1100ELNS1_3gpuE3ELNS1_3repE0EEENS1_30default_config_static_selectorELNS0_4arch9wavefront6targetE1EEEvT1_.has_dyn_sized_stack, 0
	.set _ZN7rocprim17ROCPRIM_400000_NS6detail17trampoline_kernelINS0_14default_configENS1_25partition_config_selectorILNS1_17partition_subalgoE8ExNS0_10empty_typeEbEEZZNS1_14partition_implILS5_8ELb0ES3_jN6thrust23THRUST_200600_302600_NS6detail15normal_iteratorINSA_10device_ptrIxEEEEPS6_PKS6_NS0_5tupleIJNSA_16discard_iteratorINSA_11use_defaultEEES6_EEENSJ_IJSG_SG_EEENS0_18inequality_wrapperINSA_8equal_toIxEEEEPmJS6_EEE10hipError_tPvRmT3_T4_T5_T6_T7_T9_mT8_P12ihipStream_tbDpT10_ENKUlT_T0_E_clISt17integral_constantIbLb1EES1C_IbLb0EEEEDaS18_S19_EUlS18_E_NS1_11comp_targetILNS1_3genE9ELNS1_11target_archE1100ELNS1_3gpuE3ELNS1_3repE0EEENS1_30default_config_static_selectorELNS0_4arch9wavefront6targetE1EEEvT1_.has_recursion, 0
	.set _ZN7rocprim17ROCPRIM_400000_NS6detail17trampoline_kernelINS0_14default_configENS1_25partition_config_selectorILNS1_17partition_subalgoE8ExNS0_10empty_typeEbEEZZNS1_14partition_implILS5_8ELb0ES3_jN6thrust23THRUST_200600_302600_NS6detail15normal_iteratorINSA_10device_ptrIxEEEEPS6_PKS6_NS0_5tupleIJNSA_16discard_iteratorINSA_11use_defaultEEES6_EEENSJ_IJSG_SG_EEENS0_18inequality_wrapperINSA_8equal_toIxEEEEPmJS6_EEE10hipError_tPvRmT3_T4_T5_T6_T7_T9_mT8_P12ihipStream_tbDpT10_ENKUlT_T0_E_clISt17integral_constantIbLb1EES1C_IbLb0EEEEDaS18_S19_EUlS18_E_NS1_11comp_targetILNS1_3genE9ELNS1_11target_archE1100ELNS1_3gpuE3ELNS1_3repE0EEENS1_30default_config_static_selectorELNS0_4arch9wavefront6targetE1EEEvT1_.has_indirect_call, 0
	.section	.AMDGPU.csdata,"",@progbits
; Kernel info:
; codeLenInByte = 0
; TotalNumSgprs: 4
; NumVgprs: 0
; ScratchSize: 0
; MemoryBound: 0
; FloatMode: 240
; IeeeMode: 1
; LDSByteSize: 0 bytes/workgroup (compile time only)
; SGPRBlocks: 0
; VGPRBlocks: 0
; NumSGPRsForWavesPerEU: 4
; NumVGPRsForWavesPerEU: 1
; Occupancy: 10
; WaveLimiterHint : 0
; COMPUTE_PGM_RSRC2:SCRATCH_EN: 0
; COMPUTE_PGM_RSRC2:USER_SGPR: 6
; COMPUTE_PGM_RSRC2:TRAP_HANDLER: 0
; COMPUTE_PGM_RSRC2:TGID_X_EN: 1
; COMPUTE_PGM_RSRC2:TGID_Y_EN: 0
; COMPUTE_PGM_RSRC2:TGID_Z_EN: 0
; COMPUTE_PGM_RSRC2:TIDIG_COMP_CNT: 0
	.section	.text._ZN7rocprim17ROCPRIM_400000_NS6detail17trampoline_kernelINS0_14default_configENS1_25partition_config_selectorILNS1_17partition_subalgoE8ExNS0_10empty_typeEbEEZZNS1_14partition_implILS5_8ELb0ES3_jN6thrust23THRUST_200600_302600_NS6detail15normal_iteratorINSA_10device_ptrIxEEEEPS6_PKS6_NS0_5tupleIJNSA_16discard_iteratorINSA_11use_defaultEEES6_EEENSJ_IJSG_SG_EEENS0_18inequality_wrapperINSA_8equal_toIxEEEEPmJS6_EEE10hipError_tPvRmT3_T4_T5_T6_T7_T9_mT8_P12ihipStream_tbDpT10_ENKUlT_T0_E_clISt17integral_constantIbLb1EES1C_IbLb0EEEEDaS18_S19_EUlS18_E_NS1_11comp_targetILNS1_3genE8ELNS1_11target_archE1030ELNS1_3gpuE2ELNS1_3repE0EEENS1_30default_config_static_selectorELNS0_4arch9wavefront6targetE1EEEvT1_,"axG",@progbits,_ZN7rocprim17ROCPRIM_400000_NS6detail17trampoline_kernelINS0_14default_configENS1_25partition_config_selectorILNS1_17partition_subalgoE8ExNS0_10empty_typeEbEEZZNS1_14partition_implILS5_8ELb0ES3_jN6thrust23THRUST_200600_302600_NS6detail15normal_iteratorINSA_10device_ptrIxEEEEPS6_PKS6_NS0_5tupleIJNSA_16discard_iteratorINSA_11use_defaultEEES6_EEENSJ_IJSG_SG_EEENS0_18inequality_wrapperINSA_8equal_toIxEEEEPmJS6_EEE10hipError_tPvRmT3_T4_T5_T6_T7_T9_mT8_P12ihipStream_tbDpT10_ENKUlT_T0_E_clISt17integral_constantIbLb1EES1C_IbLb0EEEEDaS18_S19_EUlS18_E_NS1_11comp_targetILNS1_3genE8ELNS1_11target_archE1030ELNS1_3gpuE2ELNS1_3repE0EEENS1_30default_config_static_selectorELNS0_4arch9wavefront6targetE1EEEvT1_,comdat
	.protected	_ZN7rocprim17ROCPRIM_400000_NS6detail17trampoline_kernelINS0_14default_configENS1_25partition_config_selectorILNS1_17partition_subalgoE8ExNS0_10empty_typeEbEEZZNS1_14partition_implILS5_8ELb0ES3_jN6thrust23THRUST_200600_302600_NS6detail15normal_iteratorINSA_10device_ptrIxEEEEPS6_PKS6_NS0_5tupleIJNSA_16discard_iteratorINSA_11use_defaultEEES6_EEENSJ_IJSG_SG_EEENS0_18inequality_wrapperINSA_8equal_toIxEEEEPmJS6_EEE10hipError_tPvRmT3_T4_T5_T6_T7_T9_mT8_P12ihipStream_tbDpT10_ENKUlT_T0_E_clISt17integral_constantIbLb1EES1C_IbLb0EEEEDaS18_S19_EUlS18_E_NS1_11comp_targetILNS1_3genE8ELNS1_11target_archE1030ELNS1_3gpuE2ELNS1_3repE0EEENS1_30default_config_static_selectorELNS0_4arch9wavefront6targetE1EEEvT1_ ; -- Begin function _ZN7rocprim17ROCPRIM_400000_NS6detail17trampoline_kernelINS0_14default_configENS1_25partition_config_selectorILNS1_17partition_subalgoE8ExNS0_10empty_typeEbEEZZNS1_14partition_implILS5_8ELb0ES3_jN6thrust23THRUST_200600_302600_NS6detail15normal_iteratorINSA_10device_ptrIxEEEEPS6_PKS6_NS0_5tupleIJNSA_16discard_iteratorINSA_11use_defaultEEES6_EEENSJ_IJSG_SG_EEENS0_18inequality_wrapperINSA_8equal_toIxEEEEPmJS6_EEE10hipError_tPvRmT3_T4_T5_T6_T7_T9_mT8_P12ihipStream_tbDpT10_ENKUlT_T0_E_clISt17integral_constantIbLb1EES1C_IbLb0EEEEDaS18_S19_EUlS18_E_NS1_11comp_targetILNS1_3genE8ELNS1_11target_archE1030ELNS1_3gpuE2ELNS1_3repE0EEENS1_30default_config_static_selectorELNS0_4arch9wavefront6targetE1EEEvT1_
	.globl	_ZN7rocprim17ROCPRIM_400000_NS6detail17trampoline_kernelINS0_14default_configENS1_25partition_config_selectorILNS1_17partition_subalgoE8ExNS0_10empty_typeEbEEZZNS1_14partition_implILS5_8ELb0ES3_jN6thrust23THRUST_200600_302600_NS6detail15normal_iteratorINSA_10device_ptrIxEEEEPS6_PKS6_NS0_5tupleIJNSA_16discard_iteratorINSA_11use_defaultEEES6_EEENSJ_IJSG_SG_EEENS0_18inequality_wrapperINSA_8equal_toIxEEEEPmJS6_EEE10hipError_tPvRmT3_T4_T5_T6_T7_T9_mT8_P12ihipStream_tbDpT10_ENKUlT_T0_E_clISt17integral_constantIbLb1EES1C_IbLb0EEEEDaS18_S19_EUlS18_E_NS1_11comp_targetILNS1_3genE8ELNS1_11target_archE1030ELNS1_3gpuE2ELNS1_3repE0EEENS1_30default_config_static_selectorELNS0_4arch9wavefront6targetE1EEEvT1_
	.p2align	8
	.type	_ZN7rocprim17ROCPRIM_400000_NS6detail17trampoline_kernelINS0_14default_configENS1_25partition_config_selectorILNS1_17partition_subalgoE8ExNS0_10empty_typeEbEEZZNS1_14partition_implILS5_8ELb0ES3_jN6thrust23THRUST_200600_302600_NS6detail15normal_iteratorINSA_10device_ptrIxEEEEPS6_PKS6_NS0_5tupleIJNSA_16discard_iteratorINSA_11use_defaultEEES6_EEENSJ_IJSG_SG_EEENS0_18inequality_wrapperINSA_8equal_toIxEEEEPmJS6_EEE10hipError_tPvRmT3_T4_T5_T6_T7_T9_mT8_P12ihipStream_tbDpT10_ENKUlT_T0_E_clISt17integral_constantIbLb1EES1C_IbLb0EEEEDaS18_S19_EUlS18_E_NS1_11comp_targetILNS1_3genE8ELNS1_11target_archE1030ELNS1_3gpuE2ELNS1_3repE0EEENS1_30default_config_static_selectorELNS0_4arch9wavefront6targetE1EEEvT1_,@function
_ZN7rocprim17ROCPRIM_400000_NS6detail17trampoline_kernelINS0_14default_configENS1_25partition_config_selectorILNS1_17partition_subalgoE8ExNS0_10empty_typeEbEEZZNS1_14partition_implILS5_8ELb0ES3_jN6thrust23THRUST_200600_302600_NS6detail15normal_iteratorINSA_10device_ptrIxEEEEPS6_PKS6_NS0_5tupleIJNSA_16discard_iteratorINSA_11use_defaultEEES6_EEENSJ_IJSG_SG_EEENS0_18inequality_wrapperINSA_8equal_toIxEEEEPmJS6_EEE10hipError_tPvRmT3_T4_T5_T6_T7_T9_mT8_P12ihipStream_tbDpT10_ENKUlT_T0_E_clISt17integral_constantIbLb1EES1C_IbLb0EEEEDaS18_S19_EUlS18_E_NS1_11comp_targetILNS1_3genE8ELNS1_11target_archE1030ELNS1_3gpuE2ELNS1_3repE0EEENS1_30default_config_static_selectorELNS0_4arch9wavefront6targetE1EEEvT1_: ; @_ZN7rocprim17ROCPRIM_400000_NS6detail17trampoline_kernelINS0_14default_configENS1_25partition_config_selectorILNS1_17partition_subalgoE8ExNS0_10empty_typeEbEEZZNS1_14partition_implILS5_8ELb0ES3_jN6thrust23THRUST_200600_302600_NS6detail15normal_iteratorINSA_10device_ptrIxEEEEPS6_PKS6_NS0_5tupleIJNSA_16discard_iteratorINSA_11use_defaultEEES6_EEENSJ_IJSG_SG_EEENS0_18inequality_wrapperINSA_8equal_toIxEEEEPmJS6_EEE10hipError_tPvRmT3_T4_T5_T6_T7_T9_mT8_P12ihipStream_tbDpT10_ENKUlT_T0_E_clISt17integral_constantIbLb1EES1C_IbLb0EEEEDaS18_S19_EUlS18_E_NS1_11comp_targetILNS1_3genE8ELNS1_11target_archE1030ELNS1_3gpuE2ELNS1_3repE0EEENS1_30default_config_static_selectorELNS0_4arch9wavefront6targetE1EEEvT1_
; %bb.0:
	.section	.rodata,"a",@progbits
	.p2align	6, 0x0
	.amdhsa_kernel _ZN7rocprim17ROCPRIM_400000_NS6detail17trampoline_kernelINS0_14default_configENS1_25partition_config_selectorILNS1_17partition_subalgoE8ExNS0_10empty_typeEbEEZZNS1_14partition_implILS5_8ELb0ES3_jN6thrust23THRUST_200600_302600_NS6detail15normal_iteratorINSA_10device_ptrIxEEEEPS6_PKS6_NS0_5tupleIJNSA_16discard_iteratorINSA_11use_defaultEEES6_EEENSJ_IJSG_SG_EEENS0_18inequality_wrapperINSA_8equal_toIxEEEEPmJS6_EEE10hipError_tPvRmT3_T4_T5_T6_T7_T9_mT8_P12ihipStream_tbDpT10_ENKUlT_T0_E_clISt17integral_constantIbLb1EES1C_IbLb0EEEEDaS18_S19_EUlS18_E_NS1_11comp_targetILNS1_3genE8ELNS1_11target_archE1030ELNS1_3gpuE2ELNS1_3repE0EEENS1_30default_config_static_selectorELNS0_4arch9wavefront6targetE1EEEvT1_
		.amdhsa_group_segment_fixed_size 0
		.amdhsa_private_segment_fixed_size 0
		.amdhsa_kernarg_size 120
		.amdhsa_user_sgpr_count 6
		.amdhsa_user_sgpr_private_segment_buffer 1
		.amdhsa_user_sgpr_dispatch_ptr 0
		.amdhsa_user_sgpr_queue_ptr 0
		.amdhsa_user_sgpr_kernarg_segment_ptr 1
		.amdhsa_user_sgpr_dispatch_id 0
		.amdhsa_user_sgpr_flat_scratch_init 0
		.amdhsa_user_sgpr_private_segment_size 0
		.amdhsa_uses_dynamic_stack 0
		.amdhsa_system_sgpr_private_segment_wavefront_offset 0
		.amdhsa_system_sgpr_workgroup_id_x 1
		.amdhsa_system_sgpr_workgroup_id_y 0
		.amdhsa_system_sgpr_workgroup_id_z 0
		.amdhsa_system_sgpr_workgroup_info 0
		.amdhsa_system_vgpr_workitem_id 0
		.amdhsa_next_free_vgpr 1
		.amdhsa_next_free_sgpr 0
		.amdhsa_reserve_vcc 0
		.amdhsa_reserve_flat_scratch 0
		.amdhsa_float_round_mode_32 0
		.amdhsa_float_round_mode_16_64 0
		.amdhsa_float_denorm_mode_32 3
		.amdhsa_float_denorm_mode_16_64 3
		.amdhsa_dx10_clamp 1
		.amdhsa_ieee_mode 1
		.amdhsa_fp16_overflow 0
		.amdhsa_exception_fp_ieee_invalid_op 0
		.amdhsa_exception_fp_denorm_src 0
		.amdhsa_exception_fp_ieee_div_zero 0
		.amdhsa_exception_fp_ieee_overflow 0
		.amdhsa_exception_fp_ieee_underflow 0
		.amdhsa_exception_fp_ieee_inexact 0
		.amdhsa_exception_int_div_zero 0
	.end_amdhsa_kernel
	.section	.text._ZN7rocprim17ROCPRIM_400000_NS6detail17trampoline_kernelINS0_14default_configENS1_25partition_config_selectorILNS1_17partition_subalgoE8ExNS0_10empty_typeEbEEZZNS1_14partition_implILS5_8ELb0ES3_jN6thrust23THRUST_200600_302600_NS6detail15normal_iteratorINSA_10device_ptrIxEEEEPS6_PKS6_NS0_5tupleIJNSA_16discard_iteratorINSA_11use_defaultEEES6_EEENSJ_IJSG_SG_EEENS0_18inequality_wrapperINSA_8equal_toIxEEEEPmJS6_EEE10hipError_tPvRmT3_T4_T5_T6_T7_T9_mT8_P12ihipStream_tbDpT10_ENKUlT_T0_E_clISt17integral_constantIbLb1EES1C_IbLb0EEEEDaS18_S19_EUlS18_E_NS1_11comp_targetILNS1_3genE8ELNS1_11target_archE1030ELNS1_3gpuE2ELNS1_3repE0EEENS1_30default_config_static_selectorELNS0_4arch9wavefront6targetE1EEEvT1_,"axG",@progbits,_ZN7rocprim17ROCPRIM_400000_NS6detail17trampoline_kernelINS0_14default_configENS1_25partition_config_selectorILNS1_17partition_subalgoE8ExNS0_10empty_typeEbEEZZNS1_14partition_implILS5_8ELb0ES3_jN6thrust23THRUST_200600_302600_NS6detail15normal_iteratorINSA_10device_ptrIxEEEEPS6_PKS6_NS0_5tupleIJNSA_16discard_iteratorINSA_11use_defaultEEES6_EEENSJ_IJSG_SG_EEENS0_18inequality_wrapperINSA_8equal_toIxEEEEPmJS6_EEE10hipError_tPvRmT3_T4_T5_T6_T7_T9_mT8_P12ihipStream_tbDpT10_ENKUlT_T0_E_clISt17integral_constantIbLb1EES1C_IbLb0EEEEDaS18_S19_EUlS18_E_NS1_11comp_targetILNS1_3genE8ELNS1_11target_archE1030ELNS1_3gpuE2ELNS1_3repE0EEENS1_30default_config_static_selectorELNS0_4arch9wavefront6targetE1EEEvT1_,comdat
.Lfunc_end652:
	.size	_ZN7rocprim17ROCPRIM_400000_NS6detail17trampoline_kernelINS0_14default_configENS1_25partition_config_selectorILNS1_17partition_subalgoE8ExNS0_10empty_typeEbEEZZNS1_14partition_implILS5_8ELb0ES3_jN6thrust23THRUST_200600_302600_NS6detail15normal_iteratorINSA_10device_ptrIxEEEEPS6_PKS6_NS0_5tupleIJNSA_16discard_iteratorINSA_11use_defaultEEES6_EEENSJ_IJSG_SG_EEENS0_18inequality_wrapperINSA_8equal_toIxEEEEPmJS6_EEE10hipError_tPvRmT3_T4_T5_T6_T7_T9_mT8_P12ihipStream_tbDpT10_ENKUlT_T0_E_clISt17integral_constantIbLb1EES1C_IbLb0EEEEDaS18_S19_EUlS18_E_NS1_11comp_targetILNS1_3genE8ELNS1_11target_archE1030ELNS1_3gpuE2ELNS1_3repE0EEENS1_30default_config_static_selectorELNS0_4arch9wavefront6targetE1EEEvT1_, .Lfunc_end652-_ZN7rocprim17ROCPRIM_400000_NS6detail17trampoline_kernelINS0_14default_configENS1_25partition_config_selectorILNS1_17partition_subalgoE8ExNS0_10empty_typeEbEEZZNS1_14partition_implILS5_8ELb0ES3_jN6thrust23THRUST_200600_302600_NS6detail15normal_iteratorINSA_10device_ptrIxEEEEPS6_PKS6_NS0_5tupleIJNSA_16discard_iteratorINSA_11use_defaultEEES6_EEENSJ_IJSG_SG_EEENS0_18inequality_wrapperINSA_8equal_toIxEEEEPmJS6_EEE10hipError_tPvRmT3_T4_T5_T6_T7_T9_mT8_P12ihipStream_tbDpT10_ENKUlT_T0_E_clISt17integral_constantIbLb1EES1C_IbLb0EEEEDaS18_S19_EUlS18_E_NS1_11comp_targetILNS1_3genE8ELNS1_11target_archE1030ELNS1_3gpuE2ELNS1_3repE0EEENS1_30default_config_static_selectorELNS0_4arch9wavefront6targetE1EEEvT1_
                                        ; -- End function
	.set _ZN7rocprim17ROCPRIM_400000_NS6detail17trampoline_kernelINS0_14default_configENS1_25partition_config_selectorILNS1_17partition_subalgoE8ExNS0_10empty_typeEbEEZZNS1_14partition_implILS5_8ELb0ES3_jN6thrust23THRUST_200600_302600_NS6detail15normal_iteratorINSA_10device_ptrIxEEEEPS6_PKS6_NS0_5tupleIJNSA_16discard_iteratorINSA_11use_defaultEEES6_EEENSJ_IJSG_SG_EEENS0_18inequality_wrapperINSA_8equal_toIxEEEEPmJS6_EEE10hipError_tPvRmT3_T4_T5_T6_T7_T9_mT8_P12ihipStream_tbDpT10_ENKUlT_T0_E_clISt17integral_constantIbLb1EES1C_IbLb0EEEEDaS18_S19_EUlS18_E_NS1_11comp_targetILNS1_3genE8ELNS1_11target_archE1030ELNS1_3gpuE2ELNS1_3repE0EEENS1_30default_config_static_selectorELNS0_4arch9wavefront6targetE1EEEvT1_.num_vgpr, 0
	.set _ZN7rocprim17ROCPRIM_400000_NS6detail17trampoline_kernelINS0_14default_configENS1_25partition_config_selectorILNS1_17partition_subalgoE8ExNS0_10empty_typeEbEEZZNS1_14partition_implILS5_8ELb0ES3_jN6thrust23THRUST_200600_302600_NS6detail15normal_iteratorINSA_10device_ptrIxEEEEPS6_PKS6_NS0_5tupleIJNSA_16discard_iteratorINSA_11use_defaultEEES6_EEENSJ_IJSG_SG_EEENS0_18inequality_wrapperINSA_8equal_toIxEEEEPmJS6_EEE10hipError_tPvRmT3_T4_T5_T6_T7_T9_mT8_P12ihipStream_tbDpT10_ENKUlT_T0_E_clISt17integral_constantIbLb1EES1C_IbLb0EEEEDaS18_S19_EUlS18_E_NS1_11comp_targetILNS1_3genE8ELNS1_11target_archE1030ELNS1_3gpuE2ELNS1_3repE0EEENS1_30default_config_static_selectorELNS0_4arch9wavefront6targetE1EEEvT1_.num_agpr, 0
	.set _ZN7rocprim17ROCPRIM_400000_NS6detail17trampoline_kernelINS0_14default_configENS1_25partition_config_selectorILNS1_17partition_subalgoE8ExNS0_10empty_typeEbEEZZNS1_14partition_implILS5_8ELb0ES3_jN6thrust23THRUST_200600_302600_NS6detail15normal_iteratorINSA_10device_ptrIxEEEEPS6_PKS6_NS0_5tupleIJNSA_16discard_iteratorINSA_11use_defaultEEES6_EEENSJ_IJSG_SG_EEENS0_18inequality_wrapperINSA_8equal_toIxEEEEPmJS6_EEE10hipError_tPvRmT3_T4_T5_T6_T7_T9_mT8_P12ihipStream_tbDpT10_ENKUlT_T0_E_clISt17integral_constantIbLb1EES1C_IbLb0EEEEDaS18_S19_EUlS18_E_NS1_11comp_targetILNS1_3genE8ELNS1_11target_archE1030ELNS1_3gpuE2ELNS1_3repE0EEENS1_30default_config_static_selectorELNS0_4arch9wavefront6targetE1EEEvT1_.numbered_sgpr, 0
	.set _ZN7rocprim17ROCPRIM_400000_NS6detail17trampoline_kernelINS0_14default_configENS1_25partition_config_selectorILNS1_17partition_subalgoE8ExNS0_10empty_typeEbEEZZNS1_14partition_implILS5_8ELb0ES3_jN6thrust23THRUST_200600_302600_NS6detail15normal_iteratorINSA_10device_ptrIxEEEEPS6_PKS6_NS0_5tupleIJNSA_16discard_iteratorINSA_11use_defaultEEES6_EEENSJ_IJSG_SG_EEENS0_18inequality_wrapperINSA_8equal_toIxEEEEPmJS6_EEE10hipError_tPvRmT3_T4_T5_T6_T7_T9_mT8_P12ihipStream_tbDpT10_ENKUlT_T0_E_clISt17integral_constantIbLb1EES1C_IbLb0EEEEDaS18_S19_EUlS18_E_NS1_11comp_targetILNS1_3genE8ELNS1_11target_archE1030ELNS1_3gpuE2ELNS1_3repE0EEENS1_30default_config_static_selectorELNS0_4arch9wavefront6targetE1EEEvT1_.num_named_barrier, 0
	.set _ZN7rocprim17ROCPRIM_400000_NS6detail17trampoline_kernelINS0_14default_configENS1_25partition_config_selectorILNS1_17partition_subalgoE8ExNS0_10empty_typeEbEEZZNS1_14partition_implILS5_8ELb0ES3_jN6thrust23THRUST_200600_302600_NS6detail15normal_iteratorINSA_10device_ptrIxEEEEPS6_PKS6_NS0_5tupleIJNSA_16discard_iteratorINSA_11use_defaultEEES6_EEENSJ_IJSG_SG_EEENS0_18inequality_wrapperINSA_8equal_toIxEEEEPmJS6_EEE10hipError_tPvRmT3_T4_T5_T6_T7_T9_mT8_P12ihipStream_tbDpT10_ENKUlT_T0_E_clISt17integral_constantIbLb1EES1C_IbLb0EEEEDaS18_S19_EUlS18_E_NS1_11comp_targetILNS1_3genE8ELNS1_11target_archE1030ELNS1_3gpuE2ELNS1_3repE0EEENS1_30default_config_static_selectorELNS0_4arch9wavefront6targetE1EEEvT1_.private_seg_size, 0
	.set _ZN7rocprim17ROCPRIM_400000_NS6detail17trampoline_kernelINS0_14default_configENS1_25partition_config_selectorILNS1_17partition_subalgoE8ExNS0_10empty_typeEbEEZZNS1_14partition_implILS5_8ELb0ES3_jN6thrust23THRUST_200600_302600_NS6detail15normal_iteratorINSA_10device_ptrIxEEEEPS6_PKS6_NS0_5tupleIJNSA_16discard_iteratorINSA_11use_defaultEEES6_EEENSJ_IJSG_SG_EEENS0_18inequality_wrapperINSA_8equal_toIxEEEEPmJS6_EEE10hipError_tPvRmT3_T4_T5_T6_T7_T9_mT8_P12ihipStream_tbDpT10_ENKUlT_T0_E_clISt17integral_constantIbLb1EES1C_IbLb0EEEEDaS18_S19_EUlS18_E_NS1_11comp_targetILNS1_3genE8ELNS1_11target_archE1030ELNS1_3gpuE2ELNS1_3repE0EEENS1_30default_config_static_selectorELNS0_4arch9wavefront6targetE1EEEvT1_.uses_vcc, 0
	.set _ZN7rocprim17ROCPRIM_400000_NS6detail17trampoline_kernelINS0_14default_configENS1_25partition_config_selectorILNS1_17partition_subalgoE8ExNS0_10empty_typeEbEEZZNS1_14partition_implILS5_8ELb0ES3_jN6thrust23THRUST_200600_302600_NS6detail15normal_iteratorINSA_10device_ptrIxEEEEPS6_PKS6_NS0_5tupleIJNSA_16discard_iteratorINSA_11use_defaultEEES6_EEENSJ_IJSG_SG_EEENS0_18inequality_wrapperINSA_8equal_toIxEEEEPmJS6_EEE10hipError_tPvRmT3_T4_T5_T6_T7_T9_mT8_P12ihipStream_tbDpT10_ENKUlT_T0_E_clISt17integral_constantIbLb1EES1C_IbLb0EEEEDaS18_S19_EUlS18_E_NS1_11comp_targetILNS1_3genE8ELNS1_11target_archE1030ELNS1_3gpuE2ELNS1_3repE0EEENS1_30default_config_static_selectorELNS0_4arch9wavefront6targetE1EEEvT1_.uses_flat_scratch, 0
	.set _ZN7rocprim17ROCPRIM_400000_NS6detail17trampoline_kernelINS0_14default_configENS1_25partition_config_selectorILNS1_17partition_subalgoE8ExNS0_10empty_typeEbEEZZNS1_14partition_implILS5_8ELb0ES3_jN6thrust23THRUST_200600_302600_NS6detail15normal_iteratorINSA_10device_ptrIxEEEEPS6_PKS6_NS0_5tupleIJNSA_16discard_iteratorINSA_11use_defaultEEES6_EEENSJ_IJSG_SG_EEENS0_18inequality_wrapperINSA_8equal_toIxEEEEPmJS6_EEE10hipError_tPvRmT3_T4_T5_T6_T7_T9_mT8_P12ihipStream_tbDpT10_ENKUlT_T0_E_clISt17integral_constantIbLb1EES1C_IbLb0EEEEDaS18_S19_EUlS18_E_NS1_11comp_targetILNS1_3genE8ELNS1_11target_archE1030ELNS1_3gpuE2ELNS1_3repE0EEENS1_30default_config_static_selectorELNS0_4arch9wavefront6targetE1EEEvT1_.has_dyn_sized_stack, 0
	.set _ZN7rocprim17ROCPRIM_400000_NS6detail17trampoline_kernelINS0_14default_configENS1_25partition_config_selectorILNS1_17partition_subalgoE8ExNS0_10empty_typeEbEEZZNS1_14partition_implILS5_8ELb0ES3_jN6thrust23THRUST_200600_302600_NS6detail15normal_iteratorINSA_10device_ptrIxEEEEPS6_PKS6_NS0_5tupleIJNSA_16discard_iteratorINSA_11use_defaultEEES6_EEENSJ_IJSG_SG_EEENS0_18inequality_wrapperINSA_8equal_toIxEEEEPmJS6_EEE10hipError_tPvRmT3_T4_T5_T6_T7_T9_mT8_P12ihipStream_tbDpT10_ENKUlT_T0_E_clISt17integral_constantIbLb1EES1C_IbLb0EEEEDaS18_S19_EUlS18_E_NS1_11comp_targetILNS1_3genE8ELNS1_11target_archE1030ELNS1_3gpuE2ELNS1_3repE0EEENS1_30default_config_static_selectorELNS0_4arch9wavefront6targetE1EEEvT1_.has_recursion, 0
	.set _ZN7rocprim17ROCPRIM_400000_NS6detail17trampoline_kernelINS0_14default_configENS1_25partition_config_selectorILNS1_17partition_subalgoE8ExNS0_10empty_typeEbEEZZNS1_14partition_implILS5_8ELb0ES3_jN6thrust23THRUST_200600_302600_NS6detail15normal_iteratorINSA_10device_ptrIxEEEEPS6_PKS6_NS0_5tupleIJNSA_16discard_iteratorINSA_11use_defaultEEES6_EEENSJ_IJSG_SG_EEENS0_18inequality_wrapperINSA_8equal_toIxEEEEPmJS6_EEE10hipError_tPvRmT3_T4_T5_T6_T7_T9_mT8_P12ihipStream_tbDpT10_ENKUlT_T0_E_clISt17integral_constantIbLb1EES1C_IbLb0EEEEDaS18_S19_EUlS18_E_NS1_11comp_targetILNS1_3genE8ELNS1_11target_archE1030ELNS1_3gpuE2ELNS1_3repE0EEENS1_30default_config_static_selectorELNS0_4arch9wavefront6targetE1EEEvT1_.has_indirect_call, 0
	.section	.AMDGPU.csdata,"",@progbits
; Kernel info:
; codeLenInByte = 0
; TotalNumSgprs: 4
; NumVgprs: 0
; ScratchSize: 0
; MemoryBound: 0
; FloatMode: 240
; IeeeMode: 1
; LDSByteSize: 0 bytes/workgroup (compile time only)
; SGPRBlocks: 0
; VGPRBlocks: 0
; NumSGPRsForWavesPerEU: 4
; NumVGPRsForWavesPerEU: 1
; Occupancy: 10
; WaveLimiterHint : 0
; COMPUTE_PGM_RSRC2:SCRATCH_EN: 0
; COMPUTE_PGM_RSRC2:USER_SGPR: 6
; COMPUTE_PGM_RSRC2:TRAP_HANDLER: 0
; COMPUTE_PGM_RSRC2:TGID_X_EN: 1
; COMPUTE_PGM_RSRC2:TGID_Y_EN: 0
; COMPUTE_PGM_RSRC2:TGID_Z_EN: 0
; COMPUTE_PGM_RSRC2:TIDIG_COMP_CNT: 0
	.section	.text._ZN7rocprim17ROCPRIM_400000_NS6detail17trampoline_kernelINS0_14default_configENS1_25partition_config_selectorILNS1_17partition_subalgoE8ExNS0_10empty_typeEbEEZZNS1_14partition_implILS5_8ELb0ES3_jN6thrust23THRUST_200600_302600_NS6detail15normal_iteratorINSA_10device_ptrIxEEEEPS6_PKS6_NS0_5tupleIJNSA_16discard_iteratorINSA_11use_defaultEEES6_EEENSJ_IJSG_SG_EEENS0_18inequality_wrapperINSA_8equal_toIxEEEEPmJS6_EEE10hipError_tPvRmT3_T4_T5_T6_T7_T9_mT8_P12ihipStream_tbDpT10_ENKUlT_T0_E_clISt17integral_constantIbLb0EES1C_IbLb1EEEEDaS18_S19_EUlS18_E_NS1_11comp_targetILNS1_3genE0ELNS1_11target_archE4294967295ELNS1_3gpuE0ELNS1_3repE0EEENS1_30default_config_static_selectorELNS0_4arch9wavefront6targetE1EEEvT1_,"axG",@progbits,_ZN7rocprim17ROCPRIM_400000_NS6detail17trampoline_kernelINS0_14default_configENS1_25partition_config_selectorILNS1_17partition_subalgoE8ExNS0_10empty_typeEbEEZZNS1_14partition_implILS5_8ELb0ES3_jN6thrust23THRUST_200600_302600_NS6detail15normal_iteratorINSA_10device_ptrIxEEEEPS6_PKS6_NS0_5tupleIJNSA_16discard_iteratorINSA_11use_defaultEEES6_EEENSJ_IJSG_SG_EEENS0_18inequality_wrapperINSA_8equal_toIxEEEEPmJS6_EEE10hipError_tPvRmT3_T4_T5_T6_T7_T9_mT8_P12ihipStream_tbDpT10_ENKUlT_T0_E_clISt17integral_constantIbLb0EES1C_IbLb1EEEEDaS18_S19_EUlS18_E_NS1_11comp_targetILNS1_3genE0ELNS1_11target_archE4294967295ELNS1_3gpuE0ELNS1_3repE0EEENS1_30default_config_static_selectorELNS0_4arch9wavefront6targetE1EEEvT1_,comdat
	.protected	_ZN7rocprim17ROCPRIM_400000_NS6detail17trampoline_kernelINS0_14default_configENS1_25partition_config_selectorILNS1_17partition_subalgoE8ExNS0_10empty_typeEbEEZZNS1_14partition_implILS5_8ELb0ES3_jN6thrust23THRUST_200600_302600_NS6detail15normal_iteratorINSA_10device_ptrIxEEEEPS6_PKS6_NS0_5tupleIJNSA_16discard_iteratorINSA_11use_defaultEEES6_EEENSJ_IJSG_SG_EEENS0_18inequality_wrapperINSA_8equal_toIxEEEEPmJS6_EEE10hipError_tPvRmT3_T4_T5_T6_T7_T9_mT8_P12ihipStream_tbDpT10_ENKUlT_T0_E_clISt17integral_constantIbLb0EES1C_IbLb1EEEEDaS18_S19_EUlS18_E_NS1_11comp_targetILNS1_3genE0ELNS1_11target_archE4294967295ELNS1_3gpuE0ELNS1_3repE0EEENS1_30default_config_static_selectorELNS0_4arch9wavefront6targetE1EEEvT1_ ; -- Begin function _ZN7rocprim17ROCPRIM_400000_NS6detail17trampoline_kernelINS0_14default_configENS1_25partition_config_selectorILNS1_17partition_subalgoE8ExNS0_10empty_typeEbEEZZNS1_14partition_implILS5_8ELb0ES3_jN6thrust23THRUST_200600_302600_NS6detail15normal_iteratorINSA_10device_ptrIxEEEEPS6_PKS6_NS0_5tupleIJNSA_16discard_iteratorINSA_11use_defaultEEES6_EEENSJ_IJSG_SG_EEENS0_18inequality_wrapperINSA_8equal_toIxEEEEPmJS6_EEE10hipError_tPvRmT3_T4_T5_T6_T7_T9_mT8_P12ihipStream_tbDpT10_ENKUlT_T0_E_clISt17integral_constantIbLb0EES1C_IbLb1EEEEDaS18_S19_EUlS18_E_NS1_11comp_targetILNS1_3genE0ELNS1_11target_archE4294967295ELNS1_3gpuE0ELNS1_3repE0EEENS1_30default_config_static_selectorELNS0_4arch9wavefront6targetE1EEEvT1_
	.globl	_ZN7rocprim17ROCPRIM_400000_NS6detail17trampoline_kernelINS0_14default_configENS1_25partition_config_selectorILNS1_17partition_subalgoE8ExNS0_10empty_typeEbEEZZNS1_14partition_implILS5_8ELb0ES3_jN6thrust23THRUST_200600_302600_NS6detail15normal_iteratorINSA_10device_ptrIxEEEEPS6_PKS6_NS0_5tupleIJNSA_16discard_iteratorINSA_11use_defaultEEES6_EEENSJ_IJSG_SG_EEENS0_18inequality_wrapperINSA_8equal_toIxEEEEPmJS6_EEE10hipError_tPvRmT3_T4_T5_T6_T7_T9_mT8_P12ihipStream_tbDpT10_ENKUlT_T0_E_clISt17integral_constantIbLb0EES1C_IbLb1EEEEDaS18_S19_EUlS18_E_NS1_11comp_targetILNS1_3genE0ELNS1_11target_archE4294967295ELNS1_3gpuE0ELNS1_3repE0EEENS1_30default_config_static_selectorELNS0_4arch9wavefront6targetE1EEEvT1_
	.p2align	8
	.type	_ZN7rocprim17ROCPRIM_400000_NS6detail17trampoline_kernelINS0_14default_configENS1_25partition_config_selectorILNS1_17partition_subalgoE8ExNS0_10empty_typeEbEEZZNS1_14partition_implILS5_8ELb0ES3_jN6thrust23THRUST_200600_302600_NS6detail15normal_iteratorINSA_10device_ptrIxEEEEPS6_PKS6_NS0_5tupleIJNSA_16discard_iteratorINSA_11use_defaultEEES6_EEENSJ_IJSG_SG_EEENS0_18inequality_wrapperINSA_8equal_toIxEEEEPmJS6_EEE10hipError_tPvRmT3_T4_T5_T6_T7_T9_mT8_P12ihipStream_tbDpT10_ENKUlT_T0_E_clISt17integral_constantIbLb0EES1C_IbLb1EEEEDaS18_S19_EUlS18_E_NS1_11comp_targetILNS1_3genE0ELNS1_11target_archE4294967295ELNS1_3gpuE0ELNS1_3repE0EEENS1_30default_config_static_selectorELNS0_4arch9wavefront6targetE1EEEvT1_,@function
_ZN7rocprim17ROCPRIM_400000_NS6detail17trampoline_kernelINS0_14default_configENS1_25partition_config_selectorILNS1_17partition_subalgoE8ExNS0_10empty_typeEbEEZZNS1_14partition_implILS5_8ELb0ES3_jN6thrust23THRUST_200600_302600_NS6detail15normal_iteratorINSA_10device_ptrIxEEEEPS6_PKS6_NS0_5tupleIJNSA_16discard_iteratorINSA_11use_defaultEEES6_EEENSJ_IJSG_SG_EEENS0_18inequality_wrapperINSA_8equal_toIxEEEEPmJS6_EEE10hipError_tPvRmT3_T4_T5_T6_T7_T9_mT8_P12ihipStream_tbDpT10_ENKUlT_T0_E_clISt17integral_constantIbLb0EES1C_IbLb1EEEEDaS18_S19_EUlS18_E_NS1_11comp_targetILNS1_3genE0ELNS1_11target_archE4294967295ELNS1_3gpuE0ELNS1_3repE0EEENS1_30default_config_static_selectorELNS0_4arch9wavefront6targetE1EEEvT1_: ; @_ZN7rocprim17ROCPRIM_400000_NS6detail17trampoline_kernelINS0_14default_configENS1_25partition_config_selectorILNS1_17partition_subalgoE8ExNS0_10empty_typeEbEEZZNS1_14partition_implILS5_8ELb0ES3_jN6thrust23THRUST_200600_302600_NS6detail15normal_iteratorINSA_10device_ptrIxEEEEPS6_PKS6_NS0_5tupleIJNSA_16discard_iteratorINSA_11use_defaultEEES6_EEENSJ_IJSG_SG_EEENS0_18inequality_wrapperINSA_8equal_toIxEEEEPmJS6_EEE10hipError_tPvRmT3_T4_T5_T6_T7_T9_mT8_P12ihipStream_tbDpT10_ENKUlT_T0_E_clISt17integral_constantIbLb0EES1C_IbLb1EEEEDaS18_S19_EUlS18_E_NS1_11comp_targetILNS1_3genE0ELNS1_11target_archE4294967295ELNS1_3gpuE0ELNS1_3repE0EEENS1_30default_config_static_selectorELNS0_4arch9wavefront6targetE1EEEvT1_
; %bb.0:
	.section	.rodata,"a",@progbits
	.p2align	6, 0x0
	.amdhsa_kernel _ZN7rocprim17ROCPRIM_400000_NS6detail17trampoline_kernelINS0_14default_configENS1_25partition_config_selectorILNS1_17partition_subalgoE8ExNS0_10empty_typeEbEEZZNS1_14partition_implILS5_8ELb0ES3_jN6thrust23THRUST_200600_302600_NS6detail15normal_iteratorINSA_10device_ptrIxEEEEPS6_PKS6_NS0_5tupleIJNSA_16discard_iteratorINSA_11use_defaultEEES6_EEENSJ_IJSG_SG_EEENS0_18inequality_wrapperINSA_8equal_toIxEEEEPmJS6_EEE10hipError_tPvRmT3_T4_T5_T6_T7_T9_mT8_P12ihipStream_tbDpT10_ENKUlT_T0_E_clISt17integral_constantIbLb0EES1C_IbLb1EEEEDaS18_S19_EUlS18_E_NS1_11comp_targetILNS1_3genE0ELNS1_11target_archE4294967295ELNS1_3gpuE0ELNS1_3repE0EEENS1_30default_config_static_selectorELNS0_4arch9wavefront6targetE1EEEvT1_
		.amdhsa_group_segment_fixed_size 0
		.amdhsa_private_segment_fixed_size 0
		.amdhsa_kernarg_size 136
		.amdhsa_user_sgpr_count 6
		.amdhsa_user_sgpr_private_segment_buffer 1
		.amdhsa_user_sgpr_dispatch_ptr 0
		.amdhsa_user_sgpr_queue_ptr 0
		.amdhsa_user_sgpr_kernarg_segment_ptr 1
		.amdhsa_user_sgpr_dispatch_id 0
		.amdhsa_user_sgpr_flat_scratch_init 0
		.amdhsa_user_sgpr_private_segment_size 0
		.amdhsa_uses_dynamic_stack 0
		.amdhsa_system_sgpr_private_segment_wavefront_offset 0
		.amdhsa_system_sgpr_workgroup_id_x 1
		.amdhsa_system_sgpr_workgroup_id_y 0
		.amdhsa_system_sgpr_workgroup_id_z 0
		.amdhsa_system_sgpr_workgroup_info 0
		.amdhsa_system_vgpr_workitem_id 0
		.amdhsa_next_free_vgpr 1
		.amdhsa_next_free_sgpr 0
		.amdhsa_reserve_vcc 0
		.amdhsa_reserve_flat_scratch 0
		.amdhsa_float_round_mode_32 0
		.amdhsa_float_round_mode_16_64 0
		.amdhsa_float_denorm_mode_32 3
		.amdhsa_float_denorm_mode_16_64 3
		.amdhsa_dx10_clamp 1
		.amdhsa_ieee_mode 1
		.amdhsa_fp16_overflow 0
		.amdhsa_exception_fp_ieee_invalid_op 0
		.amdhsa_exception_fp_denorm_src 0
		.amdhsa_exception_fp_ieee_div_zero 0
		.amdhsa_exception_fp_ieee_overflow 0
		.amdhsa_exception_fp_ieee_underflow 0
		.amdhsa_exception_fp_ieee_inexact 0
		.amdhsa_exception_int_div_zero 0
	.end_amdhsa_kernel
	.section	.text._ZN7rocprim17ROCPRIM_400000_NS6detail17trampoline_kernelINS0_14default_configENS1_25partition_config_selectorILNS1_17partition_subalgoE8ExNS0_10empty_typeEbEEZZNS1_14partition_implILS5_8ELb0ES3_jN6thrust23THRUST_200600_302600_NS6detail15normal_iteratorINSA_10device_ptrIxEEEEPS6_PKS6_NS0_5tupleIJNSA_16discard_iteratorINSA_11use_defaultEEES6_EEENSJ_IJSG_SG_EEENS0_18inequality_wrapperINSA_8equal_toIxEEEEPmJS6_EEE10hipError_tPvRmT3_T4_T5_T6_T7_T9_mT8_P12ihipStream_tbDpT10_ENKUlT_T0_E_clISt17integral_constantIbLb0EES1C_IbLb1EEEEDaS18_S19_EUlS18_E_NS1_11comp_targetILNS1_3genE0ELNS1_11target_archE4294967295ELNS1_3gpuE0ELNS1_3repE0EEENS1_30default_config_static_selectorELNS0_4arch9wavefront6targetE1EEEvT1_,"axG",@progbits,_ZN7rocprim17ROCPRIM_400000_NS6detail17trampoline_kernelINS0_14default_configENS1_25partition_config_selectorILNS1_17partition_subalgoE8ExNS0_10empty_typeEbEEZZNS1_14partition_implILS5_8ELb0ES3_jN6thrust23THRUST_200600_302600_NS6detail15normal_iteratorINSA_10device_ptrIxEEEEPS6_PKS6_NS0_5tupleIJNSA_16discard_iteratorINSA_11use_defaultEEES6_EEENSJ_IJSG_SG_EEENS0_18inequality_wrapperINSA_8equal_toIxEEEEPmJS6_EEE10hipError_tPvRmT3_T4_T5_T6_T7_T9_mT8_P12ihipStream_tbDpT10_ENKUlT_T0_E_clISt17integral_constantIbLb0EES1C_IbLb1EEEEDaS18_S19_EUlS18_E_NS1_11comp_targetILNS1_3genE0ELNS1_11target_archE4294967295ELNS1_3gpuE0ELNS1_3repE0EEENS1_30default_config_static_selectorELNS0_4arch9wavefront6targetE1EEEvT1_,comdat
.Lfunc_end653:
	.size	_ZN7rocprim17ROCPRIM_400000_NS6detail17trampoline_kernelINS0_14default_configENS1_25partition_config_selectorILNS1_17partition_subalgoE8ExNS0_10empty_typeEbEEZZNS1_14partition_implILS5_8ELb0ES3_jN6thrust23THRUST_200600_302600_NS6detail15normal_iteratorINSA_10device_ptrIxEEEEPS6_PKS6_NS0_5tupleIJNSA_16discard_iteratorINSA_11use_defaultEEES6_EEENSJ_IJSG_SG_EEENS0_18inequality_wrapperINSA_8equal_toIxEEEEPmJS6_EEE10hipError_tPvRmT3_T4_T5_T6_T7_T9_mT8_P12ihipStream_tbDpT10_ENKUlT_T0_E_clISt17integral_constantIbLb0EES1C_IbLb1EEEEDaS18_S19_EUlS18_E_NS1_11comp_targetILNS1_3genE0ELNS1_11target_archE4294967295ELNS1_3gpuE0ELNS1_3repE0EEENS1_30default_config_static_selectorELNS0_4arch9wavefront6targetE1EEEvT1_, .Lfunc_end653-_ZN7rocprim17ROCPRIM_400000_NS6detail17trampoline_kernelINS0_14default_configENS1_25partition_config_selectorILNS1_17partition_subalgoE8ExNS0_10empty_typeEbEEZZNS1_14partition_implILS5_8ELb0ES3_jN6thrust23THRUST_200600_302600_NS6detail15normal_iteratorINSA_10device_ptrIxEEEEPS6_PKS6_NS0_5tupleIJNSA_16discard_iteratorINSA_11use_defaultEEES6_EEENSJ_IJSG_SG_EEENS0_18inequality_wrapperINSA_8equal_toIxEEEEPmJS6_EEE10hipError_tPvRmT3_T4_T5_T6_T7_T9_mT8_P12ihipStream_tbDpT10_ENKUlT_T0_E_clISt17integral_constantIbLb0EES1C_IbLb1EEEEDaS18_S19_EUlS18_E_NS1_11comp_targetILNS1_3genE0ELNS1_11target_archE4294967295ELNS1_3gpuE0ELNS1_3repE0EEENS1_30default_config_static_selectorELNS0_4arch9wavefront6targetE1EEEvT1_
                                        ; -- End function
	.set _ZN7rocprim17ROCPRIM_400000_NS6detail17trampoline_kernelINS0_14default_configENS1_25partition_config_selectorILNS1_17partition_subalgoE8ExNS0_10empty_typeEbEEZZNS1_14partition_implILS5_8ELb0ES3_jN6thrust23THRUST_200600_302600_NS6detail15normal_iteratorINSA_10device_ptrIxEEEEPS6_PKS6_NS0_5tupleIJNSA_16discard_iteratorINSA_11use_defaultEEES6_EEENSJ_IJSG_SG_EEENS0_18inequality_wrapperINSA_8equal_toIxEEEEPmJS6_EEE10hipError_tPvRmT3_T4_T5_T6_T7_T9_mT8_P12ihipStream_tbDpT10_ENKUlT_T0_E_clISt17integral_constantIbLb0EES1C_IbLb1EEEEDaS18_S19_EUlS18_E_NS1_11comp_targetILNS1_3genE0ELNS1_11target_archE4294967295ELNS1_3gpuE0ELNS1_3repE0EEENS1_30default_config_static_selectorELNS0_4arch9wavefront6targetE1EEEvT1_.num_vgpr, 0
	.set _ZN7rocprim17ROCPRIM_400000_NS6detail17trampoline_kernelINS0_14default_configENS1_25partition_config_selectorILNS1_17partition_subalgoE8ExNS0_10empty_typeEbEEZZNS1_14partition_implILS5_8ELb0ES3_jN6thrust23THRUST_200600_302600_NS6detail15normal_iteratorINSA_10device_ptrIxEEEEPS6_PKS6_NS0_5tupleIJNSA_16discard_iteratorINSA_11use_defaultEEES6_EEENSJ_IJSG_SG_EEENS0_18inequality_wrapperINSA_8equal_toIxEEEEPmJS6_EEE10hipError_tPvRmT3_T4_T5_T6_T7_T9_mT8_P12ihipStream_tbDpT10_ENKUlT_T0_E_clISt17integral_constantIbLb0EES1C_IbLb1EEEEDaS18_S19_EUlS18_E_NS1_11comp_targetILNS1_3genE0ELNS1_11target_archE4294967295ELNS1_3gpuE0ELNS1_3repE0EEENS1_30default_config_static_selectorELNS0_4arch9wavefront6targetE1EEEvT1_.num_agpr, 0
	.set _ZN7rocprim17ROCPRIM_400000_NS6detail17trampoline_kernelINS0_14default_configENS1_25partition_config_selectorILNS1_17partition_subalgoE8ExNS0_10empty_typeEbEEZZNS1_14partition_implILS5_8ELb0ES3_jN6thrust23THRUST_200600_302600_NS6detail15normal_iteratorINSA_10device_ptrIxEEEEPS6_PKS6_NS0_5tupleIJNSA_16discard_iteratorINSA_11use_defaultEEES6_EEENSJ_IJSG_SG_EEENS0_18inequality_wrapperINSA_8equal_toIxEEEEPmJS6_EEE10hipError_tPvRmT3_T4_T5_T6_T7_T9_mT8_P12ihipStream_tbDpT10_ENKUlT_T0_E_clISt17integral_constantIbLb0EES1C_IbLb1EEEEDaS18_S19_EUlS18_E_NS1_11comp_targetILNS1_3genE0ELNS1_11target_archE4294967295ELNS1_3gpuE0ELNS1_3repE0EEENS1_30default_config_static_selectorELNS0_4arch9wavefront6targetE1EEEvT1_.numbered_sgpr, 0
	.set _ZN7rocprim17ROCPRIM_400000_NS6detail17trampoline_kernelINS0_14default_configENS1_25partition_config_selectorILNS1_17partition_subalgoE8ExNS0_10empty_typeEbEEZZNS1_14partition_implILS5_8ELb0ES3_jN6thrust23THRUST_200600_302600_NS6detail15normal_iteratorINSA_10device_ptrIxEEEEPS6_PKS6_NS0_5tupleIJNSA_16discard_iteratorINSA_11use_defaultEEES6_EEENSJ_IJSG_SG_EEENS0_18inequality_wrapperINSA_8equal_toIxEEEEPmJS6_EEE10hipError_tPvRmT3_T4_T5_T6_T7_T9_mT8_P12ihipStream_tbDpT10_ENKUlT_T0_E_clISt17integral_constantIbLb0EES1C_IbLb1EEEEDaS18_S19_EUlS18_E_NS1_11comp_targetILNS1_3genE0ELNS1_11target_archE4294967295ELNS1_3gpuE0ELNS1_3repE0EEENS1_30default_config_static_selectorELNS0_4arch9wavefront6targetE1EEEvT1_.num_named_barrier, 0
	.set _ZN7rocprim17ROCPRIM_400000_NS6detail17trampoline_kernelINS0_14default_configENS1_25partition_config_selectorILNS1_17partition_subalgoE8ExNS0_10empty_typeEbEEZZNS1_14partition_implILS5_8ELb0ES3_jN6thrust23THRUST_200600_302600_NS6detail15normal_iteratorINSA_10device_ptrIxEEEEPS6_PKS6_NS0_5tupleIJNSA_16discard_iteratorINSA_11use_defaultEEES6_EEENSJ_IJSG_SG_EEENS0_18inequality_wrapperINSA_8equal_toIxEEEEPmJS6_EEE10hipError_tPvRmT3_T4_T5_T6_T7_T9_mT8_P12ihipStream_tbDpT10_ENKUlT_T0_E_clISt17integral_constantIbLb0EES1C_IbLb1EEEEDaS18_S19_EUlS18_E_NS1_11comp_targetILNS1_3genE0ELNS1_11target_archE4294967295ELNS1_3gpuE0ELNS1_3repE0EEENS1_30default_config_static_selectorELNS0_4arch9wavefront6targetE1EEEvT1_.private_seg_size, 0
	.set _ZN7rocprim17ROCPRIM_400000_NS6detail17trampoline_kernelINS0_14default_configENS1_25partition_config_selectorILNS1_17partition_subalgoE8ExNS0_10empty_typeEbEEZZNS1_14partition_implILS5_8ELb0ES3_jN6thrust23THRUST_200600_302600_NS6detail15normal_iteratorINSA_10device_ptrIxEEEEPS6_PKS6_NS0_5tupleIJNSA_16discard_iteratorINSA_11use_defaultEEES6_EEENSJ_IJSG_SG_EEENS0_18inequality_wrapperINSA_8equal_toIxEEEEPmJS6_EEE10hipError_tPvRmT3_T4_T5_T6_T7_T9_mT8_P12ihipStream_tbDpT10_ENKUlT_T0_E_clISt17integral_constantIbLb0EES1C_IbLb1EEEEDaS18_S19_EUlS18_E_NS1_11comp_targetILNS1_3genE0ELNS1_11target_archE4294967295ELNS1_3gpuE0ELNS1_3repE0EEENS1_30default_config_static_selectorELNS0_4arch9wavefront6targetE1EEEvT1_.uses_vcc, 0
	.set _ZN7rocprim17ROCPRIM_400000_NS6detail17trampoline_kernelINS0_14default_configENS1_25partition_config_selectorILNS1_17partition_subalgoE8ExNS0_10empty_typeEbEEZZNS1_14partition_implILS5_8ELb0ES3_jN6thrust23THRUST_200600_302600_NS6detail15normal_iteratorINSA_10device_ptrIxEEEEPS6_PKS6_NS0_5tupleIJNSA_16discard_iteratorINSA_11use_defaultEEES6_EEENSJ_IJSG_SG_EEENS0_18inequality_wrapperINSA_8equal_toIxEEEEPmJS6_EEE10hipError_tPvRmT3_T4_T5_T6_T7_T9_mT8_P12ihipStream_tbDpT10_ENKUlT_T0_E_clISt17integral_constantIbLb0EES1C_IbLb1EEEEDaS18_S19_EUlS18_E_NS1_11comp_targetILNS1_3genE0ELNS1_11target_archE4294967295ELNS1_3gpuE0ELNS1_3repE0EEENS1_30default_config_static_selectorELNS0_4arch9wavefront6targetE1EEEvT1_.uses_flat_scratch, 0
	.set _ZN7rocprim17ROCPRIM_400000_NS6detail17trampoline_kernelINS0_14default_configENS1_25partition_config_selectorILNS1_17partition_subalgoE8ExNS0_10empty_typeEbEEZZNS1_14partition_implILS5_8ELb0ES3_jN6thrust23THRUST_200600_302600_NS6detail15normal_iteratorINSA_10device_ptrIxEEEEPS6_PKS6_NS0_5tupleIJNSA_16discard_iteratorINSA_11use_defaultEEES6_EEENSJ_IJSG_SG_EEENS0_18inequality_wrapperINSA_8equal_toIxEEEEPmJS6_EEE10hipError_tPvRmT3_T4_T5_T6_T7_T9_mT8_P12ihipStream_tbDpT10_ENKUlT_T0_E_clISt17integral_constantIbLb0EES1C_IbLb1EEEEDaS18_S19_EUlS18_E_NS1_11comp_targetILNS1_3genE0ELNS1_11target_archE4294967295ELNS1_3gpuE0ELNS1_3repE0EEENS1_30default_config_static_selectorELNS0_4arch9wavefront6targetE1EEEvT1_.has_dyn_sized_stack, 0
	.set _ZN7rocprim17ROCPRIM_400000_NS6detail17trampoline_kernelINS0_14default_configENS1_25partition_config_selectorILNS1_17partition_subalgoE8ExNS0_10empty_typeEbEEZZNS1_14partition_implILS5_8ELb0ES3_jN6thrust23THRUST_200600_302600_NS6detail15normal_iteratorINSA_10device_ptrIxEEEEPS6_PKS6_NS0_5tupleIJNSA_16discard_iteratorINSA_11use_defaultEEES6_EEENSJ_IJSG_SG_EEENS0_18inequality_wrapperINSA_8equal_toIxEEEEPmJS6_EEE10hipError_tPvRmT3_T4_T5_T6_T7_T9_mT8_P12ihipStream_tbDpT10_ENKUlT_T0_E_clISt17integral_constantIbLb0EES1C_IbLb1EEEEDaS18_S19_EUlS18_E_NS1_11comp_targetILNS1_3genE0ELNS1_11target_archE4294967295ELNS1_3gpuE0ELNS1_3repE0EEENS1_30default_config_static_selectorELNS0_4arch9wavefront6targetE1EEEvT1_.has_recursion, 0
	.set _ZN7rocprim17ROCPRIM_400000_NS6detail17trampoline_kernelINS0_14default_configENS1_25partition_config_selectorILNS1_17partition_subalgoE8ExNS0_10empty_typeEbEEZZNS1_14partition_implILS5_8ELb0ES3_jN6thrust23THRUST_200600_302600_NS6detail15normal_iteratorINSA_10device_ptrIxEEEEPS6_PKS6_NS0_5tupleIJNSA_16discard_iteratorINSA_11use_defaultEEES6_EEENSJ_IJSG_SG_EEENS0_18inequality_wrapperINSA_8equal_toIxEEEEPmJS6_EEE10hipError_tPvRmT3_T4_T5_T6_T7_T9_mT8_P12ihipStream_tbDpT10_ENKUlT_T0_E_clISt17integral_constantIbLb0EES1C_IbLb1EEEEDaS18_S19_EUlS18_E_NS1_11comp_targetILNS1_3genE0ELNS1_11target_archE4294967295ELNS1_3gpuE0ELNS1_3repE0EEENS1_30default_config_static_selectorELNS0_4arch9wavefront6targetE1EEEvT1_.has_indirect_call, 0
	.section	.AMDGPU.csdata,"",@progbits
; Kernel info:
; codeLenInByte = 0
; TotalNumSgprs: 4
; NumVgprs: 0
; ScratchSize: 0
; MemoryBound: 0
; FloatMode: 240
; IeeeMode: 1
; LDSByteSize: 0 bytes/workgroup (compile time only)
; SGPRBlocks: 0
; VGPRBlocks: 0
; NumSGPRsForWavesPerEU: 4
; NumVGPRsForWavesPerEU: 1
; Occupancy: 10
; WaveLimiterHint : 0
; COMPUTE_PGM_RSRC2:SCRATCH_EN: 0
; COMPUTE_PGM_RSRC2:USER_SGPR: 6
; COMPUTE_PGM_RSRC2:TRAP_HANDLER: 0
; COMPUTE_PGM_RSRC2:TGID_X_EN: 1
; COMPUTE_PGM_RSRC2:TGID_Y_EN: 0
; COMPUTE_PGM_RSRC2:TGID_Z_EN: 0
; COMPUTE_PGM_RSRC2:TIDIG_COMP_CNT: 0
	.section	.text._ZN7rocprim17ROCPRIM_400000_NS6detail17trampoline_kernelINS0_14default_configENS1_25partition_config_selectorILNS1_17partition_subalgoE8ExNS0_10empty_typeEbEEZZNS1_14partition_implILS5_8ELb0ES3_jN6thrust23THRUST_200600_302600_NS6detail15normal_iteratorINSA_10device_ptrIxEEEEPS6_PKS6_NS0_5tupleIJNSA_16discard_iteratorINSA_11use_defaultEEES6_EEENSJ_IJSG_SG_EEENS0_18inequality_wrapperINSA_8equal_toIxEEEEPmJS6_EEE10hipError_tPvRmT3_T4_T5_T6_T7_T9_mT8_P12ihipStream_tbDpT10_ENKUlT_T0_E_clISt17integral_constantIbLb0EES1C_IbLb1EEEEDaS18_S19_EUlS18_E_NS1_11comp_targetILNS1_3genE5ELNS1_11target_archE942ELNS1_3gpuE9ELNS1_3repE0EEENS1_30default_config_static_selectorELNS0_4arch9wavefront6targetE1EEEvT1_,"axG",@progbits,_ZN7rocprim17ROCPRIM_400000_NS6detail17trampoline_kernelINS0_14default_configENS1_25partition_config_selectorILNS1_17partition_subalgoE8ExNS0_10empty_typeEbEEZZNS1_14partition_implILS5_8ELb0ES3_jN6thrust23THRUST_200600_302600_NS6detail15normal_iteratorINSA_10device_ptrIxEEEEPS6_PKS6_NS0_5tupleIJNSA_16discard_iteratorINSA_11use_defaultEEES6_EEENSJ_IJSG_SG_EEENS0_18inequality_wrapperINSA_8equal_toIxEEEEPmJS6_EEE10hipError_tPvRmT3_T4_T5_T6_T7_T9_mT8_P12ihipStream_tbDpT10_ENKUlT_T0_E_clISt17integral_constantIbLb0EES1C_IbLb1EEEEDaS18_S19_EUlS18_E_NS1_11comp_targetILNS1_3genE5ELNS1_11target_archE942ELNS1_3gpuE9ELNS1_3repE0EEENS1_30default_config_static_selectorELNS0_4arch9wavefront6targetE1EEEvT1_,comdat
	.protected	_ZN7rocprim17ROCPRIM_400000_NS6detail17trampoline_kernelINS0_14default_configENS1_25partition_config_selectorILNS1_17partition_subalgoE8ExNS0_10empty_typeEbEEZZNS1_14partition_implILS5_8ELb0ES3_jN6thrust23THRUST_200600_302600_NS6detail15normal_iteratorINSA_10device_ptrIxEEEEPS6_PKS6_NS0_5tupleIJNSA_16discard_iteratorINSA_11use_defaultEEES6_EEENSJ_IJSG_SG_EEENS0_18inequality_wrapperINSA_8equal_toIxEEEEPmJS6_EEE10hipError_tPvRmT3_T4_T5_T6_T7_T9_mT8_P12ihipStream_tbDpT10_ENKUlT_T0_E_clISt17integral_constantIbLb0EES1C_IbLb1EEEEDaS18_S19_EUlS18_E_NS1_11comp_targetILNS1_3genE5ELNS1_11target_archE942ELNS1_3gpuE9ELNS1_3repE0EEENS1_30default_config_static_selectorELNS0_4arch9wavefront6targetE1EEEvT1_ ; -- Begin function _ZN7rocprim17ROCPRIM_400000_NS6detail17trampoline_kernelINS0_14default_configENS1_25partition_config_selectorILNS1_17partition_subalgoE8ExNS0_10empty_typeEbEEZZNS1_14partition_implILS5_8ELb0ES3_jN6thrust23THRUST_200600_302600_NS6detail15normal_iteratorINSA_10device_ptrIxEEEEPS6_PKS6_NS0_5tupleIJNSA_16discard_iteratorINSA_11use_defaultEEES6_EEENSJ_IJSG_SG_EEENS0_18inequality_wrapperINSA_8equal_toIxEEEEPmJS6_EEE10hipError_tPvRmT3_T4_T5_T6_T7_T9_mT8_P12ihipStream_tbDpT10_ENKUlT_T0_E_clISt17integral_constantIbLb0EES1C_IbLb1EEEEDaS18_S19_EUlS18_E_NS1_11comp_targetILNS1_3genE5ELNS1_11target_archE942ELNS1_3gpuE9ELNS1_3repE0EEENS1_30default_config_static_selectorELNS0_4arch9wavefront6targetE1EEEvT1_
	.globl	_ZN7rocprim17ROCPRIM_400000_NS6detail17trampoline_kernelINS0_14default_configENS1_25partition_config_selectorILNS1_17partition_subalgoE8ExNS0_10empty_typeEbEEZZNS1_14partition_implILS5_8ELb0ES3_jN6thrust23THRUST_200600_302600_NS6detail15normal_iteratorINSA_10device_ptrIxEEEEPS6_PKS6_NS0_5tupleIJNSA_16discard_iteratorINSA_11use_defaultEEES6_EEENSJ_IJSG_SG_EEENS0_18inequality_wrapperINSA_8equal_toIxEEEEPmJS6_EEE10hipError_tPvRmT3_T4_T5_T6_T7_T9_mT8_P12ihipStream_tbDpT10_ENKUlT_T0_E_clISt17integral_constantIbLb0EES1C_IbLb1EEEEDaS18_S19_EUlS18_E_NS1_11comp_targetILNS1_3genE5ELNS1_11target_archE942ELNS1_3gpuE9ELNS1_3repE0EEENS1_30default_config_static_selectorELNS0_4arch9wavefront6targetE1EEEvT1_
	.p2align	8
	.type	_ZN7rocprim17ROCPRIM_400000_NS6detail17trampoline_kernelINS0_14default_configENS1_25partition_config_selectorILNS1_17partition_subalgoE8ExNS0_10empty_typeEbEEZZNS1_14partition_implILS5_8ELb0ES3_jN6thrust23THRUST_200600_302600_NS6detail15normal_iteratorINSA_10device_ptrIxEEEEPS6_PKS6_NS0_5tupleIJNSA_16discard_iteratorINSA_11use_defaultEEES6_EEENSJ_IJSG_SG_EEENS0_18inequality_wrapperINSA_8equal_toIxEEEEPmJS6_EEE10hipError_tPvRmT3_T4_T5_T6_T7_T9_mT8_P12ihipStream_tbDpT10_ENKUlT_T0_E_clISt17integral_constantIbLb0EES1C_IbLb1EEEEDaS18_S19_EUlS18_E_NS1_11comp_targetILNS1_3genE5ELNS1_11target_archE942ELNS1_3gpuE9ELNS1_3repE0EEENS1_30default_config_static_selectorELNS0_4arch9wavefront6targetE1EEEvT1_,@function
_ZN7rocprim17ROCPRIM_400000_NS6detail17trampoline_kernelINS0_14default_configENS1_25partition_config_selectorILNS1_17partition_subalgoE8ExNS0_10empty_typeEbEEZZNS1_14partition_implILS5_8ELb0ES3_jN6thrust23THRUST_200600_302600_NS6detail15normal_iteratorINSA_10device_ptrIxEEEEPS6_PKS6_NS0_5tupleIJNSA_16discard_iteratorINSA_11use_defaultEEES6_EEENSJ_IJSG_SG_EEENS0_18inequality_wrapperINSA_8equal_toIxEEEEPmJS6_EEE10hipError_tPvRmT3_T4_T5_T6_T7_T9_mT8_P12ihipStream_tbDpT10_ENKUlT_T0_E_clISt17integral_constantIbLb0EES1C_IbLb1EEEEDaS18_S19_EUlS18_E_NS1_11comp_targetILNS1_3genE5ELNS1_11target_archE942ELNS1_3gpuE9ELNS1_3repE0EEENS1_30default_config_static_selectorELNS0_4arch9wavefront6targetE1EEEvT1_: ; @_ZN7rocprim17ROCPRIM_400000_NS6detail17trampoline_kernelINS0_14default_configENS1_25partition_config_selectorILNS1_17partition_subalgoE8ExNS0_10empty_typeEbEEZZNS1_14partition_implILS5_8ELb0ES3_jN6thrust23THRUST_200600_302600_NS6detail15normal_iteratorINSA_10device_ptrIxEEEEPS6_PKS6_NS0_5tupleIJNSA_16discard_iteratorINSA_11use_defaultEEES6_EEENSJ_IJSG_SG_EEENS0_18inequality_wrapperINSA_8equal_toIxEEEEPmJS6_EEE10hipError_tPvRmT3_T4_T5_T6_T7_T9_mT8_P12ihipStream_tbDpT10_ENKUlT_T0_E_clISt17integral_constantIbLb0EES1C_IbLb1EEEEDaS18_S19_EUlS18_E_NS1_11comp_targetILNS1_3genE5ELNS1_11target_archE942ELNS1_3gpuE9ELNS1_3repE0EEENS1_30default_config_static_selectorELNS0_4arch9wavefront6targetE1EEEvT1_
; %bb.0:
	.section	.rodata,"a",@progbits
	.p2align	6, 0x0
	.amdhsa_kernel _ZN7rocprim17ROCPRIM_400000_NS6detail17trampoline_kernelINS0_14default_configENS1_25partition_config_selectorILNS1_17partition_subalgoE8ExNS0_10empty_typeEbEEZZNS1_14partition_implILS5_8ELb0ES3_jN6thrust23THRUST_200600_302600_NS6detail15normal_iteratorINSA_10device_ptrIxEEEEPS6_PKS6_NS0_5tupleIJNSA_16discard_iteratorINSA_11use_defaultEEES6_EEENSJ_IJSG_SG_EEENS0_18inequality_wrapperINSA_8equal_toIxEEEEPmJS6_EEE10hipError_tPvRmT3_T4_T5_T6_T7_T9_mT8_P12ihipStream_tbDpT10_ENKUlT_T0_E_clISt17integral_constantIbLb0EES1C_IbLb1EEEEDaS18_S19_EUlS18_E_NS1_11comp_targetILNS1_3genE5ELNS1_11target_archE942ELNS1_3gpuE9ELNS1_3repE0EEENS1_30default_config_static_selectorELNS0_4arch9wavefront6targetE1EEEvT1_
		.amdhsa_group_segment_fixed_size 0
		.amdhsa_private_segment_fixed_size 0
		.amdhsa_kernarg_size 136
		.amdhsa_user_sgpr_count 6
		.amdhsa_user_sgpr_private_segment_buffer 1
		.amdhsa_user_sgpr_dispatch_ptr 0
		.amdhsa_user_sgpr_queue_ptr 0
		.amdhsa_user_sgpr_kernarg_segment_ptr 1
		.amdhsa_user_sgpr_dispatch_id 0
		.amdhsa_user_sgpr_flat_scratch_init 0
		.amdhsa_user_sgpr_private_segment_size 0
		.amdhsa_uses_dynamic_stack 0
		.amdhsa_system_sgpr_private_segment_wavefront_offset 0
		.amdhsa_system_sgpr_workgroup_id_x 1
		.amdhsa_system_sgpr_workgroup_id_y 0
		.amdhsa_system_sgpr_workgroup_id_z 0
		.amdhsa_system_sgpr_workgroup_info 0
		.amdhsa_system_vgpr_workitem_id 0
		.amdhsa_next_free_vgpr 1
		.amdhsa_next_free_sgpr 0
		.amdhsa_reserve_vcc 0
		.amdhsa_reserve_flat_scratch 0
		.amdhsa_float_round_mode_32 0
		.amdhsa_float_round_mode_16_64 0
		.amdhsa_float_denorm_mode_32 3
		.amdhsa_float_denorm_mode_16_64 3
		.amdhsa_dx10_clamp 1
		.amdhsa_ieee_mode 1
		.amdhsa_fp16_overflow 0
		.amdhsa_exception_fp_ieee_invalid_op 0
		.amdhsa_exception_fp_denorm_src 0
		.amdhsa_exception_fp_ieee_div_zero 0
		.amdhsa_exception_fp_ieee_overflow 0
		.amdhsa_exception_fp_ieee_underflow 0
		.amdhsa_exception_fp_ieee_inexact 0
		.amdhsa_exception_int_div_zero 0
	.end_amdhsa_kernel
	.section	.text._ZN7rocprim17ROCPRIM_400000_NS6detail17trampoline_kernelINS0_14default_configENS1_25partition_config_selectorILNS1_17partition_subalgoE8ExNS0_10empty_typeEbEEZZNS1_14partition_implILS5_8ELb0ES3_jN6thrust23THRUST_200600_302600_NS6detail15normal_iteratorINSA_10device_ptrIxEEEEPS6_PKS6_NS0_5tupleIJNSA_16discard_iteratorINSA_11use_defaultEEES6_EEENSJ_IJSG_SG_EEENS0_18inequality_wrapperINSA_8equal_toIxEEEEPmJS6_EEE10hipError_tPvRmT3_T4_T5_T6_T7_T9_mT8_P12ihipStream_tbDpT10_ENKUlT_T0_E_clISt17integral_constantIbLb0EES1C_IbLb1EEEEDaS18_S19_EUlS18_E_NS1_11comp_targetILNS1_3genE5ELNS1_11target_archE942ELNS1_3gpuE9ELNS1_3repE0EEENS1_30default_config_static_selectorELNS0_4arch9wavefront6targetE1EEEvT1_,"axG",@progbits,_ZN7rocprim17ROCPRIM_400000_NS6detail17trampoline_kernelINS0_14default_configENS1_25partition_config_selectorILNS1_17partition_subalgoE8ExNS0_10empty_typeEbEEZZNS1_14partition_implILS5_8ELb0ES3_jN6thrust23THRUST_200600_302600_NS6detail15normal_iteratorINSA_10device_ptrIxEEEEPS6_PKS6_NS0_5tupleIJNSA_16discard_iteratorINSA_11use_defaultEEES6_EEENSJ_IJSG_SG_EEENS0_18inequality_wrapperINSA_8equal_toIxEEEEPmJS6_EEE10hipError_tPvRmT3_T4_T5_T6_T7_T9_mT8_P12ihipStream_tbDpT10_ENKUlT_T0_E_clISt17integral_constantIbLb0EES1C_IbLb1EEEEDaS18_S19_EUlS18_E_NS1_11comp_targetILNS1_3genE5ELNS1_11target_archE942ELNS1_3gpuE9ELNS1_3repE0EEENS1_30default_config_static_selectorELNS0_4arch9wavefront6targetE1EEEvT1_,comdat
.Lfunc_end654:
	.size	_ZN7rocprim17ROCPRIM_400000_NS6detail17trampoline_kernelINS0_14default_configENS1_25partition_config_selectorILNS1_17partition_subalgoE8ExNS0_10empty_typeEbEEZZNS1_14partition_implILS5_8ELb0ES3_jN6thrust23THRUST_200600_302600_NS6detail15normal_iteratorINSA_10device_ptrIxEEEEPS6_PKS6_NS0_5tupleIJNSA_16discard_iteratorINSA_11use_defaultEEES6_EEENSJ_IJSG_SG_EEENS0_18inequality_wrapperINSA_8equal_toIxEEEEPmJS6_EEE10hipError_tPvRmT3_T4_T5_T6_T7_T9_mT8_P12ihipStream_tbDpT10_ENKUlT_T0_E_clISt17integral_constantIbLb0EES1C_IbLb1EEEEDaS18_S19_EUlS18_E_NS1_11comp_targetILNS1_3genE5ELNS1_11target_archE942ELNS1_3gpuE9ELNS1_3repE0EEENS1_30default_config_static_selectorELNS0_4arch9wavefront6targetE1EEEvT1_, .Lfunc_end654-_ZN7rocprim17ROCPRIM_400000_NS6detail17trampoline_kernelINS0_14default_configENS1_25partition_config_selectorILNS1_17partition_subalgoE8ExNS0_10empty_typeEbEEZZNS1_14partition_implILS5_8ELb0ES3_jN6thrust23THRUST_200600_302600_NS6detail15normal_iteratorINSA_10device_ptrIxEEEEPS6_PKS6_NS0_5tupleIJNSA_16discard_iteratorINSA_11use_defaultEEES6_EEENSJ_IJSG_SG_EEENS0_18inequality_wrapperINSA_8equal_toIxEEEEPmJS6_EEE10hipError_tPvRmT3_T4_T5_T6_T7_T9_mT8_P12ihipStream_tbDpT10_ENKUlT_T0_E_clISt17integral_constantIbLb0EES1C_IbLb1EEEEDaS18_S19_EUlS18_E_NS1_11comp_targetILNS1_3genE5ELNS1_11target_archE942ELNS1_3gpuE9ELNS1_3repE0EEENS1_30default_config_static_selectorELNS0_4arch9wavefront6targetE1EEEvT1_
                                        ; -- End function
	.set _ZN7rocprim17ROCPRIM_400000_NS6detail17trampoline_kernelINS0_14default_configENS1_25partition_config_selectorILNS1_17partition_subalgoE8ExNS0_10empty_typeEbEEZZNS1_14partition_implILS5_8ELb0ES3_jN6thrust23THRUST_200600_302600_NS6detail15normal_iteratorINSA_10device_ptrIxEEEEPS6_PKS6_NS0_5tupleIJNSA_16discard_iteratorINSA_11use_defaultEEES6_EEENSJ_IJSG_SG_EEENS0_18inequality_wrapperINSA_8equal_toIxEEEEPmJS6_EEE10hipError_tPvRmT3_T4_T5_T6_T7_T9_mT8_P12ihipStream_tbDpT10_ENKUlT_T0_E_clISt17integral_constantIbLb0EES1C_IbLb1EEEEDaS18_S19_EUlS18_E_NS1_11comp_targetILNS1_3genE5ELNS1_11target_archE942ELNS1_3gpuE9ELNS1_3repE0EEENS1_30default_config_static_selectorELNS0_4arch9wavefront6targetE1EEEvT1_.num_vgpr, 0
	.set _ZN7rocprim17ROCPRIM_400000_NS6detail17trampoline_kernelINS0_14default_configENS1_25partition_config_selectorILNS1_17partition_subalgoE8ExNS0_10empty_typeEbEEZZNS1_14partition_implILS5_8ELb0ES3_jN6thrust23THRUST_200600_302600_NS6detail15normal_iteratorINSA_10device_ptrIxEEEEPS6_PKS6_NS0_5tupleIJNSA_16discard_iteratorINSA_11use_defaultEEES6_EEENSJ_IJSG_SG_EEENS0_18inequality_wrapperINSA_8equal_toIxEEEEPmJS6_EEE10hipError_tPvRmT3_T4_T5_T6_T7_T9_mT8_P12ihipStream_tbDpT10_ENKUlT_T0_E_clISt17integral_constantIbLb0EES1C_IbLb1EEEEDaS18_S19_EUlS18_E_NS1_11comp_targetILNS1_3genE5ELNS1_11target_archE942ELNS1_3gpuE9ELNS1_3repE0EEENS1_30default_config_static_selectorELNS0_4arch9wavefront6targetE1EEEvT1_.num_agpr, 0
	.set _ZN7rocprim17ROCPRIM_400000_NS6detail17trampoline_kernelINS0_14default_configENS1_25partition_config_selectorILNS1_17partition_subalgoE8ExNS0_10empty_typeEbEEZZNS1_14partition_implILS5_8ELb0ES3_jN6thrust23THRUST_200600_302600_NS6detail15normal_iteratorINSA_10device_ptrIxEEEEPS6_PKS6_NS0_5tupleIJNSA_16discard_iteratorINSA_11use_defaultEEES6_EEENSJ_IJSG_SG_EEENS0_18inequality_wrapperINSA_8equal_toIxEEEEPmJS6_EEE10hipError_tPvRmT3_T4_T5_T6_T7_T9_mT8_P12ihipStream_tbDpT10_ENKUlT_T0_E_clISt17integral_constantIbLb0EES1C_IbLb1EEEEDaS18_S19_EUlS18_E_NS1_11comp_targetILNS1_3genE5ELNS1_11target_archE942ELNS1_3gpuE9ELNS1_3repE0EEENS1_30default_config_static_selectorELNS0_4arch9wavefront6targetE1EEEvT1_.numbered_sgpr, 0
	.set _ZN7rocprim17ROCPRIM_400000_NS6detail17trampoline_kernelINS0_14default_configENS1_25partition_config_selectorILNS1_17partition_subalgoE8ExNS0_10empty_typeEbEEZZNS1_14partition_implILS5_8ELb0ES3_jN6thrust23THRUST_200600_302600_NS6detail15normal_iteratorINSA_10device_ptrIxEEEEPS6_PKS6_NS0_5tupleIJNSA_16discard_iteratorINSA_11use_defaultEEES6_EEENSJ_IJSG_SG_EEENS0_18inequality_wrapperINSA_8equal_toIxEEEEPmJS6_EEE10hipError_tPvRmT3_T4_T5_T6_T7_T9_mT8_P12ihipStream_tbDpT10_ENKUlT_T0_E_clISt17integral_constantIbLb0EES1C_IbLb1EEEEDaS18_S19_EUlS18_E_NS1_11comp_targetILNS1_3genE5ELNS1_11target_archE942ELNS1_3gpuE9ELNS1_3repE0EEENS1_30default_config_static_selectorELNS0_4arch9wavefront6targetE1EEEvT1_.num_named_barrier, 0
	.set _ZN7rocprim17ROCPRIM_400000_NS6detail17trampoline_kernelINS0_14default_configENS1_25partition_config_selectorILNS1_17partition_subalgoE8ExNS0_10empty_typeEbEEZZNS1_14partition_implILS5_8ELb0ES3_jN6thrust23THRUST_200600_302600_NS6detail15normal_iteratorINSA_10device_ptrIxEEEEPS6_PKS6_NS0_5tupleIJNSA_16discard_iteratorINSA_11use_defaultEEES6_EEENSJ_IJSG_SG_EEENS0_18inequality_wrapperINSA_8equal_toIxEEEEPmJS6_EEE10hipError_tPvRmT3_T4_T5_T6_T7_T9_mT8_P12ihipStream_tbDpT10_ENKUlT_T0_E_clISt17integral_constantIbLb0EES1C_IbLb1EEEEDaS18_S19_EUlS18_E_NS1_11comp_targetILNS1_3genE5ELNS1_11target_archE942ELNS1_3gpuE9ELNS1_3repE0EEENS1_30default_config_static_selectorELNS0_4arch9wavefront6targetE1EEEvT1_.private_seg_size, 0
	.set _ZN7rocprim17ROCPRIM_400000_NS6detail17trampoline_kernelINS0_14default_configENS1_25partition_config_selectorILNS1_17partition_subalgoE8ExNS0_10empty_typeEbEEZZNS1_14partition_implILS5_8ELb0ES3_jN6thrust23THRUST_200600_302600_NS6detail15normal_iteratorINSA_10device_ptrIxEEEEPS6_PKS6_NS0_5tupleIJNSA_16discard_iteratorINSA_11use_defaultEEES6_EEENSJ_IJSG_SG_EEENS0_18inequality_wrapperINSA_8equal_toIxEEEEPmJS6_EEE10hipError_tPvRmT3_T4_T5_T6_T7_T9_mT8_P12ihipStream_tbDpT10_ENKUlT_T0_E_clISt17integral_constantIbLb0EES1C_IbLb1EEEEDaS18_S19_EUlS18_E_NS1_11comp_targetILNS1_3genE5ELNS1_11target_archE942ELNS1_3gpuE9ELNS1_3repE0EEENS1_30default_config_static_selectorELNS0_4arch9wavefront6targetE1EEEvT1_.uses_vcc, 0
	.set _ZN7rocprim17ROCPRIM_400000_NS6detail17trampoline_kernelINS0_14default_configENS1_25partition_config_selectorILNS1_17partition_subalgoE8ExNS0_10empty_typeEbEEZZNS1_14partition_implILS5_8ELb0ES3_jN6thrust23THRUST_200600_302600_NS6detail15normal_iteratorINSA_10device_ptrIxEEEEPS6_PKS6_NS0_5tupleIJNSA_16discard_iteratorINSA_11use_defaultEEES6_EEENSJ_IJSG_SG_EEENS0_18inequality_wrapperINSA_8equal_toIxEEEEPmJS6_EEE10hipError_tPvRmT3_T4_T5_T6_T7_T9_mT8_P12ihipStream_tbDpT10_ENKUlT_T0_E_clISt17integral_constantIbLb0EES1C_IbLb1EEEEDaS18_S19_EUlS18_E_NS1_11comp_targetILNS1_3genE5ELNS1_11target_archE942ELNS1_3gpuE9ELNS1_3repE0EEENS1_30default_config_static_selectorELNS0_4arch9wavefront6targetE1EEEvT1_.uses_flat_scratch, 0
	.set _ZN7rocprim17ROCPRIM_400000_NS6detail17trampoline_kernelINS0_14default_configENS1_25partition_config_selectorILNS1_17partition_subalgoE8ExNS0_10empty_typeEbEEZZNS1_14partition_implILS5_8ELb0ES3_jN6thrust23THRUST_200600_302600_NS6detail15normal_iteratorINSA_10device_ptrIxEEEEPS6_PKS6_NS0_5tupleIJNSA_16discard_iteratorINSA_11use_defaultEEES6_EEENSJ_IJSG_SG_EEENS0_18inequality_wrapperINSA_8equal_toIxEEEEPmJS6_EEE10hipError_tPvRmT3_T4_T5_T6_T7_T9_mT8_P12ihipStream_tbDpT10_ENKUlT_T0_E_clISt17integral_constantIbLb0EES1C_IbLb1EEEEDaS18_S19_EUlS18_E_NS1_11comp_targetILNS1_3genE5ELNS1_11target_archE942ELNS1_3gpuE9ELNS1_3repE0EEENS1_30default_config_static_selectorELNS0_4arch9wavefront6targetE1EEEvT1_.has_dyn_sized_stack, 0
	.set _ZN7rocprim17ROCPRIM_400000_NS6detail17trampoline_kernelINS0_14default_configENS1_25partition_config_selectorILNS1_17partition_subalgoE8ExNS0_10empty_typeEbEEZZNS1_14partition_implILS5_8ELb0ES3_jN6thrust23THRUST_200600_302600_NS6detail15normal_iteratorINSA_10device_ptrIxEEEEPS6_PKS6_NS0_5tupleIJNSA_16discard_iteratorINSA_11use_defaultEEES6_EEENSJ_IJSG_SG_EEENS0_18inequality_wrapperINSA_8equal_toIxEEEEPmJS6_EEE10hipError_tPvRmT3_T4_T5_T6_T7_T9_mT8_P12ihipStream_tbDpT10_ENKUlT_T0_E_clISt17integral_constantIbLb0EES1C_IbLb1EEEEDaS18_S19_EUlS18_E_NS1_11comp_targetILNS1_3genE5ELNS1_11target_archE942ELNS1_3gpuE9ELNS1_3repE0EEENS1_30default_config_static_selectorELNS0_4arch9wavefront6targetE1EEEvT1_.has_recursion, 0
	.set _ZN7rocprim17ROCPRIM_400000_NS6detail17trampoline_kernelINS0_14default_configENS1_25partition_config_selectorILNS1_17partition_subalgoE8ExNS0_10empty_typeEbEEZZNS1_14partition_implILS5_8ELb0ES3_jN6thrust23THRUST_200600_302600_NS6detail15normal_iteratorINSA_10device_ptrIxEEEEPS6_PKS6_NS0_5tupleIJNSA_16discard_iteratorINSA_11use_defaultEEES6_EEENSJ_IJSG_SG_EEENS0_18inequality_wrapperINSA_8equal_toIxEEEEPmJS6_EEE10hipError_tPvRmT3_T4_T5_T6_T7_T9_mT8_P12ihipStream_tbDpT10_ENKUlT_T0_E_clISt17integral_constantIbLb0EES1C_IbLb1EEEEDaS18_S19_EUlS18_E_NS1_11comp_targetILNS1_3genE5ELNS1_11target_archE942ELNS1_3gpuE9ELNS1_3repE0EEENS1_30default_config_static_selectorELNS0_4arch9wavefront6targetE1EEEvT1_.has_indirect_call, 0
	.section	.AMDGPU.csdata,"",@progbits
; Kernel info:
; codeLenInByte = 0
; TotalNumSgprs: 4
; NumVgprs: 0
; ScratchSize: 0
; MemoryBound: 0
; FloatMode: 240
; IeeeMode: 1
; LDSByteSize: 0 bytes/workgroup (compile time only)
; SGPRBlocks: 0
; VGPRBlocks: 0
; NumSGPRsForWavesPerEU: 4
; NumVGPRsForWavesPerEU: 1
; Occupancy: 10
; WaveLimiterHint : 0
; COMPUTE_PGM_RSRC2:SCRATCH_EN: 0
; COMPUTE_PGM_RSRC2:USER_SGPR: 6
; COMPUTE_PGM_RSRC2:TRAP_HANDLER: 0
; COMPUTE_PGM_RSRC2:TGID_X_EN: 1
; COMPUTE_PGM_RSRC2:TGID_Y_EN: 0
; COMPUTE_PGM_RSRC2:TGID_Z_EN: 0
; COMPUTE_PGM_RSRC2:TIDIG_COMP_CNT: 0
	.section	.text._ZN7rocprim17ROCPRIM_400000_NS6detail17trampoline_kernelINS0_14default_configENS1_25partition_config_selectorILNS1_17partition_subalgoE8ExNS0_10empty_typeEbEEZZNS1_14partition_implILS5_8ELb0ES3_jN6thrust23THRUST_200600_302600_NS6detail15normal_iteratorINSA_10device_ptrIxEEEEPS6_PKS6_NS0_5tupleIJNSA_16discard_iteratorINSA_11use_defaultEEES6_EEENSJ_IJSG_SG_EEENS0_18inequality_wrapperINSA_8equal_toIxEEEEPmJS6_EEE10hipError_tPvRmT3_T4_T5_T6_T7_T9_mT8_P12ihipStream_tbDpT10_ENKUlT_T0_E_clISt17integral_constantIbLb0EES1C_IbLb1EEEEDaS18_S19_EUlS18_E_NS1_11comp_targetILNS1_3genE4ELNS1_11target_archE910ELNS1_3gpuE8ELNS1_3repE0EEENS1_30default_config_static_selectorELNS0_4arch9wavefront6targetE1EEEvT1_,"axG",@progbits,_ZN7rocprim17ROCPRIM_400000_NS6detail17trampoline_kernelINS0_14default_configENS1_25partition_config_selectorILNS1_17partition_subalgoE8ExNS0_10empty_typeEbEEZZNS1_14partition_implILS5_8ELb0ES3_jN6thrust23THRUST_200600_302600_NS6detail15normal_iteratorINSA_10device_ptrIxEEEEPS6_PKS6_NS0_5tupleIJNSA_16discard_iteratorINSA_11use_defaultEEES6_EEENSJ_IJSG_SG_EEENS0_18inequality_wrapperINSA_8equal_toIxEEEEPmJS6_EEE10hipError_tPvRmT3_T4_T5_T6_T7_T9_mT8_P12ihipStream_tbDpT10_ENKUlT_T0_E_clISt17integral_constantIbLb0EES1C_IbLb1EEEEDaS18_S19_EUlS18_E_NS1_11comp_targetILNS1_3genE4ELNS1_11target_archE910ELNS1_3gpuE8ELNS1_3repE0EEENS1_30default_config_static_selectorELNS0_4arch9wavefront6targetE1EEEvT1_,comdat
	.protected	_ZN7rocprim17ROCPRIM_400000_NS6detail17trampoline_kernelINS0_14default_configENS1_25partition_config_selectorILNS1_17partition_subalgoE8ExNS0_10empty_typeEbEEZZNS1_14partition_implILS5_8ELb0ES3_jN6thrust23THRUST_200600_302600_NS6detail15normal_iteratorINSA_10device_ptrIxEEEEPS6_PKS6_NS0_5tupleIJNSA_16discard_iteratorINSA_11use_defaultEEES6_EEENSJ_IJSG_SG_EEENS0_18inequality_wrapperINSA_8equal_toIxEEEEPmJS6_EEE10hipError_tPvRmT3_T4_T5_T6_T7_T9_mT8_P12ihipStream_tbDpT10_ENKUlT_T0_E_clISt17integral_constantIbLb0EES1C_IbLb1EEEEDaS18_S19_EUlS18_E_NS1_11comp_targetILNS1_3genE4ELNS1_11target_archE910ELNS1_3gpuE8ELNS1_3repE0EEENS1_30default_config_static_selectorELNS0_4arch9wavefront6targetE1EEEvT1_ ; -- Begin function _ZN7rocprim17ROCPRIM_400000_NS6detail17trampoline_kernelINS0_14default_configENS1_25partition_config_selectorILNS1_17partition_subalgoE8ExNS0_10empty_typeEbEEZZNS1_14partition_implILS5_8ELb0ES3_jN6thrust23THRUST_200600_302600_NS6detail15normal_iteratorINSA_10device_ptrIxEEEEPS6_PKS6_NS0_5tupleIJNSA_16discard_iteratorINSA_11use_defaultEEES6_EEENSJ_IJSG_SG_EEENS0_18inequality_wrapperINSA_8equal_toIxEEEEPmJS6_EEE10hipError_tPvRmT3_T4_T5_T6_T7_T9_mT8_P12ihipStream_tbDpT10_ENKUlT_T0_E_clISt17integral_constantIbLb0EES1C_IbLb1EEEEDaS18_S19_EUlS18_E_NS1_11comp_targetILNS1_3genE4ELNS1_11target_archE910ELNS1_3gpuE8ELNS1_3repE0EEENS1_30default_config_static_selectorELNS0_4arch9wavefront6targetE1EEEvT1_
	.globl	_ZN7rocprim17ROCPRIM_400000_NS6detail17trampoline_kernelINS0_14default_configENS1_25partition_config_selectorILNS1_17partition_subalgoE8ExNS0_10empty_typeEbEEZZNS1_14partition_implILS5_8ELb0ES3_jN6thrust23THRUST_200600_302600_NS6detail15normal_iteratorINSA_10device_ptrIxEEEEPS6_PKS6_NS0_5tupleIJNSA_16discard_iteratorINSA_11use_defaultEEES6_EEENSJ_IJSG_SG_EEENS0_18inequality_wrapperINSA_8equal_toIxEEEEPmJS6_EEE10hipError_tPvRmT3_T4_T5_T6_T7_T9_mT8_P12ihipStream_tbDpT10_ENKUlT_T0_E_clISt17integral_constantIbLb0EES1C_IbLb1EEEEDaS18_S19_EUlS18_E_NS1_11comp_targetILNS1_3genE4ELNS1_11target_archE910ELNS1_3gpuE8ELNS1_3repE0EEENS1_30default_config_static_selectorELNS0_4arch9wavefront6targetE1EEEvT1_
	.p2align	8
	.type	_ZN7rocprim17ROCPRIM_400000_NS6detail17trampoline_kernelINS0_14default_configENS1_25partition_config_selectorILNS1_17partition_subalgoE8ExNS0_10empty_typeEbEEZZNS1_14partition_implILS5_8ELb0ES3_jN6thrust23THRUST_200600_302600_NS6detail15normal_iteratorINSA_10device_ptrIxEEEEPS6_PKS6_NS0_5tupleIJNSA_16discard_iteratorINSA_11use_defaultEEES6_EEENSJ_IJSG_SG_EEENS0_18inequality_wrapperINSA_8equal_toIxEEEEPmJS6_EEE10hipError_tPvRmT3_T4_T5_T6_T7_T9_mT8_P12ihipStream_tbDpT10_ENKUlT_T0_E_clISt17integral_constantIbLb0EES1C_IbLb1EEEEDaS18_S19_EUlS18_E_NS1_11comp_targetILNS1_3genE4ELNS1_11target_archE910ELNS1_3gpuE8ELNS1_3repE0EEENS1_30default_config_static_selectorELNS0_4arch9wavefront6targetE1EEEvT1_,@function
_ZN7rocprim17ROCPRIM_400000_NS6detail17trampoline_kernelINS0_14default_configENS1_25partition_config_selectorILNS1_17partition_subalgoE8ExNS0_10empty_typeEbEEZZNS1_14partition_implILS5_8ELb0ES3_jN6thrust23THRUST_200600_302600_NS6detail15normal_iteratorINSA_10device_ptrIxEEEEPS6_PKS6_NS0_5tupleIJNSA_16discard_iteratorINSA_11use_defaultEEES6_EEENSJ_IJSG_SG_EEENS0_18inequality_wrapperINSA_8equal_toIxEEEEPmJS6_EEE10hipError_tPvRmT3_T4_T5_T6_T7_T9_mT8_P12ihipStream_tbDpT10_ENKUlT_T0_E_clISt17integral_constantIbLb0EES1C_IbLb1EEEEDaS18_S19_EUlS18_E_NS1_11comp_targetILNS1_3genE4ELNS1_11target_archE910ELNS1_3gpuE8ELNS1_3repE0EEENS1_30default_config_static_selectorELNS0_4arch9wavefront6targetE1EEEvT1_: ; @_ZN7rocprim17ROCPRIM_400000_NS6detail17trampoline_kernelINS0_14default_configENS1_25partition_config_selectorILNS1_17partition_subalgoE8ExNS0_10empty_typeEbEEZZNS1_14partition_implILS5_8ELb0ES3_jN6thrust23THRUST_200600_302600_NS6detail15normal_iteratorINSA_10device_ptrIxEEEEPS6_PKS6_NS0_5tupleIJNSA_16discard_iteratorINSA_11use_defaultEEES6_EEENSJ_IJSG_SG_EEENS0_18inequality_wrapperINSA_8equal_toIxEEEEPmJS6_EEE10hipError_tPvRmT3_T4_T5_T6_T7_T9_mT8_P12ihipStream_tbDpT10_ENKUlT_T0_E_clISt17integral_constantIbLb0EES1C_IbLb1EEEEDaS18_S19_EUlS18_E_NS1_11comp_targetILNS1_3genE4ELNS1_11target_archE910ELNS1_3gpuE8ELNS1_3repE0EEENS1_30default_config_static_selectorELNS0_4arch9wavefront6targetE1EEEvT1_
; %bb.0:
	.section	.rodata,"a",@progbits
	.p2align	6, 0x0
	.amdhsa_kernel _ZN7rocprim17ROCPRIM_400000_NS6detail17trampoline_kernelINS0_14default_configENS1_25partition_config_selectorILNS1_17partition_subalgoE8ExNS0_10empty_typeEbEEZZNS1_14partition_implILS5_8ELb0ES3_jN6thrust23THRUST_200600_302600_NS6detail15normal_iteratorINSA_10device_ptrIxEEEEPS6_PKS6_NS0_5tupleIJNSA_16discard_iteratorINSA_11use_defaultEEES6_EEENSJ_IJSG_SG_EEENS0_18inequality_wrapperINSA_8equal_toIxEEEEPmJS6_EEE10hipError_tPvRmT3_T4_T5_T6_T7_T9_mT8_P12ihipStream_tbDpT10_ENKUlT_T0_E_clISt17integral_constantIbLb0EES1C_IbLb1EEEEDaS18_S19_EUlS18_E_NS1_11comp_targetILNS1_3genE4ELNS1_11target_archE910ELNS1_3gpuE8ELNS1_3repE0EEENS1_30default_config_static_selectorELNS0_4arch9wavefront6targetE1EEEvT1_
		.amdhsa_group_segment_fixed_size 0
		.amdhsa_private_segment_fixed_size 0
		.amdhsa_kernarg_size 136
		.amdhsa_user_sgpr_count 6
		.amdhsa_user_sgpr_private_segment_buffer 1
		.amdhsa_user_sgpr_dispatch_ptr 0
		.amdhsa_user_sgpr_queue_ptr 0
		.amdhsa_user_sgpr_kernarg_segment_ptr 1
		.amdhsa_user_sgpr_dispatch_id 0
		.amdhsa_user_sgpr_flat_scratch_init 0
		.amdhsa_user_sgpr_private_segment_size 0
		.amdhsa_uses_dynamic_stack 0
		.amdhsa_system_sgpr_private_segment_wavefront_offset 0
		.amdhsa_system_sgpr_workgroup_id_x 1
		.amdhsa_system_sgpr_workgroup_id_y 0
		.amdhsa_system_sgpr_workgroup_id_z 0
		.amdhsa_system_sgpr_workgroup_info 0
		.amdhsa_system_vgpr_workitem_id 0
		.amdhsa_next_free_vgpr 1
		.amdhsa_next_free_sgpr 0
		.amdhsa_reserve_vcc 0
		.amdhsa_reserve_flat_scratch 0
		.amdhsa_float_round_mode_32 0
		.amdhsa_float_round_mode_16_64 0
		.amdhsa_float_denorm_mode_32 3
		.amdhsa_float_denorm_mode_16_64 3
		.amdhsa_dx10_clamp 1
		.amdhsa_ieee_mode 1
		.amdhsa_fp16_overflow 0
		.amdhsa_exception_fp_ieee_invalid_op 0
		.amdhsa_exception_fp_denorm_src 0
		.amdhsa_exception_fp_ieee_div_zero 0
		.amdhsa_exception_fp_ieee_overflow 0
		.amdhsa_exception_fp_ieee_underflow 0
		.amdhsa_exception_fp_ieee_inexact 0
		.amdhsa_exception_int_div_zero 0
	.end_amdhsa_kernel
	.section	.text._ZN7rocprim17ROCPRIM_400000_NS6detail17trampoline_kernelINS0_14default_configENS1_25partition_config_selectorILNS1_17partition_subalgoE8ExNS0_10empty_typeEbEEZZNS1_14partition_implILS5_8ELb0ES3_jN6thrust23THRUST_200600_302600_NS6detail15normal_iteratorINSA_10device_ptrIxEEEEPS6_PKS6_NS0_5tupleIJNSA_16discard_iteratorINSA_11use_defaultEEES6_EEENSJ_IJSG_SG_EEENS0_18inequality_wrapperINSA_8equal_toIxEEEEPmJS6_EEE10hipError_tPvRmT3_T4_T5_T6_T7_T9_mT8_P12ihipStream_tbDpT10_ENKUlT_T0_E_clISt17integral_constantIbLb0EES1C_IbLb1EEEEDaS18_S19_EUlS18_E_NS1_11comp_targetILNS1_3genE4ELNS1_11target_archE910ELNS1_3gpuE8ELNS1_3repE0EEENS1_30default_config_static_selectorELNS0_4arch9wavefront6targetE1EEEvT1_,"axG",@progbits,_ZN7rocprim17ROCPRIM_400000_NS6detail17trampoline_kernelINS0_14default_configENS1_25partition_config_selectorILNS1_17partition_subalgoE8ExNS0_10empty_typeEbEEZZNS1_14partition_implILS5_8ELb0ES3_jN6thrust23THRUST_200600_302600_NS6detail15normal_iteratorINSA_10device_ptrIxEEEEPS6_PKS6_NS0_5tupleIJNSA_16discard_iteratorINSA_11use_defaultEEES6_EEENSJ_IJSG_SG_EEENS0_18inequality_wrapperINSA_8equal_toIxEEEEPmJS6_EEE10hipError_tPvRmT3_T4_T5_T6_T7_T9_mT8_P12ihipStream_tbDpT10_ENKUlT_T0_E_clISt17integral_constantIbLb0EES1C_IbLb1EEEEDaS18_S19_EUlS18_E_NS1_11comp_targetILNS1_3genE4ELNS1_11target_archE910ELNS1_3gpuE8ELNS1_3repE0EEENS1_30default_config_static_selectorELNS0_4arch9wavefront6targetE1EEEvT1_,comdat
.Lfunc_end655:
	.size	_ZN7rocprim17ROCPRIM_400000_NS6detail17trampoline_kernelINS0_14default_configENS1_25partition_config_selectorILNS1_17partition_subalgoE8ExNS0_10empty_typeEbEEZZNS1_14partition_implILS5_8ELb0ES3_jN6thrust23THRUST_200600_302600_NS6detail15normal_iteratorINSA_10device_ptrIxEEEEPS6_PKS6_NS0_5tupleIJNSA_16discard_iteratorINSA_11use_defaultEEES6_EEENSJ_IJSG_SG_EEENS0_18inequality_wrapperINSA_8equal_toIxEEEEPmJS6_EEE10hipError_tPvRmT3_T4_T5_T6_T7_T9_mT8_P12ihipStream_tbDpT10_ENKUlT_T0_E_clISt17integral_constantIbLb0EES1C_IbLb1EEEEDaS18_S19_EUlS18_E_NS1_11comp_targetILNS1_3genE4ELNS1_11target_archE910ELNS1_3gpuE8ELNS1_3repE0EEENS1_30default_config_static_selectorELNS0_4arch9wavefront6targetE1EEEvT1_, .Lfunc_end655-_ZN7rocprim17ROCPRIM_400000_NS6detail17trampoline_kernelINS0_14default_configENS1_25partition_config_selectorILNS1_17partition_subalgoE8ExNS0_10empty_typeEbEEZZNS1_14partition_implILS5_8ELb0ES3_jN6thrust23THRUST_200600_302600_NS6detail15normal_iteratorINSA_10device_ptrIxEEEEPS6_PKS6_NS0_5tupleIJNSA_16discard_iteratorINSA_11use_defaultEEES6_EEENSJ_IJSG_SG_EEENS0_18inequality_wrapperINSA_8equal_toIxEEEEPmJS6_EEE10hipError_tPvRmT3_T4_T5_T6_T7_T9_mT8_P12ihipStream_tbDpT10_ENKUlT_T0_E_clISt17integral_constantIbLb0EES1C_IbLb1EEEEDaS18_S19_EUlS18_E_NS1_11comp_targetILNS1_3genE4ELNS1_11target_archE910ELNS1_3gpuE8ELNS1_3repE0EEENS1_30default_config_static_selectorELNS0_4arch9wavefront6targetE1EEEvT1_
                                        ; -- End function
	.set _ZN7rocprim17ROCPRIM_400000_NS6detail17trampoline_kernelINS0_14default_configENS1_25partition_config_selectorILNS1_17partition_subalgoE8ExNS0_10empty_typeEbEEZZNS1_14partition_implILS5_8ELb0ES3_jN6thrust23THRUST_200600_302600_NS6detail15normal_iteratorINSA_10device_ptrIxEEEEPS6_PKS6_NS0_5tupleIJNSA_16discard_iteratorINSA_11use_defaultEEES6_EEENSJ_IJSG_SG_EEENS0_18inequality_wrapperINSA_8equal_toIxEEEEPmJS6_EEE10hipError_tPvRmT3_T4_T5_T6_T7_T9_mT8_P12ihipStream_tbDpT10_ENKUlT_T0_E_clISt17integral_constantIbLb0EES1C_IbLb1EEEEDaS18_S19_EUlS18_E_NS1_11comp_targetILNS1_3genE4ELNS1_11target_archE910ELNS1_3gpuE8ELNS1_3repE0EEENS1_30default_config_static_selectorELNS0_4arch9wavefront6targetE1EEEvT1_.num_vgpr, 0
	.set _ZN7rocprim17ROCPRIM_400000_NS6detail17trampoline_kernelINS0_14default_configENS1_25partition_config_selectorILNS1_17partition_subalgoE8ExNS0_10empty_typeEbEEZZNS1_14partition_implILS5_8ELb0ES3_jN6thrust23THRUST_200600_302600_NS6detail15normal_iteratorINSA_10device_ptrIxEEEEPS6_PKS6_NS0_5tupleIJNSA_16discard_iteratorINSA_11use_defaultEEES6_EEENSJ_IJSG_SG_EEENS0_18inequality_wrapperINSA_8equal_toIxEEEEPmJS6_EEE10hipError_tPvRmT3_T4_T5_T6_T7_T9_mT8_P12ihipStream_tbDpT10_ENKUlT_T0_E_clISt17integral_constantIbLb0EES1C_IbLb1EEEEDaS18_S19_EUlS18_E_NS1_11comp_targetILNS1_3genE4ELNS1_11target_archE910ELNS1_3gpuE8ELNS1_3repE0EEENS1_30default_config_static_selectorELNS0_4arch9wavefront6targetE1EEEvT1_.num_agpr, 0
	.set _ZN7rocprim17ROCPRIM_400000_NS6detail17trampoline_kernelINS0_14default_configENS1_25partition_config_selectorILNS1_17partition_subalgoE8ExNS0_10empty_typeEbEEZZNS1_14partition_implILS5_8ELb0ES3_jN6thrust23THRUST_200600_302600_NS6detail15normal_iteratorINSA_10device_ptrIxEEEEPS6_PKS6_NS0_5tupleIJNSA_16discard_iteratorINSA_11use_defaultEEES6_EEENSJ_IJSG_SG_EEENS0_18inequality_wrapperINSA_8equal_toIxEEEEPmJS6_EEE10hipError_tPvRmT3_T4_T5_T6_T7_T9_mT8_P12ihipStream_tbDpT10_ENKUlT_T0_E_clISt17integral_constantIbLb0EES1C_IbLb1EEEEDaS18_S19_EUlS18_E_NS1_11comp_targetILNS1_3genE4ELNS1_11target_archE910ELNS1_3gpuE8ELNS1_3repE0EEENS1_30default_config_static_selectorELNS0_4arch9wavefront6targetE1EEEvT1_.numbered_sgpr, 0
	.set _ZN7rocprim17ROCPRIM_400000_NS6detail17trampoline_kernelINS0_14default_configENS1_25partition_config_selectorILNS1_17partition_subalgoE8ExNS0_10empty_typeEbEEZZNS1_14partition_implILS5_8ELb0ES3_jN6thrust23THRUST_200600_302600_NS6detail15normal_iteratorINSA_10device_ptrIxEEEEPS6_PKS6_NS0_5tupleIJNSA_16discard_iteratorINSA_11use_defaultEEES6_EEENSJ_IJSG_SG_EEENS0_18inequality_wrapperINSA_8equal_toIxEEEEPmJS6_EEE10hipError_tPvRmT3_T4_T5_T6_T7_T9_mT8_P12ihipStream_tbDpT10_ENKUlT_T0_E_clISt17integral_constantIbLb0EES1C_IbLb1EEEEDaS18_S19_EUlS18_E_NS1_11comp_targetILNS1_3genE4ELNS1_11target_archE910ELNS1_3gpuE8ELNS1_3repE0EEENS1_30default_config_static_selectorELNS0_4arch9wavefront6targetE1EEEvT1_.num_named_barrier, 0
	.set _ZN7rocprim17ROCPRIM_400000_NS6detail17trampoline_kernelINS0_14default_configENS1_25partition_config_selectorILNS1_17partition_subalgoE8ExNS0_10empty_typeEbEEZZNS1_14partition_implILS5_8ELb0ES3_jN6thrust23THRUST_200600_302600_NS6detail15normal_iteratorINSA_10device_ptrIxEEEEPS6_PKS6_NS0_5tupleIJNSA_16discard_iteratorINSA_11use_defaultEEES6_EEENSJ_IJSG_SG_EEENS0_18inequality_wrapperINSA_8equal_toIxEEEEPmJS6_EEE10hipError_tPvRmT3_T4_T5_T6_T7_T9_mT8_P12ihipStream_tbDpT10_ENKUlT_T0_E_clISt17integral_constantIbLb0EES1C_IbLb1EEEEDaS18_S19_EUlS18_E_NS1_11comp_targetILNS1_3genE4ELNS1_11target_archE910ELNS1_3gpuE8ELNS1_3repE0EEENS1_30default_config_static_selectorELNS0_4arch9wavefront6targetE1EEEvT1_.private_seg_size, 0
	.set _ZN7rocprim17ROCPRIM_400000_NS6detail17trampoline_kernelINS0_14default_configENS1_25partition_config_selectorILNS1_17partition_subalgoE8ExNS0_10empty_typeEbEEZZNS1_14partition_implILS5_8ELb0ES3_jN6thrust23THRUST_200600_302600_NS6detail15normal_iteratorINSA_10device_ptrIxEEEEPS6_PKS6_NS0_5tupleIJNSA_16discard_iteratorINSA_11use_defaultEEES6_EEENSJ_IJSG_SG_EEENS0_18inequality_wrapperINSA_8equal_toIxEEEEPmJS6_EEE10hipError_tPvRmT3_T4_T5_T6_T7_T9_mT8_P12ihipStream_tbDpT10_ENKUlT_T0_E_clISt17integral_constantIbLb0EES1C_IbLb1EEEEDaS18_S19_EUlS18_E_NS1_11comp_targetILNS1_3genE4ELNS1_11target_archE910ELNS1_3gpuE8ELNS1_3repE0EEENS1_30default_config_static_selectorELNS0_4arch9wavefront6targetE1EEEvT1_.uses_vcc, 0
	.set _ZN7rocprim17ROCPRIM_400000_NS6detail17trampoline_kernelINS0_14default_configENS1_25partition_config_selectorILNS1_17partition_subalgoE8ExNS0_10empty_typeEbEEZZNS1_14partition_implILS5_8ELb0ES3_jN6thrust23THRUST_200600_302600_NS6detail15normal_iteratorINSA_10device_ptrIxEEEEPS6_PKS6_NS0_5tupleIJNSA_16discard_iteratorINSA_11use_defaultEEES6_EEENSJ_IJSG_SG_EEENS0_18inequality_wrapperINSA_8equal_toIxEEEEPmJS6_EEE10hipError_tPvRmT3_T4_T5_T6_T7_T9_mT8_P12ihipStream_tbDpT10_ENKUlT_T0_E_clISt17integral_constantIbLb0EES1C_IbLb1EEEEDaS18_S19_EUlS18_E_NS1_11comp_targetILNS1_3genE4ELNS1_11target_archE910ELNS1_3gpuE8ELNS1_3repE0EEENS1_30default_config_static_selectorELNS0_4arch9wavefront6targetE1EEEvT1_.uses_flat_scratch, 0
	.set _ZN7rocprim17ROCPRIM_400000_NS6detail17trampoline_kernelINS0_14default_configENS1_25partition_config_selectorILNS1_17partition_subalgoE8ExNS0_10empty_typeEbEEZZNS1_14partition_implILS5_8ELb0ES3_jN6thrust23THRUST_200600_302600_NS6detail15normal_iteratorINSA_10device_ptrIxEEEEPS6_PKS6_NS0_5tupleIJNSA_16discard_iteratorINSA_11use_defaultEEES6_EEENSJ_IJSG_SG_EEENS0_18inequality_wrapperINSA_8equal_toIxEEEEPmJS6_EEE10hipError_tPvRmT3_T4_T5_T6_T7_T9_mT8_P12ihipStream_tbDpT10_ENKUlT_T0_E_clISt17integral_constantIbLb0EES1C_IbLb1EEEEDaS18_S19_EUlS18_E_NS1_11comp_targetILNS1_3genE4ELNS1_11target_archE910ELNS1_3gpuE8ELNS1_3repE0EEENS1_30default_config_static_selectorELNS0_4arch9wavefront6targetE1EEEvT1_.has_dyn_sized_stack, 0
	.set _ZN7rocprim17ROCPRIM_400000_NS6detail17trampoline_kernelINS0_14default_configENS1_25partition_config_selectorILNS1_17partition_subalgoE8ExNS0_10empty_typeEbEEZZNS1_14partition_implILS5_8ELb0ES3_jN6thrust23THRUST_200600_302600_NS6detail15normal_iteratorINSA_10device_ptrIxEEEEPS6_PKS6_NS0_5tupleIJNSA_16discard_iteratorINSA_11use_defaultEEES6_EEENSJ_IJSG_SG_EEENS0_18inequality_wrapperINSA_8equal_toIxEEEEPmJS6_EEE10hipError_tPvRmT3_T4_T5_T6_T7_T9_mT8_P12ihipStream_tbDpT10_ENKUlT_T0_E_clISt17integral_constantIbLb0EES1C_IbLb1EEEEDaS18_S19_EUlS18_E_NS1_11comp_targetILNS1_3genE4ELNS1_11target_archE910ELNS1_3gpuE8ELNS1_3repE0EEENS1_30default_config_static_selectorELNS0_4arch9wavefront6targetE1EEEvT1_.has_recursion, 0
	.set _ZN7rocprim17ROCPRIM_400000_NS6detail17trampoline_kernelINS0_14default_configENS1_25partition_config_selectorILNS1_17partition_subalgoE8ExNS0_10empty_typeEbEEZZNS1_14partition_implILS5_8ELb0ES3_jN6thrust23THRUST_200600_302600_NS6detail15normal_iteratorINSA_10device_ptrIxEEEEPS6_PKS6_NS0_5tupleIJNSA_16discard_iteratorINSA_11use_defaultEEES6_EEENSJ_IJSG_SG_EEENS0_18inequality_wrapperINSA_8equal_toIxEEEEPmJS6_EEE10hipError_tPvRmT3_T4_T5_T6_T7_T9_mT8_P12ihipStream_tbDpT10_ENKUlT_T0_E_clISt17integral_constantIbLb0EES1C_IbLb1EEEEDaS18_S19_EUlS18_E_NS1_11comp_targetILNS1_3genE4ELNS1_11target_archE910ELNS1_3gpuE8ELNS1_3repE0EEENS1_30default_config_static_selectorELNS0_4arch9wavefront6targetE1EEEvT1_.has_indirect_call, 0
	.section	.AMDGPU.csdata,"",@progbits
; Kernel info:
; codeLenInByte = 0
; TotalNumSgprs: 4
; NumVgprs: 0
; ScratchSize: 0
; MemoryBound: 0
; FloatMode: 240
; IeeeMode: 1
; LDSByteSize: 0 bytes/workgroup (compile time only)
; SGPRBlocks: 0
; VGPRBlocks: 0
; NumSGPRsForWavesPerEU: 4
; NumVGPRsForWavesPerEU: 1
; Occupancy: 10
; WaveLimiterHint : 0
; COMPUTE_PGM_RSRC2:SCRATCH_EN: 0
; COMPUTE_PGM_RSRC2:USER_SGPR: 6
; COMPUTE_PGM_RSRC2:TRAP_HANDLER: 0
; COMPUTE_PGM_RSRC2:TGID_X_EN: 1
; COMPUTE_PGM_RSRC2:TGID_Y_EN: 0
; COMPUTE_PGM_RSRC2:TGID_Z_EN: 0
; COMPUTE_PGM_RSRC2:TIDIG_COMP_CNT: 0
	.section	.text._ZN7rocprim17ROCPRIM_400000_NS6detail17trampoline_kernelINS0_14default_configENS1_25partition_config_selectorILNS1_17partition_subalgoE8ExNS0_10empty_typeEbEEZZNS1_14partition_implILS5_8ELb0ES3_jN6thrust23THRUST_200600_302600_NS6detail15normal_iteratorINSA_10device_ptrIxEEEEPS6_PKS6_NS0_5tupleIJNSA_16discard_iteratorINSA_11use_defaultEEES6_EEENSJ_IJSG_SG_EEENS0_18inequality_wrapperINSA_8equal_toIxEEEEPmJS6_EEE10hipError_tPvRmT3_T4_T5_T6_T7_T9_mT8_P12ihipStream_tbDpT10_ENKUlT_T0_E_clISt17integral_constantIbLb0EES1C_IbLb1EEEEDaS18_S19_EUlS18_E_NS1_11comp_targetILNS1_3genE3ELNS1_11target_archE908ELNS1_3gpuE7ELNS1_3repE0EEENS1_30default_config_static_selectorELNS0_4arch9wavefront6targetE1EEEvT1_,"axG",@progbits,_ZN7rocprim17ROCPRIM_400000_NS6detail17trampoline_kernelINS0_14default_configENS1_25partition_config_selectorILNS1_17partition_subalgoE8ExNS0_10empty_typeEbEEZZNS1_14partition_implILS5_8ELb0ES3_jN6thrust23THRUST_200600_302600_NS6detail15normal_iteratorINSA_10device_ptrIxEEEEPS6_PKS6_NS0_5tupleIJNSA_16discard_iteratorINSA_11use_defaultEEES6_EEENSJ_IJSG_SG_EEENS0_18inequality_wrapperINSA_8equal_toIxEEEEPmJS6_EEE10hipError_tPvRmT3_T4_T5_T6_T7_T9_mT8_P12ihipStream_tbDpT10_ENKUlT_T0_E_clISt17integral_constantIbLb0EES1C_IbLb1EEEEDaS18_S19_EUlS18_E_NS1_11comp_targetILNS1_3genE3ELNS1_11target_archE908ELNS1_3gpuE7ELNS1_3repE0EEENS1_30default_config_static_selectorELNS0_4arch9wavefront6targetE1EEEvT1_,comdat
	.protected	_ZN7rocprim17ROCPRIM_400000_NS6detail17trampoline_kernelINS0_14default_configENS1_25partition_config_selectorILNS1_17partition_subalgoE8ExNS0_10empty_typeEbEEZZNS1_14partition_implILS5_8ELb0ES3_jN6thrust23THRUST_200600_302600_NS6detail15normal_iteratorINSA_10device_ptrIxEEEEPS6_PKS6_NS0_5tupleIJNSA_16discard_iteratorINSA_11use_defaultEEES6_EEENSJ_IJSG_SG_EEENS0_18inequality_wrapperINSA_8equal_toIxEEEEPmJS6_EEE10hipError_tPvRmT3_T4_T5_T6_T7_T9_mT8_P12ihipStream_tbDpT10_ENKUlT_T0_E_clISt17integral_constantIbLb0EES1C_IbLb1EEEEDaS18_S19_EUlS18_E_NS1_11comp_targetILNS1_3genE3ELNS1_11target_archE908ELNS1_3gpuE7ELNS1_3repE0EEENS1_30default_config_static_selectorELNS0_4arch9wavefront6targetE1EEEvT1_ ; -- Begin function _ZN7rocprim17ROCPRIM_400000_NS6detail17trampoline_kernelINS0_14default_configENS1_25partition_config_selectorILNS1_17partition_subalgoE8ExNS0_10empty_typeEbEEZZNS1_14partition_implILS5_8ELb0ES3_jN6thrust23THRUST_200600_302600_NS6detail15normal_iteratorINSA_10device_ptrIxEEEEPS6_PKS6_NS0_5tupleIJNSA_16discard_iteratorINSA_11use_defaultEEES6_EEENSJ_IJSG_SG_EEENS0_18inequality_wrapperINSA_8equal_toIxEEEEPmJS6_EEE10hipError_tPvRmT3_T4_T5_T6_T7_T9_mT8_P12ihipStream_tbDpT10_ENKUlT_T0_E_clISt17integral_constantIbLb0EES1C_IbLb1EEEEDaS18_S19_EUlS18_E_NS1_11comp_targetILNS1_3genE3ELNS1_11target_archE908ELNS1_3gpuE7ELNS1_3repE0EEENS1_30default_config_static_selectorELNS0_4arch9wavefront6targetE1EEEvT1_
	.globl	_ZN7rocprim17ROCPRIM_400000_NS6detail17trampoline_kernelINS0_14default_configENS1_25partition_config_selectorILNS1_17partition_subalgoE8ExNS0_10empty_typeEbEEZZNS1_14partition_implILS5_8ELb0ES3_jN6thrust23THRUST_200600_302600_NS6detail15normal_iteratorINSA_10device_ptrIxEEEEPS6_PKS6_NS0_5tupleIJNSA_16discard_iteratorINSA_11use_defaultEEES6_EEENSJ_IJSG_SG_EEENS0_18inequality_wrapperINSA_8equal_toIxEEEEPmJS6_EEE10hipError_tPvRmT3_T4_T5_T6_T7_T9_mT8_P12ihipStream_tbDpT10_ENKUlT_T0_E_clISt17integral_constantIbLb0EES1C_IbLb1EEEEDaS18_S19_EUlS18_E_NS1_11comp_targetILNS1_3genE3ELNS1_11target_archE908ELNS1_3gpuE7ELNS1_3repE0EEENS1_30default_config_static_selectorELNS0_4arch9wavefront6targetE1EEEvT1_
	.p2align	8
	.type	_ZN7rocprim17ROCPRIM_400000_NS6detail17trampoline_kernelINS0_14default_configENS1_25partition_config_selectorILNS1_17partition_subalgoE8ExNS0_10empty_typeEbEEZZNS1_14partition_implILS5_8ELb0ES3_jN6thrust23THRUST_200600_302600_NS6detail15normal_iteratorINSA_10device_ptrIxEEEEPS6_PKS6_NS0_5tupleIJNSA_16discard_iteratorINSA_11use_defaultEEES6_EEENSJ_IJSG_SG_EEENS0_18inequality_wrapperINSA_8equal_toIxEEEEPmJS6_EEE10hipError_tPvRmT3_T4_T5_T6_T7_T9_mT8_P12ihipStream_tbDpT10_ENKUlT_T0_E_clISt17integral_constantIbLb0EES1C_IbLb1EEEEDaS18_S19_EUlS18_E_NS1_11comp_targetILNS1_3genE3ELNS1_11target_archE908ELNS1_3gpuE7ELNS1_3repE0EEENS1_30default_config_static_selectorELNS0_4arch9wavefront6targetE1EEEvT1_,@function
_ZN7rocprim17ROCPRIM_400000_NS6detail17trampoline_kernelINS0_14default_configENS1_25partition_config_selectorILNS1_17partition_subalgoE8ExNS0_10empty_typeEbEEZZNS1_14partition_implILS5_8ELb0ES3_jN6thrust23THRUST_200600_302600_NS6detail15normal_iteratorINSA_10device_ptrIxEEEEPS6_PKS6_NS0_5tupleIJNSA_16discard_iteratorINSA_11use_defaultEEES6_EEENSJ_IJSG_SG_EEENS0_18inequality_wrapperINSA_8equal_toIxEEEEPmJS6_EEE10hipError_tPvRmT3_T4_T5_T6_T7_T9_mT8_P12ihipStream_tbDpT10_ENKUlT_T0_E_clISt17integral_constantIbLb0EES1C_IbLb1EEEEDaS18_S19_EUlS18_E_NS1_11comp_targetILNS1_3genE3ELNS1_11target_archE908ELNS1_3gpuE7ELNS1_3repE0EEENS1_30default_config_static_selectorELNS0_4arch9wavefront6targetE1EEEvT1_: ; @_ZN7rocprim17ROCPRIM_400000_NS6detail17trampoline_kernelINS0_14default_configENS1_25partition_config_selectorILNS1_17partition_subalgoE8ExNS0_10empty_typeEbEEZZNS1_14partition_implILS5_8ELb0ES3_jN6thrust23THRUST_200600_302600_NS6detail15normal_iteratorINSA_10device_ptrIxEEEEPS6_PKS6_NS0_5tupleIJNSA_16discard_iteratorINSA_11use_defaultEEES6_EEENSJ_IJSG_SG_EEENS0_18inequality_wrapperINSA_8equal_toIxEEEEPmJS6_EEE10hipError_tPvRmT3_T4_T5_T6_T7_T9_mT8_P12ihipStream_tbDpT10_ENKUlT_T0_E_clISt17integral_constantIbLb0EES1C_IbLb1EEEEDaS18_S19_EUlS18_E_NS1_11comp_targetILNS1_3genE3ELNS1_11target_archE908ELNS1_3gpuE7ELNS1_3repE0EEENS1_30default_config_static_selectorELNS0_4arch9wavefront6targetE1EEEvT1_
; %bb.0:
	.section	.rodata,"a",@progbits
	.p2align	6, 0x0
	.amdhsa_kernel _ZN7rocprim17ROCPRIM_400000_NS6detail17trampoline_kernelINS0_14default_configENS1_25partition_config_selectorILNS1_17partition_subalgoE8ExNS0_10empty_typeEbEEZZNS1_14partition_implILS5_8ELb0ES3_jN6thrust23THRUST_200600_302600_NS6detail15normal_iteratorINSA_10device_ptrIxEEEEPS6_PKS6_NS0_5tupleIJNSA_16discard_iteratorINSA_11use_defaultEEES6_EEENSJ_IJSG_SG_EEENS0_18inequality_wrapperINSA_8equal_toIxEEEEPmJS6_EEE10hipError_tPvRmT3_T4_T5_T6_T7_T9_mT8_P12ihipStream_tbDpT10_ENKUlT_T0_E_clISt17integral_constantIbLb0EES1C_IbLb1EEEEDaS18_S19_EUlS18_E_NS1_11comp_targetILNS1_3genE3ELNS1_11target_archE908ELNS1_3gpuE7ELNS1_3repE0EEENS1_30default_config_static_selectorELNS0_4arch9wavefront6targetE1EEEvT1_
		.amdhsa_group_segment_fixed_size 0
		.amdhsa_private_segment_fixed_size 0
		.amdhsa_kernarg_size 136
		.amdhsa_user_sgpr_count 6
		.amdhsa_user_sgpr_private_segment_buffer 1
		.amdhsa_user_sgpr_dispatch_ptr 0
		.amdhsa_user_sgpr_queue_ptr 0
		.amdhsa_user_sgpr_kernarg_segment_ptr 1
		.amdhsa_user_sgpr_dispatch_id 0
		.amdhsa_user_sgpr_flat_scratch_init 0
		.amdhsa_user_sgpr_private_segment_size 0
		.amdhsa_uses_dynamic_stack 0
		.amdhsa_system_sgpr_private_segment_wavefront_offset 0
		.amdhsa_system_sgpr_workgroup_id_x 1
		.amdhsa_system_sgpr_workgroup_id_y 0
		.amdhsa_system_sgpr_workgroup_id_z 0
		.amdhsa_system_sgpr_workgroup_info 0
		.amdhsa_system_vgpr_workitem_id 0
		.amdhsa_next_free_vgpr 1
		.amdhsa_next_free_sgpr 0
		.amdhsa_reserve_vcc 0
		.amdhsa_reserve_flat_scratch 0
		.amdhsa_float_round_mode_32 0
		.amdhsa_float_round_mode_16_64 0
		.amdhsa_float_denorm_mode_32 3
		.amdhsa_float_denorm_mode_16_64 3
		.amdhsa_dx10_clamp 1
		.amdhsa_ieee_mode 1
		.amdhsa_fp16_overflow 0
		.amdhsa_exception_fp_ieee_invalid_op 0
		.amdhsa_exception_fp_denorm_src 0
		.amdhsa_exception_fp_ieee_div_zero 0
		.amdhsa_exception_fp_ieee_overflow 0
		.amdhsa_exception_fp_ieee_underflow 0
		.amdhsa_exception_fp_ieee_inexact 0
		.amdhsa_exception_int_div_zero 0
	.end_amdhsa_kernel
	.section	.text._ZN7rocprim17ROCPRIM_400000_NS6detail17trampoline_kernelINS0_14default_configENS1_25partition_config_selectorILNS1_17partition_subalgoE8ExNS0_10empty_typeEbEEZZNS1_14partition_implILS5_8ELb0ES3_jN6thrust23THRUST_200600_302600_NS6detail15normal_iteratorINSA_10device_ptrIxEEEEPS6_PKS6_NS0_5tupleIJNSA_16discard_iteratorINSA_11use_defaultEEES6_EEENSJ_IJSG_SG_EEENS0_18inequality_wrapperINSA_8equal_toIxEEEEPmJS6_EEE10hipError_tPvRmT3_T4_T5_T6_T7_T9_mT8_P12ihipStream_tbDpT10_ENKUlT_T0_E_clISt17integral_constantIbLb0EES1C_IbLb1EEEEDaS18_S19_EUlS18_E_NS1_11comp_targetILNS1_3genE3ELNS1_11target_archE908ELNS1_3gpuE7ELNS1_3repE0EEENS1_30default_config_static_selectorELNS0_4arch9wavefront6targetE1EEEvT1_,"axG",@progbits,_ZN7rocprim17ROCPRIM_400000_NS6detail17trampoline_kernelINS0_14default_configENS1_25partition_config_selectorILNS1_17partition_subalgoE8ExNS0_10empty_typeEbEEZZNS1_14partition_implILS5_8ELb0ES3_jN6thrust23THRUST_200600_302600_NS6detail15normal_iteratorINSA_10device_ptrIxEEEEPS6_PKS6_NS0_5tupleIJNSA_16discard_iteratorINSA_11use_defaultEEES6_EEENSJ_IJSG_SG_EEENS0_18inequality_wrapperINSA_8equal_toIxEEEEPmJS6_EEE10hipError_tPvRmT3_T4_T5_T6_T7_T9_mT8_P12ihipStream_tbDpT10_ENKUlT_T0_E_clISt17integral_constantIbLb0EES1C_IbLb1EEEEDaS18_S19_EUlS18_E_NS1_11comp_targetILNS1_3genE3ELNS1_11target_archE908ELNS1_3gpuE7ELNS1_3repE0EEENS1_30default_config_static_selectorELNS0_4arch9wavefront6targetE1EEEvT1_,comdat
.Lfunc_end656:
	.size	_ZN7rocprim17ROCPRIM_400000_NS6detail17trampoline_kernelINS0_14default_configENS1_25partition_config_selectorILNS1_17partition_subalgoE8ExNS0_10empty_typeEbEEZZNS1_14partition_implILS5_8ELb0ES3_jN6thrust23THRUST_200600_302600_NS6detail15normal_iteratorINSA_10device_ptrIxEEEEPS6_PKS6_NS0_5tupleIJNSA_16discard_iteratorINSA_11use_defaultEEES6_EEENSJ_IJSG_SG_EEENS0_18inequality_wrapperINSA_8equal_toIxEEEEPmJS6_EEE10hipError_tPvRmT3_T4_T5_T6_T7_T9_mT8_P12ihipStream_tbDpT10_ENKUlT_T0_E_clISt17integral_constantIbLb0EES1C_IbLb1EEEEDaS18_S19_EUlS18_E_NS1_11comp_targetILNS1_3genE3ELNS1_11target_archE908ELNS1_3gpuE7ELNS1_3repE0EEENS1_30default_config_static_selectorELNS0_4arch9wavefront6targetE1EEEvT1_, .Lfunc_end656-_ZN7rocprim17ROCPRIM_400000_NS6detail17trampoline_kernelINS0_14default_configENS1_25partition_config_selectorILNS1_17partition_subalgoE8ExNS0_10empty_typeEbEEZZNS1_14partition_implILS5_8ELb0ES3_jN6thrust23THRUST_200600_302600_NS6detail15normal_iteratorINSA_10device_ptrIxEEEEPS6_PKS6_NS0_5tupleIJNSA_16discard_iteratorINSA_11use_defaultEEES6_EEENSJ_IJSG_SG_EEENS0_18inequality_wrapperINSA_8equal_toIxEEEEPmJS6_EEE10hipError_tPvRmT3_T4_T5_T6_T7_T9_mT8_P12ihipStream_tbDpT10_ENKUlT_T0_E_clISt17integral_constantIbLb0EES1C_IbLb1EEEEDaS18_S19_EUlS18_E_NS1_11comp_targetILNS1_3genE3ELNS1_11target_archE908ELNS1_3gpuE7ELNS1_3repE0EEENS1_30default_config_static_selectorELNS0_4arch9wavefront6targetE1EEEvT1_
                                        ; -- End function
	.set _ZN7rocprim17ROCPRIM_400000_NS6detail17trampoline_kernelINS0_14default_configENS1_25partition_config_selectorILNS1_17partition_subalgoE8ExNS0_10empty_typeEbEEZZNS1_14partition_implILS5_8ELb0ES3_jN6thrust23THRUST_200600_302600_NS6detail15normal_iteratorINSA_10device_ptrIxEEEEPS6_PKS6_NS0_5tupleIJNSA_16discard_iteratorINSA_11use_defaultEEES6_EEENSJ_IJSG_SG_EEENS0_18inequality_wrapperINSA_8equal_toIxEEEEPmJS6_EEE10hipError_tPvRmT3_T4_T5_T6_T7_T9_mT8_P12ihipStream_tbDpT10_ENKUlT_T0_E_clISt17integral_constantIbLb0EES1C_IbLb1EEEEDaS18_S19_EUlS18_E_NS1_11comp_targetILNS1_3genE3ELNS1_11target_archE908ELNS1_3gpuE7ELNS1_3repE0EEENS1_30default_config_static_selectorELNS0_4arch9wavefront6targetE1EEEvT1_.num_vgpr, 0
	.set _ZN7rocprim17ROCPRIM_400000_NS6detail17trampoline_kernelINS0_14default_configENS1_25partition_config_selectorILNS1_17partition_subalgoE8ExNS0_10empty_typeEbEEZZNS1_14partition_implILS5_8ELb0ES3_jN6thrust23THRUST_200600_302600_NS6detail15normal_iteratorINSA_10device_ptrIxEEEEPS6_PKS6_NS0_5tupleIJNSA_16discard_iteratorINSA_11use_defaultEEES6_EEENSJ_IJSG_SG_EEENS0_18inequality_wrapperINSA_8equal_toIxEEEEPmJS6_EEE10hipError_tPvRmT3_T4_T5_T6_T7_T9_mT8_P12ihipStream_tbDpT10_ENKUlT_T0_E_clISt17integral_constantIbLb0EES1C_IbLb1EEEEDaS18_S19_EUlS18_E_NS1_11comp_targetILNS1_3genE3ELNS1_11target_archE908ELNS1_3gpuE7ELNS1_3repE0EEENS1_30default_config_static_selectorELNS0_4arch9wavefront6targetE1EEEvT1_.num_agpr, 0
	.set _ZN7rocprim17ROCPRIM_400000_NS6detail17trampoline_kernelINS0_14default_configENS1_25partition_config_selectorILNS1_17partition_subalgoE8ExNS0_10empty_typeEbEEZZNS1_14partition_implILS5_8ELb0ES3_jN6thrust23THRUST_200600_302600_NS6detail15normal_iteratorINSA_10device_ptrIxEEEEPS6_PKS6_NS0_5tupleIJNSA_16discard_iteratorINSA_11use_defaultEEES6_EEENSJ_IJSG_SG_EEENS0_18inequality_wrapperINSA_8equal_toIxEEEEPmJS6_EEE10hipError_tPvRmT3_T4_T5_T6_T7_T9_mT8_P12ihipStream_tbDpT10_ENKUlT_T0_E_clISt17integral_constantIbLb0EES1C_IbLb1EEEEDaS18_S19_EUlS18_E_NS1_11comp_targetILNS1_3genE3ELNS1_11target_archE908ELNS1_3gpuE7ELNS1_3repE0EEENS1_30default_config_static_selectorELNS0_4arch9wavefront6targetE1EEEvT1_.numbered_sgpr, 0
	.set _ZN7rocprim17ROCPRIM_400000_NS6detail17trampoline_kernelINS0_14default_configENS1_25partition_config_selectorILNS1_17partition_subalgoE8ExNS0_10empty_typeEbEEZZNS1_14partition_implILS5_8ELb0ES3_jN6thrust23THRUST_200600_302600_NS6detail15normal_iteratorINSA_10device_ptrIxEEEEPS6_PKS6_NS0_5tupleIJNSA_16discard_iteratorINSA_11use_defaultEEES6_EEENSJ_IJSG_SG_EEENS0_18inequality_wrapperINSA_8equal_toIxEEEEPmJS6_EEE10hipError_tPvRmT3_T4_T5_T6_T7_T9_mT8_P12ihipStream_tbDpT10_ENKUlT_T0_E_clISt17integral_constantIbLb0EES1C_IbLb1EEEEDaS18_S19_EUlS18_E_NS1_11comp_targetILNS1_3genE3ELNS1_11target_archE908ELNS1_3gpuE7ELNS1_3repE0EEENS1_30default_config_static_selectorELNS0_4arch9wavefront6targetE1EEEvT1_.num_named_barrier, 0
	.set _ZN7rocprim17ROCPRIM_400000_NS6detail17trampoline_kernelINS0_14default_configENS1_25partition_config_selectorILNS1_17partition_subalgoE8ExNS0_10empty_typeEbEEZZNS1_14partition_implILS5_8ELb0ES3_jN6thrust23THRUST_200600_302600_NS6detail15normal_iteratorINSA_10device_ptrIxEEEEPS6_PKS6_NS0_5tupleIJNSA_16discard_iteratorINSA_11use_defaultEEES6_EEENSJ_IJSG_SG_EEENS0_18inequality_wrapperINSA_8equal_toIxEEEEPmJS6_EEE10hipError_tPvRmT3_T4_T5_T6_T7_T9_mT8_P12ihipStream_tbDpT10_ENKUlT_T0_E_clISt17integral_constantIbLb0EES1C_IbLb1EEEEDaS18_S19_EUlS18_E_NS1_11comp_targetILNS1_3genE3ELNS1_11target_archE908ELNS1_3gpuE7ELNS1_3repE0EEENS1_30default_config_static_selectorELNS0_4arch9wavefront6targetE1EEEvT1_.private_seg_size, 0
	.set _ZN7rocprim17ROCPRIM_400000_NS6detail17trampoline_kernelINS0_14default_configENS1_25partition_config_selectorILNS1_17partition_subalgoE8ExNS0_10empty_typeEbEEZZNS1_14partition_implILS5_8ELb0ES3_jN6thrust23THRUST_200600_302600_NS6detail15normal_iteratorINSA_10device_ptrIxEEEEPS6_PKS6_NS0_5tupleIJNSA_16discard_iteratorINSA_11use_defaultEEES6_EEENSJ_IJSG_SG_EEENS0_18inequality_wrapperINSA_8equal_toIxEEEEPmJS6_EEE10hipError_tPvRmT3_T4_T5_T6_T7_T9_mT8_P12ihipStream_tbDpT10_ENKUlT_T0_E_clISt17integral_constantIbLb0EES1C_IbLb1EEEEDaS18_S19_EUlS18_E_NS1_11comp_targetILNS1_3genE3ELNS1_11target_archE908ELNS1_3gpuE7ELNS1_3repE0EEENS1_30default_config_static_selectorELNS0_4arch9wavefront6targetE1EEEvT1_.uses_vcc, 0
	.set _ZN7rocprim17ROCPRIM_400000_NS6detail17trampoline_kernelINS0_14default_configENS1_25partition_config_selectorILNS1_17partition_subalgoE8ExNS0_10empty_typeEbEEZZNS1_14partition_implILS5_8ELb0ES3_jN6thrust23THRUST_200600_302600_NS6detail15normal_iteratorINSA_10device_ptrIxEEEEPS6_PKS6_NS0_5tupleIJNSA_16discard_iteratorINSA_11use_defaultEEES6_EEENSJ_IJSG_SG_EEENS0_18inequality_wrapperINSA_8equal_toIxEEEEPmJS6_EEE10hipError_tPvRmT3_T4_T5_T6_T7_T9_mT8_P12ihipStream_tbDpT10_ENKUlT_T0_E_clISt17integral_constantIbLb0EES1C_IbLb1EEEEDaS18_S19_EUlS18_E_NS1_11comp_targetILNS1_3genE3ELNS1_11target_archE908ELNS1_3gpuE7ELNS1_3repE0EEENS1_30default_config_static_selectorELNS0_4arch9wavefront6targetE1EEEvT1_.uses_flat_scratch, 0
	.set _ZN7rocprim17ROCPRIM_400000_NS6detail17trampoline_kernelINS0_14default_configENS1_25partition_config_selectorILNS1_17partition_subalgoE8ExNS0_10empty_typeEbEEZZNS1_14partition_implILS5_8ELb0ES3_jN6thrust23THRUST_200600_302600_NS6detail15normal_iteratorINSA_10device_ptrIxEEEEPS6_PKS6_NS0_5tupleIJNSA_16discard_iteratorINSA_11use_defaultEEES6_EEENSJ_IJSG_SG_EEENS0_18inequality_wrapperINSA_8equal_toIxEEEEPmJS6_EEE10hipError_tPvRmT3_T4_T5_T6_T7_T9_mT8_P12ihipStream_tbDpT10_ENKUlT_T0_E_clISt17integral_constantIbLb0EES1C_IbLb1EEEEDaS18_S19_EUlS18_E_NS1_11comp_targetILNS1_3genE3ELNS1_11target_archE908ELNS1_3gpuE7ELNS1_3repE0EEENS1_30default_config_static_selectorELNS0_4arch9wavefront6targetE1EEEvT1_.has_dyn_sized_stack, 0
	.set _ZN7rocprim17ROCPRIM_400000_NS6detail17trampoline_kernelINS0_14default_configENS1_25partition_config_selectorILNS1_17partition_subalgoE8ExNS0_10empty_typeEbEEZZNS1_14partition_implILS5_8ELb0ES3_jN6thrust23THRUST_200600_302600_NS6detail15normal_iteratorINSA_10device_ptrIxEEEEPS6_PKS6_NS0_5tupleIJNSA_16discard_iteratorINSA_11use_defaultEEES6_EEENSJ_IJSG_SG_EEENS0_18inequality_wrapperINSA_8equal_toIxEEEEPmJS6_EEE10hipError_tPvRmT3_T4_T5_T6_T7_T9_mT8_P12ihipStream_tbDpT10_ENKUlT_T0_E_clISt17integral_constantIbLb0EES1C_IbLb1EEEEDaS18_S19_EUlS18_E_NS1_11comp_targetILNS1_3genE3ELNS1_11target_archE908ELNS1_3gpuE7ELNS1_3repE0EEENS1_30default_config_static_selectorELNS0_4arch9wavefront6targetE1EEEvT1_.has_recursion, 0
	.set _ZN7rocprim17ROCPRIM_400000_NS6detail17trampoline_kernelINS0_14default_configENS1_25partition_config_selectorILNS1_17partition_subalgoE8ExNS0_10empty_typeEbEEZZNS1_14partition_implILS5_8ELb0ES3_jN6thrust23THRUST_200600_302600_NS6detail15normal_iteratorINSA_10device_ptrIxEEEEPS6_PKS6_NS0_5tupleIJNSA_16discard_iteratorINSA_11use_defaultEEES6_EEENSJ_IJSG_SG_EEENS0_18inequality_wrapperINSA_8equal_toIxEEEEPmJS6_EEE10hipError_tPvRmT3_T4_T5_T6_T7_T9_mT8_P12ihipStream_tbDpT10_ENKUlT_T0_E_clISt17integral_constantIbLb0EES1C_IbLb1EEEEDaS18_S19_EUlS18_E_NS1_11comp_targetILNS1_3genE3ELNS1_11target_archE908ELNS1_3gpuE7ELNS1_3repE0EEENS1_30default_config_static_selectorELNS0_4arch9wavefront6targetE1EEEvT1_.has_indirect_call, 0
	.section	.AMDGPU.csdata,"",@progbits
; Kernel info:
; codeLenInByte = 0
; TotalNumSgprs: 4
; NumVgprs: 0
; ScratchSize: 0
; MemoryBound: 0
; FloatMode: 240
; IeeeMode: 1
; LDSByteSize: 0 bytes/workgroup (compile time only)
; SGPRBlocks: 0
; VGPRBlocks: 0
; NumSGPRsForWavesPerEU: 4
; NumVGPRsForWavesPerEU: 1
; Occupancy: 10
; WaveLimiterHint : 0
; COMPUTE_PGM_RSRC2:SCRATCH_EN: 0
; COMPUTE_PGM_RSRC2:USER_SGPR: 6
; COMPUTE_PGM_RSRC2:TRAP_HANDLER: 0
; COMPUTE_PGM_RSRC2:TGID_X_EN: 1
; COMPUTE_PGM_RSRC2:TGID_Y_EN: 0
; COMPUTE_PGM_RSRC2:TGID_Z_EN: 0
; COMPUTE_PGM_RSRC2:TIDIG_COMP_CNT: 0
	.section	.text._ZN7rocprim17ROCPRIM_400000_NS6detail17trampoline_kernelINS0_14default_configENS1_25partition_config_selectorILNS1_17partition_subalgoE8ExNS0_10empty_typeEbEEZZNS1_14partition_implILS5_8ELb0ES3_jN6thrust23THRUST_200600_302600_NS6detail15normal_iteratorINSA_10device_ptrIxEEEEPS6_PKS6_NS0_5tupleIJNSA_16discard_iteratorINSA_11use_defaultEEES6_EEENSJ_IJSG_SG_EEENS0_18inequality_wrapperINSA_8equal_toIxEEEEPmJS6_EEE10hipError_tPvRmT3_T4_T5_T6_T7_T9_mT8_P12ihipStream_tbDpT10_ENKUlT_T0_E_clISt17integral_constantIbLb0EES1C_IbLb1EEEEDaS18_S19_EUlS18_E_NS1_11comp_targetILNS1_3genE2ELNS1_11target_archE906ELNS1_3gpuE6ELNS1_3repE0EEENS1_30default_config_static_selectorELNS0_4arch9wavefront6targetE1EEEvT1_,"axG",@progbits,_ZN7rocprim17ROCPRIM_400000_NS6detail17trampoline_kernelINS0_14default_configENS1_25partition_config_selectorILNS1_17partition_subalgoE8ExNS0_10empty_typeEbEEZZNS1_14partition_implILS5_8ELb0ES3_jN6thrust23THRUST_200600_302600_NS6detail15normal_iteratorINSA_10device_ptrIxEEEEPS6_PKS6_NS0_5tupleIJNSA_16discard_iteratorINSA_11use_defaultEEES6_EEENSJ_IJSG_SG_EEENS0_18inequality_wrapperINSA_8equal_toIxEEEEPmJS6_EEE10hipError_tPvRmT3_T4_T5_T6_T7_T9_mT8_P12ihipStream_tbDpT10_ENKUlT_T0_E_clISt17integral_constantIbLb0EES1C_IbLb1EEEEDaS18_S19_EUlS18_E_NS1_11comp_targetILNS1_3genE2ELNS1_11target_archE906ELNS1_3gpuE6ELNS1_3repE0EEENS1_30default_config_static_selectorELNS0_4arch9wavefront6targetE1EEEvT1_,comdat
	.protected	_ZN7rocprim17ROCPRIM_400000_NS6detail17trampoline_kernelINS0_14default_configENS1_25partition_config_selectorILNS1_17partition_subalgoE8ExNS0_10empty_typeEbEEZZNS1_14partition_implILS5_8ELb0ES3_jN6thrust23THRUST_200600_302600_NS6detail15normal_iteratorINSA_10device_ptrIxEEEEPS6_PKS6_NS0_5tupleIJNSA_16discard_iteratorINSA_11use_defaultEEES6_EEENSJ_IJSG_SG_EEENS0_18inequality_wrapperINSA_8equal_toIxEEEEPmJS6_EEE10hipError_tPvRmT3_T4_T5_T6_T7_T9_mT8_P12ihipStream_tbDpT10_ENKUlT_T0_E_clISt17integral_constantIbLb0EES1C_IbLb1EEEEDaS18_S19_EUlS18_E_NS1_11comp_targetILNS1_3genE2ELNS1_11target_archE906ELNS1_3gpuE6ELNS1_3repE0EEENS1_30default_config_static_selectorELNS0_4arch9wavefront6targetE1EEEvT1_ ; -- Begin function _ZN7rocprim17ROCPRIM_400000_NS6detail17trampoline_kernelINS0_14default_configENS1_25partition_config_selectorILNS1_17partition_subalgoE8ExNS0_10empty_typeEbEEZZNS1_14partition_implILS5_8ELb0ES3_jN6thrust23THRUST_200600_302600_NS6detail15normal_iteratorINSA_10device_ptrIxEEEEPS6_PKS6_NS0_5tupleIJNSA_16discard_iteratorINSA_11use_defaultEEES6_EEENSJ_IJSG_SG_EEENS0_18inequality_wrapperINSA_8equal_toIxEEEEPmJS6_EEE10hipError_tPvRmT3_T4_T5_T6_T7_T9_mT8_P12ihipStream_tbDpT10_ENKUlT_T0_E_clISt17integral_constantIbLb0EES1C_IbLb1EEEEDaS18_S19_EUlS18_E_NS1_11comp_targetILNS1_3genE2ELNS1_11target_archE906ELNS1_3gpuE6ELNS1_3repE0EEENS1_30default_config_static_selectorELNS0_4arch9wavefront6targetE1EEEvT1_
	.globl	_ZN7rocprim17ROCPRIM_400000_NS6detail17trampoline_kernelINS0_14default_configENS1_25partition_config_selectorILNS1_17partition_subalgoE8ExNS0_10empty_typeEbEEZZNS1_14partition_implILS5_8ELb0ES3_jN6thrust23THRUST_200600_302600_NS6detail15normal_iteratorINSA_10device_ptrIxEEEEPS6_PKS6_NS0_5tupleIJNSA_16discard_iteratorINSA_11use_defaultEEES6_EEENSJ_IJSG_SG_EEENS0_18inequality_wrapperINSA_8equal_toIxEEEEPmJS6_EEE10hipError_tPvRmT3_T4_T5_T6_T7_T9_mT8_P12ihipStream_tbDpT10_ENKUlT_T0_E_clISt17integral_constantIbLb0EES1C_IbLb1EEEEDaS18_S19_EUlS18_E_NS1_11comp_targetILNS1_3genE2ELNS1_11target_archE906ELNS1_3gpuE6ELNS1_3repE0EEENS1_30default_config_static_selectorELNS0_4arch9wavefront6targetE1EEEvT1_
	.p2align	8
	.type	_ZN7rocprim17ROCPRIM_400000_NS6detail17trampoline_kernelINS0_14default_configENS1_25partition_config_selectorILNS1_17partition_subalgoE8ExNS0_10empty_typeEbEEZZNS1_14partition_implILS5_8ELb0ES3_jN6thrust23THRUST_200600_302600_NS6detail15normal_iteratorINSA_10device_ptrIxEEEEPS6_PKS6_NS0_5tupleIJNSA_16discard_iteratorINSA_11use_defaultEEES6_EEENSJ_IJSG_SG_EEENS0_18inequality_wrapperINSA_8equal_toIxEEEEPmJS6_EEE10hipError_tPvRmT3_T4_T5_T6_T7_T9_mT8_P12ihipStream_tbDpT10_ENKUlT_T0_E_clISt17integral_constantIbLb0EES1C_IbLb1EEEEDaS18_S19_EUlS18_E_NS1_11comp_targetILNS1_3genE2ELNS1_11target_archE906ELNS1_3gpuE6ELNS1_3repE0EEENS1_30default_config_static_selectorELNS0_4arch9wavefront6targetE1EEEvT1_,@function
_ZN7rocprim17ROCPRIM_400000_NS6detail17trampoline_kernelINS0_14default_configENS1_25partition_config_selectorILNS1_17partition_subalgoE8ExNS0_10empty_typeEbEEZZNS1_14partition_implILS5_8ELb0ES3_jN6thrust23THRUST_200600_302600_NS6detail15normal_iteratorINSA_10device_ptrIxEEEEPS6_PKS6_NS0_5tupleIJNSA_16discard_iteratorINSA_11use_defaultEEES6_EEENSJ_IJSG_SG_EEENS0_18inequality_wrapperINSA_8equal_toIxEEEEPmJS6_EEE10hipError_tPvRmT3_T4_T5_T6_T7_T9_mT8_P12ihipStream_tbDpT10_ENKUlT_T0_E_clISt17integral_constantIbLb0EES1C_IbLb1EEEEDaS18_S19_EUlS18_E_NS1_11comp_targetILNS1_3genE2ELNS1_11target_archE906ELNS1_3gpuE6ELNS1_3repE0EEENS1_30default_config_static_selectorELNS0_4arch9wavefront6targetE1EEEvT1_: ; @_ZN7rocprim17ROCPRIM_400000_NS6detail17trampoline_kernelINS0_14default_configENS1_25partition_config_selectorILNS1_17partition_subalgoE8ExNS0_10empty_typeEbEEZZNS1_14partition_implILS5_8ELb0ES3_jN6thrust23THRUST_200600_302600_NS6detail15normal_iteratorINSA_10device_ptrIxEEEEPS6_PKS6_NS0_5tupleIJNSA_16discard_iteratorINSA_11use_defaultEEES6_EEENSJ_IJSG_SG_EEENS0_18inequality_wrapperINSA_8equal_toIxEEEEPmJS6_EEE10hipError_tPvRmT3_T4_T5_T6_T7_T9_mT8_P12ihipStream_tbDpT10_ENKUlT_T0_E_clISt17integral_constantIbLb0EES1C_IbLb1EEEEDaS18_S19_EUlS18_E_NS1_11comp_targetILNS1_3genE2ELNS1_11target_archE906ELNS1_3gpuE6ELNS1_3repE0EEENS1_30default_config_static_selectorELNS0_4arch9wavefront6targetE1EEEvT1_
; %bb.0:
	s_load_dwordx2 s[6:7], s[4:5], 0x58
	s_load_dwordx4 s[20:23], s[4:5], 0x48
	s_load_dwordx2 s[24:25], s[4:5], 0x68
	v_cmp_ne_u32_e64 s[2:3], 0, v0
	v_cmp_eq_u32_e64 s[0:1], 0, v0
	s_and_saveexec_b64 s[8:9], s[0:1]
	s_cbranch_execz .LBB657_4
; %bb.1:
	s_mov_b64 s[12:13], exec
	v_mbcnt_lo_u32_b32 v1, s12, 0
	v_mbcnt_hi_u32_b32 v1, s13, v1
	v_cmp_eq_u32_e32 vcc, 0, v1
                                        ; implicit-def: $vgpr2
	s_and_saveexec_b64 s[10:11], vcc
	s_cbranch_execz .LBB657_3
; %bb.2:
	s_load_dwordx2 s[14:15], s[4:5], 0x78
	s_bcnt1_i32_b64 s12, s[12:13]
	v_mov_b32_e32 v2, 0
	v_mov_b32_e32 v3, s12
	s_waitcnt lgkmcnt(0)
	global_atomic_add v2, v2, v3, s[14:15] glc
.LBB657_3:
	s_or_b64 exec, exec, s[10:11]
	s_waitcnt vmcnt(0)
	v_readfirstlane_b32 s10, v2
	v_add_u32_e32 v1, s10, v1
	v_mov_b32_e32 v2, 0
	ds_write_b32 v2, v1
.LBB657_4:
	s_or_b64 exec, exec, s[8:9]
	v_mov_b32_e32 v2, 0
	s_load_dwordx4 s[8:11], s[4:5], 0x8
	s_load_dword s12, s[4:5], 0x70
	s_waitcnt lgkmcnt(0)
	s_barrier
	ds_read_b32 v1, v2
	s_waitcnt lgkmcnt(0)
	s_barrier
	global_load_dwordx2 v[17:18], v2, s[22:23]
	s_lshl_b64 s[4:5], s[10:11], 3
	s_add_u32 s8, s8, s4
	s_movk_i32 s4, 0x700
	v_readfirstlane_b32 s33, v1
	v_mul_lo_u32 v1, v1, s4
	s_mul_i32 s4, s12, 0x700
	s_addc_u32 s9, s9, s5
	s_add_i32 s5, s4, s10
	s_add_i32 s13, s12, -1
	s_sub_i32 s34, s6, s5
	s_add_u32 s4, s10, s4
	s_addc_u32 s5, s11, 0
	v_mov_b32_e32 v3, s4
	v_mov_b32_e32 v4, s5
	v_cmp_le_u64_e32 vcc, s[6:7], v[3:4]
	s_cmp_eq_u32 s33, s13
	v_lshlrev_b64 v[1:2], 3, v[1:2]
	s_cselect_b64 s[22:23], -1, 0
	s_and_b64 s[16:17], vcc, s[22:23]
	v_mov_b32_e32 v3, s9
	v_add_co_u32_e32 v19, vcc, s8, v1
	s_xor_b64 s[6:7], s[16:17], -1
	v_addc_co_u32_e32 v20, vcc, v3, v2, vcc
	s_mov_b64 s[4:5], -1
	s_and_b64 vcc, exec, s[6:7]
	v_lshlrev_b32_e32 v22, 3, v0
	s_cbranch_vccz .LBB657_6
; %bb.5:
	v_add_co_u32_e32 v1, vcc, v19, v22
	v_addc_co_u32_e32 v2, vcc, 0, v20, vcc
	v_add_co_u32_e32 v3, vcc, 0x1000, v1
	v_addc_co_u32_e32 v4, vcc, 0, v2, vcc
	flat_load_dwordx2 v[5:6], v[1:2]
	flat_load_dwordx2 v[7:8], v[1:2] offset:2048
	flat_load_dwordx2 v[9:10], v[3:4]
	flat_load_dwordx2 v[11:12], v[3:4] offset:2048
	v_add_co_u32_e32 v3, vcc, 0x2000, v1
	v_addc_co_u32_e32 v4, vcc, 0, v2, vcc
	v_add_co_u32_e32 v1, vcc, 0x3000, v1
	v_addc_co_u32_e32 v2, vcc, 0, v2, vcc
	flat_load_dwordx2 v[13:14], v[3:4]
	flat_load_dwordx2 v[15:16], v[3:4] offset:2048
	flat_load_dwordx2 v[23:24], v[1:2]
	s_mov_b64 s[4:5], 0
	s_waitcnt vmcnt(0) lgkmcnt(0)
	ds_write2st64_b64 v22, v[5:6], v[7:8] offset1:4
	ds_write2st64_b64 v22, v[9:10], v[11:12] offset0:8 offset1:12
	ds_write2st64_b64 v22, v[13:14], v[15:16] offset0:16 offset1:20
	ds_write_b64 v22, v[23:24] offset:12288
	s_waitcnt lgkmcnt(0)
	s_barrier
.LBB657_6:
	s_andn2_b64 vcc, exec, s[4:5]
	s_addk_i32 s34, 0x700
	s_cbranch_vccnz .LBB657_22
; %bb.7:
	v_mov_b32_e32 v1, 0
	v_cmp_gt_u32_e32 vcc, s34, v0
	v_mov_b32_e32 v2, v1
	v_mov_b32_e32 v3, v1
	;; [unrolled: 1-line block ×13, first 2 shown]
	s_and_saveexec_b64 s[4:5], vcc
	s_cbranch_execz .LBB657_9
; %bb.8:
	v_add_co_u32_e32 v2, vcc, v19, v22
	v_addc_co_u32_e32 v3, vcc, 0, v20, vcc
	flat_load_dwordx2 v[2:3], v[2:3]
	v_mov_b32_e32 v4, v1
	v_mov_b32_e32 v5, v1
	;; [unrolled: 1-line block ×12, first 2 shown]
	s_waitcnt vmcnt(0) lgkmcnt(0)
	v_mov_b32_e32 v1, v2
	v_mov_b32_e32 v2, v3
	;; [unrolled: 1-line block ×16, first 2 shown]
.LBB657_9:
	s_or_b64 exec, exec, s[4:5]
	v_or_b32_e32 v15, 0x100, v0
	v_cmp_gt_u32_e32 vcc, s34, v15
	s_and_saveexec_b64 s[4:5], vcc
	s_cbranch_execz .LBB657_11
; %bb.10:
	v_add_co_u32_e32 v3, vcc, v19, v22
	v_addc_co_u32_e32 v4, vcc, 0, v20, vcc
	flat_load_dwordx2 v[3:4], v[3:4] offset:2048
.LBB657_11:
	s_or_b64 exec, exec, s[4:5]
	v_or_b32_e32 v15, 0x200, v0
	v_cmp_gt_u32_e32 vcc, s34, v15
	s_and_saveexec_b64 s[4:5], vcc
	s_cbranch_execz .LBB657_13
; %bb.12:
	v_lshlrev_b32_e32 v5, 3, v15
	v_add_co_u32_e32 v5, vcc, v19, v5
	v_addc_co_u32_e32 v6, vcc, 0, v20, vcc
	flat_load_dwordx2 v[5:6], v[5:6]
.LBB657_13:
	s_or_b64 exec, exec, s[4:5]
	v_or_b32_e32 v15, 0x300, v0
	v_cmp_gt_u32_e32 vcc, s34, v15
	s_and_saveexec_b64 s[4:5], vcc
	s_cbranch_execz .LBB657_15
; %bb.14:
	v_lshlrev_b32_e32 v7, 3, v15
	v_add_co_u32_e32 v7, vcc, v19, v7
	v_addc_co_u32_e32 v8, vcc, 0, v20, vcc
	flat_load_dwordx2 v[7:8], v[7:8]
.LBB657_15:
	;; [unrolled: 11-line block ×5, first 2 shown]
	s_or_b64 exec, exec, s[4:5]
	s_waitcnt vmcnt(0) lgkmcnt(0)
	ds_write2st64_b64 v22, v[1:2], v[3:4] offset1:4
	ds_write2st64_b64 v22, v[5:6], v[7:8] offset0:8 offset1:12
	ds_write2st64_b64 v22, v[9:10], v[11:12] offset0:16 offset1:20
	ds_write_b64 v22, v[13:14] offset:12288
	s_waitcnt lgkmcnt(0)
	s_barrier
.LBB657_22:
	v_mul_u32_u24_e32 v21, 7, v0
	v_lshlrev_b32_e32 v23, 3, v21
	ds_read2_b64 v[9:12], v23 offset1:1
	ds_read2_b64 v[5:8], v23 offset0:2 offset1:3
	ds_read2_b64 v[1:4], v23 offset0:4 offset1:5
	ds_read_b64 v[13:14], v23 offset:48
	s_cmp_lg_u32 s33, 0
	s_cselect_b64 s[18:19], -1, 0
	s_cmp_lg_u64 s[10:11], 0
	s_cselect_b64 s[4:5], -1, 0
	s_or_b64 s[4:5], s[4:5], s[18:19]
	s_mov_b64 s[26:27], 0
	s_and_b64 vcc, exec, s[4:5]
	s_waitcnt vmcnt(0) lgkmcnt(0)
	s_barrier
	s_cbranch_vccz .LBB657_27
; %bb.23:
	v_add_co_u32_e32 v15, vcc, -8, v19
	v_addc_co_u32_e32 v16, vcc, -1, v20, vcc
	flat_load_dwordx2 v[15:16], v[15:16]
	s_and_b64 vcc, exec, s[6:7]
	ds_write_b64 v22, v[13:14]
	s_cbranch_vccz .LBB657_28
; %bb.24:
	s_waitcnt vmcnt(0) lgkmcnt(0)
	v_mov_b32_e32 v20, v16
	v_mov_b32_e32 v19, v15
	s_barrier
	s_and_saveexec_b64 s[4:5], s[2:3]
; %bb.25:
	v_add_u32_e32 v19, -8, v22
	ds_read_b64 v[19:20], v19
; %bb.26:
	s_or_b64 exec, exec, s[4:5]
	v_cmp_ne_u64_e32 vcc, v[3:4], v[13:14]
	s_waitcnt lgkmcnt(0)
	v_cmp_ne_u64_e64 s[28:29], v[19:20], v[9:10]
	v_cndmask_b32_e64 v27, 0, 1, vcc
	v_cmp_ne_u64_e32 vcc, v[1:2], v[3:4]
	v_cndmask_b32_e64 v28, 0, 1, vcc
	v_cmp_ne_u64_e32 vcc, v[7:8], v[1:2]
	v_cndmask_b32_e64 v29, 0, 1, vcc
	v_cmp_ne_u64_e32 vcc, v[5:6], v[7:8]
	v_cndmask_b32_e64 v30, 0, 1, vcc
	v_cmp_ne_u64_e32 vcc, v[11:12], v[5:6]
	v_cndmask_b32_e64 v31, 0, 1, vcc
	v_cmp_ne_u64_e32 vcc, v[9:10], v[11:12]
	v_cndmask_b32_e64 v32, 0, 1, vcc
	s_branch .LBB657_32
.LBB657_27:
                                        ; implicit-def: $sgpr28_sgpr29
                                        ; implicit-def: $vgpr27
                                        ; implicit-def: $vgpr28
                                        ; implicit-def: $vgpr29
                                        ; implicit-def: $vgpr30
                                        ; implicit-def: $vgpr31
                                        ; implicit-def: $vgpr32
	s_branch .LBB657_33
.LBB657_28:
                                        ; implicit-def: $sgpr28_sgpr29
                                        ; implicit-def: $vgpr27
                                        ; implicit-def: $vgpr28
                                        ; implicit-def: $vgpr29
                                        ; implicit-def: $vgpr30
                                        ; implicit-def: $vgpr31
                                        ; implicit-def: $vgpr32
	s_cbranch_execz .LBB657_32
; %bb.29:
	s_waitcnt vmcnt(0) lgkmcnt(0)
	s_barrier
	s_and_saveexec_b64 s[4:5], s[2:3]
; %bb.30:
	v_add_u32_e32 v15, -8, v22
	ds_read_b64 v[15:16], v15
; %bb.31:
	s_or_b64 exec, exec, s[4:5]
	v_add_u32_e32 v19, 6, v21
	v_cmp_ne_u64_e32 vcc, v[3:4], v[13:14]
	v_cmp_gt_u32_e64 s[4:5], s34, v19
	s_and_b64 s[4:5], s[4:5], vcc
	v_add_u32_e32 v19, 5, v21
	v_cmp_ne_u64_e32 vcc, v[1:2], v[3:4]
	v_cndmask_b32_e64 v27, 0, 1, s[4:5]
	v_cmp_gt_u32_e64 s[4:5], s34, v19
	s_and_b64 s[4:5], s[4:5], vcc
	v_add_u32_e32 v19, 4, v21
	v_cmp_ne_u64_e32 vcc, v[7:8], v[1:2]
	v_cndmask_b32_e64 v28, 0, 1, s[4:5]
	;; [unrolled: 5-line block ×5, first 2 shown]
	v_cmp_gt_u32_e64 s[4:5], s34, v19
	s_and_b64 s[4:5], s[4:5], vcc
	s_waitcnt lgkmcnt(0)
	v_cmp_ne_u64_e32 vcc, v[15:16], v[9:10]
	v_cndmask_b32_e64 v32, 0, 1, s[4:5]
	v_cmp_gt_u32_e64 s[4:5], s34, v21
	s_and_b64 s[28:29], s[4:5], vcc
.LBB657_32:
	s_mov_b64 s[26:27], -1
	s_cbranch_execnz .LBB657_41
.LBB657_33:
	s_movk_i32 s4, 0xffd0
	s_waitcnt vmcnt(0) lgkmcnt(0)
	v_mad_i32_i24 v15, v0, s4, v23
	s_and_b64 vcc, exec, s[6:7]
	v_cmp_ne_u64_e64 s[4:5], v[3:4], v[13:14]
	v_cmp_ne_u64_e64 s[6:7], v[1:2], v[3:4]
	;; [unrolled: 1-line block ×6, first 2 shown]
	ds_write_b64 v15, v[13:14]
	s_cbranch_vccz .LBB657_37
; %bb.34:
	s_waitcnt lgkmcnt(0)
	s_barrier
                                        ; implicit-def: $sgpr28_sgpr29
	s_and_saveexec_b64 s[30:31], s[2:3]
	s_xor_b64 s[30:31], exec, s[30:31]
	s_cbranch_execz .LBB657_36
; %bb.35:
	v_add_u32_e32 v16, -8, v15
	ds_read_b64 v[19:20], v16
	s_or_b64 s[26:27], s[26:27], exec
	s_waitcnt lgkmcnt(0)
	v_cmp_ne_u64_e64 s[28:29], v[19:20], v[9:10]
.LBB657_36:
	s_or_b64 exec, exec, s[30:31]
	v_cndmask_b32_e64 v27, 0, 1, s[4:5]
	v_cndmask_b32_e64 v28, 0, 1, s[6:7]
	;; [unrolled: 1-line block ×6, first 2 shown]
	s_branch .LBB657_41
.LBB657_37:
                                        ; implicit-def: $sgpr28_sgpr29
                                        ; implicit-def: $vgpr27
                                        ; implicit-def: $vgpr28
                                        ; implicit-def: $vgpr29
                                        ; implicit-def: $vgpr30
                                        ; implicit-def: $vgpr31
                                        ; implicit-def: $vgpr32
	s_cbranch_execz .LBB657_41
; %bb.38:
	v_add_u32_e32 v16, 6, v21
	v_cmp_ne_u64_e32 vcc, v[3:4], v[13:14]
	v_cmp_gt_u32_e64 s[4:5], s34, v16
	s_and_b64 s[6:7], s[4:5], vcc
	v_add_u32_e32 v16, 5, v21
	v_cmp_ne_u64_e32 vcc, v[1:2], v[3:4]
	v_cmp_gt_u32_e64 s[4:5], s34, v16
	s_and_b64 s[8:9], s[4:5], vcc
	;; [unrolled: 4-line block ×6, first 2 shown]
	s_waitcnt lgkmcnt(0)
	s_barrier
                                        ; implicit-def: $sgpr28_sgpr29
	s_and_saveexec_b64 s[30:31], s[2:3]
	s_cbranch_execz .LBB657_40
; %bb.39:
	v_add_u32_e32 v15, -8, v15
	ds_read_b64 v[15:16], v15
	v_cmp_gt_u32_e64 s[2:3], s34, v21
	s_or_b64 s[26:27], s[26:27], exec
	s_waitcnt lgkmcnt(0)
	v_cmp_ne_u64_e32 vcc, v[15:16], v[9:10]
	s_and_b64 s[28:29], s[2:3], vcc
.LBB657_40:
	s_or_b64 exec, exec, s[30:31]
	v_cndmask_b32_e64 v27, 0, 1, s[6:7]
	v_cndmask_b32_e64 v28, 0, 1, s[8:9]
	;; [unrolled: 1-line block ×6, first 2 shown]
.LBB657_41:
	v_mov_b32_e32 v34, 1
	s_and_saveexec_b64 s[2:3], s[26:27]
; %bb.42:
	v_cndmask_b32_e64 v34, 0, 1, s[28:29]
; %bb.43:
	s_or_b64 exec, exec, s[2:3]
	s_andn2_b64 vcc, exec, s[16:17]
	s_cbranch_vccnz .LBB657_45
; %bb.44:
	v_cmp_gt_u32_e32 vcc, s34, v21
	s_waitcnt vmcnt(0) lgkmcnt(0)
	v_add_u32_e32 v15, 1, v21
	v_cndmask_b32_e32 v34, 0, v34, vcc
	v_cmp_gt_u32_e32 vcc, s34, v15
	v_add_u32_e32 v15, 2, v21
	v_cndmask_b32_e32 v32, 0, v32, vcc
	v_cmp_gt_u32_e32 vcc, s34, v15
	;; [unrolled: 3-line block ×6, first 2 shown]
	v_cndmask_b32_e32 v27, 0, v27, vcc
.LBB657_45:
	v_and_b32_e32 v39, 0xffff, v34
	v_and_b32_e32 v38, 0xff, v32
	;; [unrolled: 1-line block ×5, first 2 shown]
	s_waitcnt vmcnt(0) lgkmcnt(0)
	v_add3_u32 v16, v38, v39, v37
	v_and_b32_e32 v33, 0xff, v28
	v_and_b32_e32 v15, 0xff, v27
	v_add3_u32 v16, v16, v36, v35
	v_add3_u32 v42, v16, v33, v15
	v_mbcnt_lo_u32_b32 v15, -1, 0
	v_mbcnt_hi_u32_b32 v40, -1, v15
	v_and_b32_e32 v15, 15, v40
	v_cmp_eq_u32_e64 s[14:15], 0, v15
	v_cmp_lt_u32_e64 s[12:13], 1, v15
	v_cmp_lt_u32_e64 s[10:11], 3, v15
	;; [unrolled: 1-line block ×3, first 2 shown]
	v_and_b32_e32 v15, 16, v40
	v_cmp_eq_u32_e64 s[6:7], 0, v15
	v_or_b32_e32 v15, 63, v0
	v_cmp_lt_u32_e64 s[2:3], 31, v40
	v_lshrrev_b32_e32 v41, 6, v0
	v_cmp_eq_u32_e64 s[4:5], v0, v15
	s_and_b64 vcc, exec, s[18:19]
	s_barrier
	s_cbranch_vccz .LBB657_67
; %bb.46:
	v_mov_b32_dpp v15, v42 row_shr:1 row_mask:0xf bank_mask:0xf
	v_cndmask_b32_e64 v15, v15, 0, s[14:15]
	v_add_u32_e32 v15, v15, v42
	s_nop 1
	v_mov_b32_dpp v16, v15 row_shr:2 row_mask:0xf bank_mask:0xf
	v_cndmask_b32_e64 v16, 0, v16, s[12:13]
	v_add_u32_e32 v15, v15, v16
	s_nop 1
	;; [unrolled: 4-line block ×4, first 2 shown]
	v_mov_b32_dpp v16, v15 row_bcast:15 row_mask:0xf bank_mask:0xf
	v_cndmask_b32_e64 v16, v16, 0, s[6:7]
	v_add_u32_e32 v15, v15, v16
	s_nop 1
	v_mov_b32_dpp v16, v15 row_bcast:31 row_mask:0xf bank_mask:0xf
	v_cndmask_b32_e64 v16, 0, v16, s[2:3]
	v_add_u32_e32 v15, v15, v16
	s_and_saveexec_b64 s[16:17], s[4:5]
; %bb.47:
	v_lshlrev_b32_e32 v16, 2, v41
	ds_write_b32 v16, v15
; %bb.48:
	s_or_b64 exec, exec, s[16:17]
	v_cmp_gt_u32_e32 vcc, 4, v0
	s_waitcnt lgkmcnt(0)
	s_barrier
	s_and_saveexec_b64 s[16:17], vcc
	s_cbranch_execz .LBB657_50
; %bb.49:
	v_lshlrev_b32_e32 v16, 2, v0
	ds_read_b32 v19, v16
	v_and_b32_e32 v20, 3, v40
	v_cmp_ne_u32_e32 vcc, 0, v20
	s_waitcnt lgkmcnt(0)
	v_mov_b32_dpp v21, v19 row_shr:1 row_mask:0xf bank_mask:0xf
	v_cndmask_b32_e32 v21, 0, v21, vcc
	v_add_u32_e32 v19, v21, v19
	v_cmp_lt_u32_e32 vcc, 1, v20
	s_nop 0
	v_mov_b32_dpp v21, v19 row_shr:2 row_mask:0xf bank_mask:0xf
	v_cndmask_b32_e32 v20, 0, v21, vcc
	v_add_u32_e32 v19, v19, v20
	ds_write_b32 v16, v19
.LBB657_50:
	s_or_b64 exec, exec, s[16:17]
	v_cmp_gt_u32_e32 vcc, 64, v0
	v_cmp_lt_u32_e64 s[16:17], 63, v0
	s_waitcnt lgkmcnt(0)
	s_barrier
                                        ; implicit-def: $vgpr43
	s_and_saveexec_b64 s[18:19], s[16:17]
	s_cbranch_execz .LBB657_52
; %bb.51:
	v_lshl_add_u32 v16, v41, 2, -4
	ds_read_b32 v43, v16
	s_waitcnt lgkmcnt(0)
	v_add_u32_e32 v15, v43, v15
.LBB657_52:
	s_or_b64 exec, exec, s[18:19]
	v_subrev_co_u32_e64 v16, s[16:17], 1, v40
	v_and_b32_e32 v19, 64, v40
	v_cmp_lt_i32_e64 s[18:19], v16, v19
	v_cndmask_b32_e64 v16, v16, v40, s[18:19]
	v_lshlrev_b32_e32 v16, 2, v16
	ds_bpermute_b32 v44, v16, v15
	s_and_saveexec_b64 s[18:19], vcc
	s_cbranch_execz .LBB657_72
; %bb.53:
	v_mov_b32_e32 v23, 0
	ds_read_b32 v15, v23 offset:12
	s_and_saveexec_b64 s[26:27], s[16:17]
	s_cbranch_execz .LBB657_55
; %bb.54:
	s_add_i32 s28, s33, 64
	s_mov_b32 s29, 0
	s_lshl_b64 s[28:29], s[28:29], 3
	s_add_u32 s28, s24, s28
	v_mov_b32_e32 v16, 1
	s_addc_u32 s29, s25, s29
	s_waitcnt lgkmcnt(0)
	global_store_dwordx2 v23, v[15:16], s[28:29]
.LBB657_55:
	s_or_b64 exec, exec, s[26:27]
	v_xad_u32 v19, v40, -1, s33
	v_add_u32_e32 v22, 64, v19
	v_lshlrev_b64 v[20:21], 3, v[22:23]
	v_mov_b32_e32 v16, s25
	v_add_co_u32_e32 v24, vcc, s24, v20
	v_addc_co_u32_e32 v25, vcc, v16, v21, vcc
	global_load_dwordx2 v[21:22], v[24:25], off glc
	s_waitcnt vmcnt(0)
	v_cmp_eq_u16_sdwa s[28:29], v22, v23 src0_sel:BYTE_0 src1_sel:DWORD
	s_and_saveexec_b64 s[26:27], s[28:29]
	s_cbranch_execz .LBB657_59
; %bb.56:
	s_mov_b64 s[28:29], 0
	v_mov_b32_e32 v16, 0
.LBB657_57:                             ; =>This Inner Loop Header: Depth=1
	global_load_dwordx2 v[21:22], v[24:25], off glc
	s_waitcnt vmcnt(0)
	v_cmp_ne_u16_sdwa s[30:31], v22, v16 src0_sel:BYTE_0 src1_sel:DWORD
	s_or_b64 s[28:29], s[30:31], s[28:29]
	s_andn2_b64 exec, exec, s[28:29]
	s_cbranch_execnz .LBB657_57
; %bb.58:
	s_or_b64 exec, exec, s[28:29]
.LBB657_59:
	s_or_b64 exec, exec, s[26:27]
	v_and_b32_e32 v46, 63, v40
	v_mov_b32_e32 v45, 2
	v_lshlrev_b64 v[23:24], v40, -1
	v_cmp_ne_u32_e32 vcc, 63, v46
	v_cmp_eq_u16_sdwa s[26:27], v22, v45 src0_sel:BYTE_0 src1_sel:DWORD
	v_addc_co_u32_e32 v25, vcc, 0, v40, vcc
	v_and_b32_e32 v16, s27, v24
	v_lshlrev_b32_e32 v47, 2, v25
	v_or_b32_e32 v16, 0x80000000, v16
	ds_bpermute_b32 v25, v47, v21
	v_and_b32_e32 v20, s26, v23
	v_ffbl_b32_e32 v16, v16
	v_add_u32_e32 v16, 32, v16
	v_ffbl_b32_e32 v20, v20
	v_min_u32_e32 v16, v20, v16
	v_cmp_lt_u32_e32 vcc, v46, v16
	s_waitcnt lgkmcnt(0)
	v_cndmask_b32_e32 v20, 0, v25, vcc
	v_cmp_gt_u32_e32 vcc, 62, v46
	v_add_u32_e32 v20, v20, v21
	v_cndmask_b32_e64 v21, 0, 2, vcc
	v_add_lshl_u32 v48, v21, v40, 2
	ds_bpermute_b32 v21, v48, v20
	v_add_u32_e32 v49, 2, v46
	v_cmp_le_u32_e32 vcc, v49, v16
	v_add_u32_e32 v51, 4, v46
	v_add_u32_e32 v53, 8, v46
	s_waitcnt lgkmcnt(0)
	v_cndmask_b32_e32 v21, 0, v21, vcc
	v_cmp_gt_u32_e32 vcc, 60, v46
	v_add_u32_e32 v20, v20, v21
	v_cndmask_b32_e64 v21, 0, 4, vcc
	v_add_lshl_u32 v50, v21, v40, 2
	ds_bpermute_b32 v21, v50, v20
	v_cmp_le_u32_e32 vcc, v51, v16
	v_add_u32_e32 v55, 16, v46
	v_add_u32_e32 v57, 32, v46
	s_waitcnt lgkmcnt(0)
	v_cndmask_b32_e32 v21, 0, v21, vcc
	v_cmp_gt_u32_e32 vcc, 56, v46
	v_add_u32_e32 v20, v20, v21
	v_cndmask_b32_e64 v21, 0, 8, vcc
	v_add_lshl_u32 v52, v21, v40, 2
	ds_bpermute_b32 v21, v52, v20
	v_cmp_le_u32_e32 vcc, v53, v16
	s_waitcnt lgkmcnt(0)
	v_cndmask_b32_e32 v21, 0, v21, vcc
	v_cmp_gt_u32_e32 vcc, 48, v46
	v_add_u32_e32 v20, v20, v21
	v_cndmask_b32_e64 v21, 0, 16, vcc
	v_add_lshl_u32 v54, v21, v40, 2
	ds_bpermute_b32 v21, v54, v20
	v_cmp_le_u32_e32 vcc, v55, v16
	s_waitcnt lgkmcnt(0)
	v_cndmask_b32_e32 v21, 0, v21, vcc
	v_add_u32_e32 v20, v20, v21
	v_mov_b32_e32 v21, 0x80
	v_lshl_or_b32 v56, v40, 2, v21
	ds_bpermute_b32 v21, v56, v20
	v_cmp_le_u32_e32 vcc, v57, v16
	s_waitcnt lgkmcnt(0)
	v_cndmask_b32_e32 v16, 0, v21, vcc
	v_add_u32_e32 v21, v20, v16
	v_mov_b32_e32 v20, 0
	s_branch .LBB657_62
.LBB657_60:                             ;   in Loop: Header=BB657_62 Depth=1
	s_or_b64 exec, exec, s[26:27]
	v_cmp_eq_u16_sdwa s[26:27], v22, v45 src0_sel:BYTE_0 src1_sel:DWORD
	v_and_b32_e32 v25, s27, v24
	v_or_b32_e32 v25, 0x80000000, v25
	ds_bpermute_b32 v58, v47, v21
	v_and_b32_e32 v26, s26, v23
	v_ffbl_b32_e32 v25, v25
	v_add_u32_e32 v25, 32, v25
	v_ffbl_b32_e32 v26, v26
	v_min_u32_e32 v25, v26, v25
	v_cmp_lt_u32_e32 vcc, v46, v25
	s_waitcnt lgkmcnt(0)
	v_cndmask_b32_e32 v26, 0, v58, vcc
	v_add_u32_e32 v21, v26, v21
	ds_bpermute_b32 v26, v48, v21
	v_cmp_le_u32_e32 vcc, v49, v25
	v_subrev_u32_e32 v19, 64, v19
	s_mov_b64 s[26:27], 0
	s_waitcnt lgkmcnt(0)
	v_cndmask_b32_e32 v26, 0, v26, vcc
	v_add_u32_e32 v21, v21, v26
	ds_bpermute_b32 v26, v50, v21
	v_cmp_le_u32_e32 vcc, v51, v25
	s_waitcnt lgkmcnt(0)
	v_cndmask_b32_e32 v26, 0, v26, vcc
	v_add_u32_e32 v21, v21, v26
	ds_bpermute_b32 v26, v52, v21
	v_cmp_le_u32_e32 vcc, v53, v25
	;; [unrolled: 5-line block ×4, first 2 shown]
	s_waitcnt lgkmcnt(0)
	v_cndmask_b32_e32 v25, 0, v26, vcc
	v_add3_u32 v21, v25, v16, v21
.LBB657_61:                             ;   in Loop: Header=BB657_62 Depth=1
	s_and_b64 vcc, exec, s[26:27]
	s_cbranch_vccnz .LBB657_68
.LBB657_62:                             ; =>This Loop Header: Depth=1
                                        ;     Child Loop BB657_65 Depth 2
	v_cmp_ne_u16_sdwa s[26:27], v22, v45 src0_sel:BYTE_0 src1_sel:DWORD
	v_mov_b32_e32 v16, v21
	s_cmp_lg_u64 s[26:27], exec
	s_mov_b64 s[26:27], -1
                                        ; implicit-def: $vgpr21
                                        ; implicit-def: $vgpr22
	s_cbranch_scc1 .LBB657_61
; %bb.63:                               ;   in Loop: Header=BB657_62 Depth=1
	v_lshlrev_b64 v[21:22], 3, v[19:20]
	v_mov_b32_e32 v26, s25
	v_add_co_u32_e32 v25, vcc, s24, v21
	v_addc_co_u32_e32 v26, vcc, v26, v22, vcc
	global_load_dwordx2 v[21:22], v[25:26], off glc
	s_waitcnt vmcnt(0)
	v_cmp_eq_u16_sdwa s[28:29], v22, v20 src0_sel:BYTE_0 src1_sel:DWORD
	s_and_saveexec_b64 s[26:27], s[28:29]
	s_cbranch_execz .LBB657_60
; %bb.64:                               ;   in Loop: Header=BB657_62 Depth=1
	s_mov_b64 s[28:29], 0
.LBB657_65:                             ;   Parent Loop BB657_62 Depth=1
                                        ; =>  This Inner Loop Header: Depth=2
	global_load_dwordx2 v[21:22], v[25:26], off glc
	s_waitcnt vmcnt(0)
	v_cmp_ne_u16_sdwa s[30:31], v22, v20 src0_sel:BYTE_0 src1_sel:DWORD
	s_or_b64 s[28:29], s[30:31], s[28:29]
	s_andn2_b64 exec, exec, s[28:29]
	s_cbranch_execnz .LBB657_65
; %bb.66:                               ;   in Loop: Header=BB657_62 Depth=1
	s_or_b64 exec, exec, s[28:29]
	s_branch .LBB657_60
.LBB657_67:
                                        ; implicit-def: $vgpr16
                                        ; implicit-def: $vgpr19
	s_cbranch_execnz .LBB657_73
	s_branch .LBB657_82
.LBB657_68:
	s_and_saveexec_b64 s[26:27], s[16:17]
	s_cbranch_execz .LBB657_70
; %bb.69:
	s_add_i32 s28, s33, 64
	s_mov_b32 s29, 0
	s_lshl_b64 s[28:29], s[28:29], 3
	s_add_u32 s28, s24, s28
	v_add_u32_e32 v19, v16, v15
	v_mov_b32_e32 v20, 2
	s_addc_u32 s29, s25, s29
	v_mov_b32_e32 v21, 0
	global_store_dwordx2 v21, v[19:20], s[28:29]
	ds_write_b64 v21, v[15:16] offset:14336
.LBB657_70:
	s_or_b64 exec, exec, s[26:27]
	s_and_b64 exec, exec, s[0:1]
; %bb.71:
	v_mov_b32_e32 v15, 0
	ds_write_b32 v15, v16 offset:12
.LBB657_72:
	s_or_b64 exec, exec, s[18:19]
	v_mov_b32_e32 v15, 0
	s_waitcnt vmcnt(0) lgkmcnt(0)
	s_barrier
	ds_read_b32 v19, v15 offset:12
	s_waitcnt lgkmcnt(0)
	s_barrier
	ds_read_b64 v[15:16], v15 offset:14336
	v_cndmask_b32_e64 v20, v44, v43, s[16:17]
	v_cndmask_b32_e64 v20, v20, 0, s[0:1]
	v_add_u32_e32 v19, v19, v20
	s_branch .LBB657_82
.LBB657_73:
	s_waitcnt lgkmcnt(0)
	v_mov_b32_dpp v15, v42 row_shr:1 row_mask:0xf bank_mask:0xf
	v_cndmask_b32_e64 v15, v15, 0, s[14:15]
	v_add_u32_e32 v15, v15, v42
	s_nop 1
	v_mov_b32_dpp v16, v15 row_shr:2 row_mask:0xf bank_mask:0xf
	v_cndmask_b32_e64 v16, 0, v16, s[12:13]
	v_add_u32_e32 v15, v15, v16
	s_nop 1
	;; [unrolled: 4-line block ×4, first 2 shown]
	v_mov_b32_dpp v16, v15 row_bcast:15 row_mask:0xf bank_mask:0xf
	v_cndmask_b32_e64 v16, v16, 0, s[6:7]
	v_add_u32_e32 v15, v15, v16
	s_nop 1
	v_mov_b32_dpp v16, v15 row_bcast:31 row_mask:0xf bank_mask:0xf
	v_cndmask_b32_e64 v16, 0, v16, s[2:3]
	v_add_u32_e32 v15, v15, v16
	s_and_saveexec_b64 s[2:3], s[4:5]
; %bb.74:
	v_lshlrev_b32_e32 v16, 2, v41
	ds_write_b32 v16, v15
; %bb.75:
	s_or_b64 exec, exec, s[2:3]
	v_cmp_gt_u32_e32 vcc, 4, v0
	s_waitcnt lgkmcnt(0)
	s_barrier
	s_and_saveexec_b64 s[2:3], vcc
	s_cbranch_execz .LBB657_77
; %bb.76:
	v_lshlrev_b32_e32 v16, 2, v0
	ds_read_b32 v19, v16
	v_and_b32_e32 v20, 3, v40
	v_cmp_ne_u32_e32 vcc, 0, v20
	s_waitcnt lgkmcnt(0)
	v_mov_b32_dpp v21, v19 row_shr:1 row_mask:0xf bank_mask:0xf
	v_cndmask_b32_e32 v21, 0, v21, vcc
	v_add_u32_e32 v19, v21, v19
	v_cmp_lt_u32_e32 vcc, 1, v20
	s_nop 0
	v_mov_b32_dpp v21, v19 row_shr:2 row_mask:0xf bank_mask:0xf
	v_cndmask_b32_e32 v20, 0, v21, vcc
	v_add_u32_e32 v19, v19, v20
	ds_write_b32 v16, v19
.LBB657_77:
	s_or_b64 exec, exec, s[2:3]
	v_cmp_lt_u32_e32 vcc, 63, v0
	v_mov_b32_e32 v16, 0
	v_mov_b32_e32 v0, 0
	s_waitcnt lgkmcnt(0)
	s_barrier
	s_and_saveexec_b64 s[2:3], vcc
; %bb.78:
	v_lshl_add_u32 v0, v41, 2, -4
	ds_read_b32 v0, v0
; %bb.79:
	s_or_b64 exec, exec, s[2:3]
	v_subrev_co_u32_e32 v19, vcc, 1, v40
	v_and_b32_e32 v20, 64, v40
	v_cmp_lt_i32_e64 s[2:3], v19, v20
	v_cndmask_b32_e64 v19, v19, v40, s[2:3]
	s_waitcnt lgkmcnt(0)
	v_add_u32_e32 v15, v0, v15
	v_lshlrev_b32_e32 v19, 2, v19
	ds_bpermute_b32 v19, v19, v15
	ds_read_b32 v15, v16 offset:12
	s_and_saveexec_b64 s[2:3], s[0:1]
	s_cbranch_execz .LBB657_81
; %bb.80:
	v_mov_b32_e32 v20, 0
	v_mov_b32_e32 v16, 2
	s_waitcnt lgkmcnt(0)
	global_store_dwordx2 v20, v[15:16], s[24:25] offset:512
.LBB657_81:
	s_or_b64 exec, exec, s[2:3]
	s_waitcnt lgkmcnt(1)
	v_cndmask_b32_e32 v0, v19, v0, vcc
	v_cndmask_b32_e64 v19, v0, 0, s[0:1]
	s_waitcnt vmcnt(0) lgkmcnt(0)
	s_barrier
	v_mov_b32_e32 v16, 0
.LBB657_82:
	s_movk_i32 s2, 0x101
	s_waitcnt lgkmcnt(0)
	v_cmp_gt_u32_e32 vcc, s2, v15
	s_cbranch_vccz .LBB657_85
; %bb.83:
	s_and_b64 s[0:1], s[0:1], s[22:23]
	s_and_saveexec_b64 s[2:3], s[0:1]
	s_cbranch_execnz .LBB657_100
.LBB657_84:
	s_endpgm
.LBB657_85:
	v_and_b32_e32 v0, 1, v34
	v_cmp_eq_u32_e32 vcc, 1, v0
	s_and_saveexec_b64 s[2:3], vcc
; %bb.86:
	v_sub_u32_e32 v0, v19, v16
	v_lshlrev_b32_e32 v0, 3, v0
	ds_write_b64 v0, v[9:10]
; %bb.87:
	s_or_b64 exec, exec, s[2:3]
	v_and_b32_e32 v9, 1, v32
	v_add_u32_e32 v0, v19, v39
	v_cmp_eq_u32_e32 vcc, 1, v9
	s_and_saveexec_b64 s[2:3], vcc
; %bb.88:
	v_sub_u32_e32 v9, v0, v16
	v_lshlrev_b32_e32 v9, 3, v9
	ds_write_b64 v9, v[11:12]
; %bb.89:
	s_or_b64 exec, exec, s[2:3]
	v_and_b32_e32 v9, 1, v31
	v_add_u32_e32 v0, v0, v38
	;; [unrolled: 10-line block ×5, first 2 shown]
	v_cmp_eq_u32_e32 vcc, 1, v1
	s_and_saveexec_b64 s[2:3], vcc
; %bb.96:
	v_sub_u32_e32 v1, v0, v16
	v_lshlrev_b32_e32 v1, 3, v1
	ds_write_b64 v1, v[3:4]
; %bb.97:
	s_or_b64 exec, exec, s[2:3]
	v_and_b32_e32 v1, 1, v27
	v_cmp_eq_u32_e32 vcc, 1, v1
	s_and_saveexec_b64 s[2:3], vcc
; %bb.98:
	v_sub_u32_e32 v1, v33, v16
	v_lshlrev_b32_e32 v0, 3, v0
	v_lshl_add_u32 v0, v1, 3, v0
	ds_write_b64 v0, v[13:14]
; %bb.99:
	s_or_b64 exec, exec, s[2:3]
	s_waitcnt lgkmcnt(0)
	s_barrier
	s_and_b64 s[0:1], s[0:1], s[22:23]
	s_and_saveexec_b64 s[2:3], s[0:1]
	s_cbranch_execz .LBB657_84
.LBB657_100:
	v_add_co_u32_e32 v0, vcc, v17, v15
	v_addc_co_u32_e32 v1, vcc, 0, v18, vcc
	v_add_co_u32_e32 v0, vcc, v0, v16
	v_mov_b32_e32 v2, 0
	v_addc_co_u32_e32 v1, vcc, 0, v1, vcc
	global_store_dwordx2 v2, v[0:1], s[20:21]
	s_endpgm
	.section	.rodata,"a",@progbits
	.p2align	6, 0x0
	.amdhsa_kernel _ZN7rocprim17ROCPRIM_400000_NS6detail17trampoline_kernelINS0_14default_configENS1_25partition_config_selectorILNS1_17partition_subalgoE8ExNS0_10empty_typeEbEEZZNS1_14partition_implILS5_8ELb0ES3_jN6thrust23THRUST_200600_302600_NS6detail15normal_iteratorINSA_10device_ptrIxEEEEPS6_PKS6_NS0_5tupleIJNSA_16discard_iteratorINSA_11use_defaultEEES6_EEENSJ_IJSG_SG_EEENS0_18inequality_wrapperINSA_8equal_toIxEEEEPmJS6_EEE10hipError_tPvRmT3_T4_T5_T6_T7_T9_mT8_P12ihipStream_tbDpT10_ENKUlT_T0_E_clISt17integral_constantIbLb0EES1C_IbLb1EEEEDaS18_S19_EUlS18_E_NS1_11comp_targetILNS1_3genE2ELNS1_11target_archE906ELNS1_3gpuE6ELNS1_3repE0EEENS1_30default_config_static_selectorELNS0_4arch9wavefront6targetE1EEEvT1_
		.amdhsa_group_segment_fixed_size 14344
		.amdhsa_private_segment_fixed_size 0
		.amdhsa_kernarg_size 136
		.amdhsa_user_sgpr_count 6
		.amdhsa_user_sgpr_private_segment_buffer 1
		.amdhsa_user_sgpr_dispatch_ptr 0
		.amdhsa_user_sgpr_queue_ptr 0
		.amdhsa_user_sgpr_kernarg_segment_ptr 1
		.amdhsa_user_sgpr_dispatch_id 0
		.amdhsa_user_sgpr_flat_scratch_init 0
		.amdhsa_user_sgpr_private_segment_size 0
		.amdhsa_uses_dynamic_stack 0
		.amdhsa_system_sgpr_private_segment_wavefront_offset 0
		.amdhsa_system_sgpr_workgroup_id_x 1
		.amdhsa_system_sgpr_workgroup_id_y 0
		.amdhsa_system_sgpr_workgroup_id_z 0
		.amdhsa_system_sgpr_workgroup_info 0
		.amdhsa_system_vgpr_workitem_id 0
		.amdhsa_next_free_vgpr 59
		.amdhsa_next_free_sgpr 98
		.amdhsa_reserve_vcc 1
		.amdhsa_reserve_flat_scratch 0
		.amdhsa_float_round_mode_32 0
		.amdhsa_float_round_mode_16_64 0
		.amdhsa_float_denorm_mode_32 3
		.amdhsa_float_denorm_mode_16_64 3
		.amdhsa_dx10_clamp 1
		.amdhsa_ieee_mode 1
		.amdhsa_fp16_overflow 0
		.amdhsa_exception_fp_ieee_invalid_op 0
		.amdhsa_exception_fp_denorm_src 0
		.amdhsa_exception_fp_ieee_div_zero 0
		.amdhsa_exception_fp_ieee_overflow 0
		.amdhsa_exception_fp_ieee_underflow 0
		.amdhsa_exception_fp_ieee_inexact 0
		.amdhsa_exception_int_div_zero 0
	.end_amdhsa_kernel
	.section	.text._ZN7rocprim17ROCPRIM_400000_NS6detail17trampoline_kernelINS0_14default_configENS1_25partition_config_selectorILNS1_17partition_subalgoE8ExNS0_10empty_typeEbEEZZNS1_14partition_implILS5_8ELb0ES3_jN6thrust23THRUST_200600_302600_NS6detail15normal_iteratorINSA_10device_ptrIxEEEEPS6_PKS6_NS0_5tupleIJNSA_16discard_iteratorINSA_11use_defaultEEES6_EEENSJ_IJSG_SG_EEENS0_18inequality_wrapperINSA_8equal_toIxEEEEPmJS6_EEE10hipError_tPvRmT3_T4_T5_T6_T7_T9_mT8_P12ihipStream_tbDpT10_ENKUlT_T0_E_clISt17integral_constantIbLb0EES1C_IbLb1EEEEDaS18_S19_EUlS18_E_NS1_11comp_targetILNS1_3genE2ELNS1_11target_archE906ELNS1_3gpuE6ELNS1_3repE0EEENS1_30default_config_static_selectorELNS0_4arch9wavefront6targetE1EEEvT1_,"axG",@progbits,_ZN7rocprim17ROCPRIM_400000_NS6detail17trampoline_kernelINS0_14default_configENS1_25partition_config_selectorILNS1_17partition_subalgoE8ExNS0_10empty_typeEbEEZZNS1_14partition_implILS5_8ELb0ES3_jN6thrust23THRUST_200600_302600_NS6detail15normal_iteratorINSA_10device_ptrIxEEEEPS6_PKS6_NS0_5tupleIJNSA_16discard_iteratorINSA_11use_defaultEEES6_EEENSJ_IJSG_SG_EEENS0_18inequality_wrapperINSA_8equal_toIxEEEEPmJS6_EEE10hipError_tPvRmT3_T4_T5_T6_T7_T9_mT8_P12ihipStream_tbDpT10_ENKUlT_T0_E_clISt17integral_constantIbLb0EES1C_IbLb1EEEEDaS18_S19_EUlS18_E_NS1_11comp_targetILNS1_3genE2ELNS1_11target_archE906ELNS1_3gpuE6ELNS1_3repE0EEENS1_30default_config_static_selectorELNS0_4arch9wavefront6targetE1EEEvT1_,comdat
.Lfunc_end657:
	.size	_ZN7rocprim17ROCPRIM_400000_NS6detail17trampoline_kernelINS0_14default_configENS1_25partition_config_selectorILNS1_17partition_subalgoE8ExNS0_10empty_typeEbEEZZNS1_14partition_implILS5_8ELb0ES3_jN6thrust23THRUST_200600_302600_NS6detail15normal_iteratorINSA_10device_ptrIxEEEEPS6_PKS6_NS0_5tupleIJNSA_16discard_iteratorINSA_11use_defaultEEES6_EEENSJ_IJSG_SG_EEENS0_18inequality_wrapperINSA_8equal_toIxEEEEPmJS6_EEE10hipError_tPvRmT3_T4_T5_T6_T7_T9_mT8_P12ihipStream_tbDpT10_ENKUlT_T0_E_clISt17integral_constantIbLb0EES1C_IbLb1EEEEDaS18_S19_EUlS18_E_NS1_11comp_targetILNS1_3genE2ELNS1_11target_archE906ELNS1_3gpuE6ELNS1_3repE0EEENS1_30default_config_static_selectorELNS0_4arch9wavefront6targetE1EEEvT1_, .Lfunc_end657-_ZN7rocprim17ROCPRIM_400000_NS6detail17trampoline_kernelINS0_14default_configENS1_25partition_config_selectorILNS1_17partition_subalgoE8ExNS0_10empty_typeEbEEZZNS1_14partition_implILS5_8ELb0ES3_jN6thrust23THRUST_200600_302600_NS6detail15normal_iteratorINSA_10device_ptrIxEEEEPS6_PKS6_NS0_5tupleIJNSA_16discard_iteratorINSA_11use_defaultEEES6_EEENSJ_IJSG_SG_EEENS0_18inequality_wrapperINSA_8equal_toIxEEEEPmJS6_EEE10hipError_tPvRmT3_T4_T5_T6_T7_T9_mT8_P12ihipStream_tbDpT10_ENKUlT_T0_E_clISt17integral_constantIbLb0EES1C_IbLb1EEEEDaS18_S19_EUlS18_E_NS1_11comp_targetILNS1_3genE2ELNS1_11target_archE906ELNS1_3gpuE6ELNS1_3repE0EEENS1_30default_config_static_selectorELNS0_4arch9wavefront6targetE1EEEvT1_
                                        ; -- End function
	.set _ZN7rocprim17ROCPRIM_400000_NS6detail17trampoline_kernelINS0_14default_configENS1_25partition_config_selectorILNS1_17partition_subalgoE8ExNS0_10empty_typeEbEEZZNS1_14partition_implILS5_8ELb0ES3_jN6thrust23THRUST_200600_302600_NS6detail15normal_iteratorINSA_10device_ptrIxEEEEPS6_PKS6_NS0_5tupleIJNSA_16discard_iteratorINSA_11use_defaultEEES6_EEENSJ_IJSG_SG_EEENS0_18inequality_wrapperINSA_8equal_toIxEEEEPmJS6_EEE10hipError_tPvRmT3_T4_T5_T6_T7_T9_mT8_P12ihipStream_tbDpT10_ENKUlT_T0_E_clISt17integral_constantIbLb0EES1C_IbLb1EEEEDaS18_S19_EUlS18_E_NS1_11comp_targetILNS1_3genE2ELNS1_11target_archE906ELNS1_3gpuE6ELNS1_3repE0EEENS1_30default_config_static_selectorELNS0_4arch9wavefront6targetE1EEEvT1_.num_vgpr, 59
	.set _ZN7rocprim17ROCPRIM_400000_NS6detail17trampoline_kernelINS0_14default_configENS1_25partition_config_selectorILNS1_17partition_subalgoE8ExNS0_10empty_typeEbEEZZNS1_14partition_implILS5_8ELb0ES3_jN6thrust23THRUST_200600_302600_NS6detail15normal_iteratorINSA_10device_ptrIxEEEEPS6_PKS6_NS0_5tupleIJNSA_16discard_iteratorINSA_11use_defaultEEES6_EEENSJ_IJSG_SG_EEENS0_18inequality_wrapperINSA_8equal_toIxEEEEPmJS6_EEE10hipError_tPvRmT3_T4_T5_T6_T7_T9_mT8_P12ihipStream_tbDpT10_ENKUlT_T0_E_clISt17integral_constantIbLb0EES1C_IbLb1EEEEDaS18_S19_EUlS18_E_NS1_11comp_targetILNS1_3genE2ELNS1_11target_archE906ELNS1_3gpuE6ELNS1_3repE0EEENS1_30default_config_static_selectorELNS0_4arch9wavefront6targetE1EEEvT1_.num_agpr, 0
	.set _ZN7rocprim17ROCPRIM_400000_NS6detail17trampoline_kernelINS0_14default_configENS1_25partition_config_selectorILNS1_17partition_subalgoE8ExNS0_10empty_typeEbEEZZNS1_14partition_implILS5_8ELb0ES3_jN6thrust23THRUST_200600_302600_NS6detail15normal_iteratorINSA_10device_ptrIxEEEEPS6_PKS6_NS0_5tupleIJNSA_16discard_iteratorINSA_11use_defaultEEES6_EEENSJ_IJSG_SG_EEENS0_18inequality_wrapperINSA_8equal_toIxEEEEPmJS6_EEE10hipError_tPvRmT3_T4_T5_T6_T7_T9_mT8_P12ihipStream_tbDpT10_ENKUlT_T0_E_clISt17integral_constantIbLb0EES1C_IbLb1EEEEDaS18_S19_EUlS18_E_NS1_11comp_targetILNS1_3genE2ELNS1_11target_archE906ELNS1_3gpuE6ELNS1_3repE0EEENS1_30default_config_static_selectorELNS0_4arch9wavefront6targetE1EEEvT1_.numbered_sgpr, 35
	.set _ZN7rocprim17ROCPRIM_400000_NS6detail17trampoline_kernelINS0_14default_configENS1_25partition_config_selectorILNS1_17partition_subalgoE8ExNS0_10empty_typeEbEEZZNS1_14partition_implILS5_8ELb0ES3_jN6thrust23THRUST_200600_302600_NS6detail15normal_iteratorINSA_10device_ptrIxEEEEPS6_PKS6_NS0_5tupleIJNSA_16discard_iteratorINSA_11use_defaultEEES6_EEENSJ_IJSG_SG_EEENS0_18inequality_wrapperINSA_8equal_toIxEEEEPmJS6_EEE10hipError_tPvRmT3_T4_T5_T6_T7_T9_mT8_P12ihipStream_tbDpT10_ENKUlT_T0_E_clISt17integral_constantIbLb0EES1C_IbLb1EEEEDaS18_S19_EUlS18_E_NS1_11comp_targetILNS1_3genE2ELNS1_11target_archE906ELNS1_3gpuE6ELNS1_3repE0EEENS1_30default_config_static_selectorELNS0_4arch9wavefront6targetE1EEEvT1_.num_named_barrier, 0
	.set _ZN7rocprim17ROCPRIM_400000_NS6detail17trampoline_kernelINS0_14default_configENS1_25partition_config_selectorILNS1_17partition_subalgoE8ExNS0_10empty_typeEbEEZZNS1_14partition_implILS5_8ELb0ES3_jN6thrust23THRUST_200600_302600_NS6detail15normal_iteratorINSA_10device_ptrIxEEEEPS6_PKS6_NS0_5tupleIJNSA_16discard_iteratorINSA_11use_defaultEEES6_EEENSJ_IJSG_SG_EEENS0_18inequality_wrapperINSA_8equal_toIxEEEEPmJS6_EEE10hipError_tPvRmT3_T4_T5_T6_T7_T9_mT8_P12ihipStream_tbDpT10_ENKUlT_T0_E_clISt17integral_constantIbLb0EES1C_IbLb1EEEEDaS18_S19_EUlS18_E_NS1_11comp_targetILNS1_3genE2ELNS1_11target_archE906ELNS1_3gpuE6ELNS1_3repE0EEENS1_30default_config_static_selectorELNS0_4arch9wavefront6targetE1EEEvT1_.private_seg_size, 0
	.set _ZN7rocprim17ROCPRIM_400000_NS6detail17trampoline_kernelINS0_14default_configENS1_25partition_config_selectorILNS1_17partition_subalgoE8ExNS0_10empty_typeEbEEZZNS1_14partition_implILS5_8ELb0ES3_jN6thrust23THRUST_200600_302600_NS6detail15normal_iteratorINSA_10device_ptrIxEEEEPS6_PKS6_NS0_5tupleIJNSA_16discard_iteratorINSA_11use_defaultEEES6_EEENSJ_IJSG_SG_EEENS0_18inequality_wrapperINSA_8equal_toIxEEEEPmJS6_EEE10hipError_tPvRmT3_T4_T5_T6_T7_T9_mT8_P12ihipStream_tbDpT10_ENKUlT_T0_E_clISt17integral_constantIbLb0EES1C_IbLb1EEEEDaS18_S19_EUlS18_E_NS1_11comp_targetILNS1_3genE2ELNS1_11target_archE906ELNS1_3gpuE6ELNS1_3repE0EEENS1_30default_config_static_selectorELNS0_4arch9wavefront6targetE1EEEvT1_.uses_vcc, 1
	.set _ZN7rocprim17ROCPRIM_400000_NS6detail17trampoline_kernelINS0_14default_configENS1_25partition_config_selectorILNS1_17partition_subalgoE8ExNS0_10empty_typeEbEEZZNS1_14partition_implILS5_8ELb0ES3_jN6thrust23THRUST_200600_302600_NS6detail15normal_iteratorINSA_10device_ptrIxEEEEPS6_PKS6_NS0_5tupleIJNSA_16discard_iteratorINSA_11use_defaultEEES6_EEENSJ_IJSG_SG_EEENS0_18inequality_wrapperINSA_8equal_toIxEEEEPmJS6_EEE10hipError_tPvRmT3_T4_T5_T6_T7_T9_mT8_P12ihipStream_tbDpT10_ENKUlT_T0_E_clISt17integral_constantIbLb0EES1C_IbLb1EEEEDaS18_S19_EUlS18_E_NS1_11comp_targetILNS1_3genE2ELNS1_11target_archE906ELNS1_3gpuE6ELNS1_3repE0EEENS1_30default_config_static_selectorELNS0_4arch9wavefront6targetE1EEEvT1_.uses_flat_scratch, 0
	.set _ZN7rocprim17ROCPRIM_400000_NS6detail17trampoline_kernelINS0_14default_configENS1_25partition_config_selectorILNS1_17partition_subalgoE8ExNS0_10empty_typeEbEEZZNS1_14partition_implILS5_8ELb0ES3_jN6thrust23THRUST_200600_302600_NS6detail15normal_iteratorINSA_10device_ptrIxEEEEPS6_PKS6_NS0_5tupleIJNSA_16discard_iteratorINSA_11use_defaultEEES6_EEENSJ_IJSG_SG_EEENS0_18inequality_wrapperINSA_8equal_toIxEEEEPmJS6_EEE10hipError_tPvRmT3_T4_T5_T6_T7_T9_mT8_P12ihipStream_tbDpT10_ENKUlT_T0_E_clISt17integral_constantIbLb0EES1C_IbLb1EEEEDaS18_S19_EUlS18_E_NS1_11comp_targetILNS1_3genE2ELNS1_11target_archE906ELNS1_3gpuE6ELNS1_3repE0EEENS1_30default_config_static_selectorELNS0_4arch9wavefront6targetE1EEEvT1_.has_dyn_sized_stack, 0
	.set _ZN7rocprim17ROCPRIM_400000_NS6detail17trampoline_kernelINS0_14default_configENS1_25partition_config_selectorILNS1_17partition_subalgoE8ExNS0_10empty_typeEbEEZZNS1_14partition_implILS5_8ELb0ES3_jN6thrust23THRUST_200600_302600_NS6detail15normal_iteratorINSA_10device_ptrIxEEEEPS6_PKS6_NS0_5tupleIJNSA_16discard_iteratorINSA_11use_defaultEEES6_EEENSJ_IJSG_SG_EEENS0_18inequality_wrapperINSA_8equal_toIxEEEEPmJS6_EEE10hipError_tPvRmT3_T4_T5_T6_T7_T9_mT8_P12ihipStream_tbDpT10_ENKUlT_T0_E_clISt17integral_constantIbLb0EES1C_IbLb1EEEEDaS18_S19_EUlS18_E_NS1_11comp_targetILNS1_3genE2ELNS1_11target_archE906ELNS1_3gpuE6ELNS1_3repE0EEENS1_30default_config_static_selectorELNS0_4arch9wavefront6targetE1EEEvT1_.has_recursion, 0
	.set _ZN7rocprim17ROCPRIM_400000_NS6detail17trampoline_kernelINS0_14default_configENS1_25partition_config_selectorILNS1_17partition_subalgoE8ExNS0_10empty_typeEbEEZZNS1_14partition_implILS5_8ELb0ES3_jN6thrust23THRUST_200600_302600_NS6detail15normal_iteratorINSA_10device_ptrIxEEEEPS6_PKS6_NS0_5tupleIJNSA_16discard_iteratorINSA_11use_defaultEEES6_EEENSJ_IJSG_SG_EEENS0_18inequality_wrapperINSA_8equal_toIxEEEEPmJS6_EEE10hipError_tPvRmT3_T4_T5_T6_T7_T9_mT8_P12ihipStream_tbDpT10_ENKUlT_T0_E_clISt17integral_constantIbLb0EES1C_IbLb1EEEEDaS18_S19_EUlS18_E_NS1_11comp_targetILNS1_3genE2ELNS1_11target_archE906ELNS1_3gpuE6ELNS1_3repE0EEENS1_30default_config_static_selectorELNS0_4arch9wavefront6targetE1EEEvT1_.has_indirect_call, 0
	.section	.AMDGPU.csdata,"",@progbits
; Kernel info:
; codeLenInByte = 4248
; TotalNumSgprs: 39
; NumVgprs: 59
; ScratchSize: 0
; MemoryBound: 0
; FloatMode: 240
; IeeeMode: 1
; LDSByteSize: 14344 bytes/workgroup (compile time only)
; SGPRBlocks: 12
; VGPRBlocks: 14
; NumSGPRsForWavesPerEU: 102
; NumVGPRsForWavesPerEU: 59
; Occupancy: 4
; WaveLimiterHint : 1
; COMPUTE_PGM_RSRC2:SCRATCH_EN: 0
; COMPUTE_PGM_RSRC2:USER_SGPR: 6
; COMPUTE_PGM_RSRC2:TRAP_HANDLER: 0
; COMPUTE_PGM_RSRC2:TGID_X_EN: 1
; COMPUTE_PGM_RSRC2:TGID_Y_EN: 0
; COMPUTE_PGM_RSRC2:TGID_Z_EN: 0
; COMPUTE_PGM_RSRC2:TIDIG_COMP_CNT: 0
	.section	.text._ZN7rocprim17ROCPRIM_400000_NS6detail17trampoline_kernelINS0_14default_configENS1_25partition_config_selectorILNS1_17partition_subalgoE8ExNS0_10empty_typeEbEEZZNS1_14partition_implILS5_8ELb0ES3_jN6thrust23THRUST_200600_302600_NS6detail15normal_iteratorINSA_10device_ptrIxEEEEPS6_PKS6_NS0_5tupleIJNSA_16discard_iteratorINSA_11use_defaultEEES6_EEENSJ_IJSG_SG_EEENS0_18inequality_wrapperINSA_8equal_toIxEEEEPmJS6_EEE10hipError_tPvRmT3_T4_T5_T6_T7_T9_mT8_P12ihipStream_tbDpT10_ENKUlT_T0_E_clISt17integral_constantIbLb0EES1C_IbLb1EEEEDaS18_S19_EUlS18_E_NS1_11comp_targetILNS1_3genE10ELNS1_11target_archE1200ELNS1_3gpuE4ELNS1_3repE0EEENS1_30default_config_static_selectorELNS0_4arch9wavefront6targetE1EEEvT1_,"axG",@progbits,_ZN7rocprim17ROCPRIM_400000_NS6detail17trampoline_kernelINS0_14default_configENS1_25partition_config_selectorILNS1_17partition_subalgoE8ExNS0_10empty_typeEbEEZZNS1_14partition_implILS5_8ELb0ES3_jN6thrust23THRUST_200600_302600_NS6detail15normal_iteratorINSA_10device_ptrIxEEEEPS6_PKS6_NS0_5tupleIJNSA_16discard_iteratorINSA_11use_defaultEEES6_EEENSJ_IJSG_SG_EEENS0_18inequality_wrapperINSA_8equal_toIxEEEEPmJS6_EEE10hipError_tPvRmT3_T4_T5_T6_T7_T9_mT8_P12ihipStream_tbDpT10_ENKUlT_T0_E_clISt17integral_constantIbLb0EES1C_IbLb1EEEEDaS18_S19_EUlS18_E_NS1_11comp_targetILNS1_3genE10ELNS1_11target_archE1200ELNS1_3gpuE4ELNS1_3repE0EEENS1_30default_config_static_selectorELNS0_4arch9wavefront6targetE1EEEvT1_,comdat
	.protected	_ZN7rocprim17ROCPRIM_400000_NS6detail17trampoline_kernelINS0_14default_configENS1_25partition_config_selectorILNS1_17partition_subalgoE8ExNS0_10empty_typeEbEEZZNS1_14partition_implILS5_8ELb0ES3_jN6thrust23THRUST_200600_302600_NS6detail15normal_iteratorINSA_10device_ptrIxEEEEPS6_PKS6_NS0_5tupleIJNSA_16discard_iteratorINSA_11use_defaultEEES6_EEENSJ_IJSG_SG_EEENS0_18inequality_wrapperINSA_8equal_toIxEEEEPmJS6_EEE10hipError_tPvRmT3_T4_T5_T6_T7_T9_mT8_P12ihipStream_tbDpT10_ENKUlT_T0_E_clISt17integral_constantIbLb0EES1C_IbLb1EEEEDaS18_S19_EUlS18_E_NS1_11comp_targetILNS1_3genE10ELNS1_11target_archE1200ELNS1_3gpuE4ELNS1_3repE0EEENS1_30default_config_static_selectorELNS0_4arch9wavefront6targetE1EEEvT1_ ; -- Begin function _ZN7rocprim17ROCPRIM_400000_NS6detail17trampoline_kernelINS0_14default_configENS1_25partition_config_selectorILNS1_17partition_subalgoE8ExNS0_10empty_typeEbEEZZNS1_14partition_implILS5_8ELb0ES3_jN6thrust23THRUST_200600_302600_NS6detail15normal_iteratorINSA_10device_ptrIxEEEEPS6_PKS6_NS0_5tupleIJNSA_16discard_iteratorINSA_11use_defaultEEES6_EEENSJ_IJSG_SG_EEENS0_18inequality_wrapperINSA_8equal_toIxEEEEPmJS6_EEE10hipError_tPvRmT3_T4_T5_T6_T7_T9_mT8_P12ihipStream_tbDpT10_ENKUlT_T0_E_clISt17integral_constantIbLb0EES1C_IbLb1EEEEDaS18_S19_EUlS18_E_NS1_11comp_targetILNS1_3genE10ELNS1_11target_archE1200ELNS1_3gpuE4ELNS1_3repE0EEENS1_30default_config_static_selectorELNS0_4arch9wavefront6targetE1EEEvT1_
	.globl	_ZN7rocprim17ROCPRIM_400000_NS6detail17trampoline_kernelINS0_14default_configENS1_25partition_config_selectorILNS1_17partition_subalgoE8ExNS0_10empty_typeEbEEZZNS1_14partition_implILS5_8ELb0ES3_jN6thrust23THRUST_200600_302600_NS6detail15normal_iteratorINSA_10device_ptrIxEEEEPS6_PKS6_NS0_5tupleIJNSA_16discard_iteratorINSA_11use_defaultEEES6_EEENSJ_IJSG_SG_EEENS0_18inequality_wrapperINSA_8equal_toIxEEEEPmJS6_EEE10hipError_tPvRmT3_T4_T5_T6_T7_T9_mT8_P12ihipStream_tbDpT10_ENKUlT_T0_E_clISt17integral_constantIbLb0EES1C_IbLb1EEEEDaS18_S19_EUlS18_E_NS1_11comp_targetILNS1_3genE10ELNS1_11target_archE1200ELNS1_3gpuE4ELNS1_3repE0EEENS1_30default_config_static_selectorELNS0_4arch9wavefront6targetE1EEEvT1_
	.p2align	8
	.type	_ZN7rocprim17ROCPRIM_400000_NS6detail17trampoline_kernelINS0_14default_configENS1_25partition_config_selectorILNS1_17partition_subalgoE8ExNS0_10empty_typeEbEEZZNS1_14partition_implILS5_8ELb0ES3_jN6thrust23THRUST_200600_302600_NS6detail15normal_iteratorINSA_10device_ptrIxEEEEPS6_PKS6_NS0_5tupleIJNSA_16discard_iteratorINSA_11use_defaultEEES6_EEENSJ_IJSG_SG_EEENS0_18inequality_wrapperINSA_8equal_toIxEEEEPmJS6_EEE10hipError_tPvRmT3_T4_T5_T6_T7_T9_mT8_P12ihipStream_tbDpT10_ENKUlT_T0_E_clISt17integral_constantIbLb0EES1C_IbLb1EEEEDaS18_S19_EUlS18_E_NS1_11comp_targetILNS1_3genE10ELNS1_11target_archE1200ELNS1_3gpuE4ELNS1_3repE0EEENS1_30default_config_static_selectorELNS0_4arch9wavefront6targetE1EEEvT1_,@function
_ZN7rocprim17ROCPRIM_400000_NS6detail17trampoline_kernelINS0_14default_configENS1_25partition_config_selectorILNS1_17partition_subalgoE8ExNS0_10empty_typeEbEEZZNS1_14partition_implILS5_8ELb0ES3_jN6thrust23THRUST_200600_302600_NS6detail15normal_iteratorINSA_10device_ptrIxEEEEPS6_PKS6_NS0_5tupleIJNSA_16discard_iteratorINSA_11use_defaultEEES6_EEENSJ_IJSG_SG_EEENS0_18inequality_wrapperINSA_8equal_toIxEEEEPmJS6_EEE10hipError_tPvRmT3_T4_T5_T6_T7_T9_mT8_P12ihipStream_tbDpT10_ENKUlT_T0_E_clISt17integral_constantIbLb0EES1C_IbLb1EEEEDaS18_S19_EUlS18_E_NS1_11comp_targetILNS1_3genE10ELNS1_11target_archE1200ELNS1_3gpuE4ELNS1_3repE0EEENS1_30default_config_static_selectorELNS0_4arch9wavefront6targetE1EEEvT1_: ; @_ZN7rocprim17ROCPRIM_400000_NS6detail17trampoline_kernelINS0_14default_configENS1_25partition_config_selectorILNS1_17partition_subalgoE8ExNS0_10empty_typeEbEEZZNS1_14partition_implILS5_8ELb0ES3_jN6thrust23THRUST_200600_302600_NS6detail15normal_iteratorINSA_10device_ptrIxEEEEPS6_PKS6_NS0_5tupleIJNSA_16discard_iteratorINSA_11use_defaultEEES6_EEENSJ_IJSG_SG_EEENS0_18inequality_wrapperINSA_8equal_toIxEEEEPmJS6_EEE10hipError_tPvRmT3_T4_T5_T6_T7_T9_mT8_P12ihipStream_tbDpT10_ENKUlT_T0_E_clISt17integral_constantIbLb0EES1C_IbLb1EEEEDaS18_S19_EUlS18_E_NS1_11comp_targetILNS1_3genE10ELNS1_11target_archE1200ELNS1_3gpuE4ELNS1_3repE0EEENS1_30default_config_static_selectorELNS0_4arch9wavefront6targetE1EEEvT1_
; %bb.0:
	.section	.rodata,"a",@progbits
	.p2align	6, 0x0
	.amdhsa_kernel _ZN7rocprim17ROCPRIM_400000_NS6detail17trampoline_kernelINS0_14default_configENS1_25partition_config_selectorILNS1_17partition_subalgoE8ExNS0_10empty_typeEbEEZZNS1_14partition_implILS5_8ELb0ES3_jN6thrust23THRUST_200600_302600_NS6detail15normal_iteratorINSA_10device_ptrIxEEEEPS6_PKS6_NS0_5tupleIJNSA_16discard_iteratorINSA_11use_defaultEEES6_EEENSJ_IJSG_SG_EEENS0_18inequality_wrapperINSA_8equal_toIxEEEEPmJS6_EEE10hipError_tPvRmT3_T4_T5_T6_T7_T9_mT8_P12ihipStream_tbDpT10_ENKUlT_T0_E_clISt17integral_constantIbLb0EES1C_IbLb1EEEEDaS18_S19_EUlS18_E_NS1_11comp_targetILNS1_3genE10ELNS1_11target_archE1200ELNS1_3gpuE4ELNS1_3repE0EEENS1_30default_config_static_selectorELNS0_4arch9wavefront6targetE1EEEvT1_
		.amdhsa_group_segment_fixed_size 0
		.amdhsa_private_segment_fixed_size 0
		.amdhsa_kernarg_size 136
		.amdhsa_user_sgpr_count 6
		.amdhsa_user_sgpr_private_segment_buffer 1
		.amdhsa_user_sgpr_dispatch_ptr 0
		.amdhsa_user_sgpr_queue_ptr 0
		.amdhsa_user_sgpr_kernarg_segment_ptr 1
		.amdhsa_user_sgpr_dispatch_id 0
		.amdhsa_user_sgpr_flat_scratch_init 0
		.amdhsa_user_sgpr_private_segment_size 0
		.amdhsa_uses_dynamic_stack 0
		.amdhsa_system_sgpr_private_segment_wavefront_offset 0
		.amdhsa_system_sgpr_workgroup_id_x 1
		.amdhsa_system_sgpr_workgroup_id_y 0
		.amdhsa_system_sgpr_workgroup_id_z 0
		.amdhsa_system_sgpr_workgroup_info 0
		.amdhsa_system_vgpr_workitem_id 0
		.amdhsa_next_free_vgpr 1
		.amdhsa_next_free_sgpr 0
		.amdhsa_reserve_vcc 0
		.amdhsa_reserve_flat_scratch 0
		.amdhsa_float_round_mode_32 0
		.amdhsa_float_round_mode_16_64 0
		.amdhsa_float_denorm_mode_32 3
		.amdhsa_float_denorm_mode_16_64 3
		.amdhsa_dx10_clamp 1
		.amdhsa_ieee_mode 1
		.amdhsa_fp16_overflow 0
		.amdhsa_exception_fp_ieee_invalid_op 0
		.amdhsa_exception_fp_denorm_src 0
		.amdhsa_exception_fp_ieee_div_zero 0
		.amdhsa_exception_fp_ieee_overflow 0
		.amdhsa_exception_fp_ieee_underflow 0
		.amdhsa_exception_fp_ieee_inexact 0
		.amdhsa_exception_int_div_zero 0
	.end_amdhsa_kernel
	.section	.text._ZN7rocprim17ROCPRIM_400000_NS6detail17trampoline_kernelINS0_14default_configENS1_25partition_config_selectorILNS1_17partition_subalgoE8ExNS0_10empty_typeEbEEZZNS1_14partition_implILS5_8ELb0ES3_jN6thrust23THRUST_200600_302600_NS6detail15normal_iteratorINSA_10device_ptrIxEEEEPS6_PKS6_NS0_5tupleIJNSA_16discard_iteratorINSA_11use_defaultEEES6_EEENSJ_IJSG_SG_EEENS0_18inequality_wrapperINSA_8equal_toIxEEEEPmJS6_EEE10hipError_tPvRmT3_T4_T5_T6_T7_T9_mT8_P12ihipStream_tbDpT10_ENKUlT_T0_E_clISt17integral_constantIbLb0EES1C_IbLb1EEEEDaS18_S19_EUlS18_E_NS1_11comp_targetILNS1_3genE10ELNS1_11target_archE1200ELNS1_3gpuE4ELNS1_3repE0EEENS1_30default_config_static_selectorELNS0_4arch9wavefront6targetE1EEEvT1_,"axG",@progbits,_ZN7rocprim17ROCPRIM_400000_NS6detail17trampoline_kernelINS0_14default_configENS1_25partition_config_selectorILNS1_17partition_subalgoE8ExNS0_10empty_typeEbEEZZNS1_14partition_implILS5_8ELb0ES3_jN6thrust23THRUST_200600_302600_NS6detail15normal_iteratorINSA_10device_ptrIxEEEEPS6_PKS6_NS0_5tupleIJNSA_16discard_iteratorINSA_11use_defaultEEES6_EEENSJ_IJSG_SG_EEENS0_18inequality_wrapperINSA_8equal_toIxEEEEPmJS6_EEE10hipError_tPvRmT3_T4_T5_T6_T7_T9_mT8_P12ihipStream_tbDpT10_ENKUlT_T0_E_clISt17integral_constantIbLb0EES1C_IbLb1EEEEDaS18_S19_EUlS18_E_NS1_11comp_targetILNS1_3genE10ELNS1_11target_archE1200ELNS1_3gpuE4ELNS1_3repE0EEENS1_30default_config_static_selectorELNS0_4arch9wavefront6targetE1EEEvT1_,comdat
.Lfunc_end658:
	.size	_ZN7rocprim17ROCPRIM_400000_NS6detail17trampoline_kernelINS0_14default_configENS1_25partition_config_selectorILNS1_17partition_subalgoE8ExNS0_10empty_typeEbEEZZNS1_14partition_implILS5_8ELb0ES3_jN6thrust23THRUST_200600_302600_NS6detail15normal_iteratorINSA_10device_ptrIxEEEEPS6_PKS6_NS0_5tupleIJNSA_16discard_iteratorINSA_11use_defaultEEES6_EEENSJ_IJSG_SG_EEENS0_18inequality_wrapperINSA_8equal_toIxEEEEPmJS6_EEE10hipError_tPvRmT3_T4_T5_T6_T7_T9_mT8_P12ihipStream_tbDpT10_ENKUlT_T0_E_clISt17integral_constantIbLb0EES1C_IbLb1EEEEDaS18_S19_EUlS18_E_NS1_11comp_targetILNS1_3genE10ELNS1_11target_archE1200ELNS1_3gpuE4ELNS1_3repE0EEENS1_30default_config_static_selectorELNS0_4arch9wavefront6targetE1EEEvT1_, .Lfunc_end658-_ZN7rocprim17ROCPRIM_400000_NS6detail17trampoline_kernelINS0_14default_configENS1_25partition_config_selectorILNS1_17partition_subalgoE8ExNS0_10empty_typeEbEEZZNS1_14partition_implILS5_8ELb0ES3_jN6thrust23THRUST_200600_302600_NS6detail15normal_iteratorINSA_10device_ptrIxEEEEPS6_PKS6_NS0_5tupleIJNSA_16discard_iteratorINSA_11use_defaultEEES6_EEENSJ_IJSG_SG_EEENS0_18inequality_wrapperINSA_8equal_toIxEEEEPmJS6_EEE10hipError_tPvRmT3_T4_T5_T6_T7_T9_mT8_P12ihipStream_tbDpT10_ENKUlT_T0_E_clISt17integral_constantIbLb0EES1C_IbLb1EEEEDaS18_S19_EUlS18_E_NS1_11comp_targetILNS1_3genE10ELNS1_11target_archE1200ELNS1_3gpuE4ELNS1_3repE0EEENS1_30default_config_static_selectorELNS0_4arch9wavefront6targetE1EEEvT1_
                                        ; -- End function
	.set _ZN7rocprim17ROCPRIM_400000_NS6detail17trampoline_kernelINS0_14default_configENS1_25partition_config_selectorILNS1_17partition_subalgoE8ExNS0_10empty_typeEbEEZZNS1_14partition_implILS5_8ELb0ES3_jN6thrust23THRUST_200600_302600_NS6detail15normal_iteratorINSA_10device_ptrIxEEEEPS6_PKS6_NS0_5tupleIJNSA_16discard_iteratorINSA_11use_defaultEEES6_EEENSJ_IJSG_SG_EEENS0_18inequality_wrapperINSA_8equal_toIxEEEEPmJS6_EEE10hipError_tPvRmT3_T4_T5_T6_T7_T9_mT8_P12ihipStream_tbDpT10_ENKUlT_T0_E_clISt17integral_constantIbLb0EES1C_IbLb1EEEEDaS18_S19_EUlS18_E_NS1_11comp_targetILNS1_3genE10ELNS1_11target_archE1200ELNS1_3gpuE4ELNS1_3repE0EEENS1_30default_config_static_selectorELNS0_4arch9wavefront6targetE1EEEvT1_.num_vgpr, 0
	.set _ZN7rocprim17ROCPRIM_400000_NS6detail17trampoline_kernelINS0_14default_configENS1_25partition_config_selectorILNS1_17partition_subalgoE8ExNS0_10empty_typeEbEEZZNS1_14partition_implILS5_8ELb0ES3_jN6thrust23THRUST_200600_302600_NS6detail15normal_iteratorINSA_10device_ptrIxEEEEPS6_PKS6_NS0_5tupleIJNSA_16discard_iteratorINSA_11use_defaultEEES6_EEENSJ_IJSG_SG_EEENS0_18inequality_wrapperINSA_8equal_toIxEEEEPmJS6_EEE10hipError_tPvRmT3_T4_T5_T6_T7_T9_mT8_P12ihipStream_tbDpT10_ENKUlT_T0_E_clISt17integral_constantIbLb0EES1C_IbLb1EEEEDaS18_S19_EUlS18_E_NS1_11comp_targetILNS1_3genE10ELNS1_11target_archE1200ELNS1_3gpuE4ELNS1_3repE0EEENS1_30default_config_static_selectorELNS0_4arch9wavefront6targetE1EEEvT1_.num_agpr, 0
	.set _ZN7rocprim17ROCPRIM_400000_NS6detail17trampoline_kernelINS0_14default_configENS1_25partition_config_selectorILNS1_17partition_subalgoE8ExNS0_10empty_typeEbEEZZNS1_14partition_implILS5_8ELb0ES3_jN6thrust23THRUST_200600_302600_NS6detail15normal_iteratorINSA_10device_ptrIxEEEEPS6_PKS6_NS0_5tupleIJNSA_16discard_iteratorINSA_11use_defaultEEES6_EEENSJ_IJSG_SG_EEENS0_18inequality_wrapperINSA_8equal_toIxEEEEPmJS6_EEE10hipError_tPvRmT3_T4_T5_T6_T7_T9_mT8_P12ihipStream_tbDpT10_ENKUlT_T0_E_clISt17integral_constantIbLb0EES1C_IbLb1EEEEDaS18_S19_EUlS18_E_NS1_11comp_targetILNS1_3genE10ELNS1_11target_archE1200ELNS1_3gpuE4ELNS1_3repE0EEENS1_30default_config_static_selectorELNS0_4arch9wavefront6targetE1EEEvT1_.numbered_sgpr, 0
	.set _ZN7rocprim17ROCPRIM_400000_NS6detail17trampoline_kernelINS0_14default_configENS1_25partition_config_selectorILNS1_17partition_subalgoE8ExNS0_10empty_typeEbEEZZNS1_14partition_implILS5_8ELb0ES3_jN6thrust23THRUST_200600_302600_NS6detail15normal_iteratorINSA_10device_ptrIxEEEEPS6_PKS6_NS0_5tupleIJNSA_16discard_iteratorINSA_11use_defaultEEES6_EEENSJ_IJSG_SG_EEENS0_18inequality_wrapperINSA_8equal_toIxEEEEPmJS6_EEE10hipError_tPvRmT3_T4_T5_T6_T7_T9_mT8_P12ihipStream_tbDpT10_ENKUlT_T0_E_clISt17integral_constantIbLb0EES1C_IbLb1EEEEDaS18_S19_EUlS18_E_NS1_11comp_targetILNS1_3genE10ELNS1_11target_archE1200ELNS1_3gpuE4ELNS1_3repE0EEENS1_30default_config_static_selectorELNS0_4arch9wavefront6targetE1EEEvT1_.num_named_barrier, 0
	.set _ZN7rocprim17ROCPRIM_400000_NS6detail17trampoline_kernelINS0_14default_configENS1_25partition_config_selectorILNS1_17partition_subalgoE8ExNS0_10empty_typeEbEEZZNS1_14partition_implILS5_8ELb0ES3_jN6thrust23THRUST_200600_302600_NS6detail15normal_iteratorINSA_10device_ptrIxEEEEPS6_PKS6_NS0_5tupleIJNSA_16discard_iteratorINSA_11use_defaultEEES6_EEENSJ_IJSG_SG_EEENS0_18inequality_wrapperINSA_8equal_toIxEEEEPmJS6_EEE10hipError_tPvRmT3_T4_T5_T6_T7_T9_mT8_P12ihipStream_tbDpT10_ENKUlT_T0_E_clISt17integral_constantIbLb0EES1C_IbLb1EEEEDaS18_S19_EUlS18_E_NS1_11comp_targetILNS1_3genE10ELNS1_11target_archE1200ELNS1_3gpuE4ELNS1_3repE0EEENS1_30default_config_static_selectorELNS0_4arch9wavefront6targetE1EEEvT1_.private_seg_size, 0
	.set _ZN7rocprim17ROCPRIM_400000_NS6detail17trampoline_kernelINS0_14default_configENS1_25partition_config_selectorILNS1_17partition_subalgoE8ExNS0_10empty_typeEbEEZZNS1_14partition_implILS5_8ELb0ES3_jN6thrust23THRUST_200600_302600_NS6detail15normal_iteratorINSA_10device_ptrIxEEEEPS6_PKS6_NS0_5tupleIJNSA_16discard_iteratorINSA_11use_defaultEEES6_EEENSJ_IJSG_SG_EEENS0_18inequality_wrapperINSA_8equal_toIxEEEEPmJS6_EEE10hipError_tPvRmT3_T4_T5_T6_T7_T9_mT8_P12ihipStream_tbDpT10_ENKUlT_T0_E_clISt17integral_constantIbLb0EES1C_IbLb1EEEEDaS18_S19_EUlS18_E_NS1_11comp_targetILNS1_3genE10ELNS1_11target_archE1200ELNS1_3gpuE4ELNS1_3repE0EEENS1_30default_config_static_selectorELNS0_4arch9wavefront6targetE1EEEvT1_.uses_vcc, 0
	.set _ZN7rocprim17ROCPRIM_400000_NS6detail17trampoline_kernelINS0_14default_configENS1_25partition_config_selectorILNS1_17partition_subalgoE8ExNS0_10empty_typeEbEEZZNS1_14partition_implILS5_8ELb0ES3_jN6thrust23THRUST_200600_302600_NS6detail15normal_iteratorINSA_10device_ptrIxEEEEPS6_PKS6_NS0_5tupleIJNSA_16discard_iteratorINSA_11use_defaultEEES6_EEENSJ_IJSG_SG_EEENS0_18inequality_wrapperINSA_8equal_toIxEEEEPmJS6_EEE10hipError_tPvRmT3_T4_T5_T6_T7_T9_mT8_P12ihipStream_tbDpT10_ENKUlT_T0_E_clISt17integral_constantIbLb0EES1C_IbLb1EEEEDaS18_S19_EUlS18_E_NS1_11comp_targetILNS1_3genE10ELNS1_11target_archE1200ELNS1_3gpuE4ELNS1_3repE0EEENS1_30default_config_static_selectorELNS0_4arch9wavefront6targetE1EEEvT1_.uses_flat_scratch, 0
	.set _ZN7rocprim17ROCPRIM_400000_NS6detail17trampoline_kernelINS0_14default_configENS1_25partition_config_selectorILNS1_17partition_subalgoE8ExNS0_10empty_typeEbEEZZNS1_14partition_implILS5_8ELb0ES3_jN6thrust23THRUST_200600_302600_NS6detail15normal_iteratorINSA_10device_ptrIxEEEEPS6_PKS6_NS0_5tupleIJNSA_16discard_iteratorINSA_11use_defaultEEES6_EEENSJ_IJSG_SG_EEENS0_18inequality_wrapperINSA_8equal_toIxEEEEPmJS6_EEE10hipError_tPvRmT3_T4_T5_T6_T7_T9_mT8_P12ihipStream_tbDpT10_ENKUlT_T0_E_clISt17integral_constantIbLb0EES1C_IbLb1EEEEDaS18_S19_EUlS18_E_NS1_11comp_targetILNS1_3genE10ELNS1_11target_archE1200ELNS1_3gpuE4ELNS1_3repE0EEENS1_30default_config_static_selectorELNS0_4arch9wavefront6targetE1EEEvT1_.has_dyn_sized_stack, 0
	.set _ZN7rocprim17ROCPRIM_400000_NS6detail17trampoline_kernelINS0_14default_configENS1_25partition_config_selectorILNS1_17partition_subalgoE8ExNS0_10empty_typeEbEEZZNS1_14partition_implILS5_8ELb0ES3_jN6thrust23THRUST_200600_302600_NS6detail15normal_iteratorINSA_10device_ptrIxEEEEPS6_PKS6_NS0_5tupleIJNSA_16discard_iteratorINSA_11use_defaultEEES6_EEENSJ_IJSG_SG_EEENS0_18inequality_wrapperINSA_8equal_toIxEEEEPmJS6_EEE10hipError_tPvRmT3_T4_T5_T6_T7_T9_mT8_P12ihipStream_tbDpT10_ENKUlT_T0_E_clISt17integral_constantIbLb0EES1C_IbLb1EEEEDaS18_S19_EUlS18_E_NS1_11comp_targetILNS1_3genE10ELNS1_11target_archE1200ELNS1_3gpuE4ELNS1_3repE0EEENS1_30default_config_static_selectorELNS0_4arch9wavefront6targetE1EEEvT1_.has_recursion, 0
	.set _ZN7rocprim17ROCPRIM_400000_NS6detail17trampoline_kernelINS0_14default_configENS1_25partition_config_selectorILNS1_17partition_subalgoE8ExNS0_10empty_typeEbEEZZNS1_14partition_implILS5_8ELb0ES3_jN6thrust23THRUST_200600_302600_NS6detail15normal_iteratorINSA_10device_ptrIxEEEEPS6_PKS6_NS0_5tupleIJNSA_16discard_iteratorINSA_11use_defaultEEES6_EEENSJ_IJSG_SG_EEENS0_18inequality_wrapperINSA_8equal_toIxEEEEPmJS6_EEE10hipError_tPvRmT3_T4_T5_T6_T7_T9_mT8_P12ihipStream_tbDpT10_ENKUlT_T0_E_clISt17integral_constantIbLb0EES1C_IbLb1EEEEDaS18_S19_EUlS18_E_NS1_11comp_targetILNS1_3genE10ELNS1_11target_archE1200ELNS1_3gpuE4ELNS1_3repE0EEENS1_30default_config_static_selectorELNS0_4arch9wavefront6targetE1EEEvT1_.has_indirect_call, 0
	.section	.AMDGPU.csdata,"",@progbits
; Kernel info:
; codeLenInByte = 0
; TotalNumSgprs: 4
; NumVgprs: 0
; ScratchSize: 0
; MemoryBound: 0
; FloatMode: 240
; IeeeMode: 1
; LDSByteSize: 0 bytes/workgroup (compile time only)
; SGPRBlocks: 0
; VGPRBlocks: 0
; NumSGPRsForWavesPerEU: 4
; NumVGPRsForWavesPerEU: 1
; Occupancy: 10
; WaveLimiterHint : 0
; COMPUTE_PGM_RSRC2:SCRATCH_EN: 0
; COMPUTE_PGM_RSRC2:USER_SGPR: 6
; COMPUTE_PGM_RSRC2:TRAP_HANDLER: 0
; COMPUTE_PGM_RSRC2:TGID_X_EN: 1
; COMPUTE_PGM_RSRC2:TGID_Y_EN: 0
; COMPUTE_PGM_RSRC2:TGID_Z_EN: 0
; COMPUTE_PGM_RSRC2:TIDIG_COMP_CNT: 0
	.section	.text._ZN7rocprim17ROCPRIM_400000_NS6detail17trampoline_kernelINS0_14default_configENS1_25partition_config_selectorILNS1_17partition_subalgoE8ExNS0_10empty_typeEbEEZZNS1_14partition_implILS5_8ELb0ES3_jN6thrust23THRUST_200600_302600_NS6detail15normal_iteratorINSA_10device_ptrIxEEEEPS6_PKS6_NS0_5tupleIJNSA_16discard_iteratorINSA_11use_defaultEEES6_EEENSJ_IJSG_SG_EEENS0_18inequality_wrapperINSA_8equal_toIxEEEEPmJS6_EEE10hipError_tPvRmT3_T4_T5_T6_T7_T9_mT8_P12ihipStream_tbDpT10_ENKUlT_T0_E_clISt17integral_constantIbLb0EES1C_IbLb1EEEEDaS18_S19_EUlS18_E_NS1_11comp_targetILNS1_3genE9ELNS1_11target_archE1100ELNS1_3gpuE3ELNS1_3repE0EEENS1_30default_config_static_selectorELNS0_4arch9wavefront6targetE1EEEvT1_,"axG",@progbits,_ZN7rocprim17ROCPRIM_400000_NS6detail17trampoline_kernelINS0_14default_configENS1_25partition_config_selectorILNS1_17partition_subalgoE8ExNS0_10empty_typeEbEEZZNS1_14partition_implILS5_8ELb0ES3_jN6thrust23THRUST_200600_302600_NS6detail15normal_iteratorINSA_10device_ptrIxEEEEPS6_PKS6_NS0_5tupleIJNSA_16discard_iteratorINSA_11use_defaultEEES6_EEENSJ_IJSG_SG_EEENS0_18inequality_wrapperINSA_8equal_toIxEEEEPmJS6_EEE10hipError_tPvRmT3_T4_T5_T6_T7_T9_mT8_P12ihipStream_tbDpT10_ENKUlT_T0_E_clISt17integral_constantIbLb0EES1C_IbLb1EEEEDaS18_S19_EUlS18_E_NS1_11comp_targetILNS1_3genE9ELNS1_11target_archE1100ELNS1_3gpuE3ELNS1_3repE0EEENS1_30default_config_static_selectorELNS0_4arch9wavefront6targetE1EEEvT1_,comdat
	.protected	_ZN7rocprim17ROCPRIM_400000_NS6detail17trampoline_kernelINS0_14default_configENS1_25partition_config_selectorILNS1_17partition_subalgoE8ExNS0_10empty_typeEbEEZZNS1_14partition_implILS5_8ELb0ES3_jN6thrust23THRUST_200600_302600_NS6detail15normal_iteratorINSA_10device_ptrIxEEEEPS6_PKS6_NS0_5tupleIJNSA_16discard_iteratorINSA_11use_defaultEEES6_EEENSJ_IJSG_SG_EEENS0_18inequality_wrapperINSA_8equal_toIxEEEEPmJS6_EEE10hipError_tPvRmT3_T4_T5_T6_T7_T9_mT8_P12ihipStream_tbDpT10_ENKUlT_T0_E_clISt17integral_constantIbLb0EES1C_IbLb1EEEEDaS18_S19_EUlS18_E_NS1_11comp_targetILNS1_3genE9ELNS1_11target_archE1100ELNS1_3gpuE3ELNS1_3repE0EEENS1_30default_config_static_selectorELNS0_4arch9wavefront6targetE1EEEvT1_ ; -- Begin function _ZN7rocprim17ROCPRIM_400000_NS6detail17trampoline_kernelINS0_14default_configENS1_25partition_config_selectorILNS1_17partition_subalgoE8ExNS0_10empty_typeEbEEZZNS1_14partition_implILS5_8ELb0ES3_jN6thrust23THRUST_200600_302600_NS6detail15normal_iteratorINSA_10device_ptrIxEEEEPS6_PKS6_NS0_5tupleIJNSA_16discard_iteratorINSA_11use_defaultEEES6_EEENSJ_IJSG_SG_EEENS0_18inequality_wrapperINSA_8equal_toIxEEEEPmJS6_EEE10hipError_tPvRmT3_T4_T5_T6_T7_T9_mT8_P12ihipStream_tbDpT10_ENKUlT_T0_E_clISt17integral_constantIbLb0EES1C_IbLb1EEEEDaS18_S19_EUlS18_E_NS1_11comp_targetILNS1_3genE9ELNS1_11target_archE1100ELNS1_3gpuE3ELNS1_3repE0EEENS1_30default_config_static_selectorELNS0_4arch9wavefront6targetE1EEEvT1_
	.globl	_ZN7rocprim17ROCPRIM_400000_NS6detail17trampoline_kernelINS0_14default_configENS1_25partition_config_selectorILNS1_17partition_subalgoE8ExNS0_10empty_typeEbEEZZNS1_14partition_implILS5_8ELb0ES3_jN6thrust23THRUST_200600_302600_NS6detail15normal_iteratorINSA_10device_ptrIxEEEEPS6_PKS6_NS0_5tupleIJNSA_16discard_iteratorINSA_11use_defaultEEES6_EEENSJ_IJSG_SG_EEENS0_18inequality_wrapperINSA_8equal_toIxEEEEPmJS6_EEE10hipError_tPvRmT3_T4_T5_T6_T7_T9_mT8_P12ihipStream_tbDpT10_ENKUlT_T0_E_clISt17integral_constantIbLb0EES1C_IbLb1EEEEDaS18_S19_EUlS18_E_NS1_11comp_targetILNS1_3genE9ELNS1_11target_archE1100ELNS1_3gpuE3ELNS1_3repE0EEENS1_30default_config_static_selectorELNS0_4arch9wavefront6targetE1EEEvT1_
	.p2align	8
	.type	_ZN7rocprim17ROCPRIM_400000_NS6detail17trampoline_kernelINS0_14default_configENS1_25partition_config_selectorILNS1_17partition_subalgoE8ExNS0_10empty_typeEbEEZZNS1_14partition_implILS5_8ELb0ES3_jN6thrust23THRUST_200600_302600_NS6detail15normal_iteratorINSA_10device_ptrIxEEEEPS6_PKS6_NS0_5tupleIJNSA_16discard_iteratorINSA_11use_defaultEEES6_EEENSJ_IJSG_SG_EEENS0_18inequality_wrapperINSA_8equal_toIxEEEEPmJS6_EEE10hipError_tPvRmT3_T4_T5_T6_T7_T9_mT8_P12ihipStream_tbDpT10_ENKUlT_T0_E_clISt17integral_constantIbLb0EES1C_IbLb1EEEEDaS18_S19_EUlS18_E_NS1_11comp_targetILNS1_3genE9ELNS1_11target_archE1100ELNS1_3gpuE3ELNS1_3repE0EEENS1_30default_config_static_selectorELNS0_4arch9wavefront6targetE1EEEvT1_,@function
_ZN7rocprim17ROCPRIM_400000_NS6detail17trampoline_kernelINS0_14default_configENS1_25partition_config_selectorILNS1_17partition_subalgoE8ExNS0_10empty_typeEbEEZZNS1_14partition_implILS5_8ELb0ES3_jN6thrust23THRUST_200600_302600_NS6detail15normal_iteratorINSA_10device_ptrIxEEEEPS6_PKS6_NS0_5tupleIJNSA_16discard_iteratorINSA_11use_defaultEEES6_EEENSJ_IJSG_SG_EEENS0_18inequality_wrapperINSA_8equal_toIxEEEEPmJS6_EEE10hipError_tPvRmT3_T4_T5_T6_T7_T9_mT8_P12ihipStream_tbDpT10_ENKUlT_T0_E_clISt17integral_constantIbLb0EES1C_IbLb1EEEEDaS18_S19_EUlS18_E_NS1_11comp_targetILNS1_3genE9ELNS1_11target_archE1100ELNS1_3gpuE3ELNS1_3repE0EEENS1_30default_config_static_selectorELNS0_4arch9wavefront6targetE1EEEvT1_: ; @_ZN7rocprim17ROCPRIM_400000_NS6detail17trampoline_kernelINS0_14default_configENS1_25partition_config_selectorILNS1_17partition_subalgoE8ExNS0_10empty_typeEbEEZZNS1_14partition_implILS5_8ELb0ES3_jN6thrust23THRUST_200600_302600_NS6detail15normal_iteratorINSA_10device_ptrIxEEEEPS6_PKS6_NS0_5tupleIJNSA_16discard_iteratorINSA_11use_defaultEEES6_EEENSJ_IJSG_SG_EEENS0_18inequality_wrapperINSA_8equal_toIxEEEEPmJS6_EEE10hipError_tPvRmT3_T4_T5_T6_T7_T9_mT8_P12ihipStream_tbDpT10_ENKUlT_T0_E_clISt17integral_constantIbLb0EES1C_IbLb1EEEEDaS18_S19_EUlS18_E_NS1_11comp_targetILNS1_3genE9ELNS1_11target_archE1100ELNS1_3gpuE3ELNS1_3repE0EEENS1_30default_config_static_selectorELNS0_4arch9wavefront6targetE1EEEvT1_
; %bb.0:
	.section	.rodata,"a",@progbits
	.p2align	6, 0x0
	.amdhsa_kernel _ZN7rocprim17ROCPRIM_400000_NS6detail17trampoline_kernelINS0_14default_configENS1_25partition_config_selectorILNS1_17partition_subalgoE8ExNS0_10empty_typeEbEEZZNS1_14partition_implILS5_8ELb0ES3_jN6thrust23THRUST_200600_302600_NS6detail15normal_iteratorINSA_10device_ptrIxEEEEPS6_PKS6_NS0_5tupleIJNSA_16discard_iteratorINSA_11use_defaultEEES6_EEENSJ_IJSG_SG_EEENS0_18inequality_wrapperINSA_8equal_toIxEEEEPmJS6_EEE10hipError_tPvRmT3_T4_T5_T6_T7_T9_mT8_P12ihipStream_tbDpT10_ENKUlT_T0_E_clISt17integral_constantIbLb0EES1C_IbLb1EEEEDaS18_S19_EUlS18_E_NS1_11comp_targetILNS1_3genE9ELNS1_11target_archE1100ELNS1_3gpuE3ELNS1_3repE0EEENS1_30default_config_static_selectorELNS0_4arch9wavefront6targetE1EEEvT1_
		.amdhsa_group_segment_fixed_size 0
		.amdhsa_private_segment_fixed_size 0
		.amdhsa_kernarg_size 136
		.amdhsa_user_sgpr_count 6
		.amdhsa_user_sgpr_private_segment_buffer 1
		.amdhsa_user_sgpr_dispatch_ptr 0
		.amdhsa_user_sgpr_queue_ptr 0
		.amdhsa_user_sgpr_kernarg_segment_ptr 1
		.amdhsa_user_sgpr_dispatch_id 0
		.amdhsa_user_sgpr_flat_scratch_init 0
		.amdhsa_user_sgpr_private_segment_size 0
		.amdhsa_uses_dynamic_stack 0
		.amdhsa_system_sgpr_private_segment_wavefront_offset 0
		.amdhsa_system_sgpr_workgroup_id_x 1
		.amdhsa_system_sgpr_workgroup_id_y 0
		.amdhsa_system_sgpr_workgroup_id_z 0
		.amdhsa_system_sgpr_workgroup_info 0
		.amdhsa_system_vgpr_workitem_id 0
		.amdhsa_next_free_vgpr 1
		.amdhsa_next_free_sgpr 0
		.amdhsa_reserve_vcc 0
		.amdhsa_reserve_flat_scratch 0
		.amdhsa_float_round_mode_32 0
		.amdhsa_float_round_mode_16_64 0
		.amdhsa_float_denorm_mode_32 3
		.amdhsa_float_denorm_mode_16_64 3
		.amdhsa_dx10_clamp 1
		.amdhsa_ieee_mode 1
		.amdhsa_fp16_overflow 0
		.amdhsa_exception_fp_ieee_invalid_op 0
		.amdhsa_exception_fp_denorm_src 0
		.amdhsa_exception_fp_ieee_div_zero 0
		.amdhsa_exception_fp_ieee_overflow 0
		.amdhsa_exception_fp_ieee_underflow 0
		.amdhsa_exception_fp_ieee_inexact 0
		.amdhsa_exception_int_div_zero 0
	.end_amdhsa_kernel
	.section	.text._ZN7rocprim17ROCPRIM_400000_NS6detail17trampoline_kernelINS0_14default_configENS1_25partition_config_selectorILNS1_17partition_subalgoE8ExNS0_10empty_typeEbEEZZNS1_14partition_implILS5_8ELb0ES3_jN6thrust23THRUST_200600_302600_NS6detail15normal_iteratorINSA_10device_ptrIxEEEEPS6_PKS6_NS0_5tupleIJNSA_16discard_iteratorINSA_11use_defaultEEES6_EEENSJ_IJSG_SG_EEENS0_18inequality_wrapperINSA_8equal_toIxEEEEPmJS6_EEE10hipError_tPvRmT3_T4_T5_T6_T7_T9_mT8_P12ihipStream_tbDpT10_ENKUlT_T0_E_clISt17integral_constantIbLb0EES1C_IbLb1EEEEDaS18_S19_EUlS18_E_NS1_11comp_targetILNS1_3genE9ELNS1_11target_archE1100ELNS1_3gpuE3ELNS1_3repE0EEENS1_30default_config_static_selectorELNS0_4arch9wavefront6targetE1EEEvT1_,"axG",@progbits,_ZN7rocprim17ROCPRIM_400000_NS6detail17trampoline_kernelINS0_14default_configENS1_25partition_config_selectorILNS1_17partition_subalgoE8ExNS0_10empty_typeEbEEZZNS1_14partition_implILS5_8ELb0ES3_jN6thrust23THRUST_200600_302600_NS6detail15normal_iteratorINSA_10device_ptrIxEEEEPS6_PKS6_NS0_5tupleIJNSA_16discard_iteratorINSA_11use_defaultEEES6_EEENSJ_IJSG_SG_EEENS0_18inequality_wrapperINSA_8equal_toIxEEEEPmJS6_EEE10hipError_tPvRmT3_T4_T5_T6_T7_T9_mT8_P12ihipStream_tbDpT10_ENKUlT_T0_E_clISt17integral_constantIbLb0EES1C_IbLb1EEEEDaS18_S19_EUlS18_E_NS1_11comp_targetILNS1_3genE9ELNS1_11target_archE1100ELNS1_3gpuE3ELNS1_3repE0EEENS1_30default_config_static_selectorELNS0_4arch9wavefront6targetE1EEEvT1_,comdat
.Lfunc_end659:
	.size	_ZN7rocprim17ROCPRIM_400000_NS6detail17trampoline_kernelINS0_14default_configENS1_25partition_config_selectorILNS1_17partition_subalgoE8ExNS0_10empty_typeEbEEZZNS1_14partition_implILS5_8ELb0ES3_jN6thrust23THRUST_200600_302600_NS6detail15normal_iteratorINSA_10device_ptrIxEEEEPS6_PKS6_NS0_5tupleIJNSA_16discard_iteratorINSA_11use_defaultEEES6_EEENSJ_IJSG_SG_EEENS0_18inequality_wrapperINSA_8equal_toIxEEEEPmJS6_EEE10hipError_tPvRmT3_T4_T5_T6_T7_T9_mT8_P12ihipStream_tbDpT10_ENKUlT_T0_E_clISt17integral_constantIbLb0EES1C_IbLb1EEEEDaS18_S19_EUlS18_E_NS1_11comp_targetILNS1_3genE9ELNS1_11target_archE1100ELNS1_3gpuE3ELNS1_3repE0EEENS1_30default_config_static_selectorELNS0_4arch9wavefront6targetE1EEEvT1_, .Lfunc_end659-_ZN7rocprim17ROCPRIM_400000_NS6detail17trampoline_kernelINS0_14default_configENS1_25partition_config_selectorILNS1_17partition_subalgoE8ExNS0_10empty_typeEbEEZZNS1_14partition_implILS5_8ELb0ES3_jN6thrust23THRUST_200600_302600_NS6detail15normal_iteratorINSA_10device_ptrIxEEEEPS6_PKS6_NS0_5tupleIJNSA_16discard_iteratorINSA_11use_defaultEEES6_EEENSJ_IJSG_SG_EEENS0_18inequality_wrapperINSA_8equal_toIxEEEEPmJS6_EEE10hipError_tPvRmT3_T4_T5_T6_T7_T9_mT8_P12ihipStream_tbDpT10_ENKUlT_T0_E_clISt17integral_constantIbLb0EES1C_IbLb1EEEEDaS18_S19_EUlS18_E_NS1_11comp_targetILNS1_3genE9ELNS1_11target_archE1100ELNS1_3gpuE3ELNS1_3repE0EEENS1_30default_config_static_selectorELNS0_4arch9wavefront6targetE1EEEvT1_
                                        ; -- End function
	.set _ZN7rocprim17ROCPRIM_400000_NS6detail17trampoline_kernelINS0_14default_configENS1_25partition_config_selectorILNS1_17partition_subalgoE8ExNS0_10empty_typeEbEEZZNS1_14partition_implILS5_8ELb0ES3_jN6thrust23THRUST_200600_302600_NS6detail15normal_iteratorINSA_10device_ptrIxEEEEPS6_PKS6_NS0_5tupleIJNSA_16discard_iteratorINSA_11use_defaultEEES6_EEENSJ_IJSG_SG_EEENS0_18inequality_wrapperINSA_8equal_toIxEEEEPmJS6_EEE10hipError_tPvRmT3_T4_T5_T6_T7_T9_mT8_P12ihipStream_tbDpT10_ENKUlT_T0_E_clISt17integral_constantIbLb0EES1C_IbLb1EEEEDaS18_S19_EUlS18_E_NS1_11comp_targetILNS1_3genE9ELNS1_11target_archE1100ELNS1_3gpuE3ELNS1_3repE0EEENS1_30default_config_static_selectorELNS0_4arch9wavefront6targetE1EEEvT1_.num_vgpr, 0
	.set _ZN7rocprim17ROCPRIM_400000_NS6detail17trampoline_kernelINS0_14default_configENS1_25partition_config_selectorILNS1_17partition_subalgoE8ExNS0_10empty_typeEbEEZZNS1_14partition_implILS5_8ELb0ES3_jN6thrust23THRUST_200600_302600_NS6detail15normal_iteratorINSA_10device_ptrIxEEEEPS6_PKS6_NS0_5tupleIJNSA_16discard_iteratorINSA_11use_defaultEEES6_EEENSJ_IJSG_SG_EEENS0_18inequality_wrapperINSA_8equal_toIxEEEEPmJS6_EEE10hipError_tPvRmT3_T4_T5_T6_T7_T9_mT8_P12ihipStream_tbDpT10_ENKUlT_T0_E_clISt17integral_constantIbLb0EES1C_IbLb1EEEEDaS18_S19_EUlS18_E_NS1_11comp_targetILNS1_3genE9ELNS1_11target_archE1100ELNS1_3gpuE3ELNS1_3repE0EEENS1_30default_config_static_selectorELNS0_4arch9wavefront6targetE1EEEvT1_.num_agpr, 0
	.set _ZN7rocprim17ROCPRIM_400000_NS6detail17trampoline_kernelINS0_14default_configENS1_25partition_config_selectorILNS1_17partition_subalgoE8ExNS0_10empty_typeEbEEZZNS1_14partition_implILS5_8ELb0ES3_jN6thrust23THRUST_200600_302600_NS6detail15normal_iteratorINSA_10device_ptrIxEEEEPS6_PKS6_NS0_5tupleIJNSA_16discard_iteratorINSA_11use_defaultEEES6_EEENSJ_IJSG_SG_EEENS0_18inequality_wrapperINSA_8equal_toIxEEEEPmJS6_EEE10hipError_tPvRmT3_T4_T5_T6_T7_T9_mT8_P12ihipStream_tbDpT10_ENKUlT_T0_E_clISt17integral_constantIbLb0EES1C_IbLb1EEEEDaS18_S19_EUlS18_E_NS1_11comp_targetILNS1_3genE9ELNS1_11target_archE1100ELNS1_3gpuE3ELNS1_3repE0EEENS1_30default_config_static_selectorELNS0_4arch9wavefront6targetE1EEEvT1_.numbered_sgpr, 0
	.set _ZN7rocprim17ROCPRIM_400000_NS6detail17trampoline_kernelINS0_14default_configENS1_25partition_config_selectorILNS1_17partition_subalgoE8ExNS0_10empty_typeEbEEZZNS1_14partition_implILS5_8ELb0ES3_jN6thrust23THRUST_200600_302600_NS6detail15normal_iteratorINSA_10device_ptrIxEEEEPS6_PKS6_NS0_5tupleIJNSA_16discard_iteratorINSA_11use_defaultEEES6_EEENSJ_IJSG_SG_EEENS0_18inequality_wrapperINSA_8equal_toIxEEEEPmJS6_EEE10hipError_tPvRmT3_T4_T5_T6_T7_T9_mT8_P12ihipStream_tbDpT10_ENKUlT_T0_E_clISt17integral_constantIbLb0EES1C_IbLb1EEEEDaS18_S19_EUlS18_E_NS1_11comp_targetILNS1_3genE9ELNS1_11target_archE1100ELNS1_3gpuE3ELNS1_3repE0EEENS1_30default_config_static_selectorELNS0_4arch9wavefront6targetE1EEEvT1_.num_named_barrier, 0
	.set _ZN7rocprim17ROCPRIM_400000_NS6detail17trampoline_kernelINS0_14default_configENS1_25partition_config_selectorILNS1_17partition_subalgoE8ExNS0_10empty_typeEbEEZZNS1_14partition_implILS5_8ELb0ES3_jN6thrust23THRUST_200600_302600_NS6detail15normal_iteratorINSA_10device_ptrIxEEEEPS6_PKS6_NS0_5tupleIJNSA_16discard_iteratorINSA_11use_defaultEEES6_EEENSJ_IJSG_SG_EEENS0_18inequality_wrapperINSA_8equal_toIxEEEEPmJS6_EEE10hipError_tPvRmT3_T4_T5_T6_T7_T9_mT8_P12ihipStream_tbDpT10_ENKUlT_T0_E_clISt17integral_constantIbLb0EES1C_IbLb1EEEEDaS18_S19_EUlS18_E_NS1_11comp_targetILNS1_3genE9ELNS1_11target_archE1100ELNS1_3gpuE3ELNS1_3repE0EEENS1_30default_config_static_selectorELNS0_4arch9wavefront6targetE1EEEvT1_.private_seg_size, 0
	.set _ZN7rocprim17ROCPRIM_400000_NS6detail17trampoline_kernelINS0_14default_configENS1_25partition_config_selectorILNS1_17partition_subalgoE8ExNS0_10empty_typeEbEEZZNS1_14partition_implILS5_8ELb0ES3_jN6thrust23THRUST_200600_302600_NS6detail15normal_iteratorINSA_10device_ptrIxEEEEPS6_PKS6_NS0_5tupleIJNSA_16discard_iteratorINSA_11use_defaultEEES6_EEENSJ_IJSG_SG_EEENS0_18inequality_wrapperINSA_8equal_toIxEEEEPmJS6_EEE10hipError_tPvRmT3_T4_T5_T6_T7_T9_mT8_P12ihipStream_tbDpT10_ENKUlT_T0_E_clISt17integral_constantIbLb0EES1C_IbLb1EEEEDaS18_S19_EUlS18_E_NS1_11comp_targetILNS1_3genE9ELNS1_11target_archE1100ELNS1_3gpuE3ELNS1_3repE0EEENS1_30default_config_static_selectorELNS0_4arch9wavefront6targetE1EEEvT1_.uses_vcc, 0
	.set _ZN7rocprim17ROCPRIM_400000_NS6detail17trampoline_kernelINS0_14default_configENS1_25partition_config_selectorILNS1_17partition_subalgoE8ExNS0_10empty_typeEbEEZZNS1_14partition_implILS5_8ELb0ES3_jN6thrust23THRUST_200600_302600_NS6detail15normal_iteratorINSA_10device_ptrIxEEEEPS6_PKS6_NS0_5tupleIJNSA_16discard_iteratorINSA_11use_defaultEEES6_EEENSJ_IJSG_SG_EEENS0_18inequality_wrapperINSA_8equal_toIxEEEEPmJS6_EEE10hipError_tPvRmT3_T4_T5_T6_T7_T9_mT8_P12ihipStream_tbDpT10_ENKUlT_T0_E_clISt17integral_constantIbLb0EES1C_IbLb1EEEEDaS18_S19_EUlS18_E_NS1_11comp_targetILNS1_3genE9ELNS1_11target_archE1100ELNS1_3gpuE3ELNS1_3repE0EEENS1_30default_config_static_selectorELNS0_4arch9wavefront6targetE1EEEvT1_.uses_flat_scratch, 0
	.set _ZN7rocprim17ROCPRIM_400000_NS6detail17trampoline_kernelINS0_14default_configENS1_25partition_config_selectorILNS1_17partition_subalgoE8ExNS0_10empty_typeEbEEZZNS1_14partition_implILS5_8ELb0ES3_jN6thrust23THRUST_200600_302600_NS6detail15normal_iteratorINSA_10device_ptrIxEEEEPS6_PKS6_NS0_5tupleIJNSA_16discard_iteratorINSA_11use_defaultEEES6_EEENSJ_IJSG_SG_EEENS0_18inequality_wrapperINSA_8equal_toIxEEEEPmJS6_EEE10hipError_tPvRmT3_T4_T5_T6_T7_T9_mT8_P12ihipStream_tbDpT10_ENKUlT_T0_E_clISt17integral_constantIbLb0EES1C_IbLb1EEEEDaS18_S19_EUlS18_E_NS1_11comp_targetILNS1_3genE9ELNS1_11target_archE1100ELNS1_3gpuE3ELNS1_3repE0EEENS1_30default_config_static_selectorELNS0_4arch9wavefront6targetE1EEEvT1_.has_dyn_sized_stack, 0
	.set _ZN7rocprim17ROCPRIM_400000_NS6detail17trampoline_kernelINS0_14default_configENS1_25partition_config_selectorILNS1_17partition_subalgoE8ExNS0_10empty_typeEbEEZZNS1_14partition_implILS5_8ELb0ES3_jN6thrust23THRUST_200600_302600_NS6detail15normal_iteratorINSA_10device_ptrIxEEEEPS6_PKS6_NS0_5tupleIJNSA_16discard_iteratorINSA_11use_defaultEEES6_EEENSJ_IJSG_SG_EEENS0_18inequality_wrapperINSA_8equal_toIxEEEEPmJS6_EEE10hipError_tPvRmT3_T4_T5_T6_T7_T9_mT8_P12ihipStream_tbDpT10_ENKUlT_T0_E_clISt17integral_constantIbLb0EES1C_IbLb1EEEEDaS18_S19_EUlS18_E_NS1_11comp_targetILNS1_3genE9ELNS1_11target_archE1100ELNS1_3gpuE3ELNS1_3repE0EEENS1_30default_config_static_selectorELNS0_4arch9wavefront6targetE1EEEvT1_.has_recursion, 0
	.set _ZN7rocprim17ROCPRIM_400000_NS6detail17trampoline_kernelINS0_14default_configENS1_25partition_config_selectorILNS1_17partition_subalgoE8ExNS0_10empty_typeEbEEZZNS1_14partition_implILS5_8ELb0ES3_jN6thrust23THRUST_200600_302600_NS6detail15normal_iteratorINSA_10device_ptrIxEEEEPS6_PKS6_NS0_5tupleIJNSA_16discard_iteratorINSA_11use_defaultEEES6_EEENSJ_IJSG_SG_EEENS0_18inequality_wrapperINSA_8equal_toIxEEEEPmJS6_EEE10hipError_tPvRmT3_T4_T5_T6_T7_T9_mT8_P12ihipStream_tbDpT10_ENKUlT_T0_E_clISt17integral_constantIbLb0EES1C_IbLb1EEEEDaS18_S19_EUlS18_E_NS1_11comp_targetILNS1_3genE9ELNS1_11target_archE1100ELNS1_3gpuE3ELNS1_3repE0EEENS1_30default_config_static_selectorELNS0_4arch9wavefront6targetE1EEEvT1_.has_indirect_call, 0
	.section	.AMDGPU.csdata,"",@progbits
; Kernel info:
; codeLenInByte = 0
; TotalNumSgprs: 4
; NumVgprs: 0
; ScratchSize: 0
; MemoryBound: 0
; FloatMode: 240
; IeeeMode: 1
; LDSByteSize: 0 bytes/workgroup (compile time only)
; SGPRBlocks: 0
; VGPRBlocks: 0
; NumSGPRsForWavesPerEU: 4
; NumVGPRsForWavesPerEU: 1
; Occupancy: 10
; WaveLimiterHint : 0
; COMPUTE_PGM_RSRC2:SCRATCH_EN: 0
; COMPUTE_PGM_RSRC2:USER_SGPR: 6
; COMPUTE_PGM_RSRC2:TRAP_HANDLER: 0
; COMPUTE_PGM_RSRC2:TGID_X_EN: 1
; COMPUTE_PGM_RSRC2:TGID_Y_EN: 0
; COMPUTE_PGM_RSRC2:TGID_Z_EN: 0
; COMPUTE_PGM_RSRC2:TIDIG_COMP_CNT: 0
	.section	.text._ZN7rocprim17ROCPRIM_400000_NS6detail17trampoline_kernelINS0_14default_configENS1_25partition_config_selectorILNS1_17partition_subalgoE8ExNS0_10empty_typeEbEEZZNS1_14partition_implILS5_8ELb0ES3_jN6thrust23THRUST_200600_302600_NS6detail15normal_iteratorINSA_10device_ptrIxEEEEPS6_PKS6_NS0_5tupleIJNSA_16discard_iteratorINSA_11use_defaultEEES6_EEENSJ_IJSG_SG_EEENS0_18inequality_wrapperINSA_8equal_toIxEEEEPmJS6_EEE10hipError_tPvRmT3_T4_T5_T6_T7_T9_mT8_P12ihipStream_tbDpT10_ENKUlT_T0_E_clISt17integral_constantIbLb0EES1C_IbLb1EEEEDaS18_S19_EUlS18_E_NS1_11comp_targetILNS1_3genE8ELNS1_11target_archE1030ELNS1_3gpuE2ELNS1_3repE0EEENS1_30default_config_static_selectorELNS0_4arch9wavefront6targetE1EEEvT1_,"axG",@progbits,_ZN7rocprim17ROCPRIM_400000_NS6detail17trampoline_kernelINS0_14default_configENS1_25partition_config_selectorILNS1_17partition_subalgoE8ExNS0_10empty_typeEbEEZZNS1_14partition_implILS5_8ELb0ES3_jN6thrust23THRUST_200600_302600_NS6detail15normal_iteratorINSA_10device_ptrIxEEEEPS6_PKS6_NS0_5tupleIJNSA_16discard_iteratorINSA_11use_defaultEEES6_EEENSJ_IJSG_SG_EEENS0_18inequality_wrapperINSA_8equal_toIxEEEEPmJS6_EEE10hipError_tPvRmT3_T4_T5_T6_T7_T9_mT8_P12ihipStream_tbDpT10_ENKUlT_T0_E_clISt17integral_constantIbLb0EES1C_IbLb1EEEEDaS18_S19_EUlS18_E_NS1_11comp_targetILNS1_3genE8ELNS1_11target_archE1030ELNS1_3gpuE2ELNS1_3repE0EEENS1_30default_config_static_selectorELNS0_4arch9wavefront6targetE1EEEvT1_,comdat
	.protected	_ZN7rocprim17ROCPRIM_400000_NS6detail17trampoline_kernelINS0_14default_configENS1_25partition_config_selectorILNS1_17partition_subalgoE8ExNS0_10empty_typeEbEEZZNS1_14partition_implILS5_8ELb0ES3_jN6thrust23THRUST_200600_302600_NS6detail15normal_iteratorINSA_10device_ptrIxEEEEPS6_PKS6_NS0_5tupleIJNSA_16discard_iteratorINSA_11use_defaultEEES6_EEENSJ_IJSG_SG_EEENS0_18inequality_wrapperINSA_8equal_toIxEEEEPmJS6_EEE10hipError_tPvRmT3_T4_T5_T6_T7_T9_mT8_P12ihipStream_tbDpT10_ENKUlT_T0_E_clISt17integral_constantIbLb0EES1C_IbLb1EEEEDaS18_S19_EUlS18_E_NS1_11comp_targetILNS1_3genE8ELNS1_11target_archE1030ELNS1_3gpuE2ELNS1_3repE0EEENS1_30default_config_static_selectorELNS0_4arch9wavefront6targetE1EEEvT1_ ; -- Begin function _ZN7rocprim17ROCPRIM_400000_NS6detail17trampoline_kernelINS0_14default_configENS1_25partition_config_selectorILNS1_17partition_subalgoE8ExNS0_10empty_typeEbEEZZNS1_14partition_implILS5_8ELb0ES3_jN6thrust23THRUST_200600_302600_NS6detail15normal_iteratorINSA_10device_ptrIxEEEEPS6_PKS6_NS0_5tupleIJNSA_16discard_iteratorINSA_11use_defaultEEES6_EEENSJ_IJSG_SG_EEENS0_18inequality_wrapperINSA_8equal_toIxEEEEPmJS6_EEE10hipError_tPvRmT3_T4_T5_T6_T7_T9_mT8_P12ihipStream_tbDpT10_ENKUlT_T0_E_clISt17integral_constantIbLb0EES1C_IbLb1EEEEDaS18_S19_EUlS18_E_NS1_11comp_targetILNS1_3genE8ELNS1_11target_archE1030ELNS1_3gpuE2ELNS1_3repE0EEENS1_30default_config_static_selectorELNS0_4arch9wavefront6targetE1EEEvT1_
	.globl	_ZN7rocprim17ROCPRIM_400000_NS6detail17trampoline_kernelINS0_14default_configENS1_25partition_config_selectorILNS1_17partition_subalgoE8ExNS0_10empty_typeEbEEZZNS1_14partition_implILS5_8ELb0ES3_jN6thrust23THRUST_200600_302600_NS6detail15normal_iteratorINSA_10device_ptrIxEEEEPS6_PKS6_NS0_5tupleIJNSA_16discard_iteratorINSA_11use_defaultEEES6_EEENSJ_IJSG_SG_EEENS0_18inequality_wrapperINSA_8equal_toIxEEEEPmJS6_EEE10hipError_tPvRmT3_T4_T5_T6_T7_T9_mT8_P12ihipStream_tbDpT10_ENKUlT_T0_E_clISt17integral_constantIbLb0EES1C_IbLb1EEEEDaS18_S19_EUlS18_E_NS1_11comp_targetILNS1_3genE8ELNS1_11target_archE1030ELNS1_3gpuE2ELNS1_3repE0EEENS1_30default_config_static_selectorELNS0_4arch9wavefront6targetE1EEEvT1_
	.p2align	8
	.type	_ZN7rocprim17ROCPRIM_400000_NS6detail17trampoline_kernelINS0_14default_configENS1_25partition_config_selectorILNS1_17partition_subalgoE8ExNS0_10empty_typeEbEEZZNS1_14partition_implILS5_8ELb0ES3_jN6thrust23THRUST_200600_302600_NS6detail15normal_iteratorINSA_10device_ptrIxEEEEPS6_PKS6_NS0_5tupleIJNSA_16discard_iteratorINSA_11use_defaultEEES6_EEENSJ_IJSG_SG_EEENS0_18inequality_wrapperINSA_8equal_toIxEEEEPmJS6_EEE10hipError_tPvRmT3_T4_T5_T6_T7_T9_mT8_P12ihipStream_tbDpT10_ENKUlT_T0_E_clISt17integral_constantIbLb0EES1C_IbLb1EEEEDaS18_S19_EUlS18_E_NS1_11comp_targetILNS1_3genE8ELNS1_11target_archE1030ELNS1_3gpuE2ELNS1_3repE0EEENS1_30default_config_static_selectorELNS0_4arch9wavefront6targetE1EEEvT1_,@function
_ZN7rocprim17ROCPRIM_400000_NS6detail17trampoline_kernelINS0_14default_configENS1_25partition_config_selectorILNS1_17partition_subalgoE8ExNS0_10empty_typeEbEEZZNS1_14partition_implILS5_8ELb0ES3_jN6thrust23THRUST_200600_302600_NS6detail15normal_iteratorINSA_10device_ptrIxEEEEPS6_PKS6_NS0_5tupleIJNSA_16discard_iteratorINSA_11use_defaultEEES6_EEENSJ_IJSG_SG_EEENS0_18inequality_wrapperINSA_8equal_toIxEEEEPmJS6_EEE10hipError_tPvRmT3_T4_T5_T6_T7_T9_mT8_P12ihipStream_tbDpT10_ENKUlT_T0_E_clISt17integral_constantIbLb0EES1C_IbLb1EEEEDaS18_S19_EUlS18_E_NS1_11comp_targetILNS1_3genE8ELNS1_11target_archE1030ELNS1_3gpuE2ELNS1_3repE0EEENS1_30default_config_static_selectorELNS0_4arch9wavefront6targetE1EEEvT1_: ; @_ZN7rocprim17ROCPRIM_400000_NS6detail17trampoline_kernelINS0_14default_configENS1_25partition_config_selectorILNS1_17partition_subalgoE8ExNS0_10empty_typeEbEEZZNS1_14partition_implILS5_8ELb0ES3_jN6thrust23THRUST_200600_302600_NS6detail15normal_iteratorINSA_10device_ptrIxEEEEPS6_PKS6_NS0_5tupleIJNSA_16discard_iteratorINSA_11use_defaultEEES6_EEENSJ_IJSG_SG_EEENS0_18inequality_wrapperINSA_8equal_toIxEEEEPmJS6_EEE10hipError_tPvRmT3_T4_T5_T6_T7_T9_mT8_P12ihipStream_tbDpT10_ENKUlT_T0_E_clISt17integral_constantIbLb0EES1C_IbLb1EEEEDaS18_S19_EUlS18_E_NS1_11comp_targetILNS1_3genE8ELNS1_11target_archE1030ELNS1_3gpuE2ELNS1_3repE0EEENS1_30default_config_static_selectorELNS0_4arch9wavefront6targetE1EEEvT1_
; %bb.0:
	.section	.rodata,"a",@progbits
	.p2align	6, 0x0
	.amdhsa_kernel _ZN7rocprim17ROCPRIM_400000_NS6detail17trampoline_kernelINS0_14default_configENS1_25partition_config_selectorILNS1_17partition_subalgoE8ExNS0_10empty_typeEbEEZZNS1_14partition_implILS5_8ELb0ES3_jN6thrust23THRUST_200600_302600_NS6detail15normal_iteratorINSA_10device_ptrIxEEEEPS6_PKS6_NS0_5tupleIJNSA_16discard_iteratorINSA_11use_defaultEEES6_EEENSJ_IJSG_SG_EEENS0_18inequality_wrapperINSA_8equal_toIxEEEEPmJS6_EEE10hipError_tPvRmT3_T4_T5_T6_T7_T9_mT8_P12ihipStream_tbDpT10_ENKUlT_T0_E_clISt17integral_constantIbLb0EES1C_IbLb1EEEEDaS18_S19_EUlS18_E_NS1_11comp_targetILNS1_3genE8ELNS1_11target_archE1030ELNS1_3gpuE2ELNS1_3repE0EEENS1_30default_config_static_selectorELNS0_4arch9wavefront6targetE1EEEvT1_
		.amdhsa_group_segment_fixed_size 0
		.amdhsa_private_segment_fixed_size 0
		.amdhsa_kernarg_size 136
		.amdhsa_user_sgpr_count 6
		.amdhsa_user_sgpr_private_segment_buffer 1
		.amdhsa_user_sgpr_dispatch_ptr 0
		.amdhsa_user_sgpr_queue_ptr 0
		.amdhsa_user_sgpr_kernarg_segment_ptr 1
		.amdhsa_user_sgpr_dispatch_id 0
		.amdhsa_user_sgpr_flat_scratch_init 0
		.amdhsa_user_sgpr_private_segment_size 0
		.amdhsa_uses_dynamic_stack 0
		.amdhsa_system_sgpr_private_segment_wavefront_offset 0
		.amdhsa_system_sgpr_workgroup_id_x 1
		.amdhsa_system_sgpr_workgroup_id_y 0
		.amdhsa_system_sgpr_workgroup_id_z 0
		.amdhsa_system_sgpr_workgroup_info 0
		.amdhsa_system_vgpr_workitem_id 0
		.amdhsa_next_free_vgpr 1
		.amdhsa_next_free_sgpr 0
		.amdhsa_reserve_vcc 0
		.amdhsa_reserve_flat_scratch 0
		.amdhsa_float_round_mode_32 0
		.amdhsa_float_round_mode_16_64 0
		.amdhsa_float_denorm_mode_32 3
		.amdhsa_float_denorm_mode_16_64 3
		.amdhsa_dx10_clamp 1
		.amdhsa_ieee_mode 1
		.amdhsa_fp16_overflow 0
		.amdhsa_exception_fp_ieee_invalid_op 0
		.amdhsa_exception_fp_denorm_src 0
		.amdhsa_exception_fp_ieee_div_zero 0
		.amdhsa_exception_fp_ieee_overflow 0
		.amdhsa_exception_fp_ieee_underflow 0
		.amdhsa_exception_fp_ieee_inexact 0
		.amdhsa_exception_int_div_zero 0
	.end_amdhsa_kernel
	.section	.text._ZN7rocprim17ROCPRIM_400000_NS6detail17trampoline_kernelINS0_14default_configENS1_25partition_config_selectorILNS1_17partition_subalgoE8ExNS0_10empty_typeEbEEZZNS1_14partition_implILS5_8ELb0ES3_jN6thrust23THRUST_200600_302600_NS6detail15normal_iteratorINSA_10device_ptrIxEEEEPS6_PKS6_NS0_5tupleIJNSA_16discard_iteratorINSA_11use_defaultEEES6_EEENSJ_IJSG_SG_EEENS0_18inequality_wrapperINSA_8equal_toIxEEEEPmJS6_EEE10hipError_tPvRmT3_T4_T5_T6_T7_T9_mT8_P12ihipStream_tbDpT10_ENKUlT_T0_E_clISt17integral_constantIbLb0EES1C_IbLb1EEEEDaS18_S19_EUlS18_E_NS1_11comp_targetILNS1_3genE8ELNS1_11target_archE1030ELNS1_3gpuE2ELNS1_3repE0EEENS1_30default_config_static_selectorELNS0_4arch9wavefront6targetE1EEEvT1_,"axG",@progbits,_ZN7rocprim17ROCPRIM_400000_NS6detail17trampoline_kernelINS0_14default_configENS1_25partition_config_selectorILNS1_17partition_subalgoE8ExNS0_10empty_typeEbEEZZNS1_14partition_implILS5_8ELb0ES3_jN6thrust23THRUST_200600_302600_NS6detail15normal_iteratorINSA_10device_ptrIxEEEEPS6_PKS6_NS0_5tupleIJNSA_16discard_iteratorINSA_11use_defaultEEES6_EEENSJ_IJSG_SG_EEENS0_18inequality_wrapperINSA_8equal_toIxEEEEPmJS6_EEE10hipError_tPvRmT3_T4_T5_T6_T7_T9_mT8_P12ihipStream_tbDpT10_ENKUlT_T0_E_clISt17integral_constantIbLb0EES1C_IbLb1EEEEDaS18_S19_EUlS18_E_NS1_11comp_targetILNS1_3genE8ELNS1_11target_archE1030ELNS1_3gpuE2ELNS1_3repE0EEENS1_30default_config_static_selectorELNS0_4arch9wavefront6targetE1EEEvT1_,comdat
.Lfunc_end660:
	.size	_ZN7rocprim17ROCPRIM_400000_NS6detail17trampoline_kernelINS0_14default_configENS1_25partition_config_selectorILNS1_17partition_subalgoE8ExNS0_10empty_typeEbEEZZNS1_14partition_implILS5_8ELb0ES3_jN6thrust23THRUST_200600_302600_NS6detail15normal_iteratorINSA_10device_ptrIxEEEEPS6_PKS6_NS0_5tupleIJNSA_16discard_iteratorINSA_11use_defaultEEES6_EEENSJ_IJSG_SG_EEENS0_18inequality_wrapperINSA_8equal_toIxEEEEPmJS6_EEE10hipError_tPvRmT3_T4_T5_T6_T7_T9_mT8_P12ihipStream_tbDpT10_ENKUlT_T0_E_clISt17integral_constantIbLb0EES1C_IbLb1EEEEDaS18_S19_EUlS18_E_NS1_11comp_targetILNS1_3genE8ELNS1_11target_archE1030ELNS1_3gpuE2ELNS1_3repE0EEENS1_30default_config_static_selectorELNS0_4arch9wavefront6targetE1EEEvT1_, .Lfunc_end660-_ZN7rocprim17ROCPRIM_400000_NS6detail17trampoline_kernelINS0_14default_configENS1_25partition_config_selectorILNS1_17partition_subalgoE8ExNS0_10empty_typeEbEEZZNS1_14partition_implILS5_8ELb0ES3_jN6thrust23THRUST_200600_302600_NS6detail15normal_iteratorINSA_10device_ptrIxEEEEPS6_PKS6_NS0_5tupleIJNSA_16discard_iteratorINSA_11use_defaultEEES6_EEENSJ_IJSG_SG_EEENS0_18inequality_wrapperINSA_8equal_toIxEEEEPmJS6_EEE10hipError_tPvRmT3_T4_T5_T6_T7_T9_mT8_P12ihipStream_tbDpT10_ENKUlT_T0_E_clISt17integral_constantIbLb0EES1C_IbLb1EEEEDaS18_S19_EUlS18_E_NS1_11comp_targetILNS1_3genE8ELNS1_11target_archE1030ELNS1_3gpuE2ELNS1_3repE0EEENS1_30default_config_static_selectorELNS0_4arch9wavefront6targetE1EEEvT1_
                                        ; -- End function
	.set _ZN7rocprim17ROCPRIM_400000_NS6detail17trampoline_kernelINS0_14default_configENS1_25partition_config_selectorILNS1_17partition_subalgoE8ExNS0_10empty_typeEbEEZZNS1_14partition_implILS5_8ELb0ES3_jN6thrust23THRUST_200600_302600_NS6detail15normal_iteratorINSA_10device_ptrIxEEEEPS6_PKS6_NS0_5tupleIJNSA_16discard_iteratorINSA_11use_defaultEEES6_EEENSJ_IJSG_SG_EEENS0_18inequality_wrapperINSA_8equal_toIxEEEEPmJS6_EEE10hipError_tPvRmT3_T4_T5_T6_T7_T9_mT8_P12ihipStream_tbDpT10_ENKUlT_T0_E_clISt17integral_constantIbLb0EES1C_IbLb1EEEEDaS18_S19_EUlS18_E_NS1_11comp_targetILNS1_3genE8ELNS1_11target_archE1030ELNS1_3gpuE2ELNS1_3repE0EEENS1_30default_config_static_selectorELNS0_4arch9wavefront6targetE1EEEvT1_.num_vgpr, 0
	.set _ZN7rocprim17ROCPRIM_400000_NS6detail17trampoline_kernelINS0_14default_configENS1_25partition_config_selectorILNS1_17partition_subalgoE8ExNS0_10empty_typeEbEEZZNS1_14partition_implILS5_8ELb0ES3_jN6thrust23THRUST_200600_302600_NS6detail15normal_iteratorINSA_10device_ptrIxEEEEPS6_PKS6_NS0_5tupleIJNSA_16discard_iteratorINSA_11use_defaultEEES6_EEENSJ_IJSG_SG_EEENS0_18inequality_wrapperINSA_8equal_toIxEEEEPmJS6_EEE10hipError_tPvRmT3_T4_T5_T6_T7_T9_mT8_P12ihipStream_tbDpT10_ENKUlT_T0_E_clISt17integral_constantIbLb0EES1C_IbLb1EEEEDaS18_S19_EUlS18_E_NS1_11comp_targetILNS1_3genE8ELNS1_11target_archE1030ELNS1_3gpuE2ELNS1_3repE0EEENS1_30default_config_static_selectorELNS0_4arch9wavefront6targetE1EEEvT1_.num_agpr, 0
	.set _ZN7rocprim17ROCPRIM_400000_NS6detail17trampoline_kernelINS0_14default_configENS1_25partition_config_selectorILNS1_17partition_subalgoE8ExNS0_10empty_typeEbEEZZNS1_14partition_implILS5_8ELb0ES3_jN6thrust23THRUST_200600_302600_NS6detail15normal_iteratorINSA_10device_ptrIxEEEEPS6_PKS6_NS0_5tupleIJNSA_16discard_iteratorINSA_11use_defaultEEES6_EEENSJ_IJSG_SG_EEENS0_18inequality_wrapperINSA_8equal_toIxEEEEPmJS6_EEE10hipError_tPvRmT3_T4_T5_T6_T7_T9_mT8_P12ihipStream_tbDpT10_ENKUlT_T0_E_clISt17integral_constantIbLb0EES1C_IbLb1EEEEDaS18_S19_EUlS18_E_NS1_11comp_targetILNS1_3genE8ELNS1_11target_archE1030ELNS1_3gpuE2ELNS1_3repE0EEENS1_30default_config_static_selectorELNS0_4arch9wavefront6targetE1EEEvT1_.numbered_sgpr, 0
	.set _ZN7rocprim17ROCPRIM_400000_NS6detail17trampoline_kernelINS0_14default_configENS1_25partition_config_selectorILNS1_17partition_subalgoE8ExNS0_10empty_typeEbEEZZNS1_14partition_implILS5_8ELb0ES3_jN6thrust23THRUST_200600_302600_NS6detail15normal_iteratorINSA_10device_ptrIxEEEEPS6_PKS6_NS0_5tupleIJNSA_16discard_iteratorINSA_11use_defaultEEES6_EEENSJ_IJSG_SG_EEENS0_18inequality_wrapperINSA_8equal_toIxEEEEPmJS6_EEE10hipError_tPvRmT3_T4_T5_T6_T7_T9_mT8_P12ihipStream_tbDpT10_ENKUlT_T0_E_clISt17integral_constantIbLb0EES1C_IbLb1EEEEDaS18_S19_EUlS18_E_NS1_11comp_targetILNS1_3genE8ELNS1_11target_archE1030ELNS1_3gpuE2ELNS1_3repE0EEENS1_30default_config_static_selectorELNS0_4arch9wavefront6targetE1EEEvT1_.num_named_barrier, 0
	.set _ZN7rocprim17ROCPRIM_400000_NS6detail17trampoline_kernelINS0_14default_configENS1_25partition_config_selectorILNS1_17partition_subalgoE8ExNS0_10empty_typeEbEEZZNS1_14partition_implILS5_8ELb0ES3_jN6thrust23THRUST_200600_302600_NS6detail15normal_iteratorINSA_10device_ptrIxEEEEPS6_PKS6_NS0_5tupleIJNSA_16discard_iteratorINSA_11use_defaultEEES6_EEENSJ_IJSG_SG_EEENS0_18inequality_wrapperINSA_8equal_toIxEEEEPmJS6_EEE10hipError_tPvRmT3_T4_T5_T6_T7_T9_mT8_P12ihipStream_tbDpT10_ENKUlT_T0_E_clISt17integral_constantIbLb0EES1C_IbLb1EEEEDaS18_S19_EUlS18_E_NS1_11comp_targetILNS1_3genE8ELNS1_11target_archE1030ELNS1_3gpuE2ELNS1_3repE0EEENS1_30default_config_static_selectorELNS0_4arch9wavefront6targetE1EEEvT1_.private_seg_size, 0
	.set _ZN7rocprim17ROCPRIM_400000_NS6detail17trampoline_kernelINS0_14default_configENS1_25partition_config_selectorILNS1_17partition_subalgoE8ExNS0_10empty_typeEbEEZZNS1_14partition_implILS5_8ELb0ES3_jN6thrust23THRUST_200600_302600_NS6detail15normal_iteratorINSA_10device_ptrIxEEEEPS6_PKS6_NS0_5tupleIJNSA_16discard_iteratorINSA_11use_defaultEEES6_EEENSJ_IJSG_SG_EEENS0_18inequality_wrapperINSA_8equal_toIxEEEEPmJS6_EEE10hipError_tPvRmT3_T4_T5_T6_T7_T9_mT8_P12ihipStream_tbDpT10_ENKUlT_T0_E_clISt17integral_constantIbLb0EES1C_IbLb1EEEEDaS18_S19_EUlS18_E_NS1_11comp_targetILNS1_3genE8ELNS1_11target_archE1030ELNS1_3gpuE2ELNS1_3repE0EEENS1_30default_config_static_selectorELNS0_4arch9wavefront6targetE1EEEvT1_.uses_vcc, 0
	.set _ZN7rocprim17ROCPRIM_400000_NS6detail17trampoline_kernelINS0_14default_configENS1_25partition_config_selectorILNS1_17partition_subalgoE8ExNS0_10empty_typeEbEEZZNS1_14partition_implILS5_8ELb0ES3_jN6thrust23THRUST_200600_302600_NS6detail15normal_iteratorINSA_10device_ptrIxEEEEPS6_PKS6_NS0_5tupleIJNSA_16discard_iteratorINSA_11use_defaultEEES6_EEENSJ_IJSG_SG_EEENS0_18inequality_wrapperINSA_8equal_toIxEEEEPmJS6_EEE10hipError_tPvRmT3_T4_T5_T6_T7_T9_mT8_P12ihipStream_tbDpT10_ENKUlT_T0_E_clISt17integral_constantIbLb0EES1C_IbLb1EEEEDaS18_S19_EUlS18_E_NS1_11comp_targetILNS1_3genE8ELNS1_11target_archE1030ELNS1_3gpuE2ELNS1_3repE0EEENS1_30default_config_static_selectorELNS0_4arch9wavefront6targetE1EEEvT1_.uses_flat_scratch, 0
	.set _ZN7rocprim17ROCPRIM_400000_NS6detail17trampoline_kernelINS0_14default_configENS1_25partition_config_selectorILNS1_17partition_subalgoE8ExNS0_10empty_typeEbEEZZNS1_14partition_implILS5_8ELb0ES3_jN6thrust23THRUST_200600_302600_NS6detail15normal_iteratorINSA_10device_ptrIxEEEEPS6_PKS6_NS0_5tupleIJNSA_16discard_iteratorINSA_11use_defaultEEES6_EEENSJ_IJSG_SG_EEENS0_18inequality_wrapperINSA_8equal_toIxEEEEPmJS6_EEE10hipError_tPvRmT3_T4_T5_T6_T7_T9_mT8_P12ihipStream_tbDpT10_ENKUlT_T0_E_clISt17integral_constantIbLb0EES1C_IbLb1EEEEDaS18_S19_EUlS18_E_NS1_11comp_targetILNS1_3genE8ELNS1_11target_archE1030ELNS1_3gpuE2ELNS1_3repE0EEENS1_30default_config_static_selectorELNS0_4arch9wavefront6targetE1EEEvT1_.has_dyn_sized_stack, 0
	.set _ZN7rocprim17ROCPRIM_400000_NS6detail17trampoline_kernelINS0_14default_configENS1_25partition_config_selectorILNS1_17partition_subalgoE8ExNS0_10empty_typeEbEEZZNS1_14partition_implILS5_8ELb0ES3_jN6thrust23THRUST_200600_302600_NS6detail15normal_iteratorINSA_10device_ptrIxEEEEPS6_PKS6_NS0_5tupleIJNSA_16discard_iteratorINSA_11use_defaultEEES6_EEENSJ_IJSG_SG_EEENS0_18inequality_wrapperINSA_8equal_toIxEEEEPmJS6_EEE10hipError_tPvRmT3_T4_T5_T6_T7_T9_mT8_P12ihipStream_tbDpT10_ENKUlT_T0_E_clISt17integral_constantIbLb0EES1C_IbLb1EEEEDaS18_S19_EUlS18_E_NS1_11comp_targetILNS1_3genE8ELNS1_11target_archE1030ELNS1_3gpuE2ELNS1_3repE0EEENS1_30default_config_static_selectorELNS0_4arch9wavefront6targetE1EEEvT1_.has_recursion, 0
	.set _ZN7rocprim17ROCPRIM_400000_NS6detail17trampoline_kernelINS0_14default_configENS1_25partition_config_selectorILNS1_17partition_subalgoE8ExNS0_10empty_typeEbEEZZNS1_14partition_implILS5_8ELb0ES3_jN6thrust23THRUST_200600_302600_NS6detail15normal_iteratorINSA_10device_ptrIxEEEEPS6_PKS6_NS0_5tupleIJNSA_16discard_iteratorINSA_11use_defaultEEES6_EEENSJ_IJSG_SG_EEENS0_18inequality_wrapperINSA_8equal_toIxEEEEPmJS6_EEE10hipError_tPvRmT3_T4_T5_T6_T7_T9_mT8_P12ihipStream_tbDpT10_ENKUlT_T0_E_clISt17integral_constantIbLb0EES1C_IbLb1EEEEDaS18_S19_EUlS18_E_NS1_11comp_targetILNS1_3genE8ELNS1_11target_archE1030ELNS1_3gpuE2ELNS1_3repE0EEENS1_30default_config_static_selectorELNS0_4arch9wavefront6targetE1EEEvT1_.has_indirect_call, 0
	.section	.AMDGPU.csdata,"",@progbits
; Kernel info:
; codeLenInByte = 0
; TotalNumSgprs: 4
; NumVgprs: 0
; ScratchSize: 0
; MemoryBound: 0
; FloatMode: 240
; IeeeMode: 1
; LDSByteSize: 0 bytes/workgroup (compile time only)
; SGPRBlocks: 0
; VGPRBlocks: 0
; NumSGPRsForWavesPerEU: 4
; NumVGPRsForWavesPerEU: 1
; Occupancy: 10
; WaveLimiterHint : 0
; COMPUTE_PGM_RSRC2:SCRATCH_EN: 0
; COMPUTE_PGM_RSRC2:USER_SGPR: 6
; COMPUTE_PGM_RSRC2:TRAP_HANDLER: 0
; COMPUTE_PGM_RSRC2:TGID_X_EN: 1
; COMPUTE_PGM_RSRC2:TGID_Y_EN: 0
; COMPUTE_PGM_RSRC2:TGID_Z_EN: 0
; COMPUTE_PGM_RSRC2:TIDIG_COMP_CNT: 0
	.section	.text._ZN7rocprim17ROCPRIM_400000_NS6detail17trampoline_kernelINS0_14default_configENS1_25partition_config_selectorILNS1_17partition_subalgoE8EiNS0_10empty_typeEbEEZZNS1_14partition_implILS5_8ELb0ES3_jN6thrust23THRUST_200600_302600_NS6detail15normal_iteratorINSA_10device_ptrIiEEEEPS6_PKS6_NS0_5tupleIJNSA_16discard_iteratorINSA_11use_defaultEEES6_EEENSJ_IJSG_SG_EEENS0_18inequality_wrapperINSA_8equal_toIiEEEEPmJS6_EEE10hipError_tPvRmT3_T4_T5_T6_T7_T9_mT8_P12ihipStream_tbDpT10_ENKUlT_T0_E_clISt17integral_constantIbLb0EES1D_EEDaS18_S19_EUlS18_E_NS1_11comp_targetILNS1_3genE0ELNS1_11target_archE4294967295ELNS1_3gpuE0ELNS1_3repE0EEENS1_30default_config_static_selectorELNS0_4arch9wavefront6targetE1EEEvT1_,"axG",@progbits,_ZN7rocprim17ROCPRIM_400000_NS6detail17trampoline_kernelINS0_14default_configENS1_25partition_config_selectorILNS1_17partition_subalgoE8EiNS0_10empty_typeEbEEZZNS1_14partition_implILS5_8ELb0ES3_jN6thrust23THRUST_200600_302600_NS6detail15normal_iteratorINSA_10device_ptrIiEEEEPS6_PKS6_NS0_5tupleIJNSA_16discard_iteratorINSA_11use_defaultEEES6_EEENSJ_IJSG_SG_EEENS0_18inequality_wrapperINSA_8equal_toIiEEEEPmJS6_EEE10hipError_tPvRmT3_T4_T5_T6_T7_T9_mT8_P12ihipStream_tbDpT10_ENKUlT_T0_E_clISt17integral_constantIbLb0EES1D_EEDaS18_S19_EUlS18_E_NS1_11comp_targetILNS1_3genE0ELNS1_11target_archE4294967295ELNS1_3gpuE0ELNS1_3repE0EEENS1_30default_config_static_selectorELNS0_4arch9wavefront6targetE1EEEvT1_,comdat
	.protected	_ZN7rocprim17ROCPRIM_400000_NS6detail17trampoline_kernelINS0_14default_configENS1_25partition_config_selectorILNS1_17partition_subalgoE8EiNS0_10empty_typeEbEEZZNS1_14partition_implILS5_8ELb0ES3_jN6thrust23THRUST_200600_302600_NS6detail15normal_iteratorINSA_10device_ptrIiEEEEPS6_PKS6_NS0_5tupleIJNSA_16discard_iteratorINSA_11use_defaultEEES6_EEENSJ_IJSG_SG_EEENS0_18inequality_wrapperINSA_8equal_toIiEEEEPmJS6_EEE10hipError_tPvRmT3_T4_T5_T6_T7_T9_mT8_P12ihipStream_tbDpT10_ENKUlT_T0_E_clISt17integral_constantIbLb0EES1D_EEDaS18_S19_EUlS18_E_NS1_11comp_targetILNS1_3genE0ELNS1_11target_archE4294967295ELNS1_3gpuE0ELNS1_3repE0EEENS1_30default_config_static_selectorELNS0_4arch9wavefront6targetE1EEEvT1_ ; -- Begin function _ZN7rocprim17ROCPRIM_400000_NS6detail17trampoline_kernelINS0_14default_configENS1_25partition_config_selectorILNS1_17partition_subalgoE8EiNS0_10empty_typeEbEEZZNS1_14partition_implILS5_8ELb0ES3_jN6thrust23THRUST_200600_302600_NS6detail15normal_iteratorINSA_10device_ptrIiEEEEPS6_PKS6_NS0_5tupleIJNSA_16discard_iteratorINSA_11use_defaultEEES6_EEENSJ_IJSG_SG_EEENS0_18inequality_wrapperINSA_8equal_toIiEEEEPmJS6_EEE10hipError_tPvRmT3_T4_T5_T6_T7_T9_mT8_P12ihipStream_tbDpT10_ENKUlT_T0_E_clISt17integral_constantIbLb0EES1D_EEDaS18_S19_EUlS18_E_NS1_11comp_targetILNS1_3genE0ELNS1_11target_archE4294967295ELNS1_3gpuE0ELNS1_3repE0EEENS1_30default_config_static_selectorELNS0_4arch9wavefront6targetE1EEEvT1_
	.globl	_ZN7rocprim17ROCPRIM_400000_NS6detail17trampoline_kernelINS0_14default_configENS1_25partition_config_selectorILNS1_17partition_subalgoE8EiNS0_10empty_typeEbEEZZNS1_14partition_implILS5_8ELb0ES3_jN6thrust23THRUST_200600_302600_NS6detail15normal_iteratorINSA_10device_ptrIiEEEEPS6_PKS6_NS0_5tupleIJNSA_16discard_iteratorINSA_11use_defaultEEES6_EEENSJ_IJSG_SG_EEENS0_18inequality_wrapperINSA_8equal_toIiEEEEPmJS6_EEE10hipError_tPvRmT3_T4_T5_T6_T7_T9_mT8_P12ihipStream_tbDpT10_ENKUlT_T0_E_clISt17integral_constantIbLb0EES1D_EEDaS18_S19_EUlS18_E_NS1_11comp_targetILNS1_3genE0ELNS1_11target_archE4294967295ELNS1_3gpuE0ELNS1_3repE0EEENS1_30default_config_static_selectorELNS0_4arch9wavefront6targetE1EEEvT1_
	.p2align	8
	.type	_ZN7rocprim17ROCPRIM_400000_NS6detail17trampoline_kernelINS0_14default_configENS1_25partition_config_selectorILNS1_17partition_subalgoE8EiNS0_10empty_typeEbEEZZNS1_14partition_implILS5_8ELb0ES3_jN6thrust23THRUST_200600_302600_NS6detail15normal_iteratorINSA_10device_ptrIiEEEEPS6_PKS6_NS0_5tupleIJNSA_16discard_iteratorINSA_11use_defaultEEES6_EEENSJ_IJSG_SG_EEENS0_18inequality_wrapperINSA_8equal_toIiEEEEPmJS6_EEE10hipError_tPvRmT3_T4_T5_T6_T7_T9_mT8_P12ihipStream_tbDpT10_ENKUlT_T0_E_clISt17integral_constantIbLb0EES1D_EEDaS18_S19_EUlS18_E_NS1_11comp_targetILNS1_3genE0ELNS1_11target_archE4294967295ELNS1_3gpuE0ELNS1_3repE0EEENS1_30default_config_static_selectorELNS0_4arch9wavefront6targetE1EEEvT1_,@function
_ZN7rocprim17ROCPRIM_400000_NS6detail17trampoline_kernelINS0_14default_configENS1_25partition_config_selectorILNS1_17partition_subalgoE8EiNS0_10empty_typeEbEEZZNS1_14partition_implILS5_8ELb0ES3_jN6thrust23THRUST_200600_302600_NS6detail15normal_iteratorINSA_10device_ptrIiEEEEPS6_PKS6_NS0_5tupleIJNSA_16discard_iteratorINSA_11use_defaultEEES6_EEENSJ_IJSG_SG_EEENS0_18inequality_wrapperINSA_8equal_toIiEEEEPmJS6_EEE10hipError_tPvRmT3_T4_T5_T6_T7_T9_mT8_P12ihipStream_tbDpT10_ENKUlT_T0_E_clISt17integral_constantIbLb0EES1D_EEDaS18_S19_EUlS18_E_NS1_11comp_targetILNS1_3genE0ELNS1_11target_archE4294967295ELNS1_3gpuE0ELNS1_3repE0EEENS1_30default_config_static_selectorELNS0_4arch9wavefront6targetE1EEEvT1_: ; @_ZN7rocprim17ROCPRIM_400000_NS6detail17trampoline_kernelINS0_14default_configENS1_25partition_config_selectorILNS1_17partition_subalgoE8EiNS0_10empty_typeEbEEZZNS1_14partition_implILS5_8ELb0ES3_jN6thrust23THRUST_200600_302600_NS6detail15normal_iteratorINSA_10device_ptrIiEEEEPS6_PKS6_NS0_5tupleIJNSA_16discard_iteratorINSA_11use_defaultEEES6_EEENSJ_IJSG_SG_EEENS0_18inequality_wrapperINSA_8equal_toIiEEEEPmJS6_EEE10hipError_tPvRmT3_T4_T5_T6_T7_T9_mT8_P12ihipStream_tbDpT10_ENKUlT_T0_E_clISt17integral_constantIbLb0EES1D_EEDaS18_S19_EUlS18_E_NS1_11comp_targetILNS1_3genE0ELNS1_11target_archE4294967295ELNS1_3gpuE0ELNS1_3repE0EEENS1_30default_config_static_selectorELNS0_4arch9wavefront6targetE1EEEvT1_
; %bb.0:
	.section	.rodata,"a",@progbits
	.p2align	6, 0x0
	.amdhsa_kernel _ZN7rocprim17ROCPRIM_400000_NS6detail17trampoline_kernelINS0_14default_configENS1_25partition_config_selectorILNS1_17partition_subalgoE8EiNS0_10empty_typeEbEEZZNS1_14partition_implILS5_8ELb0ES3_jN6thrust23THRUST_200600_302600_NS6detail15normal_iteratorINSA_10device_ptrIiEEEEPS6_PKS6_NS0_5tupleIJNSA_16discard_iteratorINSA_11use_defaultEEES6_EEENSJ_IJSG_SG_EEENS0_18inequality_wrapperINSA_8equal_toIiEEEEPmJS6_EEE10hipError_tPvRmT3_T4_T5_T6_T7_T9_mT8_P12ihipStream_tbDpT10_ENKUlT_T0_E_clISt17integral_constantIbLb0EES1D_EEDaS18_S19_EUlS18_E_NS1_11comp_targetILNS1_3genE0ELNS1_11target_archE4294967295ELNS1_3gpuE0ELNS1_3repE0EEENS1_30default_config_static_selectorELNS0_4arch9wavefront6targetE1EEEvT1_
		.amdhsa_group_segment_fixed_size 0
		.amdhsa_private_segment_fixed_size 0
		.amdhsa_kernarg_size 120
		.amdhsa_user_sgpr_count 6
		.amdhsa_user_sgpr_private_segment_buffer 1
		.amdhsa_user_sgpr_dispatch_ptr 0
		.amdhsa_user_sgpr_queue_ptr 0
		.amdhsa_user_sgpr_kernarg_segment_ptr 1
		.amdhsa_user_sgpr_dispatch_id 0
		.amdhsa_user_sgpr_flat_scratch_init 0
		.amdhsa_user_sgpr_private_segment_size 0
		.amdhsa_uses_dynamic_stack 0
		.amdhsa_system_sgpr_private_segment_wavefront_offset 0
		.amdhsa_system_sgpr_workgroup_id_x 1
		.amdhsa_system_sgpr_workgroup_id_y 0
		.amdhsa_system_sgpr_workgroup_id_z 0
		.amdhsa_system_sgpr_workgroup_info 0
		.amdhsa_system_vgpr_workitem_id 0
		.amdhsa_next_free_vgpr 1
		.amdhsa_next_free_sgpr 0
		.amdhsa_reserve_vcc 0
		.amdhsa_reserve_flat_scratch 0
		.amdhsa_float_round_mode_32 0
		.amdhsa_float_round_mode_16_64 0
		.amdhsa_float_denorm_mode_32 3
		.amdhsa_float_denorm_mode_16_64 3
		.amdhsa_dx10_clamp 1
		.amdhsa_ieee_mode 1
		.amdhsa_fp16_overflow 0
		.amdhsa_exception_fp_ieee_invalid_op 0
		.amdhsa_exception_fp_denorm_src 0
		.amdhsa_exception_fp_ieee_div_zero 0
		.amdhsa_exception_fp_ieee_overflow 0
		.amdhsa_exception_fp_ieee_underflow 0
		.amdhsa_exception_fp_ieee_inexact 0
		.amdhsa_exception_int_div_zero 0
	.end_amdhsa_kernel
	.section	.text._ZN7rocprim17ROCPRIM_400000_NS6detail17trampoline_kernelINS0_14default_configENS1_25partition_config_selectorILNS1_17partition_subalgoE8EiNS0_10empty_typeEbEEZZNS1_14partition_implILS5_8ELb0ES3_jN6thrust23THRUST_200600_302600_NS6detail15normal_iteratorINSA_10device_ptrIiEEEEPS6_PKS6_NS0_5tupleIJNSA_16discard_iteratorINSA_11use_defaultEEES6_EEENSJ_IJSG_SG_EEENS0_18inequality_wrapperINSA_8equal_toIiEEEEPmJS6_EEE10hipError_tPvRmT3_T4_T5_T6_T7_T9_mT8_P12ihipStream_tbDpT10_ENKUlT_T0_E_clISt17integral_constantIbLb0EES1D_EEDaS18_S19_EUlS18_E_NS1_11comp_targetILNS1_3genE0ELNS1_11target_archE4294967295ELNS1_3gpuE0ELNS1_3repE0EEENS1_30default_config_static_selectorELNS0_4arch9wavefront6targetE1EEEvT1_,"axG",@progbits,_ZN7rocprim17ROCPRIM_400000_NS6detail17trampoline_kernelINS0_14default_configENS1_25partition_config_selectorILNS1_17partition_subalgoE8EiNS0_10empty_typeEbEEZZNS1_14partition_implILS5_8ELb0ES3_jN6thrust23THRUST_200600_302600_NS6detail15normal_iteratorINSA_10device_ptrIiEEEEPS6_PKS6_NS0_5tupleIJNSA_16discard_iteratorINSA_11use_defaultEEES6_EEENSJ_IJSG_SG_EEENS0_18inequality_wrapperINSA_8equal_toIiEEEEPmJS6_EEE10hipError_tPvRmT3_T4_T5_T6_T7_T9_mT8_P12ihipStream_tbDpT10_ENKUlT_T0_E_clISt17integral_constantIbLb0EES1D_EEDaS18_S19_EUlS18_E_NS1_11comp_targetILNS1_3genE0ELNS1_11target_archE4294967295ELNS1_3gpuE0ELNS1_3repE0EEENS1_30default_config_static_selectorELNS0_4arch9wavefront6targetE1EEEvT1_,comdat
.Lfunc_end661:
	.size	_ZN7rocprim17ROCPRIM_400000_NS6detail17trampoline_kernelINS0_14default_configENS1_25partition_config_selectorILNS1_17partition_subalgoE8EiNS0_10empty_typeEbEEZZNS1_14partition_implILS5_8ELb0ES3_jN6thrust23THRUST_200600_302600_NS6detail15normal_iteratorINSA_10device_ptrIiEEEEPS6_PKS6_NS0_5tupleIJNSA_16discard_iteratorINSA_11use_defaultEEES6_EEENSJ_IJSG_SG_EEENS0_18inequality_wrapperINSA_8equal_toIiEEEEPmJS6_EEE10hipError_tPvRmT3_T4_T5_T6_T7_T9_mT8_P12ihipStream_tbDpT10_ENKUlT_T0_E_clISt17integral_constantIbLb0EES1D_EEDaS18_S19_EUlS18_E_NS1_11comp_targetILNS1_3genE0ELNS1_11target_archE4294967295ELNS1_3gpuE0ELNS1_3repE0EEENS1_30default_config_static_selectorELNS0_4arch9wavefront6targetE1EEEvT1_, .Lfunc_end661-_ZN7rocprim17ROCPRIM_400000_NS6detail17trampoline_kernelINS0_14default_configENS1_25partition_config_selectorILNS1_17partition_subalgoE8EiNS0_10empty_typeEbEEZZNS1_14partition_implILS5_8ELb0ES3_jN6thrust23THRUST_200600_302600_NS6detail15normal_iteratorINSA_10device_ptrIiEEEEPS6_PKS6_NS0_5tupleIJNSA_16discard_iteratorINSA_11use_defaultEEES6_EEENSJ_IJSG_SG_EEENS0_18inequality_wrapperINSA_8equal_toIiEEEEPmJS6_EEE10hipError_tPvRmT3_T4_T5_T6_T7_T9_mT8_P12ihipStream_tbDpT10_ENKUlT_T0_E_clISt17integral_constantIbLb0EES1D_EEDaS18_S19_EUlS18_E_NS1_11comp_targetILNS1_3genE0ELNS1_11target_archE4294967295ELNS1_3gpuE0ELNS1_3repE0EEENS1_30default_config_static_selectorELNS0_4arch9wavefront6targetE1EEEvT1_
                                        ; -- End function
	.set _ZN7rocprim17ROCPRIM_400000_NS6detail17trampoline_kernelINS0_14default_configENS1_25partition_config_selectorILNS1_17partition_subalgoE8EiNS0_10empty_typeEbEEZZNS1_14partition_implILS5_8ELb0ES3_jN6thrust23THRUST_200600_302600_NS6detail15normal_iteratorINSA_10device_ptrIiEEEEPS6_PKS6_NS0_5tupleIJNSA_16discard_iteratorINSA_11use_defaultEEES6_EEENSJ_IJSG_SG_EEENS0_18inequality_wrapperINSA_8equal_toIiEEEEPmJS6_EEE10hipError_tPvRmT3_T4_T5_T6_T7_T9_mT8_P12ihipStream_tbDpT10_ENKUlT_T0_E_clISt17integral_constantIbLb0EES1D_EEDaS18_S19_EUlS18_E_NS1_11comp_targetILNS1_3genE0ELNS1_11target_archE4294967295ELNS1_3gpuE0ELNS1_3repE0EEENS1_30default_config_static_selectorELNS0_4arch9wavefront6targetE1EEEvT1_.num_vgpr, 0
	.set _ZN7rocprim17ROCPRIM_400000_NS6detail17trampoline_kernelINS0_14default_configENS1_25partition_config_selectorILNS1_17partition_subalgoE8EiNS0_10empty_typeEbEEZZNS1_14partition_implILS5_8ELb0ES3_jN6thrust23THRUST_200600_302600_NS6detail15normal_iteratorINSA_10device_ptrIiEEEEPS6_PKS6_NS0_5tupleIJNSA_16discard_iteratorINSA_11use_defaultEEES6_EEENSJ_IJSG_SG_EEENS0_18inequality_wrapperINSA_8equal_toIiEEEEPmJS6_EEE10hipError_tPvRmT3_T4_T5_T6_T7_T9_mT8_P12ihipStream_tbDpT10_ENKUlT_T0_E_clISt17integral_constantIbLb0EES1D_EEDaS18_S19_EUlS18_E_NS1_11comp_targetILNS1_3genE0ELNS1_11target_archE4294967295ELNS1_3gpuE0ELNS1_3repE0EEENS1_30default_config_static_selectorELNS0_4arch9wavefront6targetE1EEEvT1_.num_agpr, 0
	.set _ZN7rocprim17ROCPRIM_400000_NS6detail17trampoline_kernelINS0_14default_configENS1_25partition_config_selectorILNS1_17partition_subalgoE8EiNS0_10empty_typeEbEEZZNS1_14partition_implILS5_8ELb0ES3_jN6thrust23THRUST_200600_302600_NS6detail15normal_iteratorINSA_10device_ptrIiEEEEPS6_PKS6_NS0_5tupleIJNSA_16discard_iteratorINSA_11use_defaultEEES6_EEENSJ_IJSG_SG_EEENS0_18inequality_wrapperINSA_8equal_toIiEEEEPmJS6_EEE10hipError_tPvRmT3_T4_T5_T6_T7_T9_mT8_P12ihipStream_tbDpT10_ENKUlT_T0_E_clISt17integral_constantIbLb0EES1D_EEDaS18_S19_EUlS18_E_NS1_11comp_targetILNS1_3genE0ELNS1_11target_archE4294967295ELNS1_3gpuE0ELNS1_3repE0EEENS1_30default_config_static_selectorELNS0_4arch9wavefront6targetE1EEEvT1_.numbered_sgpr, 0
	.set _ZN7rocprim17ROCPRIM_400000_NS6detail17trampoline_kernelINS0_14default_configENS1_25partition_config_selectorILNS1_17partition_subalgoE8EiNS0_10empty_typeEbEEZZNS1_14partition_implILS5_8ELb0ES3_jN6thrust23THRUST_200600_302600_NS6detail15normal_iteratorINSA_10device_ptrIiEEEEPS6_PKS6_NS0_5tupleIJNSA_16discard_iteratorINSA_11use_defaultEEES6_EEENSJ_IJSG_SG_EEENS0_18inequality_wrapperINSA_8equal_toIiEEEEPmJS6_EEE10hipError_tPvRmT3_T4_T5_T6_T7_T9_mT8_P12ihipStream_tbDpT10_ENKUlT_T0_E_clISt17integral_constantIbLb0EES1D_EEDaS18_S19_EUlS18_E_NS1_11comp_targetILNS1_3genE0ELNS1_11target_archE4294967295ELNS1_3gpuE0ELNS1_3repE0EEENS1_30default_config_static_selectorELNS0_4arch9wavefront6targetE1EEEvT1_.num_named_barrier, 0
	.set _ZN7rocprim17ROCPRIM_400000_NS6detail17trampoline_kernelINS0_14default_configENS1_25partition_config_selectorILNS1_17partition_subalgoE8EiNS0_10empty_typeEbEEZZNS1_14partition_implILS5_8ELb0ES3_jN6thrust23THRUST_200600_302600_NS6detail15normal_iteratorINSA_10device_ptrIiEEEEPS6_PKS6_NS0_5tupleIJNSA_16discard_iteratorINSA_11use_defaultEEES6_EEENSJ_IJSG_SG_EEENS0_18inequality_wrapperINSA_8equal_toIiEEEEPmJS6_EEE10hipError_tPvRmT3_T4_T5_T6_T7_T9_mT8_P12ihipStream_tbDpT10_ENKUlT_T0_E_clISt17integral_constantIbLb0EES1D_EEDaS18_S19_EUlS18_E_NS1_11comp_targetILNS1_3genE0ELNS1_11target_archE4294967295ELNS1_3gpuE0ELNS1_3repE0EEENS1_30default_config_static_selectorELNS0_4arch9wavefront6targetE1EEEvT1_.private_seg_size, 0
	.set _ZN7rocprim17ROCPRIM_400000_NS6detail17trampoline_kernelINS0_14default_configENS1_25partition_config_selectorILNS1_17partition_subalgoE8EiNS0_10empty_typeEbEEZZNS1_14partition_implILS5_8ELb0ES3_jN6thrust23THRUST_200600_302600_NS6detail15normal_iteratorINSA_10device_ptrIiEEEEPS6_PKS6_NS0_5tupleIJNSA_16discard_iteratorINSA_11use_defaultEEES6_EEENSJ_IJSG_SG_EEENS0_18inequality_wrapperINSA_8equal_toIiEEEEPmJS6_EEE10hipError_tPvRmT3_T4_T5_T6_T7_T9_mT8_P12ihipStream_tbDpT10_ENKUlT_T0_E_clISt17integral_constantIbLb0EES1D_EEDaS18_S19_EUlS18_E_NS1_11comp_targetILNS1_3genE0ELNS1_11target_archE4294967295ELNS1_3gpuE0ELNS1_3repE0EEENS1_30default_config_static_selectorELNS0_4arch9wavefront6targetE1EEEvT1_.uses_vcc, 0
	.set _ZN7rocprim17ROCPRIM_400000_NS6detail17trampoline_kernelINS0_14default_configENS1_25partition_config_selectorILNS1_17partition_subalgoE8EiNS0_10empty_typeEbEEZZNS1_14partition_implILS5_8ELb0ES3_jN6thrust23THRUST_200600_302600_NS6detail15normal_iteratorINSA_10device_ptrIiEEEEPS6_PKS6_NS0_5tupleIJNSA_16discard_iteratorINSA_11use_defaultEEES6_EEENSJ_IJSG_SG_EEENS0_18inequality_wrapperINSA_8equal_toIiEEEEPmJS6_EEE10hipError_tPvRmT3_T4_T5_T6_T7_T9_mT8_P12ihipStream_tbDpT10_ENKUlT_T0_E_clISt17integral_constantIbLb0EES1D_EEDaS18_S19_EUlS18_E_NS1_11comp_targetILNS1_3genE0ELNS1_11target_archE4294967295ELNS1_3gpuE0ELNS1_3repE0EEENS1_30default_config_static_selectorELNS0_4arch9wavefront6targetE1EEEvT1_.uses_flat_scratch, 0
	.set _ZN7rocprim17ROCPRIM_400000_NS6detail17trampoline_kernelINS0_14default_configENS1_25partition_config_selectorILNS1_17partition_subalgoE8EiNS0_10empty_typeEbEEZZNS1_14partition_implILS5_8ELb0ES3_jN6thrust23THRUST_200600_302600_NS6detail15normal_iteratorINSA_10device_ptrIiEEEEPS6_PKS6_NS0_5tupleIJNSA_16discard_iteratorINSA_11use_defaultEEES6_EEENSJ_IJSG_SG_EEENS0_18inequality_wrapperINSA_8equal_toIiEEEEPmJS6_EEE10hipError_tPvRmT3_T4_T5_T6_T7_T9_mT8_P12ihipStream_tbDpT10_ENKUlT_T0_E_clISt17integral_constantIbLb0EES1D_EEDaS18_S19_EUlS18_E_NS1_11comp_targetILNS1_3genE0ELNS1_11target_archE4294967295ELNS1_3gpuE0ELNS1_3repE0EEENS1_30default_config_static_selectorELNS0_4arch9wavefront6targetE1EEEvT1_.has_dyn_sized_stack, 0
	.set _ZN7rocprim17ROCPRIM_400000_NS6detail17trampoline_kernelINS0_14default_configENS1_25partition_config_selectorILNS1_17partition_subalgoE8EiNS0_10empty_typeEbEEZZNS1_14partition_implILS5_8ELb0ES3_jN6thrust23THRUST_200600_302600_NS6detail15normal_iteratorINSA_10device_ptrIiEEEEPS6_PKS6_NS0_5tupleIJNSA_16discard_iteratorINSA_11use_defaultEEES6_EEENSJ_IJSG_SG_EEENS0_18inequality_wrapperINSA_8equal_toIiEEEEPmJS6_EEE10hipError_tPvRmT3_T4_T5_T6_T7_T9_mT8_P12ihipStream_tbDpT10_ENKUlT_T0_E_clISt17integral_constantIbLb0EES1D_EEDaS18_S19_EUlS18_E_NS1_11comp_targetILNS1_3genE0ELNS1_11target_archE4294967295ELNS1_3gpuE0ELNS1_3repE0EEENS1_30default_config_static_selectorELNS0_4arch9wavefront6targetE1EEEvT1_.has_recursion, 0
	.set _ZN7rocprim17ROCPRIM_400000_NS6detail17trampoline_kernelINS0_14default_configENS1_25partition_config_selectorILNS1_17partition_subalgoE8EiNS0_10empty_typeEbEEZZNS1_14partition_implILS5_8ELb0ES3_jN6thrust23THRUST_200600_302600_NS6detail15normal_iteratorINSA_10device_ptrIiEEEEPS6_PKS6_NS0_5tupleIJNSA_16discard_iteratorINSA_11use_defaultEEES6_EEENSJ_IJSG_SG_EEENS0_18inequality_wrapperINSA_8equal_toIiEEEEPmJS6_EEE10hipError_tPvRmT3_T4_T5_T6_T7_T9_mT8_P12ihipStream_tbDpT10_ENKUlT_T0_E_clISt17integral_constantIbLb0EES1D_EEDaS18_S19_EUlS18_E_NS1_11comp_targetILNS1_3genE0ELNS1_11target_archE4294967295ELNS1_3gpuE0ELNS1_3repE0EEENS1_30default_config_static_selectorELNS0_4arch9wavefront6targetE1EEEvT1_.has_indirect_call, 0
	.section	.AMDGPU.csdata,"",@progbits
; Kernel info:
; codeLenInByte = 0
; TotalNumSgprs: 4
; NumVgprs: 0
; ScratchSize: 0
; MemoryBound: 0
; FloatMode: 240
; IeeeMode: 1
; LDSByteSize: 0 bytes/workgroup (compile time only)
; SGPRBlocks: 0
; VGPRBlocks: 0
; NumSGPRsForWavesPerEU: 4
; NumVGPRsForWavesPerEU: 1
; Occupancy: 10
; WaveLimiterHint : 0
; COMPUTE_PGM_RSRC2:SCRATCH_EN: 0
; COMPUTE_PGM_RSRC2:USER_SGPR: 6
; COMPUTE_PGM_RSRC2:TRAP_HANDLER: 0
; COMPUTE_PGM_RSRC2:TGID_X_EN: 1
; COMPUTE_PGM_RSRC2:TGID_Y_EN: 0
; COMPUTE_PGM_RSRC2:TGID_Z_EN: 0
; COMPUTE_PGM_RSRC2:TIDIG_COMP_CNT: 0
	.section	.text._ZN7rocprim17ROCPRIM_400000_NS6detail17trampoline_kernelINS0_14default_configENS1_25partition_config_selectorILNS1_17partition_subalgoE8EiNS0_10empty_typeEbEEZZNS1_14partition_implILS5_8ELb0ES3_jN6thrust23THRUST_200600_302600_NS6detail15normal_iteratorINSA_10device_ptrIiEEEEPS6_PKS6_NS0_5tupleIJNSA_16discard_iteratorINSA_11use_defaultEEES6_EEENSJ_IJSG_SG_EEENS0_18inequality_wrapperINSA_8equal_toIiEEEEPmJS6_EEE10hipError_tPvRmT3_T4_T5_T6_T7_T9_mT8_P12ihipStream_tbDpT10_ENKUlT_T0_E_clISt17integral_constantIbLb0EES1D_EEDaS18_S19_EUlS18_E_NS1_11comp_targetILNS1_3genE5ELNS1_11target_archE942ELNS1_3gpuE9ELNS1_3repE0EEENS1_30default_config_static_selectorELNS0_4arch9wavefront6targetE1EEEvT1_,"axG",@progbits,_ZN7rocprim17ROCPRIM_400000_NS6detail17trampoline_kernelINS0_14default_configENS1_25partition_config_selectorILNS1_17partition_subalgoE8EiNS0_10empty_typeEbEEZZNS1_14partition_implILS5_8ELb0ES3_jN6thrust23THRUST_200600_302600_NS6detail15normal_iteratorINSA_10device_ptrIiEEEEPS6_PKS6_NS0_5tupleIJNSA_16discard_iteratorINSA_11use_defaultEEES6_EEENSJ_IJSG_SG_EEENS0_18inequality_wrapperINSA_8equal_toIiEEEEPmJS6_EEE10hipError_tPvRmT3_T4_T5_T6_T7_T9_mT8_P12ihipStream_tbDpT10_ENKUlT_T0_E_clISt17integral_constantIbLb0EES1D_EEDaS18_S19_EUlS18_E_NS1_11comp_targetILNS1_3genE5ELNS1_11target_archE942ELNS1_3gpuE9ELNS1_3repE0EEENS1_30default_config_static_selectorELNS0_4arch9wavefront6targetE1EEEvT1_,comdat
	.protected	_ZN7rocprim17ROCPRIM_400000_NS6detail17trampoline_kernelINS0_14default_configENS1_25partition_config_selectorILNS1_17partition_subalgoE8EiNS0_10empty_typeEbEEZZNS1_14partition_implILS5_8ELb0ES3_jN6thrust23THRUST_200600_302600_NS6detail15normal_iteratorINSA_10device_ptrIiEEEEPS6_PKS6_NS0_5tupleIJNSA_16discard_iteratorINSA_11use_defaultEEES6_EEENSJ_IJSG_SG_EEENS0_18inequality_wrapperINSA_8equal_toIiEEEEPmJS6_EEE10hipError_tPvRmT3_T4_T5_T6_T7_T9_mT8_P12ihipStream_tbDpT10_ENKUlT_T0_E_clISt17integral_constantIbLb0EES1D_EEDaS18_S19_EUlS18_E_NS1_11comp_targetILNS1_3genE5ELNS1_11target_archE942ELNS1_3gpuE9ELNS1_3repE0EEENS1_30default_config_static_selectorELNS0_4arch9wavefront6targetE1EEEvT1_ ; -- Begin function _ZN7rocprim17ROCPRIM_400000_NS6detail17trampoline_kernelINS0_14default_configENS1_25partition_config_selectorILNS1_17partition_subalgoE8EiNS0_10empty_typeEbEEZZNS1_14partition_implILS5_8ELb0ES3_jN6thrust23THRUST_200600_302600_NS6detail15normal_iteratorINSA_10device_ptrIiEEEEPS6_PKS6_NS0_5tupleIJNSA_16discard_iteratorINSA_11use_defaultEEES6_EEENSJ_IJSG_SG_EEENS0_18inequality_wrapperINSA_8equal_toIiEEEEPmJS6_EEE10hipError_tPvRmT3_T4_T5_T6_T7_T9_mT8_P12ihipStream_tbDpT10_ENKUlT_T0_E_clISt17integral_constantIbLb0EES1D_EEDaS18_S19_EUlS18_E_NS1_11comp_targetILNS1_3genE5ELNS1_11target_archE942ELNS1_3gpuE9ELNS1_3repE0EEENS1_30default_config_static_selectorELNS0_4arch9wavefront6targetE1EEEvT1_
	.globl	_ZN7rocprim17ROCPRIM_400000_NS6detail17trampoline_kernelINS0_14default_configENS1_25partition_config_selectorILNS1_17partition_subalgoE8EiNS0_10empty_typeEbEEZZNS1_14partition_implILS5_8ELb0ES3_jN6thrust23THRUST_200600_302600_NS6detail15normal_iteratorINSA_10device_ptrIiEEEEPS6_PKS6_NS0_5tupleIJNSA_16discard_iteratorINSA_11use_defaultEEES6_EEENSJ_IJSG_SG_EEENS0_18inequality_wrapperINSA_8equal_toIiEEEEPmJS6_EEE10hipError_tPvRmT3_T4_T5_T6_T7_T9_mT8_P12ihipStream_tbDpT10_ENKUlT_T0_E_clISt17integral_constantIbLb0EES1D_EEDaS18_S19_EUlS18_E_NS1_11comp_targetILNS1_3genE5ELNS1_11target_archE942ELNS1_3gpuE9ELNS1_3repE0EEENS1_30default_config_static_selectorELNS0_4arch9wavefront6targetE1EEEvT1_
	.p2align	8
	.type	_ZN7rocprim17ROCPRIM_400000_NS6detail17trampoline_kernelINS0_14default_configENS1_25partition_config_selectorILNS1_17partition_subalgoE8EiNS0_10empty_typeEbEEZZNS1_14partition_implILS5_8ELb0ES3_jN6thrust23THRUST_200600_302600_NS6detail15normal_iteratorINSA_10device_ptrIiEEEEPS6_PKS6_NS0_5tupleIJNSA_16discard_iteratorINSA_11use_defaultEEES6_EEENSJ_IJSG_SG_EEENS0_18inequality_wrapperINSA_8equal_toIiEEEEPmJS6_EEE10hipError_tPvRmT3_T4_T5_T6_T7_T9_mT8_P12ihipStream_tbDpT10_ENKUlT_T0_E_clISt17integral_constantIbLb0EES1D_EEDaS18_S19_EUlS18_E_NS1_11comp_targetILNS1_3genE5ELNS1_11target_archE942ELNS1_3gpuE9ELNS1_3repE0EEENS1_30default_config_static_selectorELNS0_4arch9wavefront6targetE1EEEvT1_,@function
_ZN7rocprim17ROCPRIM_400000_NS6detail17trampoline_kernelINS0_14default_configENS1_25partition_config_selectorILNS1_17partition_subalgoE8EiNS0_10empty_typeEbEEZZNS1_14partition_implILS5_8ELb0ES3_jN6thrust23THRUST_200600_302600_NS6detail15normal_iteratorINSA_10device_ptrIiEEEEPS6_PKS6_NS0_5tupleIJNSA_16discard_iteratorINSA_11use_defaultEEES6_EEENSJ_IJSG_SG_EEENS0_18inequality_wrapperINSA_8equal_toIiEEEEPmJS6_EEE10hipError_tPvRmT3_T4_T5_T6_T7_T9_mT8_P12ihipStream_tbDpT10_ENKUlT_T0_E_clISt17integral_constantIbLb0EES1D_EEDaS18_S19_EUlS18_E_NS1_11comp_targetILNS1_3genE5ELNS1_11target_archE942ELNS1_3gpuE9ELNS1_3repE0EEENS1_30default_config_static_selectorELNS0_4arch9wavefront6targetE1EEEvT1_: ; @_ZN7rocprim17ROCPRIM_400000_NS6detail17trampoline_kernelINS0_14default_configENS1_25partition_config_selectorILNS1_17partition_subalgoE8EiNS0_10empty_typeEbEEZZNS1_14partition_implILS5_8ELb0ES3_jN6thrust23THRUST_200600_302600_NS6detail15normal_iteratorINSA_10device_ptrIiEEEEPS6_PKS6_NS0_5tupleIJNSA_16discard_iteratorINSA_11use_defaultEEES6_EEENSJ_IJSG_SG_EEENS0_18inequality_wrapperINSA_8equal_toIiEEEEPmJS6_EEE10hipError_tPvRmT3_T4_T5_T6_T7_T9_mT8_P12ihipStream_tbDpT10_ENKUlT_T0_E_clISt17integral_constantIbLb0EES1D_EEDaS18_S19_EUlS18_E_NS1_11comp_targetILNS1_3genE5ELNS1_11target_archE942ELNS1_3gpuE9ELNS1_3repE0EEENS1_30default_config_static_selectorELNS0_4arch9wavefront6targetE1EEEvT1_
; %bb.0:
	.section	.rodata,"a",@progbits
	.p2align	6, 0x0
	.amdhsa_kernel _ZN7rocprim17ROCPRIM_400000_NS6detail17trampoline_kernelINS0_14default_configENS1_25partition_config_selectorILNS1_17partition_subalgoE8EiNS0_10empty_typeEbEEZZNS1_14partition_implILS5_8ELb0ES3_jN6thrust23THRUST_200600_302600_NS6detail15normal_iteratorINSA_10device_ptrIiEEEEPS6_PKS6_NS0_5tupleIJNSA_16discard_iteratorINSA_11use_defaultEEES6_EEENSJ_IJSG_SG_EEENS0_18inequality_wrapperINSA_8equal_toIiEEEEPmJS6_EEE10hipError_tPvRmT3_T4_T5_T6_T7_T9_mT8_P12ihipStream_tbDpT10_ENKUlT_T0_E_clISt17integral_constantIbLb0EES1D_EEDaS18_S19_EUlS18_E_NS1_11comp_targetILNS1_3genE5ELNS1_11target_archE942ELNS1_3gpuE9ELNS1_3repE0EEENS1_30default_config_static_selectorELNS0_4arch9wavefront6targetE1EEEvT1_
		.amdhsa_group_segment_fixed_size 0
		.amdhsa_private_segment_fixed_size 0
		.amdhsa_kernarg_size 120
		.amdhsa_user_sgpr_count 6
		.amdhsa_user_sgpr_private_segment_buffer 1
		.amdhsa_user_sgpr_dispatch_ptr 0
		.amdhsa_user_sgpr_queue_ptr 0
		.amdhsa_user_sgpr_kernarg_segment_ptr 1
		.amdhsa_user_sgpr_dispatch_id 0
		.amdhsa_user_sgpr_flat_scratch_init 0
		.amdhsa_user_sgpr_private_segment_size 0
		.amdhsa_uses_dynamic_stack 0
		.amdhsa_system_sgpr_private_segment_wavefront_offset 0
		.amdhsa_system_sgpr_workgroup_id_x 1
		.amdhsa_system_sgpr_workgroup_id_y 0
		.amdhsa_system_sgpr_workgroup_id_z 0
		.amdhsa_system_sgpr_workgroup_info 0
		.amdhsa_system_vgpr_workitem_id 0
		.amdhsa_next_free_vgpr 1
		.amdhsa_next_free_sgpr 0
		.amdhsa_reserve_vcc 0
		.amdhsa_reserve_flat_scratch 0
		.amdhsa_float_round_mode_32 0
		.amdhsa_float_round_mode_16_64 0
		.amdhsa_float_denorm_mode_32 3
		.amdhsa_float_denorm_mode_16_64 3
		.amdhsa_dx10_clamp 1
		.amdhsa_ieee_mode 1
		.amdhsa_fp16_overflow 0
		.amdhsa_exception_fp_ieee_invalid_op 0
		.amdhsa_exception_fp_denorm_src 0
		.amdhsa_exception_fp_ieee_div_zero 0
		.amdhsa_exception_fp_ieee_overflow 0
		.amdhsa_exception_fp_ieee_underflow 0
		.amdhsa_exception_fp_ieee_inexact 0
		.amdhsa_exception_int_div_zero 0
	.end_amdhsa_kernel
	.section	.text._ZN7rocprim17ROCPRIM_400000_NS6detail17trampoline_kernelINS0_14default_configENS1_25partition_config_selectorILNS1_17partition_subalgoE8EiNS0_10empty_typeEbEEZZNS1_14partition_implILS5_8ELb0ES3_jN6thrust23THRUST_200600_302600_NS6detail15normal_iteratorINSA_10device_ptrIiEEEEPS6_PKS6_NS0_5tupleIJNSA_16discard_iteratorINSA_11use_defaultEEES6_EEENSJ_IJSG_SG_EEENS0_18inequality_wrapperINSA_8equal_toIiEEEEPmJS6_EEE10hipError_tPvRmT3_T4_T5_T6_T7_T9_mT8_P12ihipStream_tbDpT10_ENKUlT_T0_E_clISt17integral_constantIbLb0EES1D_EEDaS18_S19_EUlS18_E_NS1_11comp_targetILNS1_3genE5ELNS1_11target_archE942ELNS1_3gpuE9ELNS1_3repE0EEENS1_30default_config_static_selectorELNS0_4arch9wavefront6targetE1EEEvT1_,"axG",@progbits,_ZN7rocprim17ROCPRIM_400000_NS6detail17trampoline_kernelINS0_14default_configENS1_25partition_config_selectorILNS1_17partition_subalgoE8EiNS0_10empty_typeEbEEZZNS1_14partition_implILS5_8ELb0ES3_jN6thrust23THRUST_200600_302600_NS6detail15normal_iteratorINSA_10device_ptrIiEEEEPS6_PKS6_NS0_5tupleIJNSA_16discard_iteratorINSA_11use_defaultEEES6_EEENSJ_IJSG_SG_EEENS0_18inequality_wrapperINSA_8equal_toIiEEEEPmJS6_EEE10hipError_tPvRmT3_T4_T5_T6_T7_T9_mT8_P12ihipStream_tbDpT10_ENKUlT_T0_E_clISt17integral_constantIbLb0EES1D_EEDaS18_S19_EUlS18_E_NS1_11comp_targetILNS1_3genE5ELNS1_11target_archE942ELNS1_3gpuE9ELNS1_3repE0EEENS1_30default_config_static_selectorELNS0_4arch9wavefront6targetE1EEEvT1_,comdat
.Lfunc_end662:
	.size	_ZN7rocprim17ROCPRIM_400000_NS6detail17trampoline_kernelINS0_14default_configENS1_25partition_config_selectorILNS1_17partition_subalgoE8EiNS0_10empty_typeEbEEZZNS1_14partition_implILS5_8ELb0ES3_jN6thrust23THRUST_200600_302600_NS6detail15normal_iteratorINSA_10device_ptrIiEEEEPS6_PKS6_NS0_5tupleIJNSA_16discard_iteratorINSA_11use_defaultEEES6_EEENSJ_IJSG_SG_EEENS0_18inequality_wrapperINSA_8equal_toIiEEEEPmJS6_EEE10hipError_tPvRmT3_T4_T5_T6_T7_T9_mT8_P12ihipStream_tbDpT10_ENKUlT_T0_E_clISt17integral_constantIbLb0EES1D_EEDaS18_S19_EUlS18_E_NS1_11comp_targetILNS1_3genE5ELNS1_11target_archE942ELNS1_3gpuE9ELNS1_3repE0EEENS1_30default_config_static_selectorELNS0_4arch9wavefront6targetE1EEEvT1_, .Lfunc_end662-_ZN7rocprim17ROCPRIM_400000_NS6detail17trampoline_kernelINS0_14default_configENS1_25partition_config_selectorILNS1_17partition_subalgoE8EiNS0_10empty_typeEbEEZZNS1_14partition_implILS5_8ELb0ES3_jN6thrust23THRUST_200600_302600_NS6detail15normal_iteratorINSA_10device_ptrIiEEEEPS6_PKS6_NS0_5tupleIJNSA_16discard_iteratorINSA_11use_defaultEEES6_EEENSJ_IJSG_SG_EEENS0_18inequality_wrapperINSA_8equal_toIiEEEEPmJS6_EEE10hipError_tPvRmT3_T4_T5_T6_T7_T9_mT8_P12ihipStream_tbDpT10_ENKUlT_T0_E_clISt17integral_constantIbLb0EES1D_EEDaS18_S19_EUlS18_E_NS1_11comp_targetILNS1_3genE5ELNS1_11target_archE942ELNS1_3gpuE9ELNS1_3repE0EEENS1_30default_config_static_selectorELNS0_4arch9wavefront6targetE1EEEvT1_
                                        ; -- End function
	.set _ZN7rocprim17ROCPRIM_400000_NS6detail17trampoline_kernelINS0_14default_configENS1_25partition_config_selectorILNS1_17partition_subalgoE8EiNS0_10empty_typeEbEEZZNS1_14partition_implILS5_8ELb0ES3_jN6thrust23THRUST_200600_302600_NS6detail15normal_iteratorINSA_10device_ptrIiEEEEPS6_PKS6_NS0_5tupleIJNSA_16discard_iteratorINSA_11use_defaultEEES6_EEENSJ_IJSG_SG_EEENS0_18inequality_wrapperINSA_8equal_toIiEEEEPmJS6_EEE10hipError_tPvRmT3_T4_T5_T6_T7_T9_mT8_P12ihipStream_tbDpT10_ENKUlT_T0_E_clISt17integral_constantIbLb0EES1D_EEDaS18_S19_EUlS18_E_NS1_11comp_targetILNS1_3genE5ELNS1_11target_archE942ELNS1_3gpuE9ELNS1_3repE0EEENS1_30default_config_static_selectorELNS0_4arch9wavefront6targetE1EEEvT1_.num_vgpr, 0
	.set _ZN7rocprim17ROCPRIM_400000_NS6detail17trampoline_kernelINS0_14default_configENS1_25partition_config_selectorILNS1_17partition_subalgoE8EiNS0_10empty_typeEbEEZZNS1_14partition_implILS5_8ELb0ES3_jN6thrust23THRUST_200600_302600_NS6detail15normal_iteratorINSA_10device_ptrIiEEEEPS6_PKS6_NS0_5tupleIJNSA_16discard_iteratorINSA_11use_defaultEEES6_EEENSJ_IJSG_SG_EEENS0_18inequality_wrapperINSA_8equal_toIiEEEEPmJS6_EEE10hipError_tPvRmT3_T4_T5_T6_T7_T9_mT8_P12ihipStream_tbDpT10_ENKUlT_T0_E_clISt17integral_constantIbLb0EES1D_EEDaS18_S19_EUlS18_E_NS1_11comp_targetILNS1_3genE5ELNS1_11target_archE942ELNS1_3gpuE9ELNS1_3repE0EEENS1_30default_config_static_selectorELNS0_4arch9wavefront6targetE1EEEvT1_.num_agpr, 0
	.set _ZN7rocprim17ROCPRIM_400000_NS6detail17trampoline_kernelINS0_14default_configENS1_25partition_config_selectorILNS1_17partition_subalgoE8EiNS0_10empty_typeEbEEZZNS1_14partition_implILS5_8ELb0ES3_jN6thrust23THRUST_200600_302600_NS6detail15normal_iteratorINSA_10device_ptrIiEEEEPS6_PKS6_NS0_5tupleIJNSA_16discard_iteratorINSA_11use_defaultEEES6_EEENSJ_IJSG_SG_EEENS0_18inequality_wrapperINSA_8equal_toIiEEEEPmJS6_EEE10hipError_tPvRmT3_T4_T5_T6_T7_T9_mT8_P12ihipStream_tbDpT10_ENKUlT_T0_E_clISt17integral_constantIbLb0EES1D_EEDaS18_S19_EUlS18_E_NS1_11comp_targetILNS1_3genE5ELNS1_11target_archE942ELNS1_3gpuE9ELNS1_3repE0EEENS1_30default_config_static_selectorELNS0_4arch9wavefront6targetE1EEEvT1_.numbered_sgpr, 0
	.set _ZN7rocprim17ROCPRIM_400000_NS6detail17trampoline_kernelINS0_14default_configENS1_25partition_config_selectorILNS1_17partition_subalgoE8EiNS0_10empty_typeEbEEZZNS1_14partition_implILS5_8ELb0ES3_jN6thrust23THRUST_200600_302600_NS6detail15normal_iteratorINSA_10device_ptrIiEEEEPS6_PKS6_NS0_5tupleIJNSA_16discard_iteratorINSA_11use_defaultEEES6_EEENSJ_IJSG_SG_EEENS0_18inequality_wrapperINSA_8equal_toIiEEEEPmJS6_EEE10hipError_tPvRmT3_T4_T5_T6_T7_T9_mT8_P12ihipStream_tbDpT10_ENKUlT_T0_E_clISt17integral_constantIbLb0EES1D_EEDaS18_S19_EUlS18_E_NS1_11comp_targetILNS1_3genE5ELNS1_11target_archE942ELNS1_3gpuE9ELNS1_3repE0EEENS1_30default_config_static_selectorELNS0_4arch9wavefront6targetE1EEEvT1_.num_named_barrier, 0
	.set _ZN7rocprim17ROCPRIM_400000_NS6detail17trampoline_kernelINS0_14default_configENS1_25partition_config_selectorILNS1_17partition_subalgoE8EiNS0_10empty_typeEbEEZZNS1_14partition_implILS5_8ELb0ES3_jN6thrust23THRUST_200600_302600_NS6detail15normal_iteratorINSA_10device_ptrIiEEEEPS6_PKS6_NS0_5tupleIJNSA_16discard_iteratorINSA_11use_defaultEEES6_EEENSJ_IJSG_SG_EEENS0_18inequality_wrapperINSA_8equal_toIiEEEEPmJS6_EEE10hipError_tPvRmT3_T4_T5_T6_T7_T9_mT8_P12ihipStream_tbDpT10_ENKUlT_T0_E_clISt17integral_constantIbLb0EES1D_EEDaS18_S19_EUlS18_E_NS1_11comp_targetILNS1_3genE5ELNS1_11target_archE942ELNS1_3gpuE9ELNS1_3repE0EEENS1_30default_config_static_selectorELNS0_4arch9wavefront6targetE1EEEvT1_.private_seg_size, 0
	.set _ZN7rocprim17ROCPRIM_400000_NS6detail17trampoline_kernelINS0_14default_configENS1_25partition_config_selectorILNS1_17partition_subalgoE8EiNS0_10empty_typeEbEEZZNS1_14partition_implILS5_8ELb0ES3_jN6thrust23THRUST_200600_302600_NS6detail15normal_iteratorINSA_10device_ptrIiEEEEPS6_PKS6_NS0_5tupleIJNSA_16discard_iteratorINSA_11use_defaultEEES6_EEENSJ_IJSG_SG_EEENS0_18inequality_wrapperINSA_8equal_toIiEEEEPmJS6_EEE10hipError_tPvRmT3_T4_T5_T6_T7_T9_mT8_P12ihipStream_tbDpT10_ENKUlT_T0_E_clISt17integral_constantIbLb0EES1D_EEDaS18_S19_EUlS18_E_NS1_11comp_targetILNS1_3genE5ELNS1_11target_archE942ELNS1_3gpuE9ELNS1_3repE0EEENS1_30default_config_static_selectorELNS0_4arch9wavefront6targetE1EEEvT1_.uses_vcc, 0
	.set _ZN7rocprim17ROCPRIM_400000_NS6detail17trampoline_kernelINS0_14default_configENS1_25partition_config_selectorILNS1_17partition_subalgoE8EiNS0_10empty_typeEbEEZZNS1_14partition_implILS5_8ELb0ES3_jN6thrust23THRUST_200600_302600_NS6detail15normal_iteratorINSA_10device_ptrIiEEEEPS6_PKS6_NS0_5tupleIJNSA_16discard_iteratorINSA_11use_defaultEEES6_EEENSJ_IJSG_SG_EEENS0_18inequality_wrapperINSA_8equal_toIiEEEEPmJS6_EEE10hipError_tPvRmT3_T4_T5_T6_T7_T9_mT8_P12ihipStream_tbDpT10_ENKUlT_T0_E_clISt17integral_constantIbLb0EES1D_EEDaS18_S19_EUlS18_E_NS1_11comp_targetILNS1_3genE5ELNS1_11target_archE942ELNS1_3gpuE9ELNS1_3repE0EEENS1_30default_config_static_selectorELNS0_4arch9wavefront6targetE1EEEvT1_.uses_flat_scratch, 0
	.set _ZN7rocprim17ROCPRIM_400000_NS6detail17trampoline_kernelINS0_14default_configENS1_25partition_config_selectorILNS1_17partition_subalgoE8EiNS0_10empty_typeEbEEZZNS1_14partition_implILS5_8ELb0ES3_jN6thrust23THRUST_200600_302600_NS6detail15normal_iteratorINSA_10device_ptrIiEEEEPS6_PKS6_NS0_5tupleIJNSA_16discard_iteratorINSA_11use_defaultEEES6_EEENSJ_IJSG_SG_EEENS0_18inequality_wrapperINSA_8equal_toIiEEEEPmJS6_EEE10hipError_tPvRmT3_T4_T5_T6_T7_T9_mT8_P12ihipStream_tbDpT10_ENKUlT_T0_E_clISt17integral_constantIbLb0EES1D_EEDaS18_S19_EUlS18_E_NS1_11comp_targetILNS1_3genE5ELNS1_11target_archE942ELNS1_3gpuE9ELNS1_3repE0EEENS1_30default_config_static_selectorELNS0_4arch9wavefront6targetE1EEEvT1_.has_dyn_sized_stack, 0
	.set _ZN7rocprim17ROCPRIM_400000_NS6detail17trampoline_kernelINS0_14default_configENS1_25partition_config_selectorILNS1_17partition_subalgoE8EiNS0_10empty_typeEbEEZZNS1_14partition_implILS5_8ELb0ES3_jN6thrust23THRUST_200600_302600_NS6detail15normal_iteratorINSA_10device_ptrIiEEEEPS6_PKS6_NS0_5tupleIJNSA_16discard_iteratorINSA_11use_defaultEEES6_EEENSJ_IJSG_SG_EEENS0_18inequality_wrapperINSA_8equal_toIiEEEEPmJS6_EEE10hipError_tPvRmT3_T4_T5_T6_T7_T9_mT8_P12ihipStream_tbDpT10_ENKUlT_T0_E_clISt17integral_constantIbLb0EES1D_EEDaS18_S19_EUlS18_E_NS1_11comp_targetILNS1_3genE5ELNS1_11target_archE942ELNS1_3gpuE9ELNS1_3repE0EEENS1_30default_config_static_selectorELNS0_4arch9wavefront6targetE1EEEvT1_.has_recursion, 0
	.set _ZN7rocprim17ROCPRIM_400000_NS6detail17trampoline_kernelINS0_14default_configENS1_25partition_config_selectorILNS1_17partition_subalgoE8EiNS0_10empty_typeEbEEZZNS1_14partition_implILS5_8ELb0ES3_jN6thrust23THRUST_200600_302600_NS6detail15normal_iteratorINSA_10device_ptrIiEEEEPS6_PKS6_NS0_5tupleIJNSA_16discard_iteratorINSA_11use_defaultEEES6_EEENSJ_IJSG_SG_EEENS0_18inequality_wrapperINSA_8equal_toIiEEEEPmJS6_EEE10hipError_tPvRmT3_T4_T5_T6_T7_T9_mT8_P12ihipStream_tbDpT10_ENKUlT_T0_E_clISt17integral_constantIbLb0EES1D_EEDaS18_S19_EUlS18_E_NS1_11comp_targetILNS1_3genE5ELNS1_11target_archE942ELNS1_3gpuE9ELNS1_3repE0EEENS1_30default_config_static_selectorELNS0_4arch9wavefront6targetE1EEEvT1_.has_indirect_call, 0
	.section	.AMDGPU.csdata,"",@progbits
; Kernel info:
; codeLenInByte = 0
; TotalNumSgprs: 4
; NumVgprs: 0
; ScratchSize: 0
; MemoryBound: 0
; FloatMode: 240
; IeeeMode: 1
; LDSByteSize: 0 bytes/workgroup (compile time only)
; SGPRBlocks: 0
; VGPRBlocks: 0
; NumSGPRsForWavesPerEU: 4
; NumVGPRsForWavesPerEU: 1
; Occupancy: 10
; WaveLimiterHint : 0
; COMPUTE_PGM_RSRC2:SCRATCH_EN: 0
; COMPUTE_PGM_RSRC2:USER_SGPR: 6
; COMPUTE_PGM_RSRC2:TRAP_HANDLER: 0
; COMPUTE_PGM_RSRC2:TGID_X_EN: 1
; COMPUTE_PGM_RSRC2:TGID_Y_EN: 0
; COMPUTE_PGM_RSRC2:TGID_Z_EN: 0
; COMPUTE_PGM_RSRC2:TIDIG_COMP_CNT: 0
	.section	.text._ZN7rocprim17ROCPRIM_400000_NS6detail17trampoline_kernelINS0_14default_configENS1_25partition_config_selectorILNS1_17partition_subalgoE8EiNS0_10empty_typeEbEEZZNS1_14partition_implILS5_8ELb0ES3_jN6thrust23THRUST_200600_302600_NS6detail15normal_iteratorINSA_10device_ptrIiEEEEPS6_PKS6_NS0_5tupleIJNSA_16discard_iteratorINSA_11use_defaultEEES6_EEENSJ_IJSG_SG_EEENS0_18inequality_wrapperINSA_8equal_toIiEEEEPmJS6_EEE10hipError_tPvRmT3_T4_T5_T6_T7_T9_mT8_P12ihipStream_tbDpT10_ENKUlT_T0_E_clISt17integral_constantIbLb0EES1D_EEDaS18_S19_EUlS18_E_NS1_11comp_targetILNS1_3genE4ELNS1_11target_archE910ELNS1_3gpuE8ELNS1_3repE0EEENS1_30default_config_static_selectorELNS0_4arch9wavefront6targetE1EEEvT1_,"axG",@progbits,_ZN7rocprim17ROCPRIM_400000_NS6detail17trampoline_kernelINS0_14default_configENS1_25partition_config_selectorILNS1_17partition_subalgoE8EiNS0_10empty_typeEbEEZZNS1_14partition_implILS5_8ELb0ES3_jN6thrust23THRUST_200600_302600_NS6detail15normal_iteratorINSA_10device_ptrIiEEEEPS6_PKS6_NS0_5tupleIJNSA_16discard_iteratorINSA_11use_defaultEEES6_EEENSJ_IJSG_SG_EEENS0_18inequality_wrapperINSA_8equal_toIiEEEEPmJS6_EEE10hipError_tPvRmT3_T4_T5_T6_T7_T9_mT8_P12ihipStream_tbDpT10_ENKUlT_T0_E_clISt17integral_constantIbLb0EES1D_EEDaS18_S19_EUlS18_E_NS1_11comp_targetILNS1_3genE4ELNS1_11target_archE910ELNS1_3gpuE8ELNS1_3repE0EEENS1_30default_config_static_selectorELNS0_4arch9wavefront6targetE1EEEvT1_,comdat
	.protected	_ZN7rocprim17ROCPRIM_400000_NS6detail17trampoline_kernelINS0_14default_configENS1_25partition_config_selectorILNS1_17partition_subalgoE8EiNS0_10empty_typeEbEEZZNS1_14partition_implILS5_8ELb0ES3_jN6thrust23THRUST_200600_302600_NS6detail15normal_iteratorINSA_10device_ptrIiEEEEPS6_PKS6_NS0_5tupleIJNSA_16discard_iteratorINSA_11use_defaultEEES6_EEENSJ_IJSG_SG_EEENS0_18inequality_wrapperINSA_8equal_toIiEEEEPmJS6_EEE10hipError_tPvRmT3_T4_T5_T6_T7_T9_mT8_P12ihipStream_tbDpT10_ENKUlT_T0_E_clISt17integral_constantIbLb0EES1D_EEDaS18_S19_EUlS18_E_NS1_11comp_targetILNS1_3genE4ELNS1_11target_archE910ELNS1_3gpuE8ELNS1_3repE0EEENS1_30default_config_static_selectorELNS0_4arch9wavefront6targetE1EEEvT1_ ; -- Begin function _ZN7rocprim17ROCPRIM_400000_NS6detail17trampoline_kernelINS0_14default_configENS1_25partition_config_selectorILNS1_17partition_subalgoE8EiNS0_10empty_typeEbEEZZNS1_14partition_implILS5_8ELb0ES3_jN6thrust23THRUST_200600_302600_NS6detail15normal_iteratorINSA_10device_ptrIiEEEEPS6_PKS6_NS0_5tupleIJNSA_16discard_iteratorINSA_11use_defaultEEES6_EEENSJ_IJSG_SG_EEENS0_18inequality_wrapperINSA_8equal_toIiEEEEPmJS6_EEE10hipError_tPvRmT3_T4_T5_T6_T7_T9_mT8_P12ihipStream_tbDpT10_ENKUlT_T0_E_clISt17integral_constantIbLb0EES1D_EEDaS18_S19_EUlS18_E_NS1_11comp_targetILNS1_3genE4ELNS1_11target_archE910ELNS1_3gpuE8ELNS1_3repE0EEENS1_30default_config_static_selectorELNS0_4arch9wavefront6targetE1EEEvT1_
	.globl	_ZN7rocprim17ROCPRIM_400000_NS6detail17trampoline_kernelINS0_14default_configENS1_25partition_config_selectorILNS1_17partition_subalgoE8EiNS0_10empty_typeEbEEZZNS1_14partition_implILS5_8ELb0ES3_jN6thrust23THRUST_200600_302600_NS6detail15normal_iteratorINSA_10device_ptrIiEEEEPS6_PKS6_NS0_5tupleIJNSA_16discard_iteratorINSA_11use_defaultEEES6_EEENSJ_IJSG_SG_EEENS0_18inequality_wrapperINSA_8equal_toIiEEEEPmJS6_EEE10hipError_tPvRmT3_T4_T5_T6_T7_T9_mT8_P12ihipStream_tbDpT10_ENKUlT_T0_E_clISt17integral_constantIbLb0EES1D_EEDaS18_S19_EUlS18_E_NS1_11comp_targetILNS1_3genE4ELNS1_11target_archE910ELNS1_3gpuE8ELNS1_3repE0EEENS1_30default_config_static_selectorELNS0_4arch9wavefront6targetE1EEEvT1_
	.p2align	8
	.type	_ZN7rocprim17ROCPRIM_400000_NS6detail17trampoline_kernelINS0_14default_configENS1_25partition_config_selectorILNS1_17partition_subalgoE8EiNS0_10empty_typeEbEEZZNS1_14partition_implILS5_8ELb0ES3_jN6thrust23THRUST_200600_302600_NS6detail15normal_iteratorINSA_10device_ptrIiEEEEPS6_PKS6_NS0_5tupleIJNSA_16discard_iteratorINSA_11use_defaultEEES6_EEENSJ_IJSG_SG_EEENS0_18inequality_wrapperINSA_8equal_toIiEEEEPmJS6_EEE10hipError_tPvRmT3_T4_T5_T6_T7_T9_mT8_P12ihipStream_tbDpT10_ENKUlT_T0_E_clISt17integral_constantIbLb0EES1D_EEDaS18_S19_EUlS18_E_NS1_11comp_targetILNS1_3genE4ELNS1_11target_archE910ELNS1_3gpuE8ELNS1_3repE0EEENS1_30default_config_static_selectorELNS0_4arch9wavefront6targetE1EEEvT1_,@function
_ZN7rocprim17ROCPRIM_400000_NS6detail17trampoline_kernelINS0_14default_configENS1_25partition_config_selectorILNS1_17partition_subalgoE8EiNS0_10empty_typeEbEEZZNS1_14partition_implILS5_8ELb0ES3_jN6thrust23THRUST_200600_302600_NS6detail15normal_iteratorINSA_10device_ptrIiEEEEPS6_PKS6_NS0_5tupleIJNSA_16discard_iteratorINSA_11use_defaultEEES6_EEENSJ_IJSG_SG_EEENS0_18inequality_wrapperINSA_8equal_toIiEEEEPmJS6_EEE10hipError_tPvRmT3_T4_T5_T6_T7_T9_mT8_P12ihipStream_tbDpT10_ENKUlT_T0_E_clISt17integral_constantIbLb0EES1D_EEDaS18_S19_EUlS18_E_NS1_11comp_targetILNS1_3genE4ELNS1_11target_archE910ELNS1_3gpuE8ELNS1_3repE0EEENS1_30default_config_static_selectorELNS0_4arch9wavefront6targetE1EEEvT1_: ; @_ZN7rocprim17ROCPRIM_400000_NS6detail17trampoline_kernelINS0_14default_configENS1_25partition_config_selectorILNS1_17partition_subalgoE8EiNS0_10empty_typeEbEEZZNS1_14partition_implILS5_8ELb0ES3_jN6thrust23THRUST_200600_302600_NS6detail15normal_iteratorINSA_10device_ptrIiEEEEPS6_PKS6_NS0_5tupleIJNSA_16discard_iteratorINSA_11use_defaultEEES6_EEENSJ_IJSG_SG_EEENS0_18inequality_wrapperINSA_8equal_toIiEEEEPmJS6_EEE10hipError_tPvRmT3_T4_T5_T6_T7_T9_mT8_P12ihipStream_tbDpT10_ENKUlT_T0_E_clISt17integral_constantIbLb0EES1D_EEDaS18_S19_EUlS18_E_NS1_11comp_targetILNS1_3genE4ELNS1_11target_archE910ELNS1_3gpuE8ELNS1_3repE0EEENS1_30default_config_static_selectorELNS0_4arch9wavefront6targetE1EEEvT1_
; %bb.0:
	.section	.rodata,"a",@progbits
	.p2align	6, 0x0
	.amdhsa_kernel _ZN7rocprim17ROCPRIM_400000_NS6detail17trampoline_kernelINS0_14default_configENS1_25partition_config_selectorILNS1_17partition_subalgoE8EiNS0_10empty_typeEbEEZZNS1_14partition_implILS5_8ELb0ES3_jN6thrust23THRUST_200600_302600_NS6detail15normal_iteratorINSA_10device_ptrIiEEEEPS6_PKS6_NS0_5tupleIJNSA_16discard_iteratorINSA_11use_defaultEEES6_EEENSJ_IJSG_SG_EEENS0_18inequality_wrapperINSA_8equal_toIiEEEEPmJS6_EEE10hipError_tPvRmT3_T4_T5_T6_T7_T9_mT8_P12ihipStream_tbDpT10_ENKUlT_T0_E_clISt17integral_constantIbLb0EES1D_EEDaS18_S19_EUlS18_E_NS1_11comp_targetILNS1_3genE4ELNS1_11target_archE910ELNS1_3gpuE8ELNS1_3repE0EEENS1_30default_config_static_selectorELNS0_4arch9wavefront6targetE1EEEvT1_
		.amdhsa_group_segment_fixed_size 0
		.amdhsa_private_segment_fixed_size 0
		.amdhsa_kernarg_size 120
		.amdhsa_user_sgpr_count 6
		.amdhsa_user_sgpr_private_segment_buffer 1
		.amdhsa_user_sgpr_dispatch_ptr 0
		.amdhsa_user_sgpr_queue_ptr 0
		.amdhsa_user_sgpr_kernarg_segment_ptr 1
		.amdhsa_user_sgpr_dispatch_id 0
		.amdhsa_user_sgpr_flat_scratch_init 0
		.amdhsa_user_sgpr_private_segment_size 0
		.amdhsa_uses_dynamic_stack 0
		.amdhsa_system_sgpr_private_segment_wavefront_offset 0
		.amdhsa_system_sgpr_workgroup_id_x 1
		.amdhsa_system_sgpr_workgroup_id_y 0
		.amdhsa_system_sgpr_workgroup_id_z 0
		.amdhsa_system_sgpr_workgroup_info 0
		.amdhsa_system_vgpr_workitem_id 0
		.amdhsa_next_free_vgpr 1
		.amdhsa_next_free_sgpr 0
		.amdhsa_reserve_vcc 0
		.amdhsa_reserve_flat_scratch 0
		.amdhsa_float_round_mode_32 0
		.amdhsa_float_round_mode_16_64 0
		.amdhsa_float_denorm_mode_32 3
		.amdhsa_float_denorm_mode_16_64 3
		.amdhsa_dx10_clamp 1
		.amdhsa_ieee_mode 1
		.amdhsa_fp16_overflow 0
		.amdhsa_exception_fp_ieee_invalid_op 0
		.amdhsa_exception_fp_denorm_src 0
		.amdhsa_exception_fp_ieee_div_zero 0
		.amdhsa_exception_fp_ieee_overflow 0
		.amdhsa_exception_fp_ieee_underflow 0
		.amdhsa_exception_fp_ieee_inexact 0
		.amdhsa_exception_int_div_zero 0
	.end_amdhsa_kernel
	.section	.text._ZN7rocprim17ROCPRIM_400000_NS6detail17trampoline_kernelINS0_14default_configENS1_25partition_config_selectorILNS1_17partition_subalgoE8EiNS0_10empty_typeEbEEZZNS1_14partition_implILS5_8ELb0ES3_jN6thrust23THRUST_200600_302600_NS6detail15normal_iteratorINSA_10device_ptrIiEEEEPS6_PKS6_NS0_5tupleIJNSA_16discard_iteratorINSA_11use_defaultEEES6_EEENSJ_IJSG_SG_EEENS0_18inequality_wrapperINSA_8equal_toIiEEEEPmJS6_EEE10hipError_tPvRmT3_T4_T5_T6_T7_T9_mT8_P12ihipStream_tbDpT10_ENKUlT_T0_E_clISt17integral_constantIbLb0EES1D_EEDaS18_S19_EUlS18_E_NS1_11comp_targetILNS1_3genE4ELNS1_11target_archE910ELNS1_3gpuE8ELNS1_3repE0EEENS1_30default_config_static_selectorELNS0_4arch9wavefront6targetE1EEEvT1_,"axG",@progbits,_ZN7rocprim17ROCPRIM_400000_NS6detail17trampoline_kernelINS0_14default_configENS1_25partition_config_selectorILNS1_17partition_subalgoE8EiNS0_10empty_typeEbEEZZNS1_14partition_implILS5_8ELb0ES3_jN6thrust23THRUST_200600_302600_NS6detail15normal_iteratorINSA_10device_ptrIiEEEEPS6_PKS6_NS0_5tupleIJNSA_16discard_iteratorINSA_11use_defaultEEES6_EEENSJ_IJSG_SG_EEENS0_18inequality_wrapperINSA_8equal_toIiEEEEPmJS6_EEE10hipError_tPvRmT3_T4_T5_T6_T7_T9_mT8_P12ihipStream_tbDpT10_ENKUlT_T0_E_clISt17integral_constantIbLb0EES1D_EEDaS18_S19_EUlS18_E_NS1_11comp_targetILNS1_3genE4ELNS1_11target_archE910ELNS1_3gpuE8ELNS1_3repE0EEENS1_30default_config_static_selectorELNS0_4arch9wavefront6targetE1EEEvT1_,comdat
.Lfunc_end663:
	.size	_ZN7rocprim17ROCPRIM_400000_NS6detail17trampoline_kernelINS0_14default_configENS1_25partition_config_selectorILNS1_17partition_subalgoE8EiNS0_10empty_typeEbEEZZNS1_14partition_implILS5_8ELb0ES3_jN6thrust23THRUST_200600_302600_NS6detail15normal_iteratorINSA_10device_ptrIiEEEEPS6_PKS6_NS0_5tupleIJNSA_16discard_iteratorINSA_11use_defaultEEES6_EEENSJ_IJSG_SG_EEENS0_18inequality_wrapperINSA_8equal_toIiEEEEPmJS6_EEE10hipError_tPvRmT3_T4_T5_T6_T7_T9_mT8_P12ihipStream_tbDpT10_ENKUlT_T0_E_clISt17integral_constantIbLb0EES1D_EEDaS18_S19_EUlS18_E_NS1_11comp_targetILNS1_3genE4ELNS1_11target_archE910ELNS1_3gpuE8ELNS1_3repE0EEENS1_30default_config_static_selectorELNS0_4arch9wavefront6targetE1EEEvT1_, .Lfunc_end663-_ZN7rocprim17ROCPRIM_400000_NS6detail17trampoline_kernelINS0_14default_configENS1_25partition_config_selectorILNS1_17partition_subalgoE8EiNS0_10empty_typeEbEEZZNS1_14partition_implILS5_8ELb0ES3_jN6thrust23THRUST_200600_302600_NS6detail15normal_iteratorINSA_10device_ptrIiEEEEPS6_PKS6_NS0_5tupleIJNSA_16discard_iteratorINSA_11use_defaultEEES6_EEENSJ_IJSG_SG_EEENS0_18inequality_wrapperINSA_8equal_toIiEEEEPmJS6_EEE10hipError_tPvRmT3_T4_T5_T6_T7_T9_mT8_P12ihipStream_tbDpT10_ENKUlT_T0_E_clISt17integral_constantIbLb0EES1D_EEDaS18_S19_EUlS18_E_NS1_11comp_targetILNS1_3genE4ELNS1_11target_archE910ELNS1_3gpuE8ELNS1_3repE0EEENS1_30default_config_static_selectorELNS0_4arch9wavefront6targetE1EEEvT1_
                                        ; -- End function
	.set _ZN7rocprim17ROCPRIM_400000_NS6detail17trampoline_kernelINS0_14default_configENS1_25partition_config_selectorILNS1_17partition_subalgoE8EiNS0_10empty_typeEbEEZZNS1_14partition_implILS5_8ELb0ES3_jN6thrust23THRUST_200600_302600_NS6detail15normal_iteratorINSA_10device_ptrIiEEEEPS6_PKS6_NS0_5tupleIJNSA_16discard_iteratorINSA_11use_defaultEEES6_EEENSJ_IJSG_SG_EEENS0_18inequality_wrapperINSA_8equal_toIiEEEEPmJS6_EEE10hipError_tPvRmT3_T4_T5_T6_T7_T9_mT8_P12ihipStream_tbDpT10_ENKUlT_T0_E_clISt17integral_constantIbLb0EES1D_EEDaS18_S19_EUlS18_E_NS1_11comp_targetILNS1_3genE4ELNS1_11target_archE910ELNS1_3gpuE8ELNS1_3repE0EEENS1_30default_config_static_selectorELNS0_4arch9wavefront6targetE1EEEvT1_.num_vgpr, 0
	.set _ZN7rocprim17ROCPRIM_400000_NS6detail17trampoline_kernelINS0_14default_configENS1_25partition_config_selectorILNS1_17partition_subalgoE8EiNS0_10empty_typeEbEEZZNS1_14partition_implILS5_8ELb0ES3_jN6thrust23THRUST_200600_302600_NS6detail15normal_iteratorINSA_10device_ptrIiEEEEPS6_PKS6_NS0_5tupleIJNSA_16discard_iteratorINSA_11use_defaultEEES6_EEENSJ_IJSG_SG_EEENS0_18inequality_wrapperINSA_8equal_toIiEEEEPmJS6_EEE10hipError_tPvRmT3_T4_T5_T6_T7_T9_mT8_P12ihipStream_tbDpT10_ENKUlT_T0_E_clISt17integral_constantIbLb0EES1D_EEDaS18_S19_EUlS18_E_NS1_11comp_targetILNS1_3genE4ELNS1_11target_archE910ELNS1_3gpuE8ELNS1_3repE0EEENS1_30default_config_static_selectorELNS0_4arch9wavefront6targetE1EEEvT1_.num_agpr, 0
	.set _ZN7rocprim17ROCPRIM_400000_NS6detail17trampoline_kernelINS0_14default_configENS1_25partition_config_selectorILNS1_17partition_subalgoE8EiNS0_10empty_typeEbEEZZNS1_14partition_implILS5_8ELb0ES3_jN6thrust23THRUST_200600_302600_NS6detail15normal_iteratorINSA_10device_ptrIiEEEEPS6_PKS6_NS0_5tupleIJNSA_16discard_iteratorINSA_11use_defaultEEES6_EEENSJ_IJSG_SG_EEENS0_18inequality_wrapperINSA_8equal_toIiEEEEPmJS6_EEE10hipError_tPvRmT3_T4_T5_T6_T7_T9_mT8_P12ihipStream_tbDpT10_ENKUlT_T0_E_clISt17integral_constantIbLb0EES1D_EEDaS18_S19_EUlS18_E_NS1_11comp_targetILNS1_3genE4ELNS1_11target_archE910ELNS1_3gpuE8ELNS1_3repE0EEENS1_30default_config_static_selectorELNS0_4arch9wavefront6targetE1EEEvT1_.numbered_sgpr, 0
	.set _ZN7rocprim17ROCPRIM_400000_NS6detail17trampoline_kernelINS0_14default_configENS1_25partition_config_selectorILNS1_17partition_subalgoE8EiNS0_10empty_typeEbEEZZNS1_14partition_implILS5_8ELb0ES3_jN6thrust23THRUST_200600_302600_NS6detail15normal_iteratorINSA_10device_ptrIiEEEEPS6_PKS6_NS0_5tupleIJNSA_16discard_iteratorINSA_11use_defaultEEES6_EEENSJ_IJSG_SG_EEENS0_18inequality_wrapperINSA_8equal_toIiEEEEPmJS6_EEE10hipError_tPvRmT3_T4_T5_T6_T7_T9_mT8_P12ihipStream_tbDpT10_ENKUlT_T0_E_clISt17integral_constantIbLb0EES1D_EEDaS18_S19_EUlS18_E_NS1_11comp_targetILNS1_3genE4ELNS1_11target_archE910ELNS1_3gpuE8ELNS1_3repE0EEENS1_30default_config_static_selectorELNS0_4arch9wavefront6targetE1EEEvT1_.num_named_barrier, 0
	.set _ZN7rocprim17ROCPRIM_400000_NS6detail17trampoline_kernelINS0_14default_configENS1_25partition_config_selectorILNS1_17partition_subalgoE8EiNS0_10empty_typeEbEEZZNS1_14partition_implILS5_8ELb0ES3_jN6thrust23THRUST_200600_302600_NS6detail15normal_iteratorINSA_10device_ptrIiEEEEPS6_PKS6_NS0_5tupleIJNSA_16discard_iteratorINSA_11use_defaultEEES6_EEENSJ_IJSG_SG_EEENS0_18inequality_wrapperINSA_8equal_toIiEEEEPmJS6_EEE10hipError_tPvRmT3_T4_T5_T6_T7_T9_mT8_P12ihipStream_tbDpT10_ENKUlT_T0_E_clISt17integral_constantIbLb0EES1D_EEDaS18_S19_EUlS18_E_NS1_11comp_targetILNS1_3genE4ELNS1_11target_archE910ELNS1_3gpuE8ELNS1_3repE0EEENS1_30default_config_static_selectorELNS0_4arch9wavefront6targetE1EEEvT1_.private_seg_size, 0
	.set _ZN7rocprim17ROCPRIM_400000_NS6detail17trampoline_kernelINS0_14default_configENS1_25partition_config_selectorILNS1_17partition_subalgoE8EiNS0_10empty_typeEbEEZZNS1_14partition_implILS5_8ELb0ES3_jN6thrust23THRUST_200600_302600_NS6detail15normal_iteratorINSA_10device_ptrIiEEEEPS6_PKS6_NS0_5tupleIJNSA_16discard_iteratorINSA_11use_defaultEEES6_EEENSJ_IJSG_SG_EEENS0_18inequality_wrapperINSA_8equal_toIiEEEEPmJS6_EEE10hipError_tPvRmT3_T4_T5_T6_T7_T9_mT8_P12ihipStream_tbDpT10_ENKUlT_T0_E_clISt17integral_constantIbLb0EES1D_EEDaS18_S19_EUlS18_E_NS1_11comp_targetILNS1_3genE4ELNS1_11target_archE910ELNS1_3gpuE8ELNS1_3repE0EEENS1_30default_config_static_selectorELNS0_4arch9wavefront6targetE1EEEvT1_.uses_vcc, 0
	.set _ZN7rocprim17ROCPRIM_400000_NS6detail17trampoline_kernelINS0_14default_configENS1_25partition_config_selectorILNS1_17partition_subalgoE8EiNS0_10empty_typeEbEEZZNS1_14partition_implILS5_8ELb0ES3_jN6thrust23THRUST_200600_302600_NS6detail15normal_iteratorINSA_10device_ptrIiEEEEPS6_PKS6_NS0_5tupleIJNSA_16discard_iteratorINSA_11use_defaultEEES6_EEENSJ_IJSG_SG_EEENS0_18inequality_wrapperINSA_8equal_toIiEEEEPmJS6_EEE10hipError_tPvRmT3_T4_T5_T6_T7_T9_mT8_P12ihipStream_tbDpT10_ENKUlT_T0_E_clISt17integral_constantIbLb0EES1D_EEDaS18_S19_EUlS18_E_NS1_11comp_targetILNS1_3genE4ELNS1_11target_archE910ELNS1_3gpuE8ELNS1_3repE0EEENS1_30default_config_static_selectorELNS0_4arch9wavefront6targetE1EEEvT1_.uses_flat_scratch, 0
	.set _ZN7rocprim17ROCPRIM_400000_NS6detail17trampoline_kernelINS0_14default_configENS1_25partition_config_selectorILNS1_17partition_subalgoE8EiNS0_10empty_typeEbEEZZNS1_14partition_implILS5_8ELb0ES3_jN6thrust23THRUST_200600_302600_NS6detail15normal_iteratorINSA_10device_ptrIiEEEEPS6_PKS6_NS0_5tupleIJNSA_16discard_iteratorINSA_11use_defaultEEES6_EEENSJ_IJSG_SG_EEENS0_18inequality_wrapperINSA_8equal_toIiEEEEPmJS6_EEE10hipError_tPvRmT3_T4_T5_T6_T7_T9_mT8_P12ihipStream_tbDpT10_ENKUlT_T0_E_clISt17integral_constantIbLb0EES1D_EEDaS18_S19_EUlS18_E_NS1_11comp_targetILNS1_3genE4ELNS1_11target_archE910ELNS1_3gpuE8ELNS1_3repE0EEENS1_30default_config_static_selectorELNS0_4arch9wavefront6targetE1EEEvT1_.has_dyn_sized_stack, 0
	.set _ZN7rocprim17ROCPRIM_400000_NS6detail17trampoline_kernelINS0_14default_configENS1_25partition_config_selectorILNS1_17partition_subalgoE8EiNS0_10empty_typeEbEEZZNS1_14partition_implILS5_8ELb0ES3_jN6thrust23THRUST_200600_302600_NS6detail15normal_iteratorINSA_10device_ptrIiEEEEPS6_PKS6_NS0_5tupleIJNSA_16discard_iteratorINSA_11use_defaultEEES6_EEENSJ_IJSG_SG_EEENS0_18inequality_wrapperINSA_8equal_toIiEEEEPmJS6_EEE10hipError_tPvRmT3_T4_T5_T6_T7_T9_mT8_P12ihipStream_tbDpT10_ENKUlT_T0_E_clISt17integral_constantIbLb0EES1D_EEDaS18_S19_EUlS18_E_NS1_11comp_targetILNS1_3genE4ELNS1_11target_archE910ELNS1_3gpuE8ELNS1_3repE0EEENS1_30default_config_static_selectorELNS0_4arch9wavefront6targetE1EEEvT1_.has_recursion, 0
	.set _ZN7rocprim17ROCPRIM_400000_NS6detail17trampoline_kernelINS0_14default_configENS1_25partition_config_selectorILNS1_17partition_subalgoE8EiNS0_10empty_typeEbEEZZNS1_14partition_implILS5_8ELb0ES3_jN6thrust23THRUST_200600_302600_NS6detail15normal_iteratorINSA_10device_ptrIiEEEEPS6_PKS6_NS0_5tupleIJNSA_16discard_iteratorINSA_11use_defaultEEES6_EEENSJ_IJSG_SG_EEENS0_18inequality_wrapperINSA_8equal_toIiEEEEPmJS6_EEE10hipError_tPvRmT3_T4_T5_T6_T7_T9_mT8_P12ihipStream_tbDpT10_ENKUlT_T0_E_clISt17integral_constantIbLb0EES1D_EEDaS18_S19_EUlS18_E_NS1_11comp_targetILNS1_3genE4ELNS1_11target_archE910ELNS1_3gpuE8ELNS1_3repE0EEENS1_30default_config_static_selectorELNS0_4arch9wavefront6targetE1EEEvT1_.has_indirect_call, 0
	.section	.AMDGPU.csdata,"",@progbits
; Kernel info:
; codeLenInByte = 0
; TotalNumSgprs: 4
; NumVgprs: 0
; ScratchSize: 0
; MemoryBound: 0
; FloatMode: 240
; IeeeMode: 1
; LDSByteSize: 0 bytes/workgroup (compile time only)
; SGPRBlocks: 0
; VGPRBlocks: 0
; NumSGPRsForWavesPerEU: 4
; NumVGPRsForWavesPerEU: 1
; Occupancy: 10
; WaveLimiterHint : 0
; COMPUTE_PGM_RSRC2:SCRATCH_EN: 0
; COMPUTE_PGM_RSRC2:USER_SGPR: 6
; COMPUTE_PGM_RSRC2:TRAP_HANDLER: 0
; COMPUTE_PGM_RSRC2:TGID_X_EN: 1
; COMPUTE_PGM_RSRC2:TGID_Y_EN: 0
; COMPUTE_PGM_RSRC2:TGID_Z_EN: 0
; COMPUTE_PGM_RSRC2:TIDIG_COMP_CNT: 0
	.section	.text._ZN7rocprim17ROCPRIM_400000_NS6detail17trampoline_kernelINS0_14default_configENS1_25partition_config_selectorILNS1_17partition_subalgoE8EiNS0_10empty_typeEbEEZZNS1_14partition_implILS5_8ELb0ES3_jN6thrust23THRUST_200600_302600_NS6detail15normal_iteratorINSA_10device_ptrIiEEEEPS6_PKS6_NS0_5tupleIJNSA_16discard_iteratorINSA_11use_defaultEEES6_EEENSJ_IJSG_SG_EEENS0_18inequality_wrapperINSA_8equal_toIiEEEEPmJS6_EEE10hipError_tPvRmT3_T4_T5_T6_T7_T9_mT8_P12ihipStream_tbDpT10_ENKUlT_T0_E_clISt17integral_constantIbLb0EES1D_EEDaS18_S19_EUlS18_E_NS1_11comp_targetILNS1_3genE3ELNS1_11target_archE908ELNS1_3gpuE7ELNS1_3repE0EEENS1_30default_config_static_selectorELNS0_4arch9wavefront6targetE1EEEvT1_,"axG",@progbits,_ZN7rocprim17ROCPRIM_400000_NS6detail17trampoline_kernelINS0_14default_configENS1_25partition_config_selectorILNS1_17partition_subalgoE8EiNS0_10empty_typeEbEEZZNS1_14partition_implILS5_8ELb0ES3_jN6thrust23THRUST_200600_302600_NS6detail15normal_iteratorINSA_10device_ptrIiEEEEPS6_PKS6_NS0_5tupleIJNSA_16discard_iteratorINSA_11use_defaultEEES6_EEENSJ_IJSG_SG_EEENS0_18inequality_wrapperINSA_8equal_toIiEEEEPmJS6_EEE10hipError_tPvRmT3_T4_T5_T6_T7_T9_mT8_P12ihipStream_tbDpT10_ENKUlT_T0_E_clISt17integral_constantIbLb0EES1D_EEDaS18_S19_EUlS18_E_NS1_11comp_targetILNS1_3genE3ELNS1_11target_archE908ELNS1_3gpuE7ELNS1_3repE0EEENS1_30default_config_static_selectorELNS0_4arch9wavefront6targetE1EEEvT1_,comdat
	.protected	_ZN7rocprim17ROCPRIM_400000_NS6detail17trampoline_kernelINS0_14default_configENS1_25partition_config_selectorILNS1_17partition_subalgoE8EiNS0_10empty_typeEbEEZZNS1_14partition_implILS5_8ELb0ES3_jN6thrust23THRUST_200600_302600_NS6detail15normal_iteratorINSA_10device_ptrIiEEEEPS6_PKS6_NS0_5tupleIJNSA_16discard_iteratorINSA_11use_defaultEEES6_EEENSJ_IJSG_SG_EEENS0_18inequality_wrapperINSA_8equal_toIiEEEEPmJS6_EEE10hipError_tPvRmT3_T4_T5_T6_T7_T9_mT8_P12ihipStream_tbDpT10_ENKUlT_T0_E_clISt17integral_constantIbLb0EES1D_EEDaS18_S19_EUlS18_E_NS1_11comp_targetILNS1_3genE3ELNS1_11target_archE908ELNS1_3gpuE7ELNS1_3repE0EEENS1_30default_config_static_selectorELNS0_4arch9wavefront6targetE1EEEvT1_ ; -- Begin function _ZN7rocprim17ROCPRIM_400000_NS6detail17trampoline_kernelINS0_14default_configENS1_25partition_config_selectorILNS1_17partition_subalgoE8EiNS0_10empty_typeEbEEZZNS1_14partition_implILS5_8ELb0ES3_jN6thrust23THRUST_200600_302600_NS6detail15normal_iteratorINSA_10device_ptrIiEEEEPS6_PKS6_NS0_5tupleIJNSA_16discard_iteratorINSA_11use_defaultEEES6_EEENSJ_IJSG_SG_EEENS0_18inequality_wrapperINSA_8equal_toIiEEEEPmJS6_EEE10hipError_tPvRmT3_T4_T5_T6_T7_T9_mT8_P12ihipStream_tbDpT10_ENKUlT_T0_E_clISt17integral_constantIbLb0EES1D_EEDaS18_S19_EUlS18_E_NS1_11comp_targetILNS1_3genE3ELNS1_11target_archE908ELNS1_3gpuE7ELNS1_3repE0EEENS1_30default_config_static_selectorELNS0_4arch9wavefront6targetE1EEEvT1_
	.globl	_ZN7rocprim17ROCPRIM_400000_NS6detail17trampoline_kernelINS0_14default_configENS1_25partition_config_selectorILNS1_17partition_subalgoE8EiNS0_10empty_typeEbEEZZNS1_14partition_implILS5_8ELb0ES3_jN6thrust23THRUST_200600_302600_NS6detail15normal_iteratorINSA_10device_ptrIiEEEEPS6_PKS6_NS0_5tupleIJNSA_16discard_iteratorINSA_11use_defaultEEES6_EEENSJ_IJSG_SG_EEENS0_18inequality_wrapperINSA_8equal_toIiEEEEPmJS6_EEE10hipError_tPvRmT3_T4_T5_T6_T7_T9_mT8_P12ihipStream_tbDpT10_ENKUlT_T0_E_clISt17integral_constantIbLb0EES1D_EEDaS18_S19_EUlS18_E_NS1_11comp_targetILNS1_3genE3ELNS1_11target_archE908ELNS1_3gpuE7ELNS1_3repE0EEENS1_30default_config_static_selectorELNS0_4arch9wavefront6targetE1EEEvT1_
	.p2align	8
	.type	_ZN7rocprim17ROCPRIM_400000_NS6detail17trampoline_kernelINS0_14default_configENS1_25partition_config_selectorILNS1_17partition_subalgoE8EiNS0_10empty_typeEbEEZZNS1_14partition_implILS5_8ELb0ES3_jN6thrust23THRUST_200600_302600_NS6detail15normal_iteratorINSA_10device_ptrIiEEEEPS6_PKS6_NS0_5tupleIJNSA_16discard_iteratorINSA_11use_defaultEEES6_EEENSJ_IJSG_SG_EEENS0_18inequality_wrapperINSA_8equal_toIiEEEEPmJS6_EEE10hipError_tPvRmT3_T4_T5_T6_T7_T9_mT8_P12ihipStream_tbDpT10_ENKUlT_T0_E_clISt17integral_constantIbLb0EES1D_EEDaS18_S19_EUlS18_E_NS1_11comp_targetILNS1_3genE3ELNS1_11target_archE908ELNS1_3gpuE7ELNS1_3repE0EEENS1_30default_config_static_selectorELNS0_4arch9wavefront6targetE1EEEvT1_,@function
_ZN7rocprim17ROCPRIM_400000_NS6detail17trampoline_kernelINS0_14default_configENS1_25partition_config_selectorILNS1_17partition_subalgoE8EiNS0_10empty_typeEbEEZZNS1_14partition_implILS5_8ELb0ES3_jN6thrust23THRUST_200600_302600_NS6detail15normal_iteratorINSA_10device_ptrIiEEEEPS6_PKS6_NS0_5tupleIJNSA_16discard_iteratorINSA_11use_defaultEEES6_EEENSJ_IJSG_SG_EEENS0_18inequality_wrapperINSA_8equal_toIiEEEEPmJS6_EEE10hipError_tPvRmT3_T4_T5_T6_T7_T9_mT8_P12ihipStream_tbDpT10_ENKUlT_T0_E_clISt17integral_constantIbLb0EES1D_EEDaS18_S19_EUlS18_E_NS1_11comp_targetILNS1_3genE3ELNS1_11target_archE908ELNS1_3gpuE7ELNS1_3repE0EEENS1_30default_config_static_selectorELNS0_4arch9wavefront6targetE1EEEvT1_: ; @_ZN7rocprim17ROCPRIM_400000_NS6detail17trampoline_kernelINS0_14default_configENS1_25partition_config_selectorILNS1_17partition_subalgoE8EiNS0_10empty_typeEbEEZZNS1_14partition_implILS5_8ELb0ES3_jN6thrust23THRUST_200600_302600_NS6detail15normal_iteratorINSA_10device_ptrIiEEEEPS6_PKS6_NS0_5tupleIJNSA_16discard_iteratorINSA_11use_defaultEEES6_EEENSJ_IJSG_SG_EEENS0_18inequality_wrapperINSA_8equal_toIiEEEEPmJS6_EEE10hipError_tPvRmT3_T4_T5_T6_T7_T9_mT8_P12ihipStream_tbDpT10_ENKUlT_T0_E_clISt17integral_constantIbLb0EES1D_EEDaS18_S19_EUlS18_E_NS1_11comp_targetILNS1_3genE3ELNS1_11target_archE908ELNS1_3gpuE7ELNS1_3repE0EEENS1_30default_config_static_selectorELNS0_4arch9wavefront6targetE1EEEvT1_
; %bb.0:
	.section	.rodata,"a",@progbits
	.p2align	6, 0x0
	.amdhsa_kernel _ZN7rocprim17ROCPRIM_400000_NS6detail17trampoline_kernelINS0_14default_configENS1_25partition_config_selectorILNS1_17partition_subalgoE8EiNS0_10empty_typeEbEEZZNS1_14partition_implILS5_8ELb0ES3_jN6thrust23THRUST_200600_302600_NS6detail15normal_iteratorINSA_10device_ptrIiEEEEPS6_PKS6_NS0_5tupleIJNSA_16discard_iteratorINSA_11use_defaultEEES6_EEENSJ_IJSG_SG_EEENS0_18inequality_wrapperINSA_8equal_toIiEEEEPmJS6_EEE10hipError_tPvRmT3_T4_T5_T6_T7_T9_mT8_P12ihipStream_tbDpT10_ENKUlT_T0_E_clISt17integral_constantIbLb0EES1D_EEDaS18_S19_EUlS18_E_NS1_11comp_targetILNS1_3genE3ELNS1_11target_archE908ELNS1_3gpuE7ELNS1_3repE0EEENS1_30default_config_static_selectorELNS0_4arch9wavefront6targetE1EEEvT1_
		.amdhsa_group_segment_fixed_size 0
		.amdhsa_private_segment_fixed_size 0
		.amdhsa_kernarg_size 120
		.amdhsa_user_sgpr_count 6
		.amdhsa_user_sgpr_private_segment_buffer 1
		.amdhsa_user_sgpr_dispatch_ptr 0
		.amdhsa_user_sgpr_queue_ptr 0
		.amdhsa_user_sgpr_kernarg_segment_ptr 1
		.amdhsa_user_sgpr_dispatch_id 0
		.amdhsa_user_sgpr_flat_scratch_init 0
		.amdhsa_user_sgpr_private_segment_size 0
		.amdhsa_uses_dynamic_stack 0
		.amdhsa_system_sgpr_private_segment_wavefront_offset 0
		.amdhsa_system_sgpr_workgroup_id_x 1
		.amdhsa_system_sgpr_workgroup_id_y 0
		.amdhsa_system_sgpr_workgroup_id_z 0
		.amdhsa_system_sgpr_workgroup_info 0
		.amdhsa_system_vgpr_workitem_id 0
		.amdhsa_next_free_vgpr 1
		.amdhsa_next_free_sgpr 0
		.amdhsa_reserve_vcc 0
		.amdhsa_reserve_flat_scratch 0
		.amdhsa_float_round_mode_32 0
		.amdhsa_float_round_mode_16_64 0
		.amdhsa_float_denorm_mode_32 3
		.amdhsa_float_denorm_mode_16_64 3
		.amdhsa_dx10_clamp 1
		.amdhsa_ieee_mode 1
		.amdhsa_fp16_overflow 0
		.amdhsa_exception_fp_ieee_invalid_op 0
		.amdhsa_exception_fp_denorm_src 0
		.amdhsa_exception_fp_ieee_div_zero 0
		.amdhsa_exception_fp_ieee_overflow 0
		.amdhsa_exception_fp_ieee_underflow 0
		.amdhsa_exception_fp_ieee_inexact 0
		.amdhsa_exception_int_div_zero 0
	.end_amdhsa_kernel
	.section	.text._ZN7rocprim17ROCPRIM_400000_NS6detail17trampoline_kernelINS0_14default_configENS1_25partition_config_selectorILNS1_17partition_subalgoE8EiNS0_10empty_typeEbEEZZNS1_14partition_implILS5_8ELb0ES3_jN6thrust23THRUST_200600_302600_NS6detail15normal_iteratorINSA_10device_ptrIiEEEEPS6_PKS6_NS0_5tupleIJNSA_16discard_iteratorINSA_11use_defaultEEES6_EEENSJ_IJSG_SG_EEENS0_18inequality_wrapperINSA_8equal_toIiEEEEPmJS6_EEE10hipError_tPvRmT3_T4_T5_T6_T7_T9_mT8_P12ihipStream_tbDpT10_ENKUlT_T0_E_clISt17integral_constantIbLb0EES1D_EEDaS18_S19_EUlS18_E_NS1_11comp_targetILNS1_3genE3ELNS1_11target_archE908ELNS1_3gpuE7ELNS1_3repE0EEENS1_30default_config_static_selectorELNS0_4arch9wavefront6targetE1EEEvT1_,"axG",@progbits,_ZN7rocprim17ROCPRIM_400000_NS6detail17trampoline_kernelINS0_14default_configENS1_25partition_config_selectorILNS1_17partition_subalgoE8EiNS0_10empty_typeEbEEZZNS1_14partition_implILS5_8ELb0ES3_jN6thrust23THRUST_200600_302600_NS6detail15normal_iteratorINSA_10device_ptrIiEEEEPS6_PKS6_NS0_5tupleIJNSA_16discard_iteratorINSA_11use_defaultEEES6_EEENSJ_IJSG_SG_EEENS0_18inequality_wrapperINSA_8equal_toIiEEEEPmJS6_EEE10hipError_tPvRmT3_T4_T5_T6_T7_T9_mT8_P12ihipStream_tbDpT10_ENKUlT_T0_E_clISt17integral_constantIbLb0EES1D_EEDaS18_S19_EUlS18_E_NS1_11comp_targetILNS1_3genE3ELNS1_11target_archE908ELNS1_3gpuE7ELNS1_3repE0EEENS1_30default_config_static_selectorELNS0_4arch9wavefront6targetE1EEEvT1_,comdat
.Lfunc_end664:
	.size	_ZN7rocprim17ROCPRIM_400000_NS6detail17trampoline_kernelINS0_14default_configENS1_25partition_config_selectorILNS1_17partition_subalgoE8EiNS0_10empty_typeEbEEZZNS1_14partition_implILS5_8ELb0ES3_jN6thrust23THRUST_200600_302600_NS6detail15normal_iteratorINSA_10device_ptrIiEEEEPS6_PKS6_NS0_5tupleIJNSA_16discard_iteratorINSA_11use_defaultEEES6_EEENSJ_IJSG_SG_EEENS0_18inequality_wrapperINSA_8equal_toIiEEEEPmJS6_EEE10hipError_tPvRmT3_T4_T5_T6_T7_T9_mT8_P12ihipStream_tbDpT10_ENKUlT_T0_E_clISt17integral_constantIbLb0EES1D_EEDaS18_S19_EUlS18_E_NS1_11comp_targetILNS1_3genE3ELNS1_11target_archE908ELNS1_3gpuE7ELNS1_3repE0EEENS1_30default_config_static_selectorELNS0_4arch9wavefront6targetE1EEEvT1_, .Lfunc_end664-_ZN7rocprim17ROCPRIM_400000_NS6detail17trampoline_kernelINS0_14default_configENS1_25partition_config_selectorILNS1_17partition_subalgoE8EiNS0_10empty_typeEbEEZZNS1_14partition_implILS5_8ELb0ES3_jN6thrust23THRUST_200600_302600_NS6detail15normal_iteratorINSA_10device_ptrIiEEEEPS6_PKS6_NS0_5tupleIJNSA_16discard_iteratorINSA_11use_defaultEEES6_EEENSJ_IJSG_SG_EEENS0_18inequality_wrapperINSA_8equal_toIiEEEEPmJS6_EEE10hipError_tPvRmT3_T4_T5_T6_T7_T9_mT8_P12ihipStream_tbDpT10_ENKUlT_T0_E_clISt17integral_constantIbLb0EES1D_EEDaS18_S19_EUlS18_E_NS1_11comp_targetILNS1_3genE3ELNS1_11target_archE908ELNS1_3gpuE7ELNS1_3repE0EEENS1_30default_config_static_selectorELNS0_4arch9wavefront6targetE1EEEvT1_
                                        ; -- End function
	.set _ZN7rocprim17ROCPRIM_400000_NS6detail17trampoline_kernelINS0_14default_configENS1_25partition_config_selectorILNS1_17partition_subalgoE8EiNS0_10empty_typeEbEEZZNS1_14partition_implILS5_8ELb0ES3_jN6thrust23THRUST_200600_302600_NS6detail15normal_iteratorINSA_10device_ptrIiEEEEPS6_PKS6_NS0_5tupleIJNSA_16discard_iteratorINSA_11use_defaultEEES6_EEENSJ_IJSG_SG_EEENS0_18inequality_wrapperINSA_8equal_toIiEEEEPmJS6_EEE10hipError_tPvRmT3_T4_T5_T6_T7_T9_mT8_P12ihipStream_tbDpT10_ENKUlT_T0_E_clISt17integral_constantIbLb0EES1D_EEDaS18_S19_EUlS18_E_NS1_11comp_targetILNS1_3genE3ELNS1_11target_archE908ELNS1_3gpuE7ELNS1_3repE0EEENS1_30default_config_static_selectorELNS0_4arch9wavefront6targetE1EEEvT1_.num_vgpr, 0
	.set _ZN7rocprim17ROCPRIM_400000_NS6detail17trampoline_kernelINS0_14default_configENS1_25partition_config_selectorILNS1_17partition_subalgoE8EiNS0_10empty_typeEbEEZZNS1_14partition_implILS5_8ELb0ES3_jN6thrust23THRUST_200600_302600_NS6detail15normal_iteratorINSA_10device_ptrIiEEEEPS6_PKS6_NS0_5tupleIJNSA_16discard_iteratorINSA_11use_defaultEEES6_EEENSJ_IJSG_SG_EEENS0_18inequality_wrapperINSA_8equal_toIiEEEEPmJS6_EEE10hipError_tPvRmT3_T4_T5_T6_T7_T9_mT8_P12ihipStream_tbDpT10_ENKUlT_T0_E_clISt17integral_constantIbLb0EES1D_EEDaS18_S19_EUlS18_E_NS1_11comp_targetILNS1_3genE3ELNS1_11target_archE908ELNS1_3gpuE7ELNS1_3repE0EEENS1_30default_config_static_selectorELNS0_4arch9wavefront6targetE1EEEvT1_.num_agpr, 0
	.set _ZN7rocprim17ROCPRIM_400000_NS6detail17trampoline_kernelINS0_14default_configENS1_25partition_config_selectorILNS1_17partition_subalgoE8EiNS0_10empty_typeEbEEZZNS1_14partition_implILS5_8ELb0ES3_jN6thrust23THRUST_200600_302600_NS6detail15normal_iteratorINSA_10device_ptrIiEEEEPS6_PKS6_NS0_5tupleIJNSA_16discard_iteratorINSA_11use_defaultEEES6_EEENSJ_IJSG_SG_EEENS0_18inequality_wrapperINSA_8equal_toIiEEEEPmJS6_EEE10hipError_tPvRmT3_T4_T5_T6_T7_T9_mT8_P12ihipStream_tbDpT10_ENKUlT_T0_E_clISt17integral_constantIbLb0EES1D_EEDaS18_S19_EUlS18_E_NS1_11comp_targetILNS1_3genE3ELNS1_11target_archE908ELNS1_3gpuE7ELNS1_3repE0EEENS1_30default_config_static_selectorELNS0_4arch9wavefront6targetE1EEEvT1_.numbered_sgpr, 0
	.set _ZN7rocprim17ROCPRIM_400000_NS6detail17trampoline_kernelINS0_14default_configENS1_25partition_config_selectorILNS1_17partition_subalgoE8EiNS0_10empty_typeEbEEZZNS1_14partition_implILS5_8ELb0ES3_jN6thrust23THRUST_200600_302600_NS6detail15normal_iteratorINSA_10device_ptrIiEEEEPS6_PKS6_NS0_5tupleIJNSA_16discard_iteratorINSA_11use_defaultEEES6_EEENSJ_IJSG_SG_EEENS0_18inequality_wrapperINSA_8equal_toIiEEEEPmJS6_EEE10hipError_tPvRmT3_T4_T5_T6_T7_T9_mT8_P12ihipStream_tbDpT10_ENKUlT_T0_E_clISt17integral_constantIbLb0EES1D_EEDaS18_S19_EUlS18_E_NS1_11comp_targetILNS1_3genE3ELNS1_11target_archE908ELNS1_3gpuE7ELNS1_3repE0EEENS1_30default_config_static_selectorELNS0_4arch9wavefront6targetE1EEEvT1_.num_named_barrier, 0
	.set _ZN7rocprim17ROCPRIM_400000_NS6detail17trampoline_kernelINS0_14default_configENS1_25partition_config_selectorILNS1_17partition_subalgoE8EiNS0_10empty_typeEbEEZZNS1_14partition_implILS5_8ELb0ES3_jN6thrust23THRUST_200600_302600_NS6detail15normal_iteratorINSA_10device_ptrIiEEEEPS6_PKS6_NS0_5tupleIJNSA_16discard_iteratorINSA_11use_defaultEEES6_EEENSJ_IJSG_SG_EEENS0_18inequality_wrapperINSA_8equal_toIiEEEEPmJS6_EEE10hipError_tPvRmT3_T4_T5_T6_T7_T9_mT8_P12ihipStream_tbDpT10_ENKUlT_T0_E_clISt17integral_constantIbLb0EES1D_EEDaS18_S19_EUlS18_E_NS1_11comp_targetILNS1_3genE3ELNS1_11target_archE908ELNS1_3gpuE7ELNS1_3repE0EEENS1_30default_config_static_selectorELNS0_4arch9wavefront6targetE1EEEvT1_.private_seg_size, 0
	.set _ZN7rocprim17ROCPRIM_400000_NS6detail17trampoline_kernelINS0_14default_configENS1_25partition_config_selectorILNS1_17partition_subalgoE8EiNS0_10empty_typeEbEEZZNS1_14partition_implILS5_8ELb0ES3_jN6thrust23THRUST_200600_302600_NS6detail15normal_iteratorINSA_10device_ptrIiEEEEPS6_PKS6_NS0_5tupleIJNSA_16discard_iteratorINSA_11use_defaultEEES6_EEENSJ_IJSG_SG_EEENS0_18inequality_wrapperINSA_8equal_toIiEEEEPmJS6_EEE10hipError_tPvRmT3_T4_T5_T6_T7_T9_mT8_P12ihipStream_tbDpT10_ENKUlT_T0_E_clISt17integral_constantIbLb0EES1D_EEDaS18_S19_EUlS18_E_NS1_11comp_targetILNS1_3genE3ELNS1_11target_archE908ELNS1_3gpuE7ELNS1_3repE0EEENS1_30default_config_static_selectorELNS0_4arch9wavefront6targetE1EEEvT1_.uses_vcc, 0
	.set _ZN7rocprim17ROCPRIM_400000_NS6detail17trampoline_kernelINS0_14default_configENS1_25partition_config_selectorILNS1_17partition_subalgoE8EiNS0_10empty_typeEbEEZZNS1_14partition_implILS5_8ELb0ES3_jN6thrust23THRUST_200600_302600_NS6detail15normal_iteratorINSA_10device_ptrIiEEEEPS6_PKS6_NS0_5tupleIJNSA_16discard_iteratorINSA_11use_defaultEEES6_EEENSJ_IJSG_SG_EEENS0_18inequality_wrapperINSA_8equal_toIiEEEEPmJS6_EEE10hipError_tPvRmT3_T4_T5_T6_T7_T9_mT8_P12ihipStream_tbDpT10_ENKUlT_T0_E_clISt17integral_constantIbLb0EES1D_EEDaS18_S19_EUlS18_E_NS1_11comp_targetILNS1_3genE3ELNS1_11target_archE908ELNS1_3gpuE7ELNS1_3repE0EEENS1_30default_config_static_selectorELNS0_4arch9wavefront6targetE1EEEvT1_.uses_flat_scratch, 0
	.set _ZN7rocprim17ROCPRIM_400000_NS6detail17trampoline_kernelINS0_14default_configENS1_25partition_config_selectorILNS1_17partition_subalgoE8EiNS0_10empty_typeEbEEZZNS1_14partition_implILS5_8ELb0ES3_jN6thrust23THRUST_200600_302600_NS6detail15normal_iteratorINSA_10device_ptrIiEEEEPS6_PKS6_NS0_5tupleIJNSA_16discard_iteratorINSA_11use_defaultEEES6_EEENSJ_IJSG_SG_EEENS0_18inequality_wrapperINSA_8equal_toIiEEEEPmJS6_EEE10hipError_tPvRmT3_T4_T5_T6_T7_T9_mT8_P12ihipStream_tbDpT10_ENKUlT_T0_E_clISt17integral_constantIbLb0EES1D_EEDaS18_S19_EUlS18_E_NS1_11comp_targetILNS1_3genE3ELNS1_11target_archE908ELNS1_3gpuE7ELNS1_3repE0EEENS1_30default_config_static_selectorELNS0_4arch9wavefront6targetE1EEEvT1_.has_dyn_sized_stack, 0
	.set _ZN7rocprim17ROCPRIM_400000_NS6detail17trampoline_kernelINS0_14default_configENS1_25partition_config_selectorILNS1_17partition_subalgoE8EiNS0_10empty_typeEbEEZZNS1_14partition_implILS5_8ELb0ES3_jN6thrust23THRUST_200600_302600_NS6detail15normal_iteratorINSA_10device_ptrIiEEEEPS6_PKS6_NS0_5tupleIJNSA_16discard_iteratorINSA_11use_defaultEEES6_EEENSJ_IJSG_SG_EEENS0_18inequality_wrapperINSA_8equal_toIiEEEEPmJS6_EEE10hipError_tPvRmT3_T4_T5_T6_T7_T9_mT8_P12ihipStream_tbDpT10_ENKUlT_T0_E_clISt17integral_constantIbLb0EES1D_EEDaS18_S19_EUlS18_E_NS1_11comp_targetILNS1_3genE3ELNS1_11target_archE908ELNS1_3gpuE7ELNS1_3repE0EEENS1_30default_config_static_selectorELNS0_4arch9wavefront6targetE1EEEvT1_.has_recursion, 0
	.set _ZN7rocprim17ROCPRIM_400000_NS6detail17trampoline_kernelINS0_14default_configENS1_25partition_config_selectorILNS1_17partition_subalgoE8EiNS0_10empty_typeEbEEZZNS1_14partition_implILS5_8ELb0ES3_jN6thrust23THRUST_200600_302600_NS6detail15normal_iteratorINSA_10device_ptrIiEEEEPS6_PKS6_NS0_5tupleIJNSA_16discard_iteratorINSA_11use_defaultEEES6_EEENSJ_IJSG_SG_EEENS0_18inequality_wrapperINSA_8equal_toIiEEEEPmJS6_EEE10hipError_tPvRmT3_T4_T5_T6_T7_T9_mT8_P12ihipStream_tbDpT10_ENKUlT_T0_E_clISt17integral_constantIbLb0EES1D_EEDaS18_S19_EUlS18_E_NS1_11comp_targetILNS1_3genE3ELNS1_11target_archE908ELNS1_3gpuE7ELNS1_3repE0EEENS1_30default_config_static_selectorELNS0_4arch9wavefront6targetE1EEEvT1_.has_indirect_call, 0
	.section	.AMDGPU.csdata,"",@progbits
; Kernel info:
; codeLenInByte = 0
; TotalNumSgprs: 4
; NumVgprs: 0
; ScratchSize: 0
; MemoryBound: 0
; FloatMode: 240
; IeeeMode: 1
; LDSByteSize: 0 bytes/workgroup (compile time only)
; SGPRBlocks: 0
; VGPRBlocks: 0
; NumSGPRsForWavesPerEU: 4
; NumVGPRsForWavesPerEU: 1
; Occupancy: 10
; WaveLimiterHint : 0
; COMPUTE_PGM_RSRC2:SCRATCH_EN: 0
; COMPUTE_PGM_RSRC2:USER_SGPR: 6
; COMPUTE_PGM_RSRC2:TRAP_HANDLER: 0
; COMPUTE_PGM_RSRC2:TGID_X_EN: 1
; COMPUTE_PGM_RSRC2:TGID_Y_EN: 0
; COMPUTE_PGM_RSRC2:TGID_Z_EN: 0
; COMPUTE_PGM_RSRC2:TIDIG_COMP_CNT: 0
	.section	.text._ZN7rocprim17ROCPRIM_400000_NS6detail17trampoline_kernelINS0_14default_configENS1_25partition_config_selectorILNS1_17partition_subalgoE8EiNS0_10empty_typeEbEEZZNS1_14partition_implILS5_8ELb0ES3_jN6thrust23THRUST_200600_302600_NS6detail15normal_iteratorINSA_10device_ptrIiEEEEPS6_PKS6_NS0_5tupleIJNSA_16discard_iteratorINSA_11use_defaultEEES6_EEENSJ_IJSG_SG_EEENS0_18inequality_wrapperINSA_8equal_toIiEEEEPmJS6_EEE10hipError_tPvRmT3_T4_T5_T6_T7_T9_mT8_P12ihipStream_tbDpT10_ENKUlT_T0_E_clISt17integral_constantIbLb0EES1D_EEDaS18_S19_EUlS18_E_NS1_11comp_targetILNS1_3genE2ELNS1_11target_archE906ELNS1_3gpuE6ELNS1_3repE0EEENS1_30default_config_static_selectorELNS0_4arch9wavefront6targetE1EEEvT1_,"axG",@progbits,_ZN7rocprim17ROCPRIM_400000_NS6detail17trampoline_kernelINS0_14default_configENS1_25partition_config_selectorILNS1_17partition_subalgoE8EiNS0_10empty_typeEbEEZZNS1_14partition_implILS5_8ELb0ES3_jN6thrust23THRUST_200600_302600_NS6detail15normal_iteratorINSA_10device_ptrIiEEEEPS6_PKS6_NS0_5tupleIJNSA_16discard_iteratorINSA_11use_defaultEEES6_EEENSJ_IJSG_SG_EEENS0_18inequality_wrapperINSA_8equal_toIiEEEEPmJS6_EEE10hipError_tPvRmT3_T4_T5_T6_T7_T9_mT8_P12ihipStream_tbDpT10_ENKUlT_T0_E_clISt17integral_constantIbLb0EES1D_EEDaS18_S19_EUlS18_E_NS1_11comp_targetILNS1_3genE2ELNS1_11target_archE906ELNS1_3gpuE6ELNS1_3repE0EEENS1_30default_config_static_selectorELNS0_4arch9wavefront6targetE1EEEvT1_,comdat
	.protected	_ZN7rocprim17ROCPRIM_400000_NS6detail17trampoline_kernelINS0_14default_configENS1_25partition_config_selectorILNS1_17partition_subalgoE8EiNS0_10empty_typeEbEEZZNS1_14partition_implILS5_8ELb0ES3_jN6thrust23THRUST_200600_302600_NS6detail15normal_iteratorINSA_10device_ptrIiEEEEPS6_PKS6_NS0_5tupleIJNSA_16discard_iteratorINSA_11use_defaultEEES6_EEENSJ_IJSG_SG_EEENS0_18inequality_wrapperINSA_8equal_toIiEEEEPmJS6_EEE10hipError_tPvRmT3_T4_T5_T6_T7_T9_mT8_P12ihipStream_tbDpT10_ENKUlT_T0_E_clISt17integral_constantIbLb0EES1D_EEDaS18_S19_EUlS18_E_NS1_11comp_targetILNS1_3genE2ELNS1_11target_archE906ELNS1_3gpuE6ELNS1_3repE0EEENS1_30default_config_static_selectorELNS0_4arch9wavefront6targetE1EEEvT1_ ; -- Begin function _ZN7rocprim17ROCPRIM_400000_NS6detail17trampoline_kernelINS0_14default_configENS1_25partition_config_selectorILNS1_17partition_subalgoE8EiNS0_10empty_typeEbEEZZNS1_14partition_implILS5_8ELb0ES3_jN6thrust23THRUST_200600_302600_NS6detail15normal_iteratorINSA_10device_ptrIiEEEEPS6_PKS6_NS0_5tupleIJNSA_16discard_iteratorINSA_11use_defaultEEES6_EEENSJ_IJSG_SG_EEENS0_18inequality_wrapperINSA_8equal_toIiEEEEPmJS6_EEE10hipError_tPvRmT3_T4_T5_T6_T7_T9_mT8_P12ihipStream_tbDpT10_ENKUlT_T0_E_clISt17integral_constantIbLb0EES1D_EEDaS18_S19_EUlS18_E_NS1_11comp_targetILNS1_3genE2ELNS1_11target_archE906ELNS1_3gpuE6ELNS1_3repE0EEENS1_30default_config_static_selectorELNS0_4arch9wavefront6targetE1EEEvT1_
	.globl	_ZN7rocprim17ROCPRIM_400000_NS6detail17trampoline_kernelINS0_14default_configENS1_25partition_config_selectorILNS1_17partition_subalgoE8EiNS0_10empty_typeEbEEZZNS1_14partition_implILS5_8ELb0ES3_jN6thrust23THRUST_200600_302600_NS6detail15normal_iteratorINSA_10device_ptrIiEEEEPS6_PKS6_NS0_5tupleIJNSA_16discard_iteratorINSA_11use_defaultEEES6_EEENSJ_IJSG_SG_EEENS0_18inequality_wrapperINSA_8equal_toIiEEEEPmJS6_EEE10hipError_tPvRmT3_T4_T5_T6_T7_T9_mT8_P12ihipStream_tbDpT10_ENKUlT_T0_E_clISt17integral_constantIbLb0EES1D_EEDaS18_S19_EUlS18_E_NS1_11comp_targetILNS1_3genE2ELNS1_11target_archE906ELNS1_3gpuE6ELNS1_3repE0EEENS1_30default_config_static_selectorELNS0_4arch9wavefront6targetE1EEEvT1_
	.p2align	8
	.type	_ZN7rocprim17ROCPRIM_400000_NS6detail17trampoline_kernelINS0_14default_configENS1_25partition_config_selectorILNS1_17partition_subalgoE8EiNS0_10empty_typeEbEEZZNS1_14partition_implILS5_8ELb0ES3_jN6thrust23THRUST_200600_302600_NS6detail15normal_iteratorINSA_10device_ptrIiEEEEPS6_PKS6_NS0_5tupleIJNSA_16discard_iteratorINSA_11use_defaultEEES6_EEENSJ_IJSG_SG_EEENS0_18inequality_wrapperINSA_8equal_toIiEEEEPmJS6_EEE10hipError_tPvRmT3_T4_T5_T6_T7_T9_mT8_P12ihipStream_tbDpT10_ENKUlT_T0_E_clISt17integral_constantIbLb0EES1D_EEDaS18_S19_EUlS18_E_NS1_11comp_targetILNS1_3genE2ELNS1_11target_archE906ELNS1_3gpuE6ELNS1_3repE0EEENS1_30default_config_static_selectorELNS0_4arch9wavefront6targetE1EEEvT1_,@function
_ZN7rocprim17ROCPRIM_400000_NS6detail17trampoline_kernelINS0_14default_configENS1_25partition_config_selectorILNS1_17partition_subalgoE8EiNS0_10empty_typeEbEEZZNS1_14partition_implILS5_8ELb0ES3_jN6thrust23THRUST_200600_302600_NS6detail15normal_iteratorINSA_10device_ptrIiEEEEPS6_PKS6_NS0_5tupleIJNSA_16discard_iteratorINSA_11use_defaultEEES6_EEENSJ_IJSG_SG_EEENS0_18inequality_wrapperINSA_8equal_toIiEEEEPmJS6_EEE10hipError_tPvRmT3_T4_T5_T6_T7_T9_mT8_P12ihipStream_tbDpT10_ENKUlT_T0_E_clISt17integral_constantIbLb0EES1D_EEDaS18_S19_EUlS18_E_NS1_11comp_targetILNS1_3genE2ELNS1_11target_archE906ELNS1_3gpuE6ELNS1_3repE0EEENS1_30default_config_static_selectorELNS0_4arch9wavefront6targetE1EEEvT1_: ; @_ZN7rocprim17ROCPRIM_400000_NS6detail17trampoline_kernelINS0_14default_configENS1_25partition_config_selectorILNS1_17partition_subalgoE8EiNS0_10empty_typeEbEEZZNS1_14partition_implILS5_8ELb0ES3_jN6thrust23THRUST_200600_302600_NS6detail15normal_iteratorINSA_10device_ptrIiEEEEPS6_PKS6_NS0_5tupleIJNSA_16discard_iteratorINSA_11use_defaultEEES6_EEENSJ_IJSG_SG_EEENS0_18inequality_wrapperINSA_8equal_toIiEEEEPmJS6_EEE10hipError_tPvRmT3_T4_T5_T6_T7_T9_mT8_P12ihipStream_tbDpT10_ENKUlT_T0_E_clISt17integral_constantIbLb0EES1D_EEDaS18_S19_EUlS18_E_NS1_11comp_targetILNS1_3genE2ELNS1_11target_archE906ELNS1_3gpuE6ELNS1_3repE0EEENS1_30default_config_static_selectorELNS0_4arch9wavefront6targetE1EEEvT1_
; %bb.0:
	s_load_dwordx4 s[0:3], s[4:5], 0x8
	s_load_dwordx4 s[36:39], s[4:5], 0x48
	s_load_dwordx2 s[10:11], s[4:5], 0x58
	s_load_dword s13, s[4:5], 0x70
	v_lshrrev_b32_e32 v18, 3, v0
	s_waitcnt lgkmcnt(0)
	s_lshl_b64 s[8:9], s[2:3], 2
	s_add_u32 s14, s0, s8
	s_addc_u32 s15, s1, s9
	s_add_i32 s8, s13, -1
	s_lshl_b32 s0, s8, 12
	s_lshl_b32 s12, s6, 12
	s_add_i32 s7, s2, s0
	s_lshl_b32 s0, s13, 12
	s_add_u32 s0, s2, s0
	s_addc_u32 s1, s3, 0
	v_mov_b32_e32 v2, s1
	v_mov_b32_e32 v1, s0
	v_cmp_le_u64_e32 vcc, s[10:11], v[1:2]
	s_cmp_eq_u32 s6, s8
	s_load_dwordx2 s[38:39], s[38:39], 0x0
	s_cselect_b64 s[40:41], -1, 0
	s_mov_b32 s13, 0
	s_and_b64 s[42:43], s[40:41], vcc
	s_xor_b64 s[8:9], s[42:43], -1
	s_lshl_b64 s[12:13], s[12:13], 2
	s_add_u32 s11, s14, s12
	s_mov_b64 s[0:1], -1
	s_addc_u32 s12, s15, s13
	s_and_b64 vcc, exec, s[8:9]
	s_cbranch_vccz .LBB665_2
; %bb.1:
	v_lshlrev_b32_e32 v5, 2, v0
	v_mov_b32_e32 v2, s12
	v_add_co_u32_e32 v1, vcc, s11, v5
	v_addc_co_u32_e32 v2, vcc, 0, v2, vcc
	v_add_co_u32_e32 v3, vcc, 0x1000, v1
	v_addc_co_u32_e32 v4, vcc, 0, v2, vcc
	flat_load_dword v6, v[1:2]
	flat_load_dword v7, v[1:2] offset:1024
	flat_load_dword v8, v[1:2] offset:2048
	;; [unrolled: 1-line block ×3, first 2 shown]
	flat_load_dword v10, v[3:4]
	flat_load_dword v11, v[3:4] offset:1024
	flat_load_dword v12, v[3:4] offset:2048
	;; [unrolled: 1-line block ×3, first 2 shown]
	v_add_co_u32_e32 v3, vcc, 0x2000, v1
	v_addc_co_u32_e32 v4, vcc, 0, v2, vcc
	flat_load_dword v14, v[3:4]
	flat_load_dword v15, v[3:4] offset:1024
	flat_load_dword v16, v[3:4] offset:2048
	;; [unrolled: 1-line block ×3, first 2 shown]
	v_add_co_u32_e32 v1, vcc, 0x3000, v1
	v_addc_co_u32_e32 v2, vcc, 0, v2, vcc
	flat_load_dword v3, v[1:2]
	flat_load_dword v4, v[1:2] offset:1024
	flat_load_dword v19, v[1:2] offset:2048
	flat_load_dword v20, v[1:2] offset:3072
	v_or_b32_e32 v2, 0x100, v0
	v_or_b32_e32 v21, 0x200, v0
	;; [unrolled: 1-line block ×9, first 2 shown]
	v_and_b32_e32 v1, 28, v18
	v_lshrrev_b32_e32 v2, 3, v2
	v_lshrrev_b32_e32 v21, 3, v21
	;; [unrolled: 1-line block ×9, first 2 shown]
	v_or_b32_e32 v29, 0xa00, v0
	v_add_u32_e32 v1, v1, v5
	v_and_b32_e32 v2, 60, v2
	v_and_b32_e32 v21, 0x5c, v21
	v_and_b32_e32 v22, 0x7c, v22
	v_and_b32_e32 v23, 0x9c, v23
	v_and_b32_e32 v24, 0xbc, v24
	v_and_b32_e32 v25, 0xdc, v25
	v_and_b32_e32 v26, 0xfc, v26
	v_and_b32_e32 v27, 0x11c, v27
	v_and_b32_e32 v28, 0x13c, v28
	v_add_u32_e32 v2, v2, v5
	v_add_u32_e32 v21, v21, v5
	;; [unrolled: 1-line block ×9, first 2 shown]
	s_mov_b64 s[0:1], 0
	s_waitcnt vmcnt(0) lgkmcnt(0)
	ds_write_b32 v1, v6
	ds_write_b32 v2, v7 offset:1024
	ds_write_b32 v21, v8 offset:2048
	ds_write_b32 v22, v9 offset:3072
	ds_write_b32 v23, v10 offset:4096
	ds_write_b32 v24, v11 offset:5120
	ds_write_b32 v25, v12 offset:6144
	ds_write_b32 v26, v13 offset:7168
	ds_write_b32 v27, v14 offset:8192
	ds_write_b32 v28, v15 offset:9216
	v_lshrrev_b32_e32 v1, 3, v29
	v_and_b32_e32 v1, 0x15c, v1
	v_add_u32_e32 v1, v1, v5
	ds_write_b32 v1, v16 offset:10240
	v_or_b32_e32 v1, 0xb00, v0
	v_lshrrev_b32_e32 v1, 3, v1
	v_and_b32_e32 v1, 0x17c, v1
	v_add_u32_e32 v1, v1, v5
	ds_write_b32 v1, v17 offset:11264
	v_or_b32_e32 v1, 0xc00, v0
	;; [unrolled: 5-line block ×5, first 2 shown]
	v_lshrrev_b32_e32 v1, 3, v1
	v_and_b32_e32 v1, 0x1fc, v1
	v_add_u32_e32 v1, v1, v5
	ds_write_b32 v1, v20 offset:15360
	s_waitcnt lgkmcnt(0)
	s_barrier
.LBB665_2:
	s_andn2_b64 vcc, exec, s[0:1]
	s_sub_i32 s7, s10, s7
	s_cbranch_vccnz .LBB665_36
; %bb.3:
	v_mov_b32_e32 v1, 0
	v_cmp_gt_u32_e32 vcc, s7, v0
	v_mov_b32_e32 v2, v1
	v_mov_b32_e32 v3, v1
	;; [unrolled: 1-line block ×15, first 2 shown]
	s_and_saveexec_b64 s[0:1], vcc
	s_cbranch_execz .LBB665_5
; %bb.4:
	v_lshlrev_b32_e32 v2, 2, v0
	v_mov_b32_e32 v3, s12
	v_add_co_u32_e32 v2, vcc, s11, v2
	v_addc_co_u32_e32 v3, vcc, 0, v3, vcc
	flat_load_dword v2, v[2:3]
	v_mov_b32_e32 v3, v1
	v_mov_b32_e32 v4, v1
	;; [unrolled: 1-line block ×15, first 2 shown]
	s_waitcnt vmcnt(0) lgkmcnt(0)
	v_mov_b32_e32 v1, v2
	v_mov_b32_e32 v2, v3
	;; [unrolled: 1-line block ×16, first 2 shown]
.LBB665_5:
	s_or_b64 exec, exec, s[0:1]
	v_or_b32_e32 v17, 0x100, v0
	v_cmp_gt_u32_e32 vcc, s7, v17
	s_and_saveexec_b64 s[0:1], vcc
	s_cbranch_execz .LBB665_7
; %bb.6:
	v_lshlrev_b32_e32 v2, 2, v0
	v_mov_b32_e32 v20, s12
	v_add_co_u32_e32 v19, vcc, s11, v2
	v_addc_co_u32_e32 v20, vcc, 0, v20, vcc
	flat_load_dword v2, v[19:20] offset:1024
.LBB665_7:
	s_or_b64 exec, exec, s[0:1]
	v_or_b32_e32 v19, 0x200, v0
	v_cmp_gt_u32_e32 vcc, s7, v19
	s_and_saveexec_b64 s[0:1], vcc
	s_cbranch_execz .LBB665_9
; %bb.8:
	v_lshlrev_b32_e32 v3, 2, v0
	v_mov_b32_e32 v21, s12
	v_add_co_u32_e32 v20, vcc, s11, v3
	v_addc_co_u32_e32 v21, vcc, 0, v21, vcc
	flat_load_dword v3, v[20:21] offset:2048
.LBB665_9:
	;; [unrolled: 12-line block ×3, first 2 shown]
	s_or_b64 exec, exec, s[0:1]
	v_or_b32_e32 v21, 0x400, v0
	v_cmp_gt_u32_e32 vcc, s7, v21
	s_and_saveexec_b64 s[0:1], vcc
	s_cbranch_execz .LBB665_13
; %bb.12:
	v_lshlrev_b32_e32 v5, 2, v21
	v_mov_b32_e32 v23, s12
	v_add_co_u32_e32 v22, vcc, s11, v5
	v_addc_co_u32_e32 v23, vcc, 0, v23, vcc
	flat_load_dword v5, v[22:23]
.LBB665_13:
	s_or_b64 exec, exec, s[0:1]
	v_or_b32_e32 v22, 0x500, v0
	v_cmp_gt_u32_e32 vcc, s7, v22
	s_and_saveexec_b64 s[0:1], vcc
	s_cbranch_execz .LBB665_15
; %bb.14:
	v_lshlrev_b32_e32 v6, 2, v22
	v_mov_b32_e32 v24, s12
	v_add_co_u32_e32 v23, vcc, s11, v6
	v_addc_co_u32_e32 v24, vcc, 0, v24, vcc
	flat_load_dword v6, v[23:24]
.LBB665_15:
	;; [unrolled: 12-line block ×12, first 2 shown]
	s_or_b64 exec, exec, s[0:1]
	v_and_b32_e32 v18, 28, v18
	v_lshlrev_b32_e32 v33, 2, v0
	v_add_u32_e32 v18, v18, v33
	ds_write_b32 v18, v1
	v_lshrrev_b32_e32 v1, 3, v17
	v_and_b32_e32 v1, 60, v1
	v_add_u32_e32 v1, v1, v33
	s_waitcnt vmcnt(0) lgkmcnt(0)
	ds_write_b32 v1, v2 offset:1024
	v_lshrrev_b32_e32 v1, 3, v19
	v_and_b32_e32 v1, 0x7c, v1
	v_add_u32_e32 v1, v1, v33
	ds_write_b32 v1, v3 offset:2048
	v_lshrrev_b32_e32 v1, 3, v20
	v_and_b32_e32 v1, 0x7c, v1
	v_add_u32_e32 v1, v1, v33
	;; [unrolled: 4-line block ×14, first 2 shown]
	ds_write_b32 v1, v16 offset:15360
	s_waitcnt lgkmcnt(0)
	s_barrier
.LBB665_36:
	v_lshlrev_b32_e32 v1, 1, v0
	v_and_b32_e32 v1, 0x1fc, v1
	v_lshl_add_u32 v1, v0, 6, v1
	s_waitcnt lgkmcnt(0)
	ds_read2_b32 v[15:16], v1 offset1:1
	ds_read2_b32 v[13:14], v1 offset0:2 offset1:3
	ds_read2_b32 v[11:12], v1 offset0:4 offset1:5
	;; [unrolled: 1-line block ×7, first 2 shown]
	s_cmp_lg_u32 s6, 0
	s_cselect_b64 s[44:45], -1, 0
	s_cmp_lg_u64 s[2:3], 0
	s_cselect_b64 s[0:1], -1, 0
	s_or_b64 s[0:1], s[44:45], s[0:1]
	v_lshlrev_b32_e32 v17, 4, v0
	s_mov_b64 s[48:49], 0
	s_and_b64 vcc, exec, s[0:1]
	s_waitcnt lgkmcnt(0)
	s_barrier
	s_cbranch_vccz .LBB665_41
; %bb.37:
	v_mov_b32_e32 v19, s12
	v_add_co_u32_e64 v18, vcc, -4, s11
	v_addc_co_u32_e32 v19, vcc, -1, v19, vcc
	flat_load_dword v18, v[18:19]
	v_lshlrev_b32_e32 v19, 2, v0
	s_and_b64 vcc, exec, s[8:9]
	ds_write_b32 v19, v2
	s_cbranch_vccz .LBB665_42
; %bb.38:
	v_cmp_ne_u32_e32 vcc, 0, v0
	s_waitcnt vmcnt(0) lgkmcnt(0)
	v_mov_b32_e32 v20, v18
	s_barrier
	s_and_saveexec_b64 s[0:1], vcc
; %bb.39:
	v_add_u32_e32 v20, -4, v19
	ds_read_b32 v20, v20
; %bb.40:
	s_or_b64 exec, exec, s[0:1]
	v_cmp_ne_u32_e32 vcc, v1, v2
	v_cndmask_b32_e64 v27, 0, 1, vcc
	v_cmp_ne_u32_e32 vcc, v4, v1
	v_cndmask_b32_e64 v28, 0, 1, vcc
	;; [unrolled: 2-line block ×15, first 2 shown]
	s_waitcnt lgkmcnt(0)
	v_cmp_ne_u32_e64 s[46:47], v20, v15
	s_branch .LBB665_46
.LBB665_41:
                                        ; implicit-def: $sgpr46_sgpr47
                                        ; implicit-def: $vgpr27
                                        ; implicit-def: $vgpr28
                                        ; implicit-def: $vgpr29
                                        ; implicit-def: $vgpr30
                                        ; implicit-def: $vgpr31
                                        ; implicit-def: $vgpr32
                                        ; implicit-def: $vgpr33
                                        ; implicit-def: $vgpr34
                                        ; implicit-def: $vgpr35
                                        ; implicit-def: $vgpr41
                                        ; implicit-def: $vgpr40
                                        ; implicit-def: $vgpr39
                                        ; implicit-def: $vgpr38
                                        ; implicit-def: $vgpr37
                                        ; implicit-def: $vgpr36
	s_branch .LBB665_47
.LBB665_42:
                                        ; implicit-def: $sgpr46_sgpr47
                                        ; implicit-def: $vgpr27
                                        ; implicit-def: $vgpr28
                                        ; implicit-def: $vgpr29
                                        ; implicit-def: $vgpr30
                                        ; implicit-def: $vgpr31
                                        ; implicit-def: $vgpr32
                                        ; implicit-def: $vgpr33
                                        ; implicit-def: $vgpr34
                                        ; implicit-def: $vgpr35
                                        ; implicit-def: $vgpr41
                                        ; implicit-def: $vgpr40
                                        ; implicit-def: $vgpr39
                                        ; implicit-def: $vgpr38
                                        ; implicit-def: $vgpr37
                                        ; implicit-def: $vgpr36
	s_cbranch_execz .LBB665_46
; %bb.43:
	v_cmp_ne_u32_e32 vcc, 0, v0
	s_waitcnt vmcnt(0) lgkmcnt(0)
	s_barrier
	s_and_saveexec_b64 s[0:1], vcc
; %bb.44:
	v_add_u32_e32 v18, -4, v19
	ds_read_b32 v18, v18
; %bb.45:
	s_or_b64 exec, exec, s[0:1]
	v_or_b32_e32 v19, 15, v17
	v_cmp_gt_u32_e32 vcc, s7, v19
	v_cmp_ne_u32_e64 s[0:1], v1, v2
	s_and_b64 s[0:1], vcc, s[0:1]
	v_or_b32_e32 v19, 14, v17
	v_cndmask_b32_e64 v27, 0, 1, s[0:1]
	v_cmp_gt_u32_e32 vcc, s7, v19
	v_cmp_ne_u32_e64 s[0:1], v4, v1
	s_and_b64 s[0:1], vcc, s[0:1]
	v_or_b32_e32 v19, 13, v17
	v_cndmask_b32_e64 v28, 0, 1, s[0:1]
	;; [unrolled: 5-line block ×14, first 2 shown]
	v_cmp_gt_u32_e32 vcc, s7, v19
	v_cmp_ne_u32_e64 s[0:1], v15, v16
	s_and_b64 s[0:1], vcc, s[0:1]
	v_cndmask_b32_e64 v41, 0, 1, s[0:1]
	v_cmp_gt_u32_e32 vcc, s7, v17
	s_waitcnt lgkmcnt(0)
	v_cmp_ne_u32_e64 s[0:1], v18, v15
	s_and_b64 s[46:47], vcc, s[0:1]
.LBB665_46:
	s_mov_b64 s[48:49], -1
	s_cbranch_execnz .LBB665_55
.LBB665_47:
	s_waitcnt vmcnt(0) lgkmcnt(0)
	v_lshlrev_b32_e32 v18, 2, v0
	s_and_b64 vcc, exec, s[8:9]
	v_cmp_ne_u32_e64 s[0:1], v1, v2
	v_cmp_ne_u32_e64 s[2:3], v4, v1
	;; [unrolled: 1-line block ×15, first 2 shown]
	ds_write_b32 v18, v2
	s_cbranch_vccz .LBB665_51
; %bb.48:
	v_cmp_ne_u32_e32 vcc, 0, v0
	s_waitcnt lgkmcnt(0)
	s_barrier
                                        ; implicit-def: $sgpr46_sgpr47
	s_and_saveexec_b64 s[50:51], vcc
	s_xor_b64 s[50:51], exec, s[50:51]
	s_cbranch_execz .LBB665_50
; %bb.49:
	v_add_u32_e32 v19, -4, v18
	ds_read_b32 v19, v19
	s_or_b64 s[48:49], s[48:49], exec
	s_waitcnt lgkmcnt(0)
	v_cmp_ne_u32_e64 s[46:47], v19, v15
.LBB665_50:
	s_or_b64 exec, exec, s[50:51]
	v_cndmask_b32_e64 v27, 0, 1, s[0:1]
	v_cndmask_b32_e64 v28, 0, 1, s[2:3]
	;; [unrolled: 1-line block ×15, first 2 shown]
	s_branch .LBB665_55
.LBB665_51:
                                        ; implicit-def: $sgpr46_sgpr47
                                        ; implicit-def: $vgpr27
                                        ; implicit-def: $vgpr28
                                        ; implicit-def: $vgpr29
                                        ; implicit-def: $vgpr30
                                        ; implicit-def: $vgpr31
                                        ; implicit-def: $vgpr32
                                        ; implicit-def: $vgpr33
                                        ; implicit-def: $vgpr34
                                        ; implicit-def: $vgpr35
                                        ; implicit-def: $vgpr41
                                        ; implicit-def: $vgpr40
                                        ; implicit-def: $vgpr39
                                        ; implicit-def: $vgpr38
                                        ; implicit-def: $vgpr37
                                        ; implicit-def: $vgpr36
	s_cbranch_execz .LBB665_55
; %bb.52:
	v_or_b32_e32 v19, 15, v17
	v_cmp_gt_u32_e32 vcc, s7, v19
	v_cmp_ne_u32_e64 s[0:1], v1, v2
	v_or_b32_e32 v19, 14, v17
	s_and_b64 s[2:3], vcc, s[0:1]
	v_cmp_gt_u32_e32 vcc, s7, v19
	v_cmp_ne_u32_e64 s[0:1], v4, v1
	v_or_b32_e32 v19, 13, v17
	s_and_b64 s[8:9], vcc, s[0:1]
	;; [unrolled: 4-line block ×14, first 2 shown]
	v_cmp_gt_u32_e32 vcc, s7, v19
	v_cmp_ne_u32_e64 s[0:1], v15, v16
	s_and_b64 s[50:51], vcc, s[0:1]
	v_cmp_ne_u32_e32 vcc, 0, v0
	s_waitcnt lgkmcnt(0)
	s_barrier
                                        ; implicit-def: $sgpr46_sgpr47
	s_and_saveexec_b64 s[52:53], vcc
	s_cbranch_execz .LBB665_54
; %bb.53:
	v_add_u32_e32 v18, -4, v18
	ds_read_b32 v18, v18
	v_cmp_gt_u32_e32 vcc, s7, v17
	s_or_b64 s[48:49], s[48:49], exec
	s_waitcnt lgkmcnt(0)
	v_cmp_ne_u32_e64 s[0:1], v18, v15
	s_and_b64 s[46:47], vcc, s[0:1]
.LBB665_54:
	s_or_b64 exec, exec, s[52:53]
	v_cndmask_b32_e64 v27, 0, 1, s[2:3]
	v_cndmask_b32_e64 v28, 0, 1, s[8:9]
	;; [unrolled: 1-line block ×15, first 2 shown]
.LBB665_55:
	v_mov_b32_e32 v45, 1
	s_and_saveexec_b64 s[0:1], s[48:49]
; %bb.56:
	v_cndmask_b32_e64 v45, 0, 1, s[46:47]
; %bb.57:
	s_or_b64 exec, exec, s[0:1]
	s_load_dwordx2 s[20:21], s[4:5], 0x68
	s_andn2_b64 vcc, exec, s[42:43]
	s_cbranch_vccnz .LBB665_59
; %bb.58:
	v_cmp_gt_u32_e32 vcc, s7, v17
	s_waitcnt vmcnt(0) lgkmcnt(0)
	v_or_b32_e32 v18, 1, v17
	v_cndmask_b32_e32 v45, 0, v45, vcc
	v_cmp_gt_u32_e32 vcc, s7, v18
	v_or_b32_e32 v18, 2, v17
	v_cndmask_b32_e32 v41, 0, v41, vcc
	v_cmp_gt_u32_e32 vcc, s7, v18
	;; [unrolled: 3-line block ×15, first 2 shown]
	v_cndmask_b32_e32 v27, 0, v27, vcc
.LBB665_59:
	v_and_b32_e32 v52, 0xff, v39
	v_and_b32_e32 v51, 0xff, v38
	s_waitcnt vmcnt(0) lgkmcnt(0)
	v_add_u32_sdwa v18, v37, v36 dst_sel:DWORD dst_unused:UNUSED_PAD src0_sel:BYTE_0 src1_sel:BYTE_0
	v_and_b32_e32 v54, 0xff, v41
	v_and_b32_e32 v53, 0xff, v40
	v_add3_u32 v18, v18, v51, v52
	v_and_b32_e32 v55, 0xffff, v45
	v_and_b32_e32 v50, 0xff, v35
	v_add3_u32 v18, v18, v53, v54
	;; [unrolled: 3-line block ×6, first 2 shown]
	v_add3_u32 v58, v18, v42, v17
	v_mbcnt_lo_u32_b32 v17, -1, 0
	v_mbcnt_hi_u32_b32 v56, -1, v17
	v_and_b32_e32 v17, 15, v56
	v_cmp_eq_u32_e64 s[12:13], 0, v17
	v_cmp_lt_u32_e64 s[10:11], 1, v17
	v_cmp_lt_u32_e64 s[8:9], 3, v17
	;; [unrolled: 1-line block ×3, first 2 shown]
	v_and_b32_e32 v17, 16, v56
	v_cmp_eq_u32_e64 s[4:5], 0, v17
	v_or_b32_e32 v17, 63, v0
	v_cmp_lt_u32_e64 s[0:1], 31, v56
	v_lshrrev_b32_e32 v57, 6, v0
	v_cmp_eq_u32_e64 s[2:3], v0, v17
	s_and_b64 vcc, exec, s[44:45]
	s_barrier
	s_cbranch_vccz .LBB665_81
; %bb.60:
	v_mov_b32_dpp v17, v58 row_shr:1 row_mask:0xf bank_mask:0xf
	v_cndmask_b32_e64 v17, v17, 0, s[12:13]
	v_add_u32_e32 v17, v17, v58
	s_nop 1
	v_mov_b32_dpp v18, v17 row_shr:2 row_mask:0xf bank_mask:0xf
	v_cndmask_b32_e64 v18, 0, v18, s[10:11]
	v_add_u32_e32 v17, v17, v18
	s_nop 1
	;; [unrolled: 4-line block ×4, first 2 shown]
	v_mov_b32_dpp v18, v17 row_bcast:15 row_mask:0xf bank_mask:0xf
	v_cndmask_b32_e64 v18, v18, 0, s[4:5]
	v_add_u32_e32 v17, v17, v18
	s_nop 1
	v_mov_b32_dpp v18, v17 row_bcast:31 row_mask:0xf bank_mask:0xf
	v_cndmask_b32_e64 v18, 0, v18, s[0:1]
	v_add_u32_e32 v17, v17, v18
	s_and_saveexec_b64 s[14:15], s[2:3]
; %bb.61:
	v_lshlrev_b32_e32 v18, 2, v57
	ds_write_b32 v18, v17
; %bb.62:
	s_or_b64 exec, exec, s[14:15]
	v_cmp_gt_u32_e32 vcc, 4, v0
	s_waitcnt lgkmcnt(0)
	s_barrier
	s_and_saveexec_b64 s[14:15], vcc
	s_cbranch_execz .LBB665_64
; %bb.63:
	v_lshlrev_b32_e32 v18, 2, v0
	ds_read_b32 v19, v18
	v_and_b32_e32 v20, 3, v56
	v_cmp_ne_u32_e32 vcc, 0, v20
	s_waitcnt lgkmcnt(0)
	v_mov_b32_dpp v21, v19 row_shr:1 row_mask:0xf bank_mask:0xf
	v_cndmask_b32_e32 v21, 0, v21, vcc
	v_add_u32_e32 v19, v21, v19
	v_cmp_lt_u32_e32 vcc, 1, v20
	s_nop 0
	v_mov_b32_dpp v21, v19 row_shr:2 row_mask:0xf bank_mask:0xf
	v_cndmask_b32_e32 v20, 0, v21, vcc
	v_add_u32_e32 v19, v19, v20
	ds_write_b32 v18, v19
.LBB665_64:
	s_or_b64 exec, exec, s[14:15]
	v_cmp_gt_u32_e32 vcc, 64, v0
	v_cmp_lt_u32_e64 s[14:15], 63, v0
	s_waitcnt lgkmcnt(0)
	s_barrier
                                        ; implicit-def: $vgpr59
	s_and_saveexec_b64 s[18:19], s[14:15]
	s_cbranch_execz .LBB665_66
; %bb.65:
	v_lshl_add_u32 v18, v57, 2, -4
	ds_read_b32 v59, v18
	s_waitcnt lgkmcnt(0)
	v_add_u32_e32 v17, v59, v17
.LBB665_66:
	s_or_b64 exec, exec, s[18:19]
	v_subrev_co_u32_e64 v18, s[14:15], 1, v56
	v_and_b32_e32 v19, 64, v56
	v_cmp_lt_i32_e64 s[18:19], v18, v19
	v_cndmask_b32_e64 v18, v18, v56, s[18:19]
	v_lshlrev_b32_e32 v18, 2, v18
	ds_bpermute_b32 v60, v18, v17
	s_and_saveexec_b64 s[18:19], vcc
	s_cbranch_execz .LBB665_86
; %bb.67:
	v_mov_b32_e32 v23, 0
	ds_read_b32 v17, v23 offset:12
	s_and_saveexec_b64 s[22:23], s[14:15]
	s_cbranch_execz .LBB665_69
; %bb.68:
	s_add_i32 s24, s6, 64
	s_mov_b32 s25, 0
	s_lshl_b64 s[24:25], s[24:25], 3
	s_add_u32 s24, s20, s24
	v_mov_b32_e32 v18, 1
	s_addc_u32 s25, s21, s25
	s_waitcnt lgkmcnt(0)
	global_store_dwordx2 v23, v[17:18], s[24:25]
.LBB665_69:
	s_or_b64 exec, exec, s[22:23]
	v_xad_u32 v19, v56, -1, s6
	v_add_u32_e32 v22, 64, v19
	v_lshlrev_b64 v[20:21], 3, v[22:23]
	v_mov_b32_e32 v18, s21
	v_add_co_u32_e32 v24, vcc, s20, v20
	v_addc_co_u32_e32 v25, vcc, v18, v21, vcc
	global_load_dwordx2 v[21:22], v[24:25], off glc
	s_waitcnt vmcnt(0)
	v_cmp_eq_u16_sdwa s[24:25], v22, v23 src0_sel:BYTE_0 src1_sel:DWORD
	s_and_saveexec_b64 s[22:23], s[24:25]
	s_cbranch_execz .LBB665_73
; %bb.70:
	s_mov_b64 s[24:25], 0
	v_mov_b32_e32 v18, 0
.LBB665_71:                             ; =>This Inner Loop Header: Depth=1
	global_load_dwordx2 v[21:22], v[24:25], off glc
	s_waitcnt vmcnt(0)
	v_cmp_ne_u16_sdwa s[26:27], v22, v18 src0_sel:BYTE_0 src1_sel:DWORD
	s_or_b64 s[24:25], s[26:27], s[24:25]
	s_andn2_b64 exec, exec, s[24:25]
	s_cbranch_execnz .LBB665_71
; %bb.72:
	s_or_b64 exec, exec, s[24:25]
.LBB665_73:
	s_or_b64 exec, exec, s[22:23]
	v_and_b32_e32 v62, 63, v56
	v_mov_b32_e32 v61, 2
	v_lshlrev_b64 v[23:24], v56, -1
	v_cmp_ne_u32_e32 vcc, 63, v62
	v_cmp_eq_u16_sdwa s[22:23], v22, v61 src0_sel:BYTE_0 src1_sel:DWORD
	v_addc_co_u32_e32 v25, vcc, 0, v56, vcc
	v_and_b32_e32 v18, s23, v24
	v_lshlrev_b32_e32 v63, 2, v25
	v_or_b32_e32 v18, 0x80000000, v18
	ds_bpermute_b32 v25, v63, v21
	v_and_b32_e32 v20, s22, v23
	v_ffbl_b32_e32 v18, v18
	v_add_u32_e32 v18, 32, v18
	v_ffbl_b32_e32 v20, v20
	v_min_u32_e32 v18, v20, v18
	v_cmp_lt_u32_e32 vcc, v62, v18
	s_waitcnt lgkmcnt(0)
	v_cndmask_b32_e32 v20, 0, v25, vcc
	v_cmp_gt_u32_e32 vcc, 62, v62
	v_add_u32_e32 v20, v20, v21
	v_cndmask_b32_e64 v21, 0, 2, vcc
	v_add_lshl_u32 v64, v21, v56, 2
	ds_bpermute_b32 v21, v64, v20
	v_add_u32_e32 v65, 2, v62
	v_cmp_le_u32_e32 vcc, v65, v18
	v_add_u32_e32 v67, 4, v62
	v_add_u32_e32 v69, 8, v62
	s_waitcnt lgkmcnt(0)
	v_cndmask_b32_e32 v21, 0, v21, vcc
	v_cmp_gt_u32_e32 vcc, 60, v62
	v_add_u32_e32 v20, v20, v21
	v_cndmask_b32_e64 v21, 0, 4, vcc
	v_add_lshl_u32 v66, v21, v56, 2
	ds_bpermute_b32 v21, v66, v20
	v_cmp_le_u32_e32 vcc, v67, v18
	v_add_u32_e32 v71, 16, v62
	v_add_u32_e32 v73, 32, v62
	s_waitcnt lgkmcnt(0)
	v_cndmask_b32_e32 v21, 0, v21, vcc
	v_cmp_gt_u32_e32 vcc, 56, v62
	v_add_u32_e32 v20, v20, v21
	v_cndmask_b32_e64 v21, 0, 8, vcc
	v_add_lshl_u32 v68, v21, v56, 2
	ds_bpermute_b32 v21, v68, v20
	v_cmp_le_u32_e32 vcc, v69, v18
	s_waitcnt lgkmcnt(0)
	v_cndmask_b32_e32 v21, 0, v21, vcc
	v_cmp_gt_u32_e32 vcc, 48, v62
	v_add_u32_e32 v20, v20, v21
	v_cndmask_b32_e64 v21, 0, 16, vcc
	v_add_lshl_u32 v70, v21, v56, 2
	ds_bpermute_b32 v21, v70, v20
	v_cmp_le_u32_e32 vcc, v71, v18
	s_waitcnt lgkmcnt(0)
	v_cndmask_b32_e32 v21, 0, v21, vcc
	v_add_u32_e32 v20, v20, v21
	v_mov_b32_e32 v21, 0x80
	v_lshl_or_b32 v72, v56, 2, v21
	ds_bpermute_b32 v21, v72, v20
	v_cmp_le_u32_e32 vcc, v73, v18
	s_waitcnt lgkmcnt(0)
	v_cndmask_b32_e32 v18, 0, v21, vcc
	v_add_u32_e32 v21, v20, v18
	v_mov_b32_e32 v20, 0
	s_branch .LBB665_76
.LBB665_74:                             ;   in Loop: Header=BB665_76 Depth=1
	s_or_b64 exec, exec, s[22:23]
	v_cmp_eq_u16_sdwa s[22:23], v22, v61 src0_sel:BYTE_0 src1_sel:DWORD
	v_and_b32_e32 v25, s23, v24
	v_or_b32_e32 v25, 0x80000000, v25
	ds_bpermute_b32 v74, v63, v21
	v_and_b32_e32 v26, s22, v23
	v_ffbl_b32_e32 v25, v25
	v_add_u32_e32 v25, 32, v25
	v_ffbl_b32_e32 v26, v26
	v_min_u32_e32 v25, v26, v25
	v_cmp_lt_u32_e32 vcc, v62, v25
	s_waitcnt lgkmcnt(0)
	v_cndmask_b32_e32 v26, 0, v74, vcc
	v_add_u32_e32 v21, v26, v21
	ds_bpermute_b32 v26, v64, v21
	v_cmp_le_u32_e32 vcc, v65, v25
	v_subrev_u32_e32 v19, 64, v19
	s_mov_b64 s[22:23], 0
	s_waitcnt lgkmcnt(0)
	v_cndmask_b32_e32 v26, 0, v26, vcc
	v_add_u32_e32 v21, v21, v26
	ds_bpermute_b32 v26, v66, v21
	v_cmp_le_u32_e32 vcc, v67, v25
	s_waitcnt lgkmcnt(0)
	v_cndmask_b32_e32 v26, 0, v26, vcc
	v_add_u32_e32 v21, v21, v26
	ds_bpermute_b32 v26, v68, v21
	v_cmp_le_u32_e32 vcc, v69, v25
	;; [unrolled: 5-line block ×4, first 2 shown]
	s_waitcnt lgkmcnt(0)
	v_cndmask_b32_e32 v25, 0, v26, vcc
	v_add3_u32 v21, v25, v18, v21
.LBB665_75:                             ;   in Loop: Header=BB665_76 Depth=1
	s_and_b64 vcc, exec, s[22:23]
	s_cbranch_vccnz .LBB665_82
.LBB665_76:                             ; =>This Loop Header: Depth=1
                                        ;     Child Loop BB665_79 Depth 2
	v_cmp_ne_u16_sdwa s[22:23], v22, v61 src0_sel:BYTE_0 src1_sel:DWORD
	v_mov_b32_e32 v18, v21
	s_cmp_lg_u64 s[22:23], exec
	s_mov_b64 s[22:23], -1
                                        ; implicit-def: $vgpr21
                                        ; implicit-def: $vgpr22
	s_cbranch_scc1 .LBB665_75
; %bb.77:                               ;   in Loop: Header=BB665_76 Depth=1
	v_lshlrev_b64 v[21:22], 3, v[19:20]
	v_mov_b32_e32 v26, s21
	v_add_co_u32_e32 v25, vcc, s20, v21
	v_addc_co_u32_e32 v26, vcc, v26, v22, vcc
	global_load_dwordx2 v[21:22], v[25:26], off glc
	s_waitcnt vmcnt(0)
	v_cmp_eq_u16_sdwa s[24:25], v22, v20 src0_sel:BYTE_0 src1_sel:DWORD
	s_and_saveexec_b64 s[22:23], s[24:25]
	s_cbranch_execz .LBB665_74
; %bb.78:                               ;   in Loop: Header=BB665_76 Depth=1
	s_mov_b64 s[24:25], 0
.LBB665_79:                             ;   Parent Loop BB665_76 Depth=1
                                        ; =>  This Inner Loop Header: Depth=2
	global_load_dwordx2 v[21:22], v[25:26], off glc
	s_waitcnt vmcnt(0)
	v_cmp_ne_u16_sdwa s[26:27], v22, v20 src0_sel:BYTE_0 src1_sel:DWORD
	s_or_b64 s[24:25], s[26:27], s[24:25]
	s_andn2_b64 exec, exec, s[24:25]
	s_cbranch_execnz .LBB665_79
; %bb.80:                               ;   in Loop: Header=BB665_76 Depth=1
	s_or_b64 exec, exec, s[24:25]
	s_branch .LBB665_74
.LBB665_81:
                                        ; implicit-def: $vgpr18
                                        ; implicit-def: $vgpr19
	s_cbranch_execnz .LBB665_87
	s_branch .LBB665_96
.LBB665_82:
	s_and_saveexec_b64 s[22:23], s[14:15]
	s_cbranch_execz .LBB665_84
; %bb.83:
	s_add_i32 s6, s6, 64
	s_mov_b32 s7, 0
	s_lshl_b64 s[6:7], s[6:7], 3
	s_add_u32 s6, s20, s6
	v_add_u32_e32 v19, v18, v17
	v_mov_b32_e32 v20, 2
	s_addc_u32 s7, s21, s7
	v_mov_b32_e32 v21, 0
	global_store_dwordx2 v21, v[19:20], s[6:7]
	ds_write_b64 v21, v[17:18] offset:16896
.LBB665_84:
	s_or_b64 exec, exec, s[22:23]
	v_cmp_eq_u32_e32 vcc, 0, v0
	s_and_b64 exec, exec, vcc
; %bb.85:
	v_mov_b32_e32 v17, 0
	ds_write_b32 v17, v18 offset:12
.LBB665_86:
	s_or_b64 exec, exec, s[18:19]
	v_mov_b32_e32 v17, 0
	s_waitcnt vmcnt(0) lgkmcnt(0)
	s_barrier
	ds_read_b32 v20, v17 offset:12
	s_waitcnt lgkmcnt(0)
	s_barrier
	ds_read_b64 v[17:18], v17 offset:16896
	v_cndmask_b32_e64 v19, v60, v59, s[14:15]
	v_cmp_ne_u32_e32 vcc, 0, v0
	v_cndmask_b32_e32 v19, 0, v19, vcc
	v_add_u32_e32 v19, v20, v19
	s_branch .LBB665_96
.LBB665_87:
	s_waitcnt lgkmcnt(0)
	v_mov_b32_dpp v17, v58 row_shr:1 row_mask:0xf bank_mask:0xf
	v_cndmask_b32_e64 v17, v17, 0, s[12:13]
	v_add_u32_e32 v17, v17, v58
	s_nop 1
	v_mov_b32_dpp v18, v17 row_shr:2 row_mask:0xf bank_mask:0xf
	v_cndmask_b32_e64 v18, 0, v18, s[10:11]
	v_add_u32_e32 v17, v17, v18
	s_nop 1
	;; [unrolled: 4-line block ×4, first 2 shown]
	v_mov_b32_dpp v18, v17 row_bcast:15 row_mask:0xf bank_mask:0xf
	v_cndmask_b32_e64 v18, v18, 0, s[4:5]
	v_add_u32_e32 v17, v17, v18
	s_nop 1
	v_mov_b32_dpp v18, v17 row_bcast:31 row_mask:0xf bank_mask:0xf
	v_cndmask_b32_e64 v18, 0, v18, s[0:1]
	v_add_u32_e32 v17, v17, v18
	s_and_saveexec_b64 s[0:1], s[2:3]
; %bb.88:
	v_lshlrev_b32_e32 v18, 2, v57
	ds_write_b32 v18, v17
; %bb.89:
	s_or_b64 exec, exec, s[0:1]
	v_cmp_gt_u32_e32 vcc, 4, v0
	s_waitcnt lgkmcnt(0)
	s_barrier
	s_and_saveexec_b64 s[0:1], vcc
	s_cbranch_execz .LBB665_91
; %bb.90:
	v_lshlrev_b32_e32 v18, 2, v0
	ds_read_b32 v19, v18
	v_and_b32_e32 v20, 3, v56
	v_cmp_ne_u32_e32 vcc, 0, v20
	s_waitcnt lgkmcnt(0)
	v_mov_b32_dpp v21, v19 row_shr:1 row_mask:0xf bank_mask:0xf
	v_cndmask_b32_e32 v21, 0, v21, vcc
	v_add_u32_e32 v19, v21, v19
	v_cmp_lt_u32_e32 vcc, 1, v20
	s_nop 0
	v_mov_b32_dpp v21, v19 row_shr:2 row_mask:0xf bank_mask:0xf
	v_cndmask_b32_e32 v20, 0, v21, vcc
	v_add_u32_e32 v19, v19, v20
	ds_write_b32 v18, v19
.LBB665_91:
	s_or_b64 exec, exec, s[0:1]
	v_cmp_lt_u32_e32 vcc, 63, v0
	v_mov_b32_e32 v18, 0
	v_mov_b32_e32 v19, 0
	s_waitcnt lgkmcnt(0)
	s_barrier
	s_and_saveexec_b64 s[0:1], vcc
; %bb.92:
	v_lshl_add_u32 v19, v57, 2, -4
	ds_read_b32 v19, v19
; %bb.93:
	s_or_b64 exec, exec, s[0:1]
	v_subrev_co_u32_e32 v20, vcc, 1, v56
	v_and_b32_e32 v21, 64, v56
	v_cmp_lt_i32_e64 s[0:1], v20, v21
	v_cndmask_b32_e64 v20, v20, v56, s[0:1]
	s_waitcnt lgkmcnt(0)
	v_add_u32_e32 v17, v19, v17
	v_lshlrev_b32_e32 v20, 2, v20
	ds_bpermute_b32 v20, v20, v17
	ds_read_b32 v17, v18 offset:12
	v_cmp_eq_u32_e64 s[0:1], 0, v0
	s_and_saveexec_b64 s[2:3], s[0:1]
	s_cbranch_execz .LBB665_95
; %bb.94:
	v_mov_b32_e32 v21, 0
	v_mov_b32_e32 v18, 2
	s_waitcnt lgkmcnt(0)
	global_store_dwordx2 v21, v[17:18], s[20:21] offset:512
.LBB665_95:
	s_or_b64 exec, exec, s[2:3]
	s_waitcnt lgkmcnt(1)
	v_cndmask_b32_e32 v18, v20, v19, vcc
	v_cndmask_b32_e64 v19, v18, 0, s[0:1]
	s_waitcnt vmcnt(0) lgkmcnt(0)
	s_barrier
	v_mov_b32_e32 v18, 0
.LBB665_96:
	s_movk_i32 s0, 0x101
	s_waitcnt lgkmcnt(0)
	v_cmp_gt_u32_e32 vcc, s0, v17
	s_cbranch_vccz .LBB665_99
; %bb.97:
	v_cmp_eq_u32_e32 vcc, 0, v0
	s_and_b64 s[0:1], vcc, s[40:41]
	s_and_saveexec_b64 s[2:3], s[0:1]
	s_cbranch_execnz .LBB665_132
.LBB665_98:
	s_endpgm
.LBB665_99:
	v_and_b32_e32 v20, 1, v45
	v_cmp_eq_u32_e32 vcc, 1, v20
	s_and_saveexec_b64 s[0:1], vcc
; %bb.100:
	v_sub_u32_e32 v20, v19, v18
	v_lshlrev_b32_e32 v20, 2, v20
	ds_write_b32 v20, v15
; %bb.101:
	s_or_b64 exec, exec, s[0:1]
	v_add_u32_e32 v15, v19, v55
	v_and_b32_e32 v19, 1, v41
	v_cmp_eq_u32_e32 vcc, 1, v19
	s_and_saveexec_b64 s[0:1], vcc
; %bb.102:
	v_sub_u32_e32 v19, v15, v18
	v_lshlrev_b32_e32 v19, 2, v19
	ds_write_b32 v19, v16
; %bb.103:
	s_or_b64 exec, exec, s[0:1]
	v_and_b32_e32 v16, 1, v40
	v_add_u32_e32 v15, v15, v54
	v_cmp_eq_u32_e32 vcc, 1, v16
	s_and_saveexec_b64 s[0:1], vcc
; %bb.104:
	v_sub_u32_e32 v16, v15, v18
	v_lshlrev_b32_e32 v16, 2, v16
	ds_write_b32 v16, v13
; %bb.105:
	s_or_b64 exec, exec, s[0:1]
	v_add_u32_e32 v13, v15, v53
	v_and_b32_e32 v15, 1, v39
	v_cmp_eq_u32_e32 vcc, 1, v15
	s_and_saveexec_b64 s[0:1], vcc
; %bb.106:
	v_sub_u32_e32 v15, v13, v18
	v_lshlrev_b32_e32 v15, 2, v15
	ds_write_b32 v15, v14
; %bb.107:
	s_or_b64 exec, exec, s[0:1]
	v_and_b32_e32 v14, 1, v38
	v_add_u32_e32 v13, v13, v52
	v_cmp_eq_u32_e32 vcc, 1, v14
	s_and_saveexec_b64 s[0:1], vcc
; %bb.108:
	v_sub_u32_e32 v14, v13, v18
	v_lshlrev_b32_e32 v14, 2, v14
	ds_write_b32 v14, v11
; %bb.109:
	s_or_b64 exec, exec, s[0:1]
	v_add_u32_e32 v11, v13, v51
	v_and_b32_e32 v13, 1, v37
	v_cmp_eq_u32_e32 vcc, 1, v13
	s_and_saveexec_b64 s[0:1], vcc
; %bb.110:
	v_sub_u32_e32 v13, v11, v18
	v_lshlrev_b32_e32 v13, 2, v13
	ds_write_b32 v13, v12
; %bb.111:
	s_or_b64 exec, exec, s[0:1]
	v_and_b32_e32 v12, 1, v36
	v_add_u32_sdwa v11, v11, v37 dst_sel:DWORD dst_unused:UNUSED_PAD src0_sel:DWORD src1_sel:BYTE_0
	v_cmp_eq_u32_e32 vcc, 1, v12
	s_and_saveexec_b64 s[0:1], vcc
; %bb.112:
	v_sub_u32_e32 v12, v11, v18
	v_lshlrev_b32_e32 v12, 2, v12
	ds_write_b32 v12, v9
; %bb.113:
	s_or_b64 exec, exec, s[0:1]
	v_add_u32_sdwa v9, v11, v36 dst_sel:DWORD dst_unused:UNUSED_PAD src0_sel:DWORD src1_sel:BYTE_0
	v_and_b32_e32 v11, 1, v35
	v_cmp_eq_u32_e32 vcc, 1, v11
	s_and_saveexec_b64 s[0:1], vcc
; %bb.114:
	v_sub_u32_e32 v11, v9, v18
	v_lshlrev_b32_e32 v11, 2, v11
	ds_write_b32 v11, v10
; %bb.115:
	s_or_b64 exec, exec, s[0:1]
	v_and_b32_e32 v10, 1, v34
	v_add_u32_e32 v9, v9, v50
	v_cmp_eq_u32_e32 vcc, 1, v10
	s_and_saveexec_b64 s[0:1], vcc
; %bb.116:
	v_sub_u32_e32 v10, v9, v18
	v_lshlrev_b32_e32 v10, 2, v10
	ds_write_b32 v10, v7
; %bb.117:
	s_or_b64 exec, exec, s[0:1]
	v_add_u32_e32 v7, v9, v49
	v_and_b32_e32 v9, 1, v33
	v_cmp_eq_u32_e32 vcc, 1, v9
	s_and_saveexec_b64 s[0:1], vcc
; %bb.118:
	v_sub_u32_e32 v9, v7, v18
	v_lshlrev_b32_e32 v9, 2, v9
	ds_write_b32 v9, v8
; %bb.119:
	s_or_b64 exec, exec, s[0:1]
	v_and_b32_e32 v8, 1, v32
	v_add_u32_e32 v7, v7, v48
	v_cmp_eq_u32_e32 vcc, 1, v8
	s_and_saveexec_b64 s[0:1], vcc
; %bb.120:
	v_sub_u32_e32 v8, v7, v18
	v_lshlrev_b32_e32 v8, 2, v8
	ds_write_b32 v8, v5
; %bb.121:
	s_or_b64 exec, exec, s[0:1]
	v_add_u32_e32 v5, v7, v47
	;; [unrolled: 20-line block ×3, first 2 shown]
	v_and_b32_e32 v5, 1, v29
	v_cmp_eq_u32_e32 vcc, 1, v5
	s_and_saveexec_b64 s[0:1], vcc
; %bb.126:
	v_sub_u32_e32 v5, v3, v18
	v_lshlrev_b32_e32 v5, 2, v5
	ds_write_b32 v5, v4
; %bb.127:
	s_or_b64 exec, exec, s[0:1]
	v_and_b32_e32 v4, 1, v28
	v_add_u32_e32 v3, v3, v43
	v_cmp_eq_u32_e32 vcc, 1, v4
	s_and_saveexec_b64 s[0:1], vcc
; %bb.128:
	v_sub_u32_e32 v4, v3, v18
	v_lshlrev_b32_e32 v4, 2, v4
	ds_write_b32 v4, v1
; %bb.129:
	s_or_b64 exec, exec, s[0:1]
	v_and_b32_e32 v1, 1, v27
	v_cmp_eq_u32_e32 vcc, 1, v1
	s_and_saveexec_b64 s[0:1], vcc
; %bb.130:
	v_sub_u32_e32 v1, v42, v18
	v_lshlrev_b32_e32 v3, 2, v3
	v_lshl_add_u32 v1, v1, 2, v3
	ds_write_b32 v1, v2
; %bb.131:
	s_or_b64 exec, exec, s[0:1]
	s_waitcnt lgkmcnt(0)
	s_barrier
	v_cmp_eq_u32_e32 vcc, 0, v0
	s_and_b64 s[0:1], vcc, s[40:41]
	s_and_saveexec_b64 s[2:3], s[0:1]
	s_cbranch_execz .LBB665_98
.LBB665_132:
	v_mov_b32_e32 v0, s39
	v_add_co_u32_e32 v1, vcc, s38, v17
	v_addc_co_u32_e32 v3, vcc, 0, v0, vcc
	v_add_co_u32_e32 v0, vcc, v1, v18
	v_mov_b32_e32 v2, 0
	v_addc_co_u32_e32 v1, vcc, 0, v3, vcc
	global_store_dwordx2 v2, v[0:1], s[36:37]
	s_endpgm
	.section	.rodata,"a",@progbits
	.p2align	6, 0x0
	.amdhsa_kernel _ZN7rocprim17ROCPRIM_400000_NS6detail17trampoline_kernelINS0_14default_configENS1_25partition_config_selectorILNS1_17partition_subalgoE8EiNS0_10empty_typeEbEEZZNS1_14partition_implILS5_8ELb0ES3_jN6thrust23THRUST_200600_302600_NS6detail15normal_iteratorINSA_10device_ptrIiEEEEPS6_PKS6_NS0_5tupleIJNSA_16discard_iteratorINSA_11use_defaultEEES6_EEENSJ_IJSG_SG_EEENS0_18inequality_wrapperINSA_8equal_toIiEEEEPmJS6_EEE10hipError_tPvRmT3_T4_T5_T6_T7_T9_mT8_P12ihipStream_tbDpT10_ENKUlT_T0_E_clISt17integral_constantIbLb0EES1D_EEDaS18_S19_EUlS18_E_NS1_11comp_targetILNS1_3genE2ELNS1_11target_archE906ELNS1_3gpuE6ELNS1_3repE0EEENS1_30default_config_static_selectorELNS0_4arch9wavefront6targetE1EEEvT1_
		.amdhsa_group_segment_fixed_size 16904
		.amdhsa_private_segment_fixed_size 0
		.amdhsa_kernarg_size 120
		.amdhsa_user_sgpr_count 6
		.amdhsa_user_sgpr_private_segment_buffer 1
		.amdhsa_user_sgpr_dispatch_ptr 0
		.amdhsa_user_sgpr_queue_ptr 0
		.amdhsa_user_sgpr_kernarg_segment_ptr 1
		.amdhsa_user_sgpr_dispatch_id 0
		.amdhsa_user_sgpr_flat_scratch_init 0
		.amdhsa_user_sgpr_private_segment_size 0
		.amdhsa_uses_dynamic_stack 0
		.amdhsa_system_sgpr_private_segment_wavefront_offset 0
		.amdhsa_system_sgpr_workgroup_id_x 1
		.amdhsa_system_sgpr_workgroup_id_y 0
		.amdhsa_system_sgpr_workgroup_id_z 0
		.amdhsa_system_sgpr_workgroup_info 0
		.amdhsa_system_vgpr_workitem_id 0
		.amdhsa_next_free_vgpr 75
		.amdhsa_next_free_sgpr 98
		.amdhsa_reserve_vcc 1
		.amdhsa_reserve_flat_scratch 0
		.amdhsa_float_round_mode_32 0
		.amdhsa_float_round_mode_16_64 0
		.amdhsa_float_denorm_mode_32 3
		.amdhsa_float_denorm_mode_16_64 3
		.amdhsa_dx10_clamp 1
		.amdhsa_ieee_mode 1
		.amdhsa_fp16_overflow 0
		.amdhsa_exception_fp_ieee_invalid_op 0
		.amdhsa_exception_fp_denorm_src 0
		.amdhsa_exception_fp_ieee_div_zero 0
		.amdhsa_exception_fp_ieee_overflow 0
		.amdhsa_exception_fp_ieee_underflow 0
		.amdhsa_exception_fp_ieee_inexact 0
		.amdhsa_exception_int_div_zero 0
	.end_amdhsa_kernel
	.section	.text._ZN7rocprim17ROCPRIM_400000_NS6detail17trampoline_kernelINS0_14default_configENS1_25partition_config_selectorILNS1_17partition_subalgoE8EiNS0_10empty_typeEbEEZZNS1_14partition_implILS5_8ELb0ES3_jN6thrust23THRUST_200600_302600_NS6detail15normal_iteratorINSA_10device_ptrIiEEEEPS6_PKS6_NS0_5tupleIJNSA_16discard_iteratorINSA_11use_defaultEEES6_EEENSJ_IJSG_SG_EEENS0_18inequality_wrapperINSA_8equal_toIiEEEEPmJS6_EEE10hipError_tPvRmT3_T4_T5_T6_T7_T9_mT8_P12ihipStream_tbDpT10_ENKUlT_T0_E_clISt17integral_constantIbLb0EES1D_EEDaS18_S19_EUlS18_E_NS1_11comp_targetILNS1_3genE2ELNS1_11target_archE906ELNS1_3gpuE6ELNS1_3repE0EEENS1_30default_config_static_selectorELNS0_4arch9wavefront6targetE1EEEvT1_,"axG",@progbits,_ZN7rocprim17ROCPRIM_400000_NS6detail17trampoline_kernelINS0_14default_configENS1_25partition_config_selectorILNS1_17partition_subalgoE8EiNS0_10empty_typeEbEEZZNS1_14partition_implILS5_8ELb0ES3_jN6thrust23THRUST_200600_302600_NS6detail15normal_iteratorINSA_10device_ptrIiEEEEPS6_PKS6_NS0_5tupleIJNSA_16discard_iteratorINSA_11use_defaultEEES6_EEENSJ_IJSG_SG_EEENS0_18inequality_wrapperINSA_8equal_toIiEEEEPmJS6_EEE10hipError_tPvRmT3_T4_T5_T6_T7_T9_mT8_P12ihipStream_tbDpT10_ENKUlT_T0_E_clISt17integral_constantIbLb0EES1D_EEDaS18_S19_EUlS18_E_NS1_11comp_targetILNS1_3genE2ELNS1_11target_archE906ELNS1_3gpuE6ELNS1_3repE0EEENS1_30default_config_static_selectorELNS0_4arch9wavefront6targetE1EEEvT1_,comdat
.Lfunc_end665:
	.size	_ZN7rocprim17ROCPRIM_400000_NS6detail17trampoline_kernelINS0_14default_configENS1_25partition_config_selectorILNS1_17partition_subalgoE8EiNS0_10empty_typeEbEEZZNS1_14partition_implILS5_8ELb0ES3_jN6thrust23THRUST_200600_302600_NS6detail15normal_iteratorINSA_10device_ptrIiEEEEPS6_PKS6_NS0_5tupleIJNSA_16discard_iteratorINSA_11use_defaultEEES6_EEENSJ_IJSG_SG_EEENS0_18inequality_wrapperINSA_8equal_toIiEEEEPmJS6_EEE10hipError_tPvRmT3_T4_T5_T6_T7_T9_mT8_P12ihipStream_tbDpT10_ENKUlT_T0_E_clISt17integral_constantIbLb0EES1D_EEDaS18_S19_EUlS18_E_NS1_11comp_targetILNS1_3genE2ELNS1_11target_archE906ELNS1_3gpuE6ELNS1_3repE0EEENS1_30default_config_static_selectorELNS0_4arch9wavefront6targetE1EEEvT1_, .Lfunc_end665-_ZN7rocprim17ROCPRIM_400000_NS6detail17trampoline_kernelINS0_14default_configENS1_25partition_config_selectorILNS1_17partition_subalgoE8EiNS0_10empty_typeEbEEZZNS1_14partition_implILS5_8ELb0ES3_jN6thrust23THRUST_200600_302600_NS6detail15normal_iteratorINSA_10device_ptrIiEEEEPS6_PKS6_NS0_5tupleIJNSA_16discard_iteratorINSA_11use_defaultEEES6_EEENSJ_IJSG_SG_EEENS0_18inequality_wrapperINSA_8equal_toIiEEEEPmJS6_EEE10hipError_tPvRmT3_T4_T5_T6_T7_T9_mT8_P12ihipStream_tbDpT10_ENKUlT_T0_E_clISt17integral_constantIbLb0EES1D_EEDaS18_S19_EUlS18_E_NS1_11comp_targetILNS1_3genE2ELNS1_11target_archE906ELNS1_3gpuE6ELNS1_3repE0EEENS1_30default_config_static_selectorELNS0_4arch9wavefront6targetE1EEEvT1_
                                        ; -- End function
	.set _ZN7rocprim17ROCPRIM_400000_NS6detail17trampoline_kernelINS0_14default_configENS1_25partition_config_selectorILNS1_17partition_subalgoE8EiNS0_10empty_typeEbEEZZNS1_14partition_implILS5_8ELb0ES3_jN6thrust23THRUST_200600_302600_NS6detail15normal_iteratorINSA_10device_ptrIiEEEEPS6_PKS6_NS0_5tupleIJNSA_16discard_iteratorINSA_11use_defaultEEES6_EEENSJ_IJSG_SG_EEENS0_18inequality_wrapperINSA_8equal_toIiEEEEPmJS6_EEE10hipError_tPvRmT3_T4_T5_T6_T7_T9_mT8_P12ihipStream_tbDpT10_ENKUlT_T0_E_clISt17integral_constantIbLb0EES1D_EEDaS18_S19_EUlS18_E_NS1_11comp_targetILNS1_3genE2ELNS1_11target_archE906ELNS1_3gpuE6ELNS1_3repE0EEENS1_30default_config_static_selectorELNS0_4arch9wavefront6targetE1EEEvT1_.num_vgpr, 75
	.set _ZN7rocprim17ROCPRIM_400000_NS6detail17trampoline_kernelINS0_14default_configENS1_25partition_config_selectorILNS1_17partition_subalgoE8EiNS0_10empty_typeEbEEZZNS1_14partition_implILS5_8ELb0ES3_jN6thrust23THRUST_200600_302600_NS6detail15normal_iteratorINSA_10device_ptrIiEEEEPS6_PKS6_NS0_5tupleIJNSA_16discard_iteratorINSA_11use_defaultEEES6_EEENSJ_IJSG_SG_EEENS0_18inequality_wrapperINSA_8equal_toIiEEEEPmJS6_EEE10hipError_tPvRmT3_T4_T5_T6_T7_T9_mT8_P12ihipStream_tbDpT10_ENKUlT_T0_E_clISt17integral_constantIbLb0EES1D_EEDaS18_S19_EUlS18_E_NS1_11comp_targetILNS1_3genE2ELNS1_11target_archE906ELNS1_3gpuE6ELNS1_3repE0EEENS1_30default_config_static_selectorELNS0_4arch9wavefront6targetE1EEEvT1_.num_agpr, 0
	.set _ZN7rocprim17ROCPRIM_400000_NS6detail17trampoline_kernelINS0_14default_configENS1_25partition_config_selectorILNS1_17partition_subalgoE8EiNS0_10empty_typeEbEEZZNS1_14partition_implILS5_8ELb0ES3_jN6thrust23THRUST_200600_302600_NS6detail15normal_iteratorINSA_10device_ptrIiEEEEPS6_PKS6_NS0_5tupleIJNSA_16discard_iteratorINSA_11use_defaultEEES6_EEENSJ_IJSG_SG_EEENS0_18inequality_wrapperINSA_8equal_toIiEEEEPmJS6_EEE10hipError_tPvRmT3_T4_T5_T6_T7_T9_mT8_P12ihipStream_tbDpT10_ENKUlT_T0_E_clISt17integral_constantIbLb0EES1D_EEDaS18_S19_EUlS18_E_NS1_11comp_targetILNS1_3genE2ELNS1_11target_archE906ELNS1_3gpuE6ELNS1_3repE0EEENS1_30default_config_static_selectorELNS0_4arch9wavefront6targetE1EEEvT1_.numbered_sgpr, 54
	.set _ZN7rocprim17ROCPRIM_400000_NS6detail17trampoline_kernelINS0_14default_configENS1_25partition_config_selectorILNS1_17partition_subalgoE8EiNS0_10empty_typeEbEEZZNS1_14partition_implILS5_8ELb0ES3_jN6thrust23THRUST_200600_302600_NS6detail15normal_iteratorINSA_10device_ptrIiEEEEPS6_PKS6_NS0_5tupleIJNSA_16discard_iteratorINSA_11use_defaultEEES6_EEENSJ_IJSG_SG_EEENS0_18inequality_wrapperINSA_8equal_toIiEEEEPmJS6_EEE10hipError_tPvRmT3_T4_T5_T6_T7_T9_mT8_P12ihipStream_tbDpT10_ENKUlT_T0_E_clISt17integral_constantIbLb0EES1D_EEDaS18_S19_EUlS18_E_NS1_11comp_targetILNS1_3genE2ELNS1_11target_archE906ELNS1_3gpuE6ELNS1_3repE0EEENS1_30default_config_static_selectorELNS0_4arch9wavefront6targetE1EEEvT1_.num_named_barrier, 0
	.set _ZN7rocprim17ROCPRIM_400000_NS6detail17trampoline_kernelINS0_14default_configENS1_25partition_config_selectorILNS1_17partition_subalgoE8EiNS0_10empty_typeEbEEZZNS1_14partition_implILS5_8ELb0ES3_jN6thrust23THRUST_200600_302600_NS6detail15normal_iteratorINSA_10device_ptrIiEEEEPS6_PKS6_NS0_5tupleIJNSA_16discard_iteratorINSA_11use_defaultEEES6_EEENSJ_IJSG_SG_EEENS0_18inequality_wrapperINSA_8equal_toIiEEEEPmJS6_EEE10hipError_tPvRmT3_T4_T5_T6_T7_T9_mT8_P12ihipStream_tbDpT10_ENKUlT_T0_E_clISt17integral_constantIbLb0EES1D_EEDaS18_S19_EUlS18_E_NS1_11comp_targetILNS1_3genE2ELNS1_11target_archE906ELNS1_3gpuE6ELNS1_3repE0EEENS1_30default_config_static_selectorELNS0_4arch9wavefront6targetE1EEEvT1_.private_seg_size, 0
	.set _ZN7rocprim17ROCPRIM_400000_NS6detail17trampoline_kernelINS0_14default_configENS1_25partition_config_selectorILNS1_17partition_subalgoE8EiNS0_10empty_typeEbEEZZNS1_14partition_implILS5_8ELb0ES3_jN6thrust23THRUST_200600_302600_NS6detail15normal_iteratorINSA_10device_ptrIiEEEEPS6_PKS6_NS0_5tupleIJNSA_16discard_iteratorINSA_11use_defaultEEES6_EEENSJ_IJSG_SG_EEENS0_18inequality_wrapperINSA_8equal_toIiEEEEPmJS6_EEE10hipError_tPvRmT3_T4_T5_T6_T7_T9_mT8_P12ihipStream_tbDpT10_ENKUlT_T0_E_clISt17integral_constantIbLb0EES1D_EEDaS18_S19_EUlS18_E_NS1_11comp_targetILNS1_3genE2ELNS1_11target_archE906ELNS1_3gpuE6ELNS1_3repE0EEENS1_30default_config_static_selectorELNS0_4arch9wavefront6targetE1EEEvT1_.uses_vcc, 1
	.set _ZN7rocprim17ROCPRIM_400000_NS6detail17trampoline_kernelINS0_14default_configENS1_25partition_config_selectorILNS1_17partition_subalgoE8EiNS0_10empty_typeEbEEZZNS1_14partition_implILS5_8ELb0ES3_jN6thrust23THRUST_200600_302600_NS6detail15normal_iteratorINSA_10device_ptrIiEEEEPS6_PKS6_NS0_5tupleIJNSA_16discard_iteratorINSA_11use_defaultEEES6_EEENSJ_IJSG_SG_EEENS0_18inequality_wrapperINSA_8equal_toIiEEEEPmJS6_EEE10hipError_tPvRmT3_T4_T5_T6_T7_T9_mT8_P12ihipStream_tbDpT10_ENKUlT_T0_E_clISt17integral_constantIbLb0EES1D_EEDaS18_S19_EUlS18_E_NS1_11comp_targetILNS1_3genE2ELNS1_11target_archE906ELNS1_3gpuE6ELNS1_3repE0EEENS1_30default_config_static_selectorELNS0_4arch9wavefront6targetE1EEEvT1_.uses_flat_scratch, 0
	.set _ZN7rocprim17ROCPRIM_400000_NS6detail17trampoline_kernelINS0_14default_configENS1_25partition_config_selectorILNS1_17partition_subalgoE8EiNS0_10empty_typeEbEEZZNS1_14partition_implILS5_8ELb0ES3_jN6thrust23THRUST_200600_302600_NS6detail15normal_iteratorINSA_10device_ptrIiEEEEPS6_PKS6_NS0_5tupleIJNSA_16discard_iteratorINSA_11use_defaultEEES6_EEENSJ_IJSG_SG_EEENS0_18inequality_wrapperINSA_8equal_toIiEEEEPmJS6_EEE10hipError_tPvRmT3_T4_T5_T6_T7_T9_mT8_P12ihipStream_tbDpT10_ENKUlT_T0_E_clISt17integral_constantIbLb0EES1D_EEDaS18_S19_EUlS18_E_NS1_11comp_targetILNS1_3genE2ELNS1_11target_archE906ELNS1_3gpuE6ELNS1_3repE0EEENS1_30default_config_static_selectorELNS0_4arch9wavefront6targetE1EEEvT1_.has_dyn_sized_stack, 0
	.set _ZN7rocprim17ROCPRIM_400000_NS6detail17trampoline_kernelINS0_14default_configENS1_25partition_config_selectorILNS1_17partition_subalgoE8EiNS0_10empty_typeEbEEZZNS1_14partition_implILS5_8ELb0ES3_jN6thrust23THRUST_200600_302600_NS6detail15normal_iteratorINSA_10device_ptrIiEEEEPS6_PKS6_NS0_5tupleIJNSA_16discard_iteratorINSA_11use_defaultEEES6_EEENSJ_IJSG_SG_EEENS0_18inequality_wrapperINSA_8equal_toIiEEEEPmJS6_EEE10hipError_tPvRmT3_T4_T5_T6_T7_T9_mT8_P12ihipStream_tbDpT10_ENKUlT_T0_E_clISt17integral_constantIbLb0EES1D_EEDaS18_S19_EUlS18_E_NS1_11comp_targetILNS1_3genE2ELNS1_11target_archE906ELNS1_3gpuE6ELNS1_3repE0EEENS1_30default_config_static_selectorELNS0_4arch9wavefront6targetE1EEEvT1_.has_recursion, 0
	.set _ZN7rocprim17ROCPRIM_400000_NS6detail17trampoline_kernelINS0_14default_configENS1_25partition_config_selectorILNS1_17partition_subalgoE8EiNS0_10empty_typeEbEEZZNS1_14partition_implILS5_8ELb0ES3_jN6thrust23THRUST_200600_302600_NS6detail15normal_iteratorINSA_10device_ptrIiEEEEPS6_PKS6_NS0_5tupleIJNSA_16discard_iteratorINSA_11use_defaultEEES6_EEENSJ_IJSG_SG_EEENS0_18inequality_wrapperINSA_8equal_toIiEEEEPmJS6_EEE10hipError_tPvRmT3_T4_T5_T6_T7_T9_mT8_P12ihipStream_tbDpT10_ENKUlT_T0_E_clISt17integral_constantIbLb0EES1D_EEDaS18_S19_EUlS18_E_NS1_11comp_targetILNS1_3genE2ELNS1_11target_archE906ELNS1_3gpuE6ELNS1_3repE0EEENS1_30default_config_static_selectorELNS0_4arch9wavefront6targetE1EEEvT1_.has_indirect_call, 0
	.section	.AMDGPU.csdata,"",@progbits
; Kernel info:
; codeLenInByte = 6840
; TotalNumSgprs: 58
; NumVgprs: 75
; ScratchSize: 0
; MemoryBound: 0
; FloatMode: 240
; IeeeMode: 1
; LDSByteSize: 16904 bytes/workgroup (compile time only)
; SGPRBlocks: 12
; VGPRBlocks: 18
; NumSGPRsForWavesPerEU: 102
; NumVGPRsForWavesPerEU: 75
; Occupancy: 3
; WaveLimiterHint : 1
; COMPUTE_PGM_RSRC2:SCRATCH_EN: 0
; COMPUTE_PGM_RSRC2:USER_SGPR: 6
; COMPUTE_PGM_RSRC2:TRAP_HANDLER: 0
; COMPUTE_PGM_RSRC2:TGID_X_EN: 1
; COMPUTE_PGM_RSRC2:TGID_Y_EN: 0
; COMPUTE_PGM_RSRC2:TGID_Z_EN: 0
; COMPUTE_PGM_RSRC2:TIDIG_COMP_CNT: 0
	.section	.text._ZN7rocprim17ROCPRIM_400000_NS6detail17trampoline_kernelINS0_14default_configENS1_25partition_config_selectorILNS1_17partition_subalgoE8EiNS0_10empty_typeEbEEZZNS1_14partition_implILS5_8ELb0ES3_jN6thrust23THRUST_200600_302600_NS6detail15normal_iteratorINSA_10device_ptrIiEEEEPS6_PKS6_NS0_5tupleIJNSA_16discard_iteratorINSA_11use_defaultEEES6_EEENSJ_IJSG_SG_EEENS0_18inequality_wrapperINSA_8equal_toIiEEEEPmJS6_EEE10hipError_tPvRmT3_T4_T5_T6_T7_T9_mT8_P12ihipStream_tbDpT10_ENKUlT_T0_E_clISt17integral_constantIbLb0EES1D_EEDaS18_S19_EUlS18_E_NS1_11comp_targetILNS1_3genE10ELNS1_11target_archE1200ELNS1_3gpuE4ELNS1_3repE0EEENS1_30default_config_static_selectorELNS0_4arch9wavefront6targetE1EEEvT1_,"axG",@progbits,_ZN7rocprim17ROCPRIM_400000_NS6detail17trampoline_kernelINS0_14default_configENS1_25partition_config_selectorILNS1_17partition_subalgoE8EiNS0_10empty_typeEbEEZZNS1_14partition_implILS5_8ELb0ES3_jN6thrust23THRUST_200600_302600_NS6detail15normal_iteratorINSA_10device_ptrIiEEEEPS6_PKS6_NS0_5tupleIJNSA_16discard_iteratorINSA_11use_defaultEEES6_EEENSJ_IJSG_SG_EEENS0_18inequality_wrapperINSA_8equal_toIiEEEEPmJS6_EEE10hipError_tPvRmT3_T4_T5_T6_T7_T9_mT8_P12ihipStream_tbDpT10_ENKUlT_T0_E_clISt17integral_constantIbLb0EES1D_EEDaS18_S19_EUlS18_E_NS1_11comp_targetILNS1_3genE10ELNS1_11target_archE1200ELNS1_3gpuE4ELNS1_3repE0EEENS1_30default_config_static_selectorELNS0_4arch9wavefront6targetE1EEEvT1_,comdat
	.protected	_ZN7rocprim17ROCPRIM_400000_NS6detail17trampoline_kernelINS0_14default_configENS1_25partition_config_selectorILNS1_17partition_subalgoE8EiNS0_10empty_typeEbEEZZNS1_14partition_implILS5_8ELb0ES3_jN6thrust23THRUST_200600_302600_NS6detail15normal_iteratorINSA_10device_ptrIiEEEEPS6_PKS6_NS0_5tupleIJNSA_16discard_iteratorINSA_11use_defaultEEES6_EEENSJ_IJSG_SG_EEENS0_18inequality_wrapperINSA_8equal_toIiEEEEPmJS6_EEE10hipError_tPvRmT3_T4_T5_T6_T7_T9_mT8_P12ihipStream_tbDpT10_ENKUlT_T0_E_clISt17integral_constantIbLb0EES1D_EEDaS18_S19_EUlS18_E_NS1_11comp_targetILNS1_3genE10ELNS1_11target_archE1200ELNS1_3gpuE4ELNS1_3repE0EEENS1_30default_config_static_selectorELNS0_4arch9wavefront6targetE1EEEvT1_ ; -- Begin function _ZN7rocprim17ROCPRIM_400000_NS6detail17trampoline_kernelINS0_14default_configENS1_25partition_config_selectorILNS1_17partition_subalgoE8EiNS0_10empty_typeEbEEZZNS1_14partition_implILS5_8ELb0ES3_jN6thrust23THRUST_200600_302600_NS6detail15normal_iteratorINSA_10device_ptrIiEEEEPS6_PKS6_NS0_5tupleIJNSA_16discard_iteratorINSA_11use_defaultEEES6_EEENSJ_IJSG_SG_EEENS0_18inequality_wrapperINSA_8equal_toIiEEEEPmJS6_EEE10hipError_tPvRmT3_T4_T5_T6_T7_T9_mT8_P12ihipStream_tbDpT10_ENKUlT_T0_E_clISt17integral_constantIbLb0EES1D_EEDaS18_S19_EUlS18_E_NS1_11comp_targetILNS1_3genE10ELNS1_11target_archE1200ELNS1_3gpuE4ELNS1_3repE0EEENS1_30default_config_static_selectorELNS0_4arch9wavefront6targetE1EEEvT1_
	.globl	_ZN7rocprim17ROCPRIM_400000_NS6detail17trampoline_kernelINS0_14default_configENS1_25partition_config_selectorILNS1_17partition_subalgoE8EiNS0_10empty_typeEbEEZZNS1_14partition_implILS5_8ELb0ES3_jN6thrust23THRUST_200600_302600_NS6detail15normal_iteratorINSA_10device_ptrIiEEEEPS6_PKS6_NS0_5tupleIJNSA_16discard_iteratorINSA_11use_defaultEEES6_EEENSJ_IJSG_SG_EEENS0_18inequality_wrapperINSA_8equal_toIiEEEEPmJS6_EEE10hipError_tPvRmT3_T4_T5_T6_T7_T9_mT8_P12ihipStream_tbDpT10_ENKUlT_T0_E_clISt17integral_constantIbLb0EES1D_EEDaS18_S19_EUlS18_E_NS1_11comp_targetILNS1_3genE10ELNS1_11target_archE1200ELNS1_3gpuE4ELNS1_3repE0EEENS1_30default_config_static_selectorELNS0_4arch9wavefront6targetE1EEEvT1_
	.p2align	8
	.type	_ZN7rocprim17ROCPRIM_400000_NS6detail17trampoline_kernelINS0_14default_configENS1_25partition_config_selectorILNS1_17partition_subalgoE8EiNS0_10empty_typeEbEEZZNS1_14partition_implILS5_8ELb0ES3_jN6thrust23THRUST_200600_302600_NS6detail15normal_iteratorINSA_10device_ptrIiEEEEPS6_PKS6_NS0_5tupleIJNSA_16discard_iteratorINSA_11use_defaultEEES6_EEENSJ_IJSG_SG_EEENS0_18inequality_wrapperINSA_8equal_toIiEEEEPmJS6_EEE10hipError_tPvRmT3_T4_T5_T6_T7_T9_mT8_P12ihipStream_tbDpT10_ENKUlT_T0_E_clISt17integral_constantIbLb0EES1D_EEDaS18_S19_EUlS18_E_NS1_11comp_targetILNS1_3genE10ELNS1_11target_archE1200ELNS1_3gpuE4ELNS1_3repE0EEENS1_30default_config_static_selectorELNS0_4arch9wavefront6targetE1EEEvT1_,@function
_ZN7rocprim17ROCPRIM_400000_NS6detail17trampoline_kernelINS0_14default_configENS1_25partition_config_selectorILNS1_17partition_subalgoE8EiNS0_10empty_typeEbEEZZNS1_14partition_implILS5_8ELb0ES3_jN6thrust23THRUST_200600_302600_NS6detail15normal_iteratorINSA_10device_ptrIiEEEEPS6_PKS6_NS0_5tupleIJNSA_16discard_iteratorINSA_11use_defaultEEES6_EEENSJ_IJSG_SG_EEENS0_18inequality_wrapperINSA_8equal_toIiEEEEPmJS6_EEE10hipError_tPvRmT3_T4_T5_T6_T7_T9_mT8_P12ihipStream_tbDpT10_ENKUlT_T0_E_clISt17integral_constantIbLb0EES1D_EEDaS18_S19_EUlS18_E_NS1_11comp_targetILNS1_3genE10ELNS1_11target_archE1200ELNS1_3gpuE4ELNS1_3repE0EEENS1_30default_config_static_selectorELNS0_4arch9wavefront6targetE1EEEvT1_: ; @_ZN7rocprim17ROCPRIM_400000_NS6detail17trampoline_kernelINS0_14default_configENS1_25partition_config_selectorILNS1_17partition_subalgoE8EiNS0_10empty_typeEbEEZZNS1_14partition_implILS5_8ELb0ES3_jN6thrust23THRUST_200600_302600_NS6detail15normal_iteratorINSA_10device_ptrIiEEEEPS6_PKS6_NS0_5tupleIJNSA_16discard_iteratorINSA_11use_defaultEEES6_EEENSJ_IJSG_SG_EEENS0_18inequality_wrapperINSA_8equal_toIiEEEEPmJS6_EEE10hipError_tPvRmT3_T4_T5_T6_T7_T9_mT8_P12ihipStream_tbDpT10_ENKUlT_T0_E_clISt17integral_constantIbLb0EES1D_EEDaS18_S19_EUlS18_E_NS1_11comp_targetILNS1_3genE10ELNS1_11target_archE1200ELNS1_3gpuE4ELNS1_3repE0EEENS1_30default_config_static_selectorELNS0_4arch9wavefront6targetE1EEEvT1_
; %bb.0:
	.section	.rodata,"a",@progbits
	.p2align	6, 0x0
	.amdhsa_kernel _ZN7rocprim17ROCPRIM_400000_NS6detail17trampoline_kernelINS0_14default_configENS1_25partition_config_selectorILNS1_17partition_subalgoE8EiNS0_10empty_typeEbEEZZNS1_14partition_implILS5_8ELb0ES3_jN6thrust23THRUST_200600_302600_NS6detail15normal_iteratorINSA_10device_ptrIiEEEEPS6_PKS6_NS0_5tupleIJNSA_16discard_iteratorINSA_11use_defaultEEES6_EEENSJ_IJSG_SG_EEENS0_18inequality_wrapperINSA_8equal_toIiEEEEPmJS6_EEE10hipError_tPvRmT3_T4_T5_T6_T7_T9_mT8_P12ihipStream_tbDpT10_ENKUlT_T0_E_clISt17integral_constantIbLb0EES1D_EEDaS18_S19_EUlS18_E_NS1_11comp_targetILNS1_3genE10ELNS1_11target_archE1200ELNS1_3gpuE4ELNS1_3repE0EEENS1_30default_config_static_selectorELNS0_4arch9wavefront6targetE1EEEvT1_
		.amdhsa_group_segment_fixed_size 0
		.amdhsa_private_segment_fixed_size 0
		.amdhsa_kernarg_size 120
		.amdhsa_user_sgpr_count 6
		.amdhsa_user_sgpr_private_segment_buffer 1
		.amdhsa_user_sgpr_dispatch_ptr 0
		.amdhsa_user_sgpr_queue_ptr 0
		.amdhsa_user_sgpr_kernarg_segment_ptr 1
		.amdhsa_user_sgpr_dispatch_id 0
		.amdhsa_user_sgpr_flat_scratch_init 0
		.amdhsa_user_sgpr_private_segment_size 0
		.amdhsa_uses_dynamic_stack 0
		.amdhsa_system_sgpr_private_segment_wavefront_offset 0
		.amdhsa_system_sgpr_workgroup_id_x 1
		.amdhsa_system_sgpr_workgroup_id_y 0
		.amdhsa_system_sgpr_workgroup_id_z 0
		.amdhsa_system_sgpr_workgroup_info 0
		.amdhsa_system_vgpr_workitem_id 0
		.amdhsa_next_free_vgpr 1
		.amdhsa_next_free_sgpr 0
		.amdhsa_reserve_vcc 0
		.amdhsa_reserve_flat_scratch 0
		.amdhsa_float_round_mode_32 0
		.amdhsa_float_round_mode_16_64 0
		.amdhsa_float_denorm_mode_32 3
		.amdhsa_float_denorm_mode_16_64 3
		.amdhsa_dx10_clamp 1
		.amdhsa_ieee_mode 1
		.amdhsa_fp16_overflow 0
		.amdhsa_exception_fp_ieee_invalid_op 0
		.amdhsa_exception_fp_denorm_src 0
		.amdhsa_exception_fp_ieee_div_zero 0
		.amdhsa_exception_fp_ieee_overflow 0
		.amdhsa_exception_fp_ieee_underflow 0
		.amdhsa_exception_fp_ieee_inexact 0
		.amdhsa_exception_int_div_zero 0
	.end_amdhsa_kernel
	.section	.text._ZN7rocprim17ROCPRIM_400000_NS6detail17trampoline_kernelINS0_14default_configENS1_25partition_config_selectorILNS1_17partition_subalgoE8EiNS0_10empty_typeEbEEZZNS1_14partition_implILS5_8ELb0ES3_jN6thrust23THRUST_200600_302600_NS6detail15normal_iteratorINSA_10device_ptrIiEEEEPS6_PKS6_NS0_5tupleIJNSA_16discard_iteratorINSA_11use_defaultEEES6_EEENSJ_IJSG_SG_EEENS0_18inequality_wrapperINSA_8equal_toIiEEEEPmJS6_EEE10hipError_tPvRmT3_T4_T5_T6_T7_T9_mT8_P12ihipStream_tbDpT10_ENKUlT_T0_E_clISt17integral_constantIbLb0EES1D_EEDaS18_S19_EUlS18_E_NS1_11comp_targetILNS1_3genE10ELNS1_11target_archE1200ELNS1_3gpuE4ELNS1_3repE0EEENS1_30default_config_static_selectorELNS0_4arch9wavefront6targetE1EEEvT1_,"axG",@progbits,_ZN7rocprim17ROCPRIM_400000_NS6detail17trampoline_kernelINS0_14default_configENS1_25partition_config_selectorILNS1_17partition_subalgoE8EiNS0_10empty_typeEbEEZZNS1_14partition_implILS5_8ELb0ES3_jN6thrust23THRUST_200600_302600_NS6detail15normal_iteratorINSA_10device_ptrIiEEEEPS6_PKS6_NS0_5tupleIJNSA_16discard_iteratorINSA_11use_defaultEEES6_EEENSJ_IJSG_SG_EEENS0_18inequality_wrapperINSA_8equal_toIiEEEEPmJS6_EEE10hipError_tPvRmT3_T4_T5_T6_T7_T9_mT8_P12ihipStream_tbDpT10_ENKUlT_T0_E_clISt17integral_constantIbLb0EES1D_EEDaS18_S19_EUlS18_E_NS1_11comp_targetILNS1_3genE10ELNS1_11target_archE1200ELNS1_3gpuE4ELNS1_3repE0EEENS1_30default_config_static_selectorELNS0_4arch9wavefront6targetE1EEEvT1_,comdat
.Lfunc_end666:
	.size	_ZN7rocprim17ROCPRIM_400000_NS6detail17trampoline_kernelINS0_14default_configENS1_25partition_config_selectorILNS1_17partition_subalgoE8EiNS0_10empty_typeEbEEZZNS1_14partition_implILS5_8ELb0ES3_jN6thrust23THRUST_200600_302600_NS6detail15normal_iteratorINSA_10device_ptrIiEEEEPS6_PKS6_NS0_5tupleIJNSA_16discard_iteratorINSA_11use_defaultEEES6_EEENSJ_IJSG_SG_EEENS0_18inequality_wrapperINSA_8equal_toIiEEEEPmJS6_EEE10hipError_tPvRmT3_T4_T5_T6_T7_T9_mT8_P12ihipStream_tbDpT10_ENKUlT_T0_E_clISt17integral_constantIbLb0EES1D_EEDaS18_S19_EUlS18_E_NS1_11comp_targetILNS1_3genE10ELNS1_11target_archE1200ELNS1_3gpuE4ELNS1_3repE0EEENS1_30default_config_static_selectorELNS0_4arch9wavefront6targetE1EEEvT1_, .Lfunc_end666-_ZN7rocprim17ROCPRIM_400000_NS6detail17trampoline_kernelINS0_14default_configENS1_25partition_config_selectorILNS1_17partition_subalgoE8EiNS0_10empty_typeEbEEZZNS1_14partition_implILS5_8ELb0ES3_jN6thrust23THRUST_200600_302600_NS6detail15normal_iteratorINSA_10device_ptrIiEEEEPS6_PKS6_NS0_5tupleIJNSA_16discard_iteratorINSA_11use_defaultEEES6_EEENSJ_IJSG_SG_EEENS0_18inequality_wrapperINSA_8equal_toIiEEEEPmJS6_EEE10hipError_tPvRmT3_T4_T5_T6_T7_T9_mT8_P12ihipStream_tbDpT10_ENKUlT_T0_E_clISt17integral_constantIbLb0EES1D_EEDaS18_S19_EUlS18_E_NS1_11comp_targetILNS1_3genE10ELNS1_11target_archE1200ELNS1_3gpuE4ELNS1_3repE0EEENS1_30default_config_static_selectorELNS0_4arch9wavefront6targetE1EEEvT1_
                                        ; -- End function
	.set _ZN7rocprim17ROCPRIM_400000_NS6detail17trampoline_kernelINS0_14default_configENS1_25partition_config_selectorILNS1_17partition_subalgoE8EiNS0_10empty_typeEbEEZZNS1_14partition_implILS5_8ELb0ES3_jN6thrust23THRUST_200600_302600_NS6detail15normal_iteratorINSA_10device_ptrIiEEEEPS6_PKS6_NS0_5tupleIJNSA_16discard_iteratorINSA_11use_defaultEEES6_EEENSJ_IJSG_SG_EEENS0_18inequality_wrapperINSA_8equal_toIiEEEEPmJS6_EEE10hipError_tPvRmT3_T4_T5_T6_T7_T9_mT8_P12ihipStream_tbDpT10_ENKUlT_T0_E_clISt17integral_constantIbLb0EES1D_EEDaS18_S19_EUlS18_E_NS1_11comp_targetILNS1_3genE10ELNS1_11target_archE1200ELNS1_3gpuE4ELNS1_3repE0EEENS1_30default_config_static_selectorELNS0_4arch9wavefront6targetE1EEEvT1_.num_vgpr, 0
	.set _ZN7rocprim17ROCPRIM_400000_NS6detail17trampoline_kernelINS0_14default_configENS1_25partition_config_selectorILNS1_17partition_subalgoE8EiNS0_10empty_typeEbEEZZNS1_14partition_implILS5_8ELb0ES3_jN6thrust23THRUST_200600_302600_NS6detail15normal_iteratorINSA_10device_ptrIiEEEEPS6_PKS6_NS0_5tupleIJNSA_16discard_iteratorINSA_11use_defaultEEES6_EEENSJ_IJSG_SG_EEENS0_18inequality_wrapperINSA_8equal_toIiEEEEPmJS6_EEE10hipError_tPvRmT3_T4_T5_T6_T7_T9_mT8_P12ihipStream_tbDpT10_ENKUlT_T0_E_clISt17integral_constantIbLb0EES1D_EEDaS18_S19_EUlS18_E_NS1_11comp_targetILNS1_3genE10ELNS1_11target_archE1200ELNS1_3gpuE4ELNS1_3repE0EEENS1_30default_config_static_selectorELNS0_4arch9wavefront6targetE1EEEvT1_.num_agpr, 0
	.set _ZN7rocprim17ROCPRIM_400000_NS6detail17trampoline_kernelINS0_14default_configENS1_25partition_config_selectorILNS1_17partition_subalgoE8EiNS0_10empty_typeEbEEZZNS1_14partition_implILS5_8ELb0ES3_jN6thrust23THRUST_200600_302600_NS6detail15normal_iteratorINSA_10device_ptrIiEEEEPS6_PKS6_NS0_5tupleIJNSA_16discard_iteratorINSA_11use_defaultEEES6_EEENSJ_IJSG_SG_EEENS0_18inequality_wrapperINSA_8equal_toIiEEEEPmJS6_EEE10hipError_tPvRmT3_T4_T5_T6_T7_T9_mT8_P12ihipStream_tbDpT10_ENKUlT_T0_E_clISt17integral_constantIbLb0EES1D_EEDaS18_S19_EUlS18_E_NS1_11comp_targetILNS1_3genE10ELNS1_11target_archE1200ELNS1_3gpuE4ELNS1_3repE0EEENS1_30default_config_static_selectorELNS0_4arch9wavefront6targetE1EEEvT1_.numbered_sgpr, 0
	.set _ZN7rocprim17ROCPRIM_400000_NS6detail17trampoline_kernelINS0_14default_configENS1_25partition_config_selectorILNS1_17partition_subalgoE8EiNS0_10empty_typeEbEEZZNS1_14partition_implILS5_8ELb0ES3_jN6thrust23THRUST_200600_302600_NS6detail15normal_iteratorINSA_10device_ptrIiEEEEPS6_PKS6_NS0_5tupleIJNSA_16discard_iteratorINSA_11use_defaultEEES6_EEENSJ_IJSG_SG_EEENS0_18inequality_wrapperINSA_8equal_toIiEEEEPmJS6_EEE10hipError_tPvRmT3_T4_T5_T6_T7_T9_mT8_P12ihipStream_tbDpT10_ENKUlT_T0_E_clISt17integral_constantIbLb0EES1D_EEDaS18_S19_EUlS18_E_NS1_11comp_targetILNS1_3genE10ELNS1_11target_archE1200ELNS1_3gpuE4ELNS1_3repE0EEENS1_30default_config_static_selectorELNS0_4arch9wavefront6targetE1EEEvT1_.num_named_barrier, 0
	.set _ZN7rocprim17ROCPRIM_400000_NS6detail17trampoline_kernelINS0_14default_configENS1_25partition_config_selectorILNS1_17partition_subalgoE8EiNS0_10empty_typeEbEEZZNS1_14partition_implILS5_8ELb0ES3_jN6thrust23THRUST_200600_302600_NS6detail15normal_iteratorINSA_10device_ptrIiEEEEPS6_PKS6_NS0_5tupleIJNSA_16discard_iteratorINSA_11use_defaultEEES6_EEENSJ_IJSG_SG_EEENS0_18inequality_wrapperINSA_8equal_toIiEEEEPmJS6_EEE10hipError_tPvRmT3_T4_T5_T6_T7_T9_mT8_P12ihipStream_tbDpT10_ENKUlT_T0_E_clISt17integral_constantIbLb0EES1D_EEDaS18_S19_EUlS18_E_NS1_11comp_targetILNS1_3genE10ELNS1_11target_archE1200ELNS1_3gpuE4ELNS1_3repE0EEENS1_30default_config_static_selectorELNS0_4arch9wavefront6targetE1EEEvT1_.private_seg_size, 0
	.set _ZN7rocprim17ROCPRIM_400000_NS6detail17trampoline_kernelINS0_14default_configENS1_25partition_config_selectorILNS1_17partition_subalgoE8EiNS0_10empty_typeEbEEZZNS1_14partition_implILS5_8ELb0ES3_jN6thrust23THRUST_200600_302600_NS6detail15normal_iteratorINSA_10device_ptrIiEEEEPS6_PKS6_NS0_5tupleIJNSA_16discard_iteratorINSA_11use_defaultEEES6_EEENSJ_IJSG_SG_EEENS0_18inequality_wrapperINSA_8equal_toIiEEEEPmJS6_EEE10hipError_tPvRmT3_T4_T5_T6_T7_T9_mT8_P12ihipStream_tbDpT10_ENKUlT_T0_E_clISt17integral_constantIbLb0EES1D_EEDaS18_S19_EUlS18_E_NS1_11comp_targetILNS1_3genE10ELNS1_11target_archE1200ELNS1_3gpuE4ELNS1_3repE0EEENS1_30default_config_static_selectorELNS0_4arch9wavefront6targetE1EEEvT1_.uses_vcc, 0
	.set _ZN7rocprim17ROCPRIM_400000_NS6detail17trampoline_kernelINS0_14default_configENS1_25partition_config_selectorILNS1_17partition_subalgoE8EiNS0_10empty_typeEbEEZZNS1_14partition_implILS5_8ELb0ES3_jN6thrust23THRUST_200600_302600_NS6detail15normal_iteratorINSA_10device_ptrIiEEEEPS6_PKS6_NS0_5tupleIJNSA_16discard_iteratorINSA_11use_defaultEEES6_EEENSJ_IJSG_SG_EEENS0_18inequality_wrapperINSA_8equal_toIiEEEEPmJS6_EEE10hipError_tPvRmT3_T4_T5_T6_T7_T9_mT8_P12ihipStream_tbDpT10_ENKUlT_T0_E_clISt17integral_constantIbLb0EES1D_EEDaS18_S19_EUlS18_E_NS1_11comp_targetILNS1_3genE10ELNS1_11target_archE1200ELNS1_3gpuE4ELNS1_3repE0EEENS1_30default_config_static_selectorELNS0_4arch9wavefront6targetE1EEEvT1_.uses_flat_scratch, 0
	.set _ZN7rocprim17ROCPRIM_400000_NS6detail17trampoline_kernelINS0_14default_configENS1_25partition_config_selectorILNS1_17partition_subalgoE8EiNS0_10empty_typeEbEEZZNS1_14partition_implILS5_8ELb0ES3_jN6thrust23THRUST_200600_302600_NS6detail15normal_iteratorINSA_10device_ptrIiEEEEPS6_PKS6_NS0_5tupleIJNSA_16discard_iteratorINSA_11use_defaultEEES6_EEENSJ_IJSG_SG_EEENS0_18inequality_wrapperINSA_8equal_toIiEEEEPmJS6_EEE10hipError_tPvRmT3_T4_T5_T6_T7_T9_mT8_P12ihipStream_tbDpT10_ENKUlT_T0_E_clISt17integral_constantIbLb0EES1D_EEDaS18_S19_EUlS18_E_NS1_11comp_targetILNS1_3genE10ELNS1_11target_archE1200ELNS1_3gpuE4ELNS1_3repE0EEENS1_30default_config_static_selectorELNS0_4arch9wavefront6targetE1EEEvT1_.has_dyn_sized_stack, 0
	.set _ZN7rocprim17ROCPRIM_400000_NS6detail17trampoline_kernelINS0_14default_configENS1_25partition_config_selectorILNS1_17partition_subalgoE8EiNS0_10empty_typeEbEEZZNS1_14partition_implILS5_8ELb0ES3_jN6thrust23THRUST_200600_302600_NS6detail15normal_iteratorINSA_10device_ptrIiEEEEPS6_PKS6_NS0_5tupleIJNSA_16discard_iteratorINSA_11use_defaultEEES6_EEENSJ_IJSG_SG_EEENS0_18inequality_wrapperINSA_8equal_toIiEEEEPmJS6_EEE10hipError_tPvRmT3_T4_T5_T6_T7_T9_mT8_P12ihipStream_tbDpT10_ENKUlT_T0_E_clISt17integral_constantIbLb0EES1D_EEDaS18_S19_EUlS18_E_NS1_11comp_targetILNS1_3genE10ELNS1_11target_archE1200ELNS1_3gpuE4ELNS1_3repE0EEENS1_30default_config_static_selectorELNS0_4arch9wavefront6targetE1EEEvT1_.has_recursion, 0
	.set _ZN7rocprim17ROCPRIM_400000_NS6detail17trampoline_kernelINS0_14default_configENS1_25partition_config_selectorILNS1_17partition_subalgoE8EiNS0_10empty_typeEbEEZZNS1_14partition_implILS5_8ELb0ES3_jN6thrust23THRUST_200600_302600_NS6detail15normal_iteratorINSA_10device_ptrIiEEEEPS6_PKS6_NS0_5tupleIJNSA_16discard_iteratorINSA_11use_defaultEEES6_EEENSJ_IJSG_SG_EEENS0_18inequality_wrapperINSA_8equal_toIiEEEEPmJS6_EEE10hipError_tPvRmT3_T4_T5_T6_T7_T9_mT8_P12ihipStream_tbDpT10_ENKUlT_T0_E_clISt17integral_constantIbLb0EES1D_EEDaS18_S19_EUlS18_E_NS1_11comp_targetILNS1_3genE10ELNS1_11target_archE1200ELNS1_3gpuE4ELNS1_3repE0EEENS1_30default_config_static_selectorELNS0_4arch9wavefront6targetE1EEEvT1_.has_indirect_call, 0
	.section	.AMDGPU.csdata,"",@progbits
; Kernel info:
; codeLenInByte = 0
; TotalNumSgprs: 4
; NumVgprs: 0
; ScratchSize: 0
; MemoryBound: 0
; FloatMode: 240
; IeeeMode: 1
; LDSByteSize: 0 bytes/workgroup (compile time only)
; SGPRBlocks: 0
; VGPRBlocks: 0
; NumSGPRsForWavesPerEU: 4
; NumVGPRsForWavesPerEU: 1
; Occupancy: 10
; WaveLimiterHint : 0
; COMPUTE_PGM_RSRC2:SCRATCH_EN: 0
; COMPUTE_PGM_RSRC2:USER_SGPR: 6
; COMPUTE_PGM_RSRC2:TRAP_HANDLER: 0
; COMPUTE_PGM_RSRC2:TGID_X_EN: 1
; COMPUTE_PGM_RSRC2:TGID_Y_EN: 0
; COMPUTE_PGM_RSRC2:TGID_Z_EN: 0
; COMPUTE_PGM_RSRC2:TIDIG_COMP_CNT: 0
	.section	.text._ZN7rocprim17ROCPRIM_400000_NS6detail17trampoline_kernelINS0_14default_configENS1_25partition_config_selectorILNS1_17partition_subalgoE8EiNS0_10empty_typeEbEEZZNS1_14partition_implILS5_8ELb0ES3_jN6thrust23THRUST_200600_302600_NS6detail15normal_iteratorINSA_10device_ptrIiEEEEPS6_PKS6_NS0_5tupleIJNSA_16discard_iteratorINSA_11use_defaultEEES6_EEENSJ_IJSG_SG_EEENS0_18inequality_wrapperINSA_8equal_toIiEEEEPmJS6_EEE10hipError_tPvRmT3_T4_T5_T6_T7_T9_mT8_P12ihipStream_tbDpT10_ENKUlT_T0_E_clISt17integral_constantIbLb0EES1D_EEDaS18_S19_EUlS18_E_NS1_11comp_targetILNS1_3genE9ELNS1_11target_archE1100ELNS1_3gpuE3ELNS1_3repE0EEENS1_30default_config_static_selectorELNS0_4arch9wavefront6targetE1EEEvT1_,"axG",@progbits,_ZN7rocprim17ROCPRIM_400000_NS6detail17trampoline_kernelINS0_14default_configENS1_25partition_config_selectorILNS1_17partition_subalgoE8EiNS0_10empty_typeEbEEZZNS1_14partition_implILS5_8ELb0ES3_jN6thrust23THRUST_200600_302600_NS6detail15normal_iteratorINSA_10device_ptrIiEEEEPS6_PKS6_NS0_5tupleIJNSA_16discard_iteratorINSA_11use_defaultEEES6_EEENSJ_IJSG_SG_EEENS0_18inequality_wrapperINSA_8equal_toIiEEEEPmJS6_EEE10hipError_tPvRmT3_T4_T5_T6_T7_T9_mT8_P12ihipStream_tbDpT10_ENKUlT_T0_E_clISt17integral_constantIbLb0EES1D_EEDaS18_S19_EUlS18_E_NS1_11comp_targetILNS1_3genE9ELNS1_11target_archE1100ELNS1_3gpuE3ELNS1_3repE0EEENS1_30default_config_static_selectorELNS0_4arch9wavefront6targetE1EEEvT1_,comdat
	.protected	_ZN7rocprim17ROCPRIM_400000_NS6detail17trampoline_kernelINS0_14default_configENS1_25partition_config_selectorILNS1_17partition_subalgoE8EiNS0_10empty_typeEbEEZZNS1_14partition_implILS5_8ELb0ES3_jN6thrust23THRUST_200600_302600_NS6detail15normal_iteratorINSA_10device_ptrIiEEEEPS6_PKS6_NS0_5tupleIJNSA_16discard_iteratorINSA_11use_defaultEEES6_EEENSJ_IJSG_SG_EEENS0_18inequality_wrapperINSA_8equal_toIiEEEEPmJS6_EEE10hipError_tPvRmT3_T4_T5_T6_T7_T9_mT8_P12ihipStream_tbDpT10_ENKUlT_T0_E_clISt17integral_constantIbLb0EES1D_EEDaS18_S19_EUlS18_E_NS1_11comp_targetILNS1_3genE9ELNS1_11target_archE1100ELNS1_3gpuE3ELNS1_3repE0EEENS1_30default_config_static_selectorELNS0_4arch9wavefront6targetE1EEEvT1_ ; -- Begin function _ZN7rocprim17ROCPRIM_400000_NS6detail17trampoline_kernelINS0_14default_configENS1_25partition_config_selectorILNS1_17partition_subalgoE8EiNS0_10empty_typeEbEEZZNS1_14partition_implILS5_8ELb0ES3_jN6thrust23THRUST_200600_302600_NS6detail15normal_iteratorINSA_10device_ptrIiEEEEPS6_PKS6_NS0_5tupleIJNSA_16discard_iteratorINSA_11use_defaultEEES6_EEENSJ_IJSG_SG_EEENS0_18inequality_wrapperINSA_8equal_toIiEEEEPmJS6_EEE10hipError_tPvRmT3_T4_T5_T6_T7_T9_mT8_P12ihipStream_tbDpT10_ENKUlT_T0_E_clISt17integral_constantIbLb0EES1D_EEDaS18_S19_EUlS18_E_NS1_11comp_targetILNS1_3genE9ELNS1_11target_archE1100ELNS1_3gpuE3ELNS1_3repE0EEENS1_30default_config_static_selectorELNS0_4arch9wavefront6targetE1EEEvT1_
	.globl	_ZN7rocprim17ROCPRIM_400000_NS6detail17trampoline_kernelINS0_14default_configENS1_25partition_config_selectorILNS1_17partition_subalgoE8EiNS0_10empty_typeEbEEZZNS1_14partition_implILS5_8ELb0ES3_jN6thrust23THRUST_200600_302600_NS6detail15normal_iteratorINSA_10device_ptrIiEEEEPS6_PKS6_NS0_5tupleIJNSA_16discard_iteratorINSA_11use_defaultEEES6_EEENSJ_IJSG_SG_EEENS0_18inequality_wrapperINSA_8equal_toIiEEEEPmJS6_EEE10hipError_tPvRmT3_T4_T5_T6_T7_T9_mT8_P12ihipStream_tbDpT10_ENKUlT_T0_E_clISt17integral_constantIbLb0EES1D_EEDaS18_S19_EUlS18_E_NS1_11comp_targetILNS1_3genE9ELNS1_11target_archE1100ELNS1_3gpuE3ELNS1_3repE0EEENS1_30default_config_static_selectorELNS0_4arch9wavefront6targetE1EEEvT1_
	.p2align	8
	.type	_ZN7rocprim17ROCPRIM_400000_NS6detail17trampoline_kernelINS0_14default_configENS1_25partition_config_selectorILNS1_17partition_subalgoE8EiNS0_10empty_typeEbEEZZNS1_14partition_implILS5_8ELb0ES3_jN6thrust23THRUST_200600_302600_NS6detail15normal_iteratorINSA_10device_ptrIiEEEEPS6_PKS6_NS0_5tupleIJNSA_16discard_iteratorINSA_11use_defaultEEES6_EEENSJ_IJSG_SG_EEENS0_18inequality_wrapperINSA_8equal_toIiEEEEPmJS6_EEE10hipError_tPvRmT3_T4_T5_T6_T7_T9_mT8_P12ihipStream_tbDpT10_ENKUlT_T0_E_clISt17integral_constantIbLb0EES1D_EEDaS18_S19_EUlS18_E_NS1_11comp_targetILNS1_3genE9ELNS1_11target_archE1100ELNS1_3gpuE3ELNS1_3repE0EEENS1_30default_config_static_selectorELNS0_4arch9wavefront6targetE1EEEvT1_,@function
_ZN7rocprim17ROCPRIM_400000_NS6detail17trampoline_kernelINS0_14default_configENS1_25partition_config_selectorILNS1_17partition_subalgoE8EiNS0_10empty_typeEbEEZZNS1_14partition_implILS5_8ELb0ES3_jN6thrust23THRUST_200600_302600_NS6detail15normal_iteratorINSA_10device_ptrIiEEEEPS6_PKS6_NS0_5tupleIJNSA_16discard_iteratorINSA_11use_defaultEEES6_EEENSJ_IJSG_SG_EEENS0_18inequality_wrapperINSA_8equal_toIiEEEEPmJS6_EEE10hipError_tPvRmT3_T4_T5_T6_T7_T9_mT8_P12ihipStream_tbDpT10_ENKUlT_T0_E_clISt17integral_constantIbLb0EES1D_EEDaS18_S19_EUlS18_E_NS1_11comp_targetILNS1_3genE9ELNS1_11target_archE1100ELNS1_3gpuE3ELNS1_3repE0EEENS1_30default_config_static_selectorELNS0_4arch9wavefront6targetE1EEEvT1_: ; @_ZN7rocprim17ROCPRIM_400000_NS6detail17trampoline_kernelINS0_14default_configENS1_25partition_config_selectorILNS1_17partition_subalgoE8EiNS0_10empty_typeEbEEZZNS1_14partition_implILS5_8ELb0ES3_jN6thrust23THRUST_200600_302600_NS6detail15normal_iteratorINSA_10device_ptrIiEEEEPS6_PKS6_NS0_5tupleIJNSA_16discard_iteratorINSA_11use_defaultEEES6_EEENSJ_IJSG_SG_EEENS0_18inequality_wrapperINSA_8equal_toIiEEEEPmJS6_EEE10hipError_tPvRmT3_T4_T5_T6_T7_T9_mT8_P12ihipStream_tbDpT10_ENKUlT_T0_E_clISt17integral_constantIbLb0EES1D_EEDaS18_S19_EUlS18_E_NS1_11comp_targetILNS1_3genE9ELNS1_11target_archE1100ELNS1_3gpuE3ELNS1_3repE0EEENS1_30default_config_static_selectorELNS0_4arch9wavefront6targetE1EEEvT1_
; %bb.0:
	.section	.rodata,"a",@progbits
	.p2align	6, 0x0
	.amdhsa_kernel _ZN7rocprim17ROCPRIM_400000_NS6detail17trampoline_kernelINS0_14default_configENS1_25partition_config_selectorILNS1_17partition_subalgoE8EiNS0_10empty_typeEbEEZZNS1_14partition_implILS5_8ELb0ES3_jN6thrust23THRUST_200600_302600_NS6detail15normal_iteratorINSA_10device_ptrIiEEEEPS6_PKS6_NS0_5tupleIJNSA_16discard_iteratorINSA_11use_defaultEEES6_EEENSJ_IJSG_SG_EEENS0_18inequality_wrapperINSA_8equal_toIiEEEEPmJS6_EEE10hipError_tPvRmT3_T4_T5_T6_T7_T9_mT8_P12ihipStream_tbDpT10_ENKUlT_T0_E_clISt17integral_constantIbLb0EES1D_EEDaS18_S19_EUlS18_E_NS1_11comp_targetILNS1_3genE9ELNS1_11target_archE1100ELNS1_3gpuE3ELNS1_3repE0EEENS1_30default_config_static_selectorELNS0_4arch9wavefront6targetE1EEEvT1_
		.amdhsa_group_segment_fixed_size 0
		.amdhsa_private_segment_fixed_size 0
		.amdhsa_kernarg_size 120
		.amdhsa_user_sgpr_count 6
		.amdhsa_user_sgpr_private_segment_buffer 1
		.amdhsa_user_sgpr_dispatch_ptr 0
		.amdhsa_user_sgpr_queue_ptr 0
		.amdhsa_user_sgpr_kernarg_segment_ptr 1
		.amdhsa_user_sgpr_dispatch_id 0
		.amdhsa_user_sgpr_flat_scratch_init 0
		.amdhsa_user_sgpr_private_segment_size 0
		.amdhsa_uses_dynamic_stack 0
		.amdhsa_system_sgpr_private_segment_wavefront_offset 0
		.amdhsa_system_sgpr_workgroup_id_x 1
		.amdhsa_system_sgpr_workgroup_id_y 0
		.amdhsa_system_sgpr_workgroup_id_z 0
		.amdhsa_system_sgpr_workgroup_info 0
		.amdhsa_system_vgpr_workitem_id 0
		.amdhsa_next_free_vgpr 1
		.amdhsa_next_free_sgpr 0
		.amdhsa_reserve_vcc 0
		.amdhsa_reserve_flat_scratch 0
		.amdhsa_float_round_mode_32 0
		.amdhsa_float_round_mode_16_64 0
		.amdhsa_float_denorm_mode_32 3
		.amdhsa_float_denorm_mode_16_64 3
		.amdhsa_dx10_clamp 1
		.amdhsa_ieee_mode 1
		.amdhsa_fp16_overflow 0
		.amdhsa_exception_fp_ieee_invalid_op 0
		.amdhsa_exception_fp_denorm_src 0
		.amdhsa_exception_fp_ieee_div_zero 0
		.amdhsa_exception_fp_ieee_overflow 0
		.amdhsa_exception_fp_ieee_underflow 0
		.amdhsa_exception_fp_ieee_inexact 0
		.amdhsa_exception_int_div_zero 0
	.end_amdhsa_kernel
	.section	.text._ZN7rocprim17ROCPRIM_400000_NS6detail17trampoline_kernelINS0_14default_configENS1_25partition_config_selectorILNS1_17partition_subalgoE8EiNS0_10empty_typeEbEEZZNS1_14partition_implILS5_8ELb0ES3_jN6thrust23THRUST_200600_302600_NS6detail15normal_iteratorINSA_10device_ptrIiEEEEPS6_PKS6_NS0_5tupleIJNSA_16discard_iteratorINSA_11use_defaultEEES6_EEENSJ_IJSG_SG_EEENS0_18inequality_wrapperINSA_8equal_toIiEEEEPmJS6_EEE10hipError_tPvRmT3_T4_T5_T6_T7_T9_mT8_P12ihipStream_tbDpT10_ENKUlT_T0_E_clISt17integral_constantIbLb0EES1D_EEDaS18_S19_EUlS18_E_NS1_11comp_targetILNS1_3genE9ELNS1_11target_archE1100ELNS1_3gpuE3ELNS1_3repE0EEENS1_30default_config_static_selectorELNS0_4arch9wavefront6targetE1EEEvT1_,"axG",@progbits,_ZN7rocprim17ROCPRIM_400000_NS6detail17trampoline_kernelINS0_14default_configENS1_25partition_config_selectorILNS1_17partition_subalgoE8EiNS0_10empty_typeEbEEZZNS1_14partition_implILS5_8ELb0ES3_jN6thrust23THRUST_200600_302600_NS6detail15normal_iteratorINSA_10device_ptrIiEEEEPS6_PKS6_NS0_5tupleIJNSA_16discard_iteratorINSA_11use_defaultEEES6_EEENSJ_IJSG_SG_EEENS0_18inequality_wrapperINSA_8equal_toIiEEEEPmJS6_EEE10hipError_tPvRmT3_T4_T5_T6_T7_T9_mT8_P12ihipStream_tbDpT10_ENKUlT_T0_E_clISt17integral_constantIbLb0EES1D_EEDaS18_S19_EUlS18_E_NS1_11comp_targetILNS1_3genE9ELNS1_11target_archE1100ELNS1_3gpuE3ELNS1_3repE0EEENS1_30default_config_static_selectorELNS0_4arch9wavefront6targetE1EEEvT1_,comdat
.Lfunc_end667:
	.size	_ZN7rocprim17ROCPRIM_400000_NS6detail17trampoline_kernelINS0_14default_configENS1_25partition_config_selectorILNS1_17partition_subalgoE8EiNS0_10empty_typeEbEEZZNS1_14partition_implILS5_8ELb0ES3_jN6thrust23THRUST_200600_302600_NS6detail15normal_iteratorINSA_10device_ptrIiEEEEPS6_PKS6_NS0_5tupleIJNSA_16discard_iteratorINSA_11use_defaultEEES6_EEENSJ_IJSG_SG_EEENS0_18inequality_wrapperINSA_8equal_toIiEEEEPmJS6_EEE10hipError_tPvRmT3_T4_T5_T6_T7_T9_mT8_P12ihipStream_tbDpT10_ENKUlT_T0_E_clISt17integral_constantIbLb0EES1D_EEDaS18_S19_EUlS18_E_NS1_11comp_targetILNS1_3genE9ELNS1_11target_archE1100ELNS1_3gpuE3ELNS1_3repE0EEENS1_30default_config_static_selectorELNS0_4arch9wavefront6targetE1EEEvT1_, .Lfunc_end667-_ZN7rocprim17ROCPRIM_400000_NS6detail17trampoline_kernelINS0_14default_configENS1_25partition_config_selectorILNS1_17partition_subalgoE8EiNS0_10empty_typeEbEEZZNS1_14partition_implILS5_8ELb0ES3_jN6thrust23THRUST_200600_302600_NS6detail15normal_iteratorINSA_10device_ptrIiEEEEPS6_PKS6_NS0_5tupleIJNSA_16discard_iteratorINSA_11use_defaultEEES6_EEENSJ_IJSG_SG_EEENS0_18inequality_wrapperINSA_8equal_toIiEEEEPmJS6_EEE10hipError_tPvRmT3_T4_T5_T6_T7_T9_mT8_P12ihipStream_tbDpT10_ENKUlT_T0_E_clISt17integral_constantIbLb0EES1D_EEDaS18_S19_EUlS18_E_NS1_11comp_targetILNS1_3genE9ELNS1_11target_archE1100ELNS1_3gpuE3ELNS1_3repE0EEENS1_30default_config_static_selectorELNS0_4arch9wavefront6targetE1EEEvT1_
                                        ; -- End function
	.set _ZN7rocprim17ROCPRIM_400000_NS6detail17trampoline_kernelINS0_14default_configENS1_25partition_config_selectorILNS1_17partition_subalgoE8EiNS0_10empty_typeEbEEZZNS1_14partition_implILS5_8ELb0ES3_jN6thrust23THRUST_200600_302600_NS6detail15normal_iteratorINSA_10device_ptrIiEEEEPS6_PKS6_NS0_5tupleIJNSA_16discard_iteratorINSA_11use_defaultEEES6_EEENSJ_IJSG_SG_EEENS0_18inequality_wrapperINSA_8equal_toIiEEEEPmJS6_EEE10hipError_tPvRmT3_T4_T5_T6_T7_T9_mT8_P12ihipStream_tbDpT10_ENKUlT_T0_E_clISt17integral_constantIbLb0EES1D_EEDaS18_S19_EUlS18_E_NS1_11comp_targetILNS1_3genE9ELNS1_11target_archE1100ELNS1_3gpuE3ELNS1_3repE0EEENS1_30default_config_static_selectorELNS0_4arch9wavefront6targetE1EEEvT1_.num_vgpr, 0
	.set _ZN7rocprim17ROCPRIM_400000_NS6detail17trampoline_kernelINS0_14default_configENS1_25partition_config_selectorILNS1_17partition_subalgoE8EiNS0_10empty_typeEbEEZZNS1_14partition_implILS5_8ELb0ES3_jN6thrust23THRUST_200600_302600_NS6detail15normal_iteratorINSA_10device_ptrIiEEEEPS6_PKS6_NS0_5tupleIJNSA_16discard_iteratorINSA_11use_defaultEEES6_EEENSJ_IJSG_SG_EEENS0_18inequality_wrapperINSA_8equal_toIiEEEEPmJS6_EEE10hipError_tPvRmT3_T4_T5_T6_T7_T9_mT8_P12ihipStream_tbDpT10_ENKUlT_T0_E_clISt17integral_constantIbLb0EES1D_EEDaS18_S19_EUlS18_E_NS1_11comp_targetILNS1_3genE9ELNS1_11target_archE1100ELNS1_3gpuE3ELNS1_3repE0EEENS1_30default_config_static_selectorELNS0_4arch9wavefront6targetE1EEEvT1_.num_agpr, 0
	.set _ZN7rocprim17ROCPRIM_400000_NS6detail17trampoline_kernelINS0_14default_configENS1_25partition_config_selectorILNS1_17partition_subalgoE8EiNS0_10empty_typeEbEEZZNS1_14partition_implILS5_8ELb0ES3_jN6thrust23THRUST_200600_302600_NS6detail15normal_iteratorINSA_10device_ptrIiEEEEPS6_PKS6_NS0_5tupleIJNSA_16discard_iteratorINSA_11use_defaultEEES6_EEENSJ_IJSG_SG_EEENS0_18inequality_wrapperINSA_8equal_toIiEEEEPmJS6_EEE10hipError_tPvRmT3_T4_T5_T6_T7_T9_mT8_P12ihipStream_tbDpT10_ENKUlT_T0_E_clISt17integral_constantIbLb0EES1D_EEDaS18_S19_EUlS18_E_NS1_11comp_targetILNS1_3genE9ELNS1_11target_archE1100ELNS1_3gpuE3ELNS1_3repE0EEENS1_30default_config_static_selectorELNS0_4arch9wavefront6targetE1EEEvT1_.numbered_sgpr, 0
	.set _ZN7rocprim17ROCPRIM_400000_NS6detail17trampoline_kernelINS0_14default_configENS1_25partition_config_selectorILNS1_17partition_subalgoE8EiNS0_10empty_typeEbEEZZNS1_14partition_implILS5_8ELb0ES3_jN6thrust23THRUST_200600_302600_NS6detail15normal_iteratorINSA_10device_ptrIiEEEEPS6_PKS6_NS0_5tupleIJNSA_16discard_iteratorINSA_11use_defaultEEES6_EEENSJ_IJSG_SG_EEENS0_18inequality_wrapperINSA_8equal_toIiEEEEPmJS6_EEE10hipError_tPvRmT3_T4_T5_T6_T7_T9_mT8_P12ihipStream_tbDpT10_ENKUlT_T0_E_clISt17integral_constantIbLb0EES1D_EEDaS18_S19_EUlS18_E_NS1_11comp_targetILNS1_3genE9ELNS1_11target_archE1100ELNS1_3gpuE3ELNS1_3repE0EEENS1_30default_config_static_selectorELNS0_4arch9wavefront6targetE1EEEvT1_.num_named_barrier, 0
	.set _ZN7rocprim17ROCPRIM_400000_NS6detail17trampoline_kernelINS0_14default_configENS1_25partition_config_selectorILNS1_17partition_subalgoE8EiNS0_10empty_typeEbEEZZNS1_14partition_implILS5_8ELb0ES3_jN6thrust23THRUST_200600_302600_NS6detail15normal_iteratorINSA_10device_ptrIiEEEEPS6_PKS6_NS0_5tupleIJNSA_16discard_iteratorINSA_11use_defaultEEES6_EEENSJ_IJSG_SG_EEENS0_18inequality_wrapperINSA_8equal_toIiEEEEPmJS6_EEE10hipError_tPvRmT3_T4_T5_T6_T7_T9_mT8_P12ihipStream_tbDpT10_ENKUlT_T0_E_clISt17integral_constantIbLb0EES1D_EEDaS18_S19_EUlS18_E_NS1_11comp_targetILNS1_3genE9ELNS1_11target_archE1100ELNS1_3gpuE3ELNS1_3repE0EEENS1_30default_config_static_selectorELNS0_4arch9wavefront6targetE1EEEvT1_.private_seg_size, 0
	.set _ZN7rocprim17ROCPRIM_400000_NS6detail17trampoline_kernelINS0_14default_configENS1_25partition_config_selectorILNS1_17partition_subalgoE8EiNS0_10empty_typeEbEEZZNS1_14partition_implILS5_8ELb0ES3_jN6thrust23THRUST_200600_302600_NS6detail15normal_iteratorINSA_10device_ptrIiEEEEPS6_PKS6_NS0_5tupleIJNSA_16discard_iteratorINSA_11use_defaultEEES6_EEENSJ_IJSG_SG_EEENS0_18inequality_wrapperINSA_8equal_toIiEEEEPmJS6_EEE10hipError_tPvRmT3_T4_T5_T6_T7_T9_mT8_P12ihipStream_tbDpT10_ENKUlT_T0_E_clISt17integral_constantIbLb0EES1D_EEDaS18_S19_EUlS18_E_NS1_11comp_targetILNS1_3genE9ELNS1_11target_archE1100ELNS1_3gpuE3ELNS1_3repE0EEENS1_30default_config_static_selectorELNS0_4arch9wavefront6targetE1EEEvT1_.uses_vcc, 0
	.set _ZN7rocprim17ROCPRIM_400000_NS6detail17trampoline_kernelINS0_14default_configENS1_25partition_config_selectorILNS1_17partition_subalgoE8EiNS0_10empty_typeEbEEZZNS1_14partition_implILS5_8ELb0ES3_jN6thrust23THRUST_200600_302600_NS6detail15normal_iteratorINSA_10device_ptrIiEEEEPS6_PKS6_NS0_5tupleIJNSA_16discard_iteratorINSA_11use_defaultEEES6_EEENSJ_IJSG_SG_EEENS0_18inequality_wrapperINSA_8equal_toIiEEEEPmJS6_EEE10hipError_tPvRmT3_T4_T5_T6_T7_T9_mT8_P12ihipStream_tbDpT10_ENKUlT_T0_E_clISt17integral_constantIbLb0EES1D_EEDaS18_S19_EUlS18_E_NS1_11comp_targetILNS1_3genE9ELNS1_11target_archE1100ELNS1_3gpuE3ELNS1_3repE0EEENS1_30default_config_static_selectorELNS0_4arch9wavefront6targetE1EEEvT1_.uses_flat_scratch, 0
	.set _ZN7rocprim17ROCPRIM_400000_NS6detail17trampoline_kernelINS0_14default_configENS1_25partition_config_selectorILNS1_17partition_subalgoE8EiNS0_10empty_typeEbEEZZNS1_14partition_implILS5_8ELb0ES3_jN6thrust23THRUST_200600_302600_NS6detail15normal_iteratorINSA_10device_ptrIiEEEEPS6_PKS6_NS0_5tupleIJNSA_16discard_iteratorINSA_11use_defaultEEES6_EEENSJ_IJSG_SG_EEENS0_18inequality_wrapperINSA_8equal_toIiEEEEPmJS6_EEE10hipError_tPvRmT3_T4_T5_T6_T7_T9_mT8_P12ihipStream_tbDpT10_ENKUlT_T0_E_clISt17integral_constantIbLb0EES1D_EEDaS18_S19_EUlS18_E_NS1_11comp_targetILNS1_3genE9ELNS1_11target_archE1100ELNS1_3gpuE3ELNS1_3repE0EEENS1_30default_config_static_selectorELNS0_4arch9wavefront6targetE1EEEvT1_.has_dyn_sized_stack, 0
	.set _ZN7rocprim17ROCPRIM_400000_NS6detail17trampoline_kernelINS0_14default_configENS1_25partition_config_selectorILNS1_17partition_subalgoE8EiNS0_10empty_typeEbEEZZNS1_14partition_implILS5_8ELb0ES3_jN6thrust23THRUST_200600_302600_NS6detail15normal_iteratorINSA_10device_ptrIiEEEEPS6_PKS6_NS0_5tupleIJNSA_16discard_iteratorINSA_11use_defaultEEES6_EEENSJ_IJSG_SG_EEENS0_18inequality_wrapperINSA_8equal_toIiEEEEPmJS6_EEE10hipError_tPvRmT3_T4_T5_T6_T7_T9_mT8_P12ihipStream_tbDpT10_ENKUlT_T0_E_clISt17integral_constantIbLb0EES1D_EEDaS18_S19_EUlS18_E_NS1_11comp_targetILNS1_3genE9ELNS1_11target_archE1100ELNS1_3gpuE3ELNS1_3repE0EEENS1_30default_config_static_selectorELNS0_4arch9wavefront6targetE1EEEvT1_.has_recursion, 0
	.set _ZN7rocprim17ROCPRIM_400000_NS6detail17trampoline_kernelINS0_14default_configENS1_25partition_config_selectorILNS1_17partition_subalgoE8EiNS0_10empty_typeEbEEZZNS1_14partition_implILS5_8ELb0ES3_jN6thrust23THRUST_200600_302600_NS6detail15normal_iteratorINSA_10device_ptrIiEEEEPS6_PKS6_NS0_5tupleIJNSA_16discard_iteratorINSA_11use_defaultEEES6_EEENSJ_IJSG_SG_EEENS0_18inequality_wrapperINSA_8equal_toIiEEEEPmJS6_EEE10hipError_tPvRmT3_T4_T5_T6_T7_T9_mT8_P12ihipStream_tbDpT10_ENKUlT_T0_E_clISt17integral_constantIbLb0EES1D_EEDaS18_S19_EUlS18_E_NS1_11comp_targetILNS1_3genE9ELNS1_11target_archE1100ELNS1_3gpuE3ELNS1_3repE0EEENS1_30default_config_static_selectorELNS0_4arch9wavefront6targetE1EEEvT1_.has_indirect_call, 0
	.section	.AMDGPU.csdata,"",@progbits
; Kernel info:
; codeLenInByte = 0
; TotalNumSgprs: 4
; NumVgprs: 0
; ScratchSize: 0
; MemoryBound: 0
; FloatMode: 240
; IeeeMode: 1
; LDSByteSize: 0 bytes/workgroup (compile time only)
; SGPRBlocks: 0
; VGPRBlocks: 0
; NumSGPRsForWavesPerEU: 4
; NumVGPRsForWavesPerEU: 1
; Occupancy: 10
; WaveLimiterHint : 0
; COMPUTE_PGM_RSRC2:SCRATCH_EN: 0
; COMPUTE_PGM_RSRC2:USER_SGPR: 6
; COMPUTE_PGM_RSRC2:TRAP_HANDLER: 0
; COMPUTE_PGM_RSRC2:TGID_X_EN: 1
; COMPUTE_PGM_RSRC2:TGID_Y_EN: 0
; COMPUTE_PGM_RSRC2:TGID_Z_EN: 0
; COMPUTE_PGM_RSRC2:TIDIG_COMP_CNT: 0
	.section	.text._ZN7rocprim17ROCPRIM_400000_NS6detail17trampoline_kernelINS0_14default_configENS1_25partition_config_selectorILNS1_17partition_subalgoE8EiNS0_10empty_typeEbEEZZNS1_14partition_implILS5_8ELb0ES3_jN6thrust23THRUST_200600_302600_NS6detail15normal_iteratorINSA_10device_ptrIiEEEEPS6_PKS6_NS0_5tupleIJNSA_16discard_iteratorINSA_11use_defaultEEES6_EEENSJ_IJSG_SG_EEENS0_18inequality_wrapperINSA_8equal_toIiEEEEPmJS6_EEE10hipError_tPvRmT3_T4_T5_T6_T7_T9_mT8_P12ihipStream_tbDpT10_ENKUlT_T0_E_clISt17integral_constantIbLb0EES1D_EEDaS18_S19_EUlS18_E_NS1_11comp_targetILNS1_3genE8ELNS1_11target_archE1030ELNS1_3gpuE2ELNS1_3repE0EEENS1_30default_config_static_selectorELNS0_4arch9wavefront6targetE1EEEvT1_,"axG",@progbits,_ZN7rocprim17ROCPRIM_400000_NS6detail17trampoline_kernelINS0_14default_configENS1_25partition_config_selectorILNS1_17partition_subalgoE8EiNS0_10empty_typeEbEEZZNS1_14partition_implILS5_8ELb0ES3_jN6thrust23THRUST_200600_302600_NS6detail15normal_iteratorINSA_10device_ptrIiEEEEPS6_PKS6_NS0_5tupleIJNSA_16discard_iteratorINSA_11use_defaultEEES6_EEENSJ_IJSG_SG_EEENS0_18inequality_wrapperINSA_8equal_toIiEEEEPmJS6_EEE10hipError_tPvRmT3_T4_T5_T6_T7_T9_mT8_P12ihipStream_tbDpT10_ENKUlT_T0_E_clISt17integral_constantIbLb0EES1D_EEDaS18_S19_EUlS18_E_NS1_11comp_targetILNS1_3genE8ELNS1_11target_archE1030ELNS1_3gpuE2ELNS1_3repE0EEENS1_30default_config_static_selectorELNS0_4arch9wavefront6targetE1EEEvT1_,comdat
	.protected	_ZN7rocprim17ROCPRIM_400000_NS6detail17trampoline_kernelINS0_14default_configENS1_25partition_config_selectorILNS1_17partition_subalgoE8EiNS0_10empty_typeEbEEZZNS1_14partition_implILS5_8ELb0ES3_jN6thrust23THRUST_200600_302600_NS6detail15normal_iteratorINSA_10device_ptrIiEEEEPS6_PKS6_NS0_5tupleIJNSA_16discard_iteratorINSA_11use_defaultEEES6_EEENSJ_IJSG_SG_EEENS0_18inequality_wrapperINSA_8equal_toIiEEEEPmJS6_EEE10hipError_tPvRmT3_T4_T5_T6_T7_T9_mT8_P12ihipStream_tbDpT10_ENKUlT_T0_E_clISt17integral_constantIbLb0EES1D_EEDaS18_S19_EUlS18_E_NS1_11comp_targetILNS1_3genE8ELNS1_11target_archE1030ELNS1_3gpuE2ELNS1_3repE0EEENS1_30default_config_static_selectorELNS0_4arch9wavefront6targetE1EEEvT1_ ; -- Begin function _ZN7rocprim17ROCPRIM_400000_NS6detail17trampoline_kernelINS0_14default_configENS1_25partition_config_selectorILNS1_17partition_subalgoE8EiNS0_10empty_typeEbEEZZNS1_14partition_implILS5_8ELb0ES3_jN6thrust23THRUST_200600_302600_NS6detail15normal_iteratorINSA_10device_ptrIiEEEEPS6_PKS6_NS0_5tupleIJNSA_16discard_iteratorINSA_11use_defaultEEES6_EEENSJ_IJSG_SG_EEENS0_18inequality_wrapperINSA_8equal_toIiEEEEPmJS6_EEE10hipError_tPvRmT3_T4_T5_T6_T7_T9_mT8_P12ihipStream_tbDpT10_ENKUlT_T0_E_clISt17integral_constantIbLb0EES1D_EEDaS18_S19_EUlS18_E_NS1_11comp_targetILNS1_3genE8ELNS1_11target_archE1030ELNS1_3gpuE2ELNS1_3repE0EEENS1_30default_config_static_selectorELNS0_4arch9wavefront6targetE1EEEvT1_
	.globl	_ZN7rocprim17ROCPRIM_400000_NS6detail17trampoline_kernelINS0_14default_configENS1_25partition_config_selectorILNS1_17partition_subalgoE8EiNS0_10empty_typeEbEEZZNS1_14partition_implILS5_8ELb0ES3_jN6thrust23THRUST_200600_302600_NS6detail15normal_iteratorINSA_10device_ptrIiEEEEPS6_PKS6_NS0_5tupleIJNSA_16discard_iteratorINSA_11use_defaultEEES6_EEENSJ_IJSG_SG_EEENS0_18inequality_wrapperINSA_8equal_toIiEEEEPmJS6_EEE10hipError_tPvRmT3_T4_T5_T6_T7_T9_mT8_P12ihipStream_tbDpT10_ENKUlT_T0_E_clISt17integral_constantIbLb0EES1D_EEDaS18_S19_EUlS18_E_NS1_11comp_targetILNS1_3genE8ELNS1_11target_archE1030ELNS1_3gpuE2ELNS1_3repE0EEENS1_30default_config_static_selectorELNS0_4arch9wavefront6targetE1EEEvT1_
	.p2align	8
	.type	_ZN7rocprim17ROCPRIM_400000_NS6detail17trampoline_kernelINS0_14default_configENS1_25partition_config_selectorILNS1_17partition_subalgoE8EiNS0_10empty_typeEbEEZZNS1_14partition_implILS5_8ELb0ES3_jN6thrust23THRUST_200600_302600_NS6detail15normal_iteratorINSA_10device_ptrIiEEEEPS6_PKS6_NS0_5tupleIJNSA_16discard_iteratorINSA_11use_defaultEEES6_EEENSJ_IJSG_SG_EEENS0_18inequality_wrapperINSA_8equal_toIiEEEEPmJS6_EEE10hipError_tPvRmT3_T4_T5_T6_T7_T9_mT8_P12ihipStream_tbDpT10_ENKUlT_T0_E_clISt17integral_constantIbLb0EES1D_EEDaS18_S19_EUlS18_E_NS1_11comp_targetILNS1_3genE8ELNS1_11target_archE1030ELNS1_3gpuE2ELNS1_3repE0EEENS1_30default_config_static_selectorELNS0_4arch9wavefront6targetE1EEEvT1_,@function
_ZN7rocprim17ROCPRIM_400000_NS6detail17trampoline_kernelINS0_14default_configENS1_25partition_config_selectorILNS1_17partition_subalgoE8EiNS0_10empty_typeEbEEZZNS1_14partition_implILS5_8ELb0ES3_jN6thrust23THRUST_200600_302600_NS6detail15normal_iteratorINSA_10device_ptrIiEEEEPS6_PKS6_NS0_5tupleIJNSA_16discard_iteratorINSA_11use_defaultEEES6_EEENSJ_IJSG_SG_EEENS0_18inequality_wrapperINSA_8equal_toIiEEEEPmJS6_EEE10hipError_tPvRmT3_T4_T5_T6_T7_T9_mT8_P12ihipStream_tbDpT10_ENKUlT_T0_E_clISt17integral_constantIbLb0EES1D_EEDaS18_S19_EUlS18_E_NS1_11comp_targetILNS1_3genE8ELNS1_11target_archE1030ELNS1_3gpuE2ELNS1_3repE0EEENS1_30default_config_static_selectorELNS0_4arch9wavefront6targetE1EEEvT1_: ; @_ZN7rocprim17ROCPRIM_400000_NS6detail17trampoline_kernelINS0_14default_configENS1_25partition_config_selectorILNS1_17partition_subalgoE8EiNS0_10empty_typeEbEEZZNS1_14partition_implILS5_8ELb0ES3_jN6thrust23THRUST_200600_302600_NS6detail15normal_iteratorINSA_10device_ptrIiEEEEPS6_PKS6_NS0_5tupleIJNSA_16discard_iteratorINSA_11use_defaultEEES6_EEENSJ_IJSG_SG_EEENS0_18inequality_wrapperINSA_8equal_toIiEEEEPmJS6_EEE10hipError_tPvRmT3_T4_T5_T6_T7_T9_mT8_P12ihipStream_tbDpT10_ENKUlT_T0_E_clISt17integral_constantIbLb0EES1D_EEDaS18_S19_EUlS18_E_NS1_11comp_targetILNS1_3genE8ELNS1_11target_archE1030ELNS1_3gpuE2ELNS1_3repE0EEENS1_30default_config_static_selectorELNS0_4arch9wavefront6targetE1EEEvT1_
; %bb.0:
	.section	.rodata,"a",@progbits
	.p2align	6, 0x0
	.amdhsa_kernel _ZN7rocprim17ROCPRIM_400000_NS6detail17trampoline_kernelINS0_14default_configENS1_25partition_config_selectorILNS1_17partition_subalgoE8EiNS0_10empty_typeEbEEZZNS1_14partition_implILS5_8ELb0ES3_jN6thrust23THRUST_200600_302600_NS6detail15normal_iteratorINSA_10device_ptrIiEEEEPS6_PKS6_NS0_5tupleIJNSA_16discard_iteratorINSA_11use_defaultEEES6_EEENSJ_IJSG_SG_EEENS0_18inequality_wrapperINSA_8equal_toIiEEEEPmJS6_EEE10hipError_tPvRmT3_T4_T5_T6_T7_T9_mT8_P12ihipStream_tbDpT10_ENKUlT_T0_E_clISt17integral_constantIbLb0EES1D_EEDaS18_S19_EUlS18_E_NS1_11comp_targetILNS1_3genE8ELNS1_11target_archE1030ELNS1_3gpuE2ELNS1_3repE0EEENS1_30default_config_static_selectorELNS0_4arch9wavefront6targetE1EEEvT1_
		.amdhsa_group_segment_fixed_size 0
		.amdhsa_private_segment_fixed_size 0
		.amdhsa_kernarg_size 120
		.amdhsa_user_sgpr_count 6
		.amdhsa_user_sgpr_private_segment_buffer 1
		.amdhsa_user_sgpr_dispatch_ptr 0
		.amdhsa_user_sgpr_queue_ptr 0
		.amdhsa_user_sgpr_kernarg_segment_ptr 1
		.amdhsa_user_sgpr_dispatch_id 0
		.amdhsa_user_sgpr_flat_scratch_init 0
		.amdhsa_user_sgpr_private_segment_size 0
		.amdhsa_uses_dynamic_stack 0
		.amdhsa_system_sgpr_private_segment_wavefront_offset 0
		.amdhsa_system_sgpr_workgroup_id_x 1
		.amdhsa_system_sgpr_workgroup_id_y 0
		.amdhsa_system_sgpr_workgroup_id_z 0
		.amdhsa_system_sgpr_workgroup_info 0
		.amdhsa_system_vgpr_workitem_id 0
		.amdhsa_next_free_vgpr 1
		.amdhsa_next_free_sgpr 0
		.amdhsa_reserve_vcc 0
		.amdhsa_reserve_flat_scratch 0
		.amdhsa_float_round_mode_32 0
		.amdhsa_float_round_mode_16_64 0
		.amdhsa_float_denorm_mode_32 3
		.amdhsa_float_denorm_mode_16_64 3
		.amdhsa_dx10_clamp 1
		.amdhsa_ieee_mode 1
		.amdhsa_fp16_overflow 0
		.amdhsa_exception_fp_ieee_invalid_op 0
		.amdhsa_exception_fp_denorm_src 0
		.amdhsa_exception_fp_ieee_div_zero 0
		.amdhsa_exception_fp_ieee_overflow 0
		.amdhsa_exception_fp_ieee_underflow 0
		.amdhsa_exception_fp_ieee_inexact 0
		.amdhsa_exception_int_div_zero 0
	.end_amdhsa_kernel
	.section	.text._ZN7rocprim17ROCPRIM_400000_NS6detail17trampoline_kernelINS0_14default_configENS1_25partition_config_selectorILNS1_17partition_subalgoE8EiNS0_10empty_typeEbEEZZNS1_14partition_implILS5_8ELb0ES3_jN6thrust23THRUST_200600_302600_NS6detail15normal_iteratorINSA_10device_ptrIiEEEEPS6_PKS6_NS0_5tupleIJNSA_16discard_iteratorINSA_11use_defaultEEES6_EEENSJ_IJSG_SG_EEENS0_18inequality_wrapperINSA_8equal_toIiEEEEPmJS6_EEE10hipError_tPvRmT3_T4_T5_T6_T7_T9_mT8_P12ihipStream_tbDpT10_ENKUlT_T0_E_clISt17integral_constantIbLb0EES1D_EEDaS18_S19_EUlS18_E_NS1_11comp_targetILNS1_3genE8ELNS1_11target_archE1030ELNS1_3gpuE2ELNS1_3repE0EEENS1_30default_config_static_selectorELNS0_4arch9wavefront6targetE1EEEvT1_,"axG",@progbits,_ZN7rocprim17ROCPRIM_400000_NS6detail17trampoline_kernelINS0_14default_configENS1_25partition_config_selectorILNS1_17partition_subalgoE8EiNS0_10empty_typeEbEEZZNS1_14partition_implILS5_8ELb0ES3_jN6thrust23THRUST_200600_302600_NS6detail15normal_iteratorINSA_10device_ptrIiEEEEPS6_PKS6_NS0_5tupleIJNSA_16discard_iteratorINSA_11use_defaultEEES6_EEENSJ_IJSG_SG_EEENS0_18inequality_wrapperINSA_8equal_toIiEEEEPmJS6_EEE10hipError_tPvRmT3_T4_T5_T6_T7_T9_mT8_P12ihipStream_tbDpT10_ENKUlT_T0_E_clISt17integral_constantIbLb0EES1D_EEDaS18_S19_EUlS18_E_NS1_11comp_targetILNS1_3genE8ELNS1_11target_archE1030ELNS1_3gpuE2ELNS1_3repE0EEENS1_30default_config_static_selectorELNS0_4arch9wavefront6targetE1EEEvT1_,comdat
.Lfunc_end668:
	.size	_ZN7rocprim17ROCPRIM_400000_NS6detail17trampoline_kernelINS0_14default_configENS1_25partition_config_selectorILNS1_17partition_subalgoE8EiNS0_10empty_typeEbEEZZNS1_14partition_implILS5_8ELb0ES3_jN6thrust23THRUST_200600_302600_NS6detail15normal_iteratorINSA_10device_ptrIiEEEEPS6_PKS6_NS0_5tupleIJNSA_16discard_iteratorINSA_11use_defaultEEES6_EEENSJ_IJSG_SG_EEENS0_18inequality_wrapperINSA_8equal_toIiEEEEPmJS6_EEE10hipError_tPvRmT3_T4_T5_T6_T7_T9_mT8_P12ihipStream_tbDpT10_ENKUlT_T0_E_clISt17integral_constantIbLb0EES1D_EEDaS18_S19_EUlS18_E_NS1_11comp_targetILNS1_3genE8ELNS1_11target_archE1030ELNS1_3gpuE2ELNS1_3repE0EEENS1_30default_config_static_selectorELNS0_4arch9wavefront6targetE1EEEvT1_, .Lfunc_end668-_ZN7rocprim17ROCPRIM_400000_NS6detail17trampoline_kernelINS0_14default_configENS1_25partition_config_selectorILNS1_17partition_subalgoE8EiNS0_10empty_typeEbEEZZNS1_14partition_implILS5_8ELb0ES3_jN6thrust23THRUST_200600_302600_NS6detail15normal_iteratorINSA_10device_ptrIiEEEEPS6_PKS6_NS0_5tupleIJNSA_16discard_iteratorINSA_11use_defaultEEES6_EEENSJ_IJSG_SG_EEENS0_18inequality_wrapperINSA_8equal_toIiEEEEPmJS6_EEE10hipError_tPvRmT3_T4_T5_T6_T7_T9_mT8_P12ihipStream_tbDpT10_ENKUlT_T0_E_clISt17integral_constantIbLb0EES1D_EEDaS18_S19_EUlS18_E_NS1_11comp_targetILNS1_3genE8ELNS1_11target_archE1030ELNS1_3gpuE2ELNS1_3repE0EEENS1_30default_config_static_selectorELNS0_4arch9wavefront6targetE1EEEvT1_
                                        ; -- End function
	.set _ZN7rocprim17ROCPRIM_400000_NS6detail17trampoline_kernelINS0_14default_configENS1_25partition_config_selectorILNS1_17partition_subalgoE8EiNS0_10empty_typeEbEEZZNS1_14partition_implILS5_8ELb0ES3_jN6thrust23THRUST_200600_302600_NS6detail15normal_iteratorINSA_10device_ptrIiEEEEPS6_PKS6_NS0_5tupleIJNSA_16discard_iteratorINSA_11use_defaultEEES6_EEENSJ_IJSG_SG_EEENS0_18inequality_wrapperINSA_8equal_toIiEEEEPmJS6_EEE10hipError_tPvRmT3_T4_T5_T6_T7_T9_mT8_P12ihipStream_tbDpT10_ENKUlT_T0_E_clISt17integral_constantIbLb0EES1D_EEDaS18_S19_EUlS18_E_NS1_11comp_targetILNS1_3genE8ELNS1_11target_archE1030ELNS1_3gpuE2ELNS1_3repE0EEENS1_30default_config_static_selectorELNS0_4arch9wavefront6targetE1EEEvT1_.num_vgpr, 0
	.set _ZN7rocprim17ROCPRIM_400000_NS6detail17trampoline_kernelINS0_14default_configENS1_25partition_config_selectorILNS1_17partition_subalgoE8EiNS0_10empty_typeEbEEZZNS1_14partition_implILS5_8ELb0ES3_jN6thrust23THRUST_200600_302600_NS6detail15normal_iteratorINSA_10device_ptrIiEEEEPS6_PKS6_NS0_5tupleIJNSA_16discard_iteratorINSA_11use_defaultEEES6_EEENSJ_IJSG_SG_EEENS0_18inequality_wrapperINSA_8equal_toIiEEEEPmJS6_EEE10hipError_tPvRmT3_T4_T5_T6_T7_T9_mT8_P12ihipStream_tbDpT10_ENKUlT_T0_E_clISt17integral_constantIbLb0EES1D_EEDaS18_S19_EUlS18_E_NS1_11comp_targetILNS1_3genE8ELNS1_11target_archE1030ELNS1_3gpuE2ELNS1_3repE0EEENS1_30default_config_static_selectorELNS0_4arch9wavefront6targetE1EEEvT1_.num_agpr, 0
	.set _ZN7rocprim17ROCPRIM_400000_NS6detail17trampoline_kernelINS0_14default_configENS1_25partition_config_selectorILNS1_17partition_subalgoE8EiNS0_10empty_typeEbEEZZNS1_14partition_implILS5_8ELb0ES3_jN6thrust23THRUST_200600_302600_NS6detail15normal_iteratorINSA_10device_ptrIiEEEEPS6_PKS6_NS0_5tupleIJNSA_16discard_iteratorINSA_11use_defaultEEES6_EEENSJ_IJSG_SG_EEENS0_18inequality_wrapperINSA_8equal_toIiEEEEPmJS6_EEE10hipError_tPvRmT3_T4_T5_T6_T7_T9_mT8_P12ihipStream_tbDpT10_ENKUlT_T0_E_clISt17integral_constantIbLb0EES1D_EEDaS18_S19_EUlS18_E_NS1_11comp_targetILNS1_3genE8ELNS1_11target_archE1030ELNS1_3gpuE2ELNS1_3repE0EEENS1_30default_config_static_selectorELNS0_4arch9wavefront6targetE1EEEvT1_.numbered_sgpr, 0
	.set _ZN7rocprim17ROCPRIM_400000_NS6detail17trampoline_kernelINS0_14default_configENS1_25partition_config_selectorILNS1_17partition_subalgoE8EiNS0_10empty_typeEbEEZZNS1_14partition_implILS5_8ELb0ES3_jN6thrust23THRUST_200600_302600_NS6detail15normal_iteratorINSA_10device_ptrIiEEEEPS6_PKS6_NS0_5tupleIJNSA_16discard_iteratorINSA_11use_defaultEEES6_EEENSJ_IJSG_SG_EEENS0_18inequality_wrapperINSA_8equal_toIiEEEEPmJS6_EEE10hipError_tPvRmT3_T4_T5_T6_T7_T9_mT8_P12ihipStream_tbDpT10_ENKUlT_T0_E_clISt17integral_constantIbLb0EES1D_EEDaS18_S19_EUlS18_E_NS1_11comp_targetILNS1_3genE8ELNS1_11target_archE1030ELNS1_3gpuE2ELNS1_3repE0EEENS1_30default_config_static_selectorELNS0_4arch9wavefront6targetE1EEEvT1_.num_named_barrier, 0
	.set _ZN7rocprim17ROCPRIM_400000_NS6detail17trampoline_kernelINS0_14default_configENS1_25partition_config_selectorILNS1_17partition_subalgoE8EiNS0_10empty_typeEbEEZZNS1_14partition_implILS5_8ELb0ES3_jN6thrust23THRUST_200600_302600_NS6detail15normal_iteratorINSA_10device_ptrIiEEEEPS6_PKS6_NS0_5tupleIJNSA_16discard_iteratorINSA_11use_defaultEEES6_EEENSJ_IJSG_SG_EEENS0_18inequality_wrapperINSA_8equal_toIiEEEEPmJS6_EEE10hipError_tPvRmT3_T4_T5_T6_T7_T9_mT8_P12ihipStream_tbDpT10_ENKUlT_T0_E_clISt17integral_constantIbLb0EES1D_EEDaS18_S19_EUlS18_E_NS1_11comp_targetILNS1_3genE8ELNS1_11target_archE1030ELNS1_3gpuE2ELNS1_3repE0EEENS1_30default_config_static_selectorELNS0_4arch9wavefront6targetE1EEEvT1_.private_seg_size, 0
	.set _ZN7rocprim17ROCPRIM_400000_NS6detail17trampoline_kernelINS0_14default_configENS1_25partition_config_selectorILNS1_17partition_subalgoE8EiNS0_10empty_typeEbEEZZNS1_14partition_implILS5_8ELb0ES3_jN6thrust23THRUST_200600_302600_NS6detail15normal_iteratorINSA_10device_ptrIiEEEEPS6_PKS6_NS0_5tupleIJNSA_16discard_iteratorINSA_11use_defaultEEES6_EEENSJ_IJSG_SG_EEENS0_18inequality_wrapperINSA_8equal_toIiEEEEPmJS6_EEE10hipError_tPvRmT3_T4_T5_T6_T7_T9_mT8_P12ihipStream_tbDpT10_ENKUlT_T0_E_clISt17integral_constantIbLb0EES1D_EEDaS18_S19_EUlS18_E_NS1_11comp_targetILNS1_3genE8ELNS1_11target_archE1030ELNS1_3gpuE2ELNS1_3repE0EEENS1_30default_config_static_selectorELNS0_4arch9wavefront6targetE1EEEvT1_.uses_vcc, 0
	.set _ZN7rocprim17ROCPRIM_400000_NS6detail17trampoline_kernelINS0_14default_configENS1_25partition_config_selectorILNS1_17partition_subalgoE8EiNS0_10empty_typeEbEEZZNS1_14partition_implILS5_8ELb0ES3_jN6thrust23THRUST_200600_302600_NS6detail15normal_iteratorINSA_10device_ptrIiEEEEPS6_PKS6_NS0_5tupleIJNSA_16discard_iteratorINSA_11use_defaultEEES6_EEENSJ_IJSG_SG_EEENS0_18inequality_wrapperINSA_8equal_toIiEEEEPmJS6_EEE10hipError_tPvRmT3_T4_T5_T6_T7_T9_mT8_P12ihipStream_tbDpT10_ENKUlT_T0_E_clISt17integral_constantIbLb0EES1D_EEDaS18_S19_EUlS18_E_NS1_11comp_targetILNS1_3genE8ELNS1_11target_archE1030ELNS1_3gpuE2ELNS1_3repE0EEENS1_30default_config_static_selectorELNS0_4arch9wavefront6targetE1EEEvT1_.uses_flat_scratch, 0
	.set _ZN7rocprim17ROCPRIM_400000_NS6detail17trampoline_kernelINS0_14default_configENS1_25partition_config_selectorILNS1_17partition_subalgoE8EiNS0_10empty_typeEbEEZZNS1_14partition_implILS5_8ELb0ES3_jN6thrust23THRUST_200600_302600_NS6detail15normal_iteratorINSA_10device_ptrIiEEEEPS6_PKS6_NS0_5tupleIJNSA_16discard_iteratorINSA_11use_defaultEEES6_EEENSJ_IJSG_SG_EEENS0_18inequality_wrapperINSA_8equal_toIiEEEEPmJS6_EEE10hipError_tPvRmT3_T4_T5_T6_T7_T9_mT8_P12ihipStream_tbDpT10_ENKUlT_T0_E_clISt17integral_constantIbLb0EES1D_EEDaS18_S19_EUlS18_E_NS1_11comp_targetILNS1_3genE8ELNS1_11target_archE1030ELNS1_3gpuE2ELNS1_3repE0EEENS1_30default_config_static_selectorELNS0_4arch9wavefront6targetE1EEEvT1_.has_dyn_sized_stack, 0
	.set _ZN7rocprim17ROCPRIM_400000_NS6detail17trampoline_kernelINS0_14default_configENS1_25partition_config_selectorILNS1_17partition_subalgoE8EiNS0_10empty_typeEbEEZZNS1_14partition_implILS5_8ELb0ES3_jN6thrust23THRUST_200600_302600_NS6detail15normal_iteratorINSA_10device_ptrIiEEEEPS6_PKS6_NS0_5tupleIJNSA_16discard_iteratorINSA_11use_defaultEEES6_EEENSJ_IJSG_SG_EEENS0_18inequality_wrapperINSA_8equal_toIiEEEEPmJS6_EEE10hipError_tPvRmT3_T4_T5_T6_T7_T9_mT8_P12ihipStream_tbDpT10_ENKUlT_T0_E_clISt17integral_constantIbLb0EES1D_EEDaS18_S19_EUlS18_E_NS1_11comp_targetILNS1_3genE8ELNS1_11target_archE1030ELNS1_3gpuE2ELNS1_3repE0EEENS1_30default_config_static_selectorELNS0_4arch9wavefront6targetE1EEEvT1_.has_recursion, 0
	.set _ZN7rocprim17ROCPRIM_400000_NS6detail17trampoline_kernelINS0_14default_configENS1_25partition_config_selectorILNS1_17partition_subalgoE8EiNS0_10empty_typeEbEEZZNS1_14partition_implILS5_8ELb0ES3_jN6thrust23THRUST_200600_302600_NS6detail15normal_iteratorINSA_10device_ptrIiEEEEPS6_PKS6_NS0_5tupleIJNSA_16discard_iteratorINSA_11use_defaultEEES6_EEENSJ_IJSG_SG_EEENS0_18inequality_wrapperINSA_8equal_toIiEEEEPmJS6_EEE10hipError_tPvRmT3_T4_T5_T6_T7_T9_mT8_P12ihipStream_tbDpT10_ENKUlT_T0_E_clISt17integral_constantIbLb0EES1D_EEDaS18_S19_EUlS18_E_NS1_11comp_targetILNS1_3genE8ELNS1_11target_archE1030ELNS1_3gpuE2ELNS1_3repE0EEENS1_30default_config_static_selectorELNS0_4arch9wavefront6targetE1EEEvT1_.has_indirect_call, 0
	.section	.AMDGPU.csdata,"",@progbits
; Kernel info:
; codeLenInByte = 0
; TotalNumSgprs: 4
; NumVgprs: 0
; ScratchSize: 0
; MemoryBound: 0
; FloatMode: 240
; IeeeMode: 1
; LDSByteSize: 0 bytes/workgroup (compile time only)
; SGPRBlocks: 0
; VGPRBlocks: 0
; NumSGPRsForWavesPerEU: 4
; NumVGPRsForWavesPerEU: 1
; Occupancy: 10
; WaveLimiterHint : 0
; COMPUTE_PGM_RSRC2:SCRATCH_EN: 0
; COMPUTE_PGM_RSRC2:USER_SGPR: 6
; COMPUTE_PGM_RSRC2:TRAP_HANDLER: 0
; COMPUTE_PGM_RSRC2:TGID_X_EN: 1
; COMPUTE_PGM_RSRC2:TGID_Y_EN: 0
; COMPUTE_PGM_RSRC2:TGID_Z_EN: 0
; COMPUTE_PGM_RSRC2:TIDIG_COMP_CNT: 0
	.section	.text._ZN7rocprim17ROCPRIM_400000_NS6detail17trampoline_kernelINS0_14default_configENS1_25partition_config_selectorILNS1_17partition_subalgoE8EiNS0_10empty_typeEbEEZZNS1_14partition_implILS5_8ELb0ES3_jN6thrust23THRUST_200600_302600_NS6detail15normal_iteratorINSA_10device_ptrIiEEEEPS6_PKS6_NS0_5tupleIJNSA_16discard_iteratorINSA_11use_defaultEEES6_EEENSJ_IJSG_SG_EEENS0_18inequality_wrapperINSA_8equal_toIiEEEEPmJS6_EEE10hipError_tPvRmT3_T4_T5_T6_T7_T9_mT8_P12ihipStream_tbDpT10_ENKUlT_T0_E_clISt17integral_constantIbLb1EES1D_EEDaS18_S19_EUlS18_E_NS1_11comp_targetILNS1_3genE0ELNS1_11target_archE4294967295ELNS1_3gpuE0ELNS1_3repE0EEENS1_30default_config_static_selectorELNS0_4arch9wavefront6targetE1EEEvT1_,"axG",@progbits,_ZN7rocprim17ROCPRIM_400000_NS6detail17trampoline_kernelINS0_14default_configENS1_25partition_config_selectorILNS1_17partition_subalgoE8EiNS0_10empty_typeEbEEZZNS1_14partition_implILS5_8ELb0ES3_jN6thrust23THRUST_200600_302600_NS6detail15normal_iteratorINSA_10device_ptrIiEEEEPS6_PKS6_NS0_5tupleIJNSA_16discard_iteratorINSA_11use_defaultEEES6_EEENSJ_IJSG_SG_EEENS0_18inequality_wrapperINSA_8equal_toIiEEEEPmJS6_EEE10hipError_tPvRmT3_T4_T5_T6_T7_T9_mT8_P12ihipStream_tbDpT10_ENKUlT_T0_E_clISt17integral_constantIbLb1EES1D_EEDaS18_S19_EUlS18_E_NS1_11comp_targetILNS1_3genE0ELNS1_11target_archE4294967295ELNS1_3gpuE0ELNS1_3repE0EEENS1_30default_config_static_selectorELNS0_4arch9wavefront6targetE1EEEvT1_,comdat
	.protected	_ZN7rocprim17ROCPRIM_400000_NS6detail17trampoline_kernelINS0_14default_configENS1_25partition_config_selectorILNS1_17partition_subalgoE8EiNS0_10empty_typeEbEEZZNS1_14partition_implILS5_8ELb0ES3_jN6thrust23THRUST_200600_302600_NS6detail15normal_iteratorINSA_10device_ptrIiEEEEPS6_PKS6_NS0_5tupleIJNSA_16discard_iteratorINSA_11use_defaultEEES6_EEENSJ_IJSG_SG_EEENS0_18inequality_wrapperINSA_8equal_toIiEEEEPmJS6_EEE10hipError_tPvRmT3_T4_T5_T6_T7_T9_mT8_P12ihipStream_tbDpT10_ENKUlT_T0_E_clISt17integral_constantIbLb1EES1D_EEDaS18_S19_EUlS18_E_NS1_11comp_targetILNS1_3genE0ELNS1_11target_archE4294967295ELNS1_3gpuE0ELNS1_3repE0EEENS1_30default_config_static_selectorELNS0_4arch9wavefront6targetE1EEEvT1_ ; -- Begin function _ZN7rocprim17ROCPRIM_400000_NS6detail17trampoline_kernelINS0_14default_configENS1_25partition_config_selectorILNS1_17partition_subalgoE8EiNS0_10empty_typeEbEEZZNS1_14partition_implILS5_8ELb0ES3_jN6thrust23THRUST_200600_302600_NS6detail15normal_iteratorINSA_10device_ptrIiEEEEPS6_PKS6_NS0_5tupleIJNSA_16discard_iteratorINSA_11use_defaultEEES6_EEENSJ_IJSG_SG_EEENS0_18inequality_wrapperINSA_8equal_toIiEEEEPmJS6_EEE10hipError_tPvRmT3_T4_T5_T6_T7_T9_mT8_P12ihipStream_tbDpT10_ENKUlT_T0_E_clISt17integral_constantIbLb1EES1D_EEDaS18_S19_EUlS18_E_NS1_11comp_targetILNS1_3genE0ELNS1_11target_archE4294967295ELNS1_3gpuE0ELNS1_3repE0EEENS1_30default_config_static_selectorELNS0_4arch9wavefront6targetE1EEEvT1_
	.globl	_ZN7rocprim17ROCPRIM_400000_NS6detail17trampoline_kernelINS0_14default_configENS1_25partition_config_selectorILNS1_17partition_subalgoE8EiNS0_10empty_typeEbEEZZNS1_14partition_implILS5_8ELb0ES3_jN6thrust23THRUST_200600_302600_NS6detail15normal_iteratorINSA_10device_ptrIiEEEEPS6_PKS6_NS0_5tupleIJNSA_16discard_iteratorINSA_11use_defaultEEES6_EEENSJ_IJSG_SG_EEENS0_18inequality_wrapperINSA_8equal_toIiEEEEPmJS6_EEE10hipError_tPvRmT3_T4_T5_T6_T7_T9_mT8_P12ihipStream_tbDpT10_ENKUlT_T0_E_clISt17integral_constantIbLb1EES1D_EEDaS18_S19_EUlS18_E_NS1_11comp_targetILNS1_3genE0ELNS1_11target_archE4294967295ELNS1_3gpuE0ELNS1_3repE0EEENS1_30default_config_static_selectorELNS0_4arch9wavefront6targetE1EEEvT1_
	.p2align	8
	.type	_ZN7rocprim17ROCPRIM_400000_NS6detail17trampoline_kernelINS0_14default_configENS1_25partition_config_selectorILNS1_17partition_subalgoE8EiNS0_10empty_typeEbEEZZNS1_14partition_implILS5_8ELb0ES3_jN6thrust23THRUST_200600_302600_NS6detail15normal_iteratorINSA_10device_ptrIiEEEEPS6_PKS6_NS0_5tupleIJNSA_16discard_iteratorINSA_11use_defaultEEES6_EEENSJ_IJSG_SG_EEENS0_18inequality_wrapperINSA_8equal_toIiEEEEPmJS6_EEE10hipError_tPvRmT3_T4_T5_T6_T7_T9_mT8_P12ihipStream_tbDpT10_ENKUlT_T0_E_clISt17integral_constantIbLb1EES1D_EEDaS18_S19_EUlS18_E_NS1_11comp_targetILNS1_3genE0ELNS1_11target_archE4294967295ELNS1_3gpuE0ELNS1_3repE0EEENS1_30default_config_static_selectorELNS0_4arch9wavefront6targetE1EEEvT1_,@function
_ZN7rocprim17ROCPRIM_400000_NS6detail17trampoline_kernelINS0_14default_configENS1_25partition_config_selectorILNS1_17partition_subalgoE8EiNS0_10empty_typeEbEEZZNS1_14partition_implILS5_8ELb0ES3_jN6thrust23THRUST_200600_302600_NS6detail15normal_iteratorINSA_10device_ptrIiEEEEPS6_PKS6_NS0_5tupleIJNSA_16discard_iteratorINSA_11use_defaultEEES6_EEENSJ_IJSG_SG_EEENS0_18inequality_wrapperINSA_8equal_toIiEEEEPmJS6_EEE10hipError_tPvRmT3_T4_T5_T6_T7_T9_mT8_P12ihipStream_tbDpT10_ENKUlT_T0_E_clISt17integral_constantIbLb1EES1D_EEDaS18_S19_EUlS18_E_NS1_11comp_targetILNS1_3genE0ELNS1_11target_archE4294967295ELNS1_3gpuE0ELNS1_3repE0EEENS1_30default_config_static_selectorELNS0_4arch9wavefront6targetE1EEEvT1_: ; @_ZN7rocprim17ROCPRIM_400000_NS6detail17trampoline_kernelINS0_14default_configENS1_25partition_config_selectorILNS1_17partition_subalgoE8EiNS0_10empty_typeEbEEZZNS1_14partition_implILS5_8ELb0ES3_jN6thrust23THRUST_200600_302600_NS6detail15normal_iteratorINSA_10device_ptrIiEEEEPS6_PKS6_NS0_5tupleIJNSA_16discard_iteratorINSA_11use_defaultEEES6_EEENSJ_IJSG_SG_EEENS0_18inequality_wrapperINSA_8equal_toIiEEEEPmJS6_EEE10hipError_tPvRmT3_T4_T5_T6_T7_T9_mT8_P12ihipStream_tbDpT10_ENKUlT_T0_E_clISt17integral_constantIbLb1EES1D_EEDaS18_S19_EUlS18_E_NS1_11comp_targetILNS1_3genE0ELNS1_11target_archE4294967295ELNS1_3gpuE0ELNS1_3repE0EEENS1_30default_config_static_selectorELNS0_4arch9wavefront6targetE1EEEvT1_
; %bb.0:
	.section	.rodata,"a",@progbits
	.p2align	6, 0x0
	.amdhsa_kernel _ZN7rocprim17ROCPRIM_400000_NS6detail17trampoline_kernelINS0_14default_configENS1_25partition_config_selectorILNS1_17partition_subalgoE8EiNS0_10empty_typeEbEEZZNS1_14partition_implILS5_8ELb0ES3_jN6thrust23THRUST_200600_302600_NS6detail15normal_iteratorINSA_10device_ptrIiEEEEPS6_PKS6_NS0_5tupleIJNSA_16discard_iteratorINSA_11use_defaultEEES6_EEENSJ_IJSG_SG_EEENS0_18inequality_wrapperINSA_8equal_toIiEEEEPmJS6_EEE10hipError_tPvRmT3_T4_T5_T6_T7_T9_mT8_P12ihipStream_tbDpT10_ENKUlT_T0_E_clISt17integral_constantIbLb1EES1D_EEDaS18_S19_EUlS18_E_NS1_11comp_targetILNS1_3genE0ELNS1_11target_archE4294967295ELNS1_3gpuE0ELNS1_3repE0EEENS1_30default_config_static_selectorELNS0_4arch9wavefront6targetE1EEEvT1_
		.amdhsa_group_segment_fixed_size 0
		.amdhsa_private_segment_fixed_size 0
		.amdhsa_kernarg_size 136
		.amdhsa_user_sgpr_count 6
		.amdhsa_user_sgpr_private_segment_buffer 1
		.amdhsa_user_sgpr_dispatch_ptr 0
		.amdhsa_user_sgpr_queue_ptr 0
		.amdhsa_user_sgpr_kernarg_segment_ptr 1
		.amdhsa_user_sgpr_dispatch_id 0
		.amdhsa_user_sgpr_flat_scratch_init 0
		.amdhsa_user_sgpr_private_segment_size 0
		.amdhsa_uses_dynamic_stack 0
		.amdhsa_system_sgpr_private_segment_wavefront_offset 0
		.amdhsa_system_sgpr_workgroup_id_x 1
		.amdhsa_system_sgpr_workgroup_id_y 0
		.amdhsa_system_sgpr_workgroup_id_z 0
		.amdhsa_system_sgpr_workgroup_info 0
		.amdhsa_system_vgpr_workitem_id 0
		.amdhsa_next_free_vgpr 1
		.amdhsa_next_free_sgpr 0
		.amdhsa_reserve_vcc 0
		.amdhsa_reserve_flat_scratch 0
		.amdhsa_float_round_mode_32 0
		.amdhsa_float_round_mode_16_64 0
		.amdhsa_float_denorm_mode_32 3
		.amdhsa_float_denorm_mode_16_64 3
		.amdhsa_dx10_clamp 1
		.amdhsa_ieee_mode 1
		.amdhsa_fp16_overflow 0
		.amdhsa_exception_fp_ieee_invalid_op 0
		.amdhsa_exception_fp_denorm_src 0
		.amdhsa_exception_fp_ieee_div_zero 0
		.amdhsa_exception_fp_ieee_overflow 0
		.amdhsa_exception_fp_ieee_underflow 0
		.amdhsa_exception_fp_ieee_inexact 0
		.amdhsa_exception_int_div_zero 0
	.end_amdhsa_kernel
	.section	.text._ZN7rocprim17ROCPRIM_400000_NS6detail17trampoline_kernelINS0_14default_configENS1_25partition_config_selectorILNS1_17partition_subalgoE8EiNS0_10empty_typeEbEEZZNS1_14partition_implILS5_8ELb0ES3_jN6thrust23THRUST_200600_302600_NS6detail15normal_iteratorINSA_10device_ptrIiEEEEPS6_PKS6_NS0_5tupleIJNSA_16discard_iteratorINSA_11use_defaultEEES6_EEENSJ_IJSG_SG_EEENS0_18inequality_wrapperINSA_8equal_toIiEEEEPmJS6_EEE10hipError_tPvRmT3_T4_T5_T6_T7_T9_mT8_P12ihipStream_tbDpT10_ENKUlT_T0_E_clISt17integral_constantIbLb1EES1D_EEDaS18_S19_EUlS18_E_NS1_11comp_targetILNS1_3genE0ELNS1_11target_archE4294967295ELNS1_3gpuE0ELNS1_3repE0EEENS1_30default_config_static_selectorELNS0_4arch9wavefront6targetE1EEEvT1_,"axG",@progbits,_ZN7rocprim17ROCPRIM_400000_NS6detail17trampoline_kernelINS0_14default_configENS1_25partition_config_selectorILNS1_17partition_subalgoE8EiNS0_10empty_typeEbEEZZNS1_14partition_implILS5_8ELb0ES3_jN6thrust23THRUST_200600_302600_NS6detail15normal_iteratorINSA_10device_ptrIiEEEEPS6_PKS6_NS0_5tupleIJNSA_16discard_iteratorINSA_11use_defaultEEES6_EEENSJ_IJSG_SG_EEENS0_18inequality_wrapperINSA_8equal_toIiEEEEPmJS6_EEE10hipError_tPvRmT3_T4_T5_T6_T7_T9_mT8_P12ihipStream_tbDpT10_ENKUlT_T0_E_clISt17integral_constantIbLb1EES1D_EEDaS18_S19_EUlS18_E_NS1_11comp_targetILNS1_3genE0ELNS1_11target_archE4294967295ELNS1_3gpuE0ELNS1_3repE0EEENS1_30default_config_static_selectorELNS0_4arch9wavefront6targetE1EEEvT1_,comdat
.Lfunc_end669:
	.size	_ZN7rocprim17ROCPRIM_400000_NS6detail17trampoline_kernelINS0_14default_configENS1_25partition_config_selectorILNS1_17partition_subalgoE8EiNS0_10empty_typeEbEEZZNS1_14partition_implILS5_8ELb0ES3_jN6thrust23THRUST_200600_302600_NS6detail15normal_iteratorINSA_10device_ptrIiEEEEPS6_PKS6_NS0_5tupleIJNSA_16discard_iteratorINSA_11use_defaultEEES6_EEENSJ_IJSG_SG_EEENS0_18inequality_wrapperINSA_8equal_toIiEEEEPmJS6_EEE10hipError_tPvRmT3_T4_T5_T6_T7_T9_mT8_P12ihipStream_tbDpT10_ENKUlT_T0_E_clISt17integral_constantIbLb1EES1D_EEDaS18_S19_EUlS18_E_NS1_11comp_targetILNS1_3genE0ELNS1_11target_archE4294967295ELNS1_3gpuE0ELNS1_3repE0EEENS1_30default_config_static_selectorELNS0_4arch9wavefront6targetE1EEEvT1_, .Lfunc_end669-_ZN7rocprim17ROCPRIM_400000_NS6detail17trampoline_kernelINS0_14default_configENS1_25partition_config_selectorILNS1_17partition_subalgoE8EiNS0_10empty_typeEbEEZZNS1_14partition_implILS5_8ELb0ES3_jN6thrust23THRUST_200600_302600_NS6detail15normal_iteratorINSA_10device_ptrIiEEEEPS6_PKS6_NS0_5tupleIJNSA_16discard_iteratorINSA_11use_defaultEEES6_EEENSJ_IJSG_SG_EEENS0_18inequality_wrapperINSA_8equal_toIiEEEEPmJS6_EEE10hipError_tPvRmT3_T4_T5_T6_T7_T9_mT8_P12ihipStream_tbDpT10_ENKUlT_T0_E_clISt17integral_constantIbLb1EES1D_EEDaS18_S19_EUlS18_E_NS1_11comp_targetILNS1_3genE0ELNS1_11target_archE4294967295ELNS1_3gpuE0ELNS1_3repE0EEENS1_30default_config_static_selectorELNS0_4arch9wavefront6targetE1EEEvT1_
                                        ; -- End function
	.set _ZN7rocprim17ROCPRIM_400000_NS6detail17trampoline_kernelINS0_14default_configENS1_25partition_config_selectorILNS1_17partition_subalgoE8EiNS0_10empty_typeEbEEZZNS1_14partition_implILS5_8ELb0ES3_jN6thrust23THRUST_200600_302600_NS6detail15normal_iteratorINSA_10device_ptrIiEEEEPS6_PKS6_NS0_5tupleIJNSA_16discard_iteratorINSA_11use_defaultEEES6_EEENSJ_IJSG_SG_EEENS0_18inequality_wrapperINSA_8equal_toIiEEEEPmJS6_EEE10hipError_tPvRmT3_T4_T5_T6_T7_T9_mT8_P12ihipStream_tbDpT10_ENKUlT_T0_E_clISt17integral_constantIbLb1EES1D_EEDaS18_S19_EUlS18_E_NS1_11comp_targetILNS1_3genE0ELNS1_11target_archE4294967295ELNS1_3gpuE0ELNS1_3repE0EEENS1_30default_config_static_selectorELNS0_4arch9wavefront6targetE1EEEvT1_.num_vgpr, 0
	.set _ZN7rocprim17ROCPRIM_400000_NS6detail17trampoline_kernelINS0_14default_configENS1_25partition_config_selectorILNS1_17partition_subalgoE8EiNS0_10empty_typeEbEEZZNS1_14partition_implILS5_8ELb0ES3_jN6thrust23THRUST_200600_302600_NS6detail15normal_iteratorINSA_10device_ptrIiEEEEPS6_PKS6_NS0_5tupleIJNSA_16discard_iteratorINSA_11use_defaultEEES6_EEENSJ_IJSG_SG_EEENS0_18inequality_wrapperINSA_8equal_toIiEEEEPmJS6_EEE10hipError_tPvRmT3_T4_T5_T6_T7_T9_mT8_P12ihipStream_tbDpT10_ENKUlT_T0_E_clISt17integral_constantIbLb1EES1D_EEDaS18_S19_EUlS18_E_NS1_11comp_targetILNS1_3genE0ELNS1_11target_archE4294967295ELNS1_3gpuE0ELNS1_3repE0EEENS1_30default_config_static_selectorELNS0_4arch9wavefront6targetE1EEEvT1_.num_agpr, 0
	.set _ZN7rocprim17ROCPRIM_400000_NS6detail17trampoline_kernelINS0_14default_configENS1_25partition_config_selectorILNS1_17partition_subalgoE8EiNS0_10empty_typeEbEEZZNS1_14partition_implILS5_8ELb0ES3_jN6thrust23THRUST_200600_302600_NS6detail15normal_iteratorINSA_10device_ptrIiEEEEPS6_PKS6_NS0_5tupleIJNSA_16discard_iteratorINSA_11use_defaultEEES6_EEENSJ_IJSG_SG_EEENS0_18inequality_wrapperINSA_8equal_toIiEEEEPmJS6_EEE10hipError_tPvRmT3_T4_T5_T6_T7_T9_mT8_P12ihipStream_tbDpT10_ENKUlT_T0_E_clISt17integral_constantIbLb1EES1D_EEDaS18_S19_EUlS18_E_NS1_11comp_targetILNS1_3genE0ELNS1_11target_archE4294967295ELNS1_3gpuE0ELNS1_3repE0EEENS1_30default_config_static_selectorELNS0_4arch9wavefront6targetE1EEEvT1_.numbered_sgpr, 0
	.set _ZN7rocprim17ROCPRIM_400000_NS6detail17trampoline_kernelINS0_14default_configENS1_25partition_config_selectorILNS1_17partition_subalgoE8EiNS0_10empty_typeEbEEZZNS1_14partition_implILS5_8ELb0ES3_jN6thrust23THRUST_200600_302600_NS6detail15normal_iteratorINSA_10device_ptrIiEEEEPS6_PKS6_NS0_5tupleIJNSA_16discard_iteratorINSA_11use_defaultEEES6_EEENSJ_IJSG_SG_EEENS0_18inequality_wrapperINSA_8equal_toIiEEEEPmJS6_EEE10hipError_tPvRmT3_T4_T5_T6_T7_T9_mT8_P12ihipStream_tbDpT10_ENKUlT_T0_E_clISt17integral_constantIbLb1EES1D_EEDaS18_S19_EUlS18_E_NS1_11comp_targetILNS1_3genE0ELNS1_11target_archE4294967295ELNS1_3gpuE0ELNS1_3repE0EEENS1_30default_config_static_selectorELNS0_4arch9wavefront6targetE1EEEvT1_.num_named_barrier, 0
	.set _ZN7rocprim17ROCPRIM_400000_NS6detail17trampoline_kernelINS0_14default_configENS1_25partition_config_selectorILNS1_17partition_subalgoE8EiNS0_10empty_typeEbEEZZNS1_14partition_implILS5_8ELb0ES3_jN6thrust23THRUST_200600_302600_NS6detail15normal_iteratorINSA_10device_ptrIiEEEEPS6_PKS6_NS0_5tupleIJNSA_16discard_iteratorINSA_11use_defaultEEES6_EEENSJ_IJSG_SG_EEENS0_18inequality_wrapperINSA_8equal_toIiEEEEPmJS6_EEE10hipError_tPvRmT3_T4_T5_T6_T7_T9_mT8_P12ihipStream_tbDpT10_ENKUlT_T0_E_clISt17integral_constantIbLb1EES1D_EEDaS18_S19_EUlS18_E_NS1_11comp_targetILNS1_3genE0ELNS1_11target_archE4294967295ELNS1_3gpuE0ELNS1_3repE0EEENS1_30default_config_static_selectorELNS0_4arch9wavefront6targetE1EEEvT1_.private_seg_size, 0
	.set _ZN7rocprim17ROCPRIM_400000_NS6detail17trampoline_kernelINS0_14default_configENS1_25partition_config_selectorILNS1_17partition_subalgoE8EiNS0_10empty_typeEbEEZZNS1_14partition_implILS5_8ELb0ES3_jN6thrust23THRUST_200600_302600_NS6detail15normal_iteratorINSA_10device_ptrIiEEEEPS6_PKS6_NS0_5tupleIJNSA_16discard_iteratorINSA_11use_defaultEEES6_EEENSJ_IJSG_SG_EEENS0_18inequality_wrapperINSA_8equal_toIiEEEEPmJS6_EEE10hipError_tPvRmT3_T4_T5_T6_T7_T9_mT8_P12ihipStream_tbDpT10_ENKUlT_T0_E_clISt17integral_constantIbLb1EES1D_EEDaS18_S19_EUlS18_E_NS1_11comp_targetILNS1_3genE0ELNS1_11target_archE4294967295ELNS1_3gpuE0ELNS1_3repE0EEENS1_30default_config_static_selectorELNS0_4arch9wavefront6targetE1EEEvT1_.uses_vcc, 0
	.set _ZN7rocprim17ROCPRIM_400000_NS6detail17trampoline_kernelINS0_14default_configENS1_25partition_config_selectorILNS1_17partition_subalgoE8EiNS0_10empty_typeEbEEZZNS1_14partition_implILS5_8ELb0ES3_jN6thrust23THRUST_200600_302600_NS6detail15normal_iteratorINSA_10device_ptrIiEEEEPS6_PKS6_NS0_5tupleIJNSA_16discard_iteratorINSA_11use_defaultEEES6_EEENSJ_IJSG_SG_EEENS0_18inequality_wrapperINSA_8equal_toIiEEEEPmJS6_EEE10hipError_tPvRmT3_T4_T5_T6_T7_T9_mT8_P12ihipStream_tbDpT10_ENKUlT_T0_E_clISt17integral_constantIbLb1EES1D_EEDaS18_S19_EUlS18_E_NS1_11comp_targetILNS1_3genE0ELNS1_11target_archE4294967295ELNS1_3gpuE0ELNS1_3repE0EEENS1_30default_config_static_selectorELNS0_4arch9wavefront6targetE1EEEvT1_.uses_flat_scratch, 0
	.set _ZN7rocprim17ROCPRIM_400000_NS6detail17trampoline_kernelINS0_14default_configENS1_25partition_config_selectorILNS1_17partition_subalgoE8EiNS0_10empty_typeEbEEZZNS1_14partition_implILS5_8ELb0ES3_jN6thrust23THRUST_200600_302600_NS6detail15normal_iteratorINSA_10device_ptrIiEEEEPS6_PKS6_NS0_5tupleIJNSA_16discard_iteratorINSA_11use_defaultEEES6_EEENSJ_IJSG_SG_EEENS0_18inequality_wrapperINSA_8equal_toIiEEEEPmJS6_EEE10hipError_tPvRmT3_T4_T5_T6_T7_T9_mT8_P12ihipStream_tbDpT10_ENKUlT_T0_E_clISt17integral_constantIbLb1EES1D_EEDaS18_S19_EUlS18_E_NS1_11comp_targetILNS1_3genE0ELNS1_11target_archE4294967295ELNS1_3gpuE0ELNS1_3repE0EEENS1_30default_config_static_selectorELNS0_4arch9wavefront6targetE1EEEvT1_.has_dyn_sized_stack, 0
	.set _ZN7rocprim17ROCPRIM_400000_NS6detail17trampoline_kernelINS0_14default_configENS1_25partition_config_selectorILNS1_17partition_subalgoE8EiNS0_10empty_typeEbEEZZNS1_14partition_implILS5_8ELb0ES3_jN6thrust23THRUST_200600_302600_NS6detail15normal_iteratorINSA_10device_ptrIiEEEEPS6_PKS6_NS0_5tupleIJNSA_16discard_iteratorINSA_11use_defaultEEES6_EEENSJ_IJSG_SG_EEENS0_18inequality_wrapperINSA_8equal_toIiEEEEPmJS6_EEE10hipError_tPvRmT3_T4_T5_T6_T7_T9_mT8_P12ihipStream_tbDpT10_ENKUlT_T0_E_clISt17integral_constantIbLb1EES1D_EEDaS18_S19_EUlS18_E_NS1_11comp_targetILNS1_3genE0ELNS1_11target_archE4294967295ELNS1_3gpuE0ELNS1_3repE0EEENS1_30default_config_static_selectorELNS0_4arch9wavefront6targetE1EEEvT1_.has_recursion, 0
	.set _ZN7rocprim17ROCPRIM_400000_NS6detail17trampoline_kernelINS0_14default_configENS1_25partition_config_selectorILNS1_17partition_subalgoE8EiNS0_10empty_typeEbEEZZNS1_14partition_implILS5_8ELb0ES3_jN6thrust23THRUST_200600_302600_NS6detail15normal_iteratorINSA_10device_ptrIiEEEEPS6_PKS6_NS0_5tupleIJNSA_16discard_iteratorINSA_11use_defaultEEES6_EEENSJ_IJSG_SG_EEENS0_18inequality_wrapperINSA_8equal_toIiEEEEPmJS6_EEE10hipError_tPvRmT3_T4_T5_T6_T7_T9_mT8_P12ihipStream_tbDpT10_ENKUlT_T0_E_clISt17integral_constantIbLb1EES1D_EEDaS18_S19_EUlS18_E_NS1_11comp_targetILNS1_3genE0ELNS1_11target_archE4294967295ELNS1_3gpuE0ELNS1_3repE0EEENS1_30default_config_static_selectorELNS0_4arch9wavefront6targetE1EEEvT1_.has_indirect_call, 0
	.section	.AMDGPU.csdata,"",@progbits
; Kernel info:
; codeLenInByte = 0
; TotalNumSgprs: 4
; NumVgprs: 0
; ScratchSize: 0
; MemoryBound: 0
; FloatMode: 240
; IeeeMode: 1
; LDSByteSize: 0 bytes/workgroup (compile time only)
; SGPRBlocks: 0
; VGPRBlocks: 0
; NumSGPRsForWavesPerEU: 4
; NumVGPRsForWavesPerEU: 1
; Occupancy: 10
; WaveLimiterHint : 0
; COMPUTE_PGM_RSRC2:SCRATCH_EN: 0
; COMPUTE_PGM_RSRC2:USER_SGPR: 6
; COMPUTE_PGM_RSRC2:TRAP_HANDLER: 0
; COMPUTE_PGM_RSRC2:TGID_X_EN: 1
; COMPUTE_PGM_RSRC2:TGID_Y_EN: 0
; COMPUTE_PGM_RSRC2:TGID_Z_EN: 0
; COMPUTE_PGM_RSRC2:TIDIG_COMP_CNT: 0
	.section	.text._ZN7rocprim17ROCPRIM_400000_NS6detail17trampoline_kernelINS0_14default_configENS1_25partition_config_selectorILNS1_17partition_subalgoE8EiNS0_10empty_typeEbEEZZNS1_14partition_implILS5_8ELb0ES3_jN6thrust23THRUST_200600_302600_NS6detail15normal_iteratorINSA_10device_ptrIiEEEEPS6_PKS6_NS0_5tupleIJNSA_16discard_iteratorINSA_11use_defaultEEES6_EEENSJ_IJSG_SG_EEENS0_18inequality_wrapperINSA_8equal_toIiEEEEPmJS6_EEE10hipError_tPvRmT3_T4_T5_T6_T7_T9_mT8_P12ihipStream_tbDpT10_ENKUlT_T0_E_clISt17integral_constantIbLb1EES1D_EEDaS18_S19_EUlS18_E_NS1_11comp_targetILNS1_3genE5ELNS1_11target_archE942ELNS1_3gpuE9ELNS1_3repE0EEENS1_30default_config_static_selectorELNS0_4arch9wavefront6targetE1EEEvT1_,"axG",@progbits,_ZN7rocprim17ROCPRIM_400000_NS6detail17trampoline_kernelINS0_14default_configENS1_25partition_config_selectorILNS1_17partition_subalgoE8EiNS0_10empty_typeEbEEZZNS1_14partition_implILS5_8ELb0ES3_jN6thrust23THRUST_200600_302600_NS6detail15normal_iteratorINSA_10device_ptrIiEEEEPS6_PKS6_NS0_5tupleIJNSA_16discard_iteratorINSA_11use_defaultEEES6_EEENSJ_IJSG_SG_EEENS0_18inequality_wrapperINSA_8equal_toIiEEEEPmJS6_EEE10hipError_tPvRmT3_T4_T5_T6_T7_T9_mT8_P12ihipStream_tbDpT10_ENKUlT_T0_E_clISt17integral_constantIbLb1EES1D_EEDaS18_S19_EUlS18_E_NS1_11comp_targetILNS1_3genE5ELNS1_11target_archE942ELNS1_3gpuE9ELNS1_3repE0EEENS1_30default_config_static_selectorELNS0_4arch9wavefront6targetE1EEEvT1_,comdat
	.protected	_ZN7rocprim17ROCPRIM_400000_NS6detail17trampoline_kernelINS0_14default_configENS1_25partition_config_selectorILNS1_17partition_subalgoE8EiNS0_10empty_typeEbEEZZNS1_14partition_implILS5_8ELb0ES3_jN6thrust23THRUST_200600_302600_NS6detail15normal_iteratorINSA_10device_ptrIiEEEEPS6_PKS6_NS0_5tupleIJNSA_16discard_iteratorINSA_11use_defaultEEES6_EEENSJ_IJSG_SG_EEENS0_18inequality_wrapperINSA_8equal_toIiEEEEPmJS6_EEE10hipError_tPvRmT3_T4_T5_T6_T7_T9_mT8_P12ihipStream_tbDpT10_ENKUlT_T0_E_clISt17integral_constantIbLb1EES1D_EEDaS18_S19_EUlS18_E_NS1_11comp_targetILNS1_3genE5ELNS1_11target_archE942ELNS1_3gpuE9ELNS1_3repE0EEENS1_30default_config_static_selectorELNS0_4arch9wavefront6targetE1EEEvT1_ ; -- Begin function _ZN7rocprim17ROCPRIM_400000_NS6detail17trampoline_kernelINS0_14default_configENS1_25partition_config_selectorILNS1_17partition_subalgoE8EiNS0_10empty_typeEbEEZZNS1_14partition_implILS5_8ELb0ES3_jN6thrust23THRUST_200600_302600_NS6detail15normal_iteratorINSA_10device_ptrIiEEEEPS6_PKS6_NS0_5tupleIJNSA_16discard_iteratorINSA_11use_defaultEEES6_EEENSJ_IJSG_SG_EEENS0_18inequality_wrapperINSA_8equal_toIiEEEEPmJS6_EEE10hipError_tPvRmT3_T4_T5_T6_T7_T9_mT8_P12ihipStream_tbDpT10_ENKUlT_T0_E_clISt17integral_constantIbLb1EES1D_EEDaS18_S19_EUlS18_E_NS1_11comp_targetILNS1_3genE5ELNS1_11target_archE942ELNS1_3gpuE9ELNS1_3repE0EEENS1_30default_config_static_selectorELNS0_4arch9wavefront6targetE1EEEvT1_
	.globl	_ZN7rocprim17ROCPRIM_400000_NS6detail17trampoline_kernelINS0_14default_configENS1_25partition_config_selectorILNS1_17partition_subalgoE8EiNS0_10empty_typeEbEEZZNS1_14partition_implILS5_8ELb0ES3_jN6thrust23THRUST_200600_302600_NS6detail15normal_iteratorINSA_10device_ptrIiEEEEPS6_PKS6_NS0_5tupleIJNSA_16discard_iteratorINSA_11use_defaultEEES6_EEENSJ_IJSG_SG_EEENS0_18inequality_wrapperINSA_8equal_toIiEEEEPmJS6_EEE10hipError_tPvRmT3_T4_T5_T6_T7_T9_mT8_P12ihipStream_tbDpT10_ENKUlT_T0_E_clISt17integral_constantIbLb1EES1D_EEDaS18_S19_EUlS18_E_NS1_11comp_targetILNS1_3genE5ELNS1_11target_archE942ELNS1_3gpuE9ELNS1_3repE0EEENS1_30default_config_static_selectorELNS0_4arch9wavefront6targetE1EEEvT1_
	.p2align	8
	.type	_ZN7rocprim17ROCPRIM_400000_NS6detail17trampoline_kernelINS0_14default_configENS1_25partition_config_selectorILNS1_17partition_subalgoE8EiNS0_10empty_typeEbEEZZNS1_14partition_implILS5_8ELb0ES3_jN6thrust23THRUST_200600_302600_NS6detail15normal_iteratorINSA_10device_ptrIiEEEEPS6_PKS6_NS0_5tupleIJNSA_16discard_iteratorINSA_11use_defaultEEES6_EEENSJ_IJSG_SG_EEENS0_18inequality_wrapperINSA_8equal_toIiEEEEPmJS6_EEE10hipError_tPvRmT3_T4_T5_T6_T7_T9_mT8_P12ihipStream_tbDpT10_ENKUlT_T0_E_clISt17integral_constantIbLb1EES1D_EEDaS18_S19_EUlS18_E_NS1_11comp_targetILNS1_3genE5ELNS1_11target_archE942ELNS1_3gpuE9ELNS1_3repE0EEENS1_30default_config_static_selectorELNS0_4arch9wavefront6targetE1EEEvT1_,@function
_ZN7rocprim17ROCPRIM_400000_NS6detail17trampoline_kernelINS0_14default_configENS1_25partition_config_selectorILNS1_17partition_subalgoE8EiNS0_10empty_typeEbEEZZNS1_14partition_implILS5_8ELb0ES3_jN6thrust23THRUST_200600_302600_NS6detail15normal_iteratorINSA_10device_ptrIiEEEEPS6_PKS6_NS0_5tupleIJNSA_16discard_iteratorINSA_11use_defaultEEES6_EEENSJ_IJSG_SG_EEENS0_18inequality_wrapperINSA_8equal_toIiEEEEPmJS6_EEE10hipError_tPvRmT3_T4_T5_T6_T7_T9_mT8_P12ihipStream_tbDpT10_ENKUlT_T0_E_clISt17integral_constantIbLb1EES1D_EEDaS18_S19_EUlS18_E_NS1_11comp_targetILNS1_3genE5ELNS1_11target_archE942ELNS1_3gpuE9ELNS1_3repE0EEENS1_30default_config_static_selectorELNS0_4arch9wavefront6targetE1EEEvT1_: ; @_ZN7rocprim17ROCPRIM_400000_NS6detail17trampoline_kernelINS0_14default_configENS1_25partition_config_selectorILNS1_17partition_subalgoE8EiNS0_10empty_typeEbEEZZNS1_14partition_implILS5_8ELb0ES3_jN6thrust23THRUST_200600_302600_NS6detail15normal_iteratorINSA_10device_ptrIiEEEEPS6_PKS6_NS0_5tupleIJNSA_16discard_iteratorINSA_11use_defaultEEES6_EEENSJ_IJSG_SG_EEENS0_18inequality_wrapperINSA_8equal_toIiEEEEPmJS6_EEE10hipError_tPvRmT3_T4_T5_T6_T7_T9_mT8_P12ihipStream_tbDpT10_ENKUlT_T0_E_clISt17integral_constantIbLb1EES1D_EEDaS18_S19_EUlS18_E_NS1_11comp_targetILNS1_3genE5ELNS1_11target_archE942ELNS1_3gpuE9ELNS1_3repE0EEENS1_30default_config_static_selectorELNS0_4arch9wavefront6targetE1EEEvT1_
; %bb.0:
	.section	.rodata,"a",@progbits
	.p2align	6, 0x0
	.amdhsa_kernel _ZN7rocprim17ROCPRIM_400000_NS6detail17trampoline_kernelINS0_14default_configENS1_25partition_config_selectorILNS1_17partition_subalgoE8EiNS0_10empty_typeEbEEZZNS1_14partition_implILS5_8ELb0ES3_jN6thrust23THRUST_200600_302600_NS6detail15normal_iteratorINSA_10device_ptrIiEEEEPS6_PKS6_NS0_5tupleIJNSA_16discard_iteratorINSA_11use_defaultEEES6_EEENSJ_IJSG_SG_EEENS0_18inequality_wrapperINSA_8equal_toIiEEEEPmJS6_EEE10hipError_tPvRmT3_T4_T5_T6_T7_T9_mT8_P12ihipStream_tbDpT10_ENKUlT_T0_E_clISt17integral_constantIbLb1EES1D_EEDaS18_S19_EUlS18_E_NS1_11comp_targetILNS1_3genE5ELNS1_11target_archE942ELNS1_3gpuE9ELNS1_3repE0EEENS1_30default_config_static_selectorELNS0_4arch9wavefront6targetE1EEEvT1_
		.amdhsa_group_segment_fixed_size 0
		.amdhsa_private_segment_fixed_size 0
		.amdhsa_kernarg_size 136
		.amdhsa_user_sgpr_count 6
		.amdhsa_user_sgpr_private_segment_buffer 1
		.amdhsa_user_sgpr_dispatch_ptr 0
		.amdhsa_user_sgpr_queue_ptr 0
		.amdhsa_user_sgpr_kernarg_segment_ptr 1
		.amdhsa_user_sgpr_dispatch_id 0
		.amdhsa_user_sgpr_flat_scratch_init 0
		.amdhsa_user_sgpr_private_segment_size 0
		.amdhsa_uses_dynamic_stack 0
		.amdhsa_system_sgpr_private_segment_wavefront_offset 0
		.amdhsa_system_sgpr_workgroup_id_x 1
		.amdhsa_system_sgpr_workgroup_id_y 0
		.amdhsa_system_sgpr_workgroup_id_z 0
		.amdhsa_system_sgpr_workgroup_info 0
		.amdhsa_system_vgpr_workitem_id 0
		.amdhsa_next_free_vgpr 1
		.amdhsa_next_free_sgpr 0
		.amdhsa_reserve_vcc 0
		.amdhsa_reserve_flat_scratch 0
		.amdhsa_float_round_mode_32 0
		.amdhsa_float_round_mode_16_64 0
		.amdhsa_float_denorm_mode_32 3
		.amdhsa_float_denorm_mode_16_64 3
		.amdhsa_dx10_clamp 1
		.amdhsa_ieee_mode 1
		.amdhsa_fp16_overflow 0
		.amdhsa_exception_fp_ieee_invalid_op 0
		.amdhsa_exception_fp_denorm_src 0
		.amdhsa_exception_fp_ieee_div_zero 0
		.amdhsa_exception_fp_ieee_overflow 0
		.amdhsa_exception_fp_ieee_underflow 0
		.amdhsa_exception_fp_ieee_inexact 0
		.amdhsa_exception_int_div_zero 0
	.end_amdhsa_kernel
	.section	.text._ZN7rocprim17ROCPRIM_400000_NS6detail17trampoline_kernelINS0_14default_configENS1_25partition_config_selectorILNS1_17partition_subalgoE8EiNS0_10empty_typeEbEEZZNS1_14partition_implILS5_8ELb0ES3_jN6thrust23THRUST_200600_302600_NS6detail15normal_iteratorINSA_10device_ptrIiEEEEPS6_PKS6_NS0_5tupleIJNSA_16discard_iteratorINSA_11use_defaultEEES6_EEENSJ_IJSG_SG_EEENS0_18inequality_wrapperINSA_8equal_toIiEEEEPmJS6_EEE10hipError_tPvRmT3_T4_T5_T6_T7_T9_mT8_P12ihipStream_tbDpT10_ENKUlT_T0_E_clISt17integral_constantIbLb1EES1D_EEDaS18_S19_EUlS18_E_NS1_11comp_targetILNS1_3genE5ELNS1_11target_archE942ELNS1_3gpuE9ELNS1_3repE0EEENS1_30default_config_static_selectorELNS0_4arch9wavefront6targetE1EEEvT1_,"axG",@progbits,_ZN7rocprim17ROCPRIM_400000_NS6detail17trampoline_kernelINS0_14default_configENS1_25partition_config_selectorILNS1_17partition_subalgoE8EiNS0_10empty_typeEbEEZZNS1_14partition_implILS5_8ELb0ES3_jN6thrust23THRUST_200600_302600_NS6detail15normal_iteratorINSA_10device_ptrIiEEEEPS6_PKS6_NS0_5tupleIJNSA_16discard_iteratorINSA_11use_defaultEEES6_EEENSJ_IJSG_SG_EEENS0_18inequality_wrapperINSA_8equal_toIiEEEEPmJS6_EEE10hipError_tPvRmT3_T4_T5_T6_T7_T9_mT8_P12ihipStream_tbDpT10_ENKUlT_T0_E_clISt17integral_constantIbLb1EES1D_EEDaS18_S19_EUlS18_E_NS1_11comp_targetILNS1_3genE5ELNS1_11target_archE942ELNS1_3gpuE9ELNS1_3repE0EEENS1_30default_config_static_selectorELNS0_4arch9wavefront6targetE1EEEvT1_,comdat
.Lfunc_end670:
	.size	_ZN7rocprim17ROCPRIM_400000_NS6detail17trampoline_kernelINS0_14default_configENS1_25partition_config_selectorILNS1_17partition_subalgoE8EiNS0_10empty_typeEbEEZZNS1_14partition_implILS5_8ELb0ES3_jN6thrust23THRUST_200600_302600_NS6detail15normal_iteratorINSA_10device_ptrIiEEEEPS6_PKS6_NS0_5tupleIJNSA_16discard_iteratorINSA_11use_defaultEEES6_EEENSJ_IJSG_SG_EEENS0_18inequality_wrapperINSA_8equal_toIiEEEEPmJS6_EEE10hipError_tPvRmT3_T4_T5_T6_T7_T9_mT8_P12ihipStream_tbDpT10_ENKUlT_T0_E_clISt17integral_constantIbLb1EES1D_EEDaS18_S19_EUlS18_E_NS1_11comp_targetILNS1_3genE5ELNS1_11target_archE942ELNS1_3gpuE9ELNS1_3repE0EEENS1_30default_config_static_selectorELNS0_4arch9wavefront6targetE1EEEvT1_, .Lfunc_end670-_ZN7rocprim17ROCPRIM_400000_NS6detail17trampoline_kernelINS0_14default_configENS1_25partition_config_selectorILNS1_17partition_subalgoE8EiNS0_10empty_typeEbEEZZNS1_14partition_implILS5_8ELb0ES3_jN6thrust23THRUST_200600_302600_NS6detail15normal_iteratorINSA_10device_ptrIiEEEEPS6_PKS6_NS0_5tupleIJNSA_16discard_iteratorINSA_11use_defaultEEES6_EEENSJ_IJSG_SG_EEENS0_18inequality_wrapperINSA_8equal_toIiEEEEPmJS6_EEE10hipError_tPvRmT3_T4_T5_T6_T7_T9_mT8_P12ihipStream_tbDpT10_ENKUlT_T0_E_clISt17integral_constantIbLb1EES1D_EEDaS18_S19_EUlS18_E_NS1_11comp_targetILNS1_3genE5ELNS1_11target_archE942ELNS1_3gpuE9ELNS1_3repE0EEENS1_30default_config_static_selectorELNS0_4arch9wavefront6targetE1EEEvT1_
                                        ; -- End function
	.set _ZN7rocprim17ROCPRIM_400000_NS6detail17trampoline_kernelINS0_14default_configENS1_25partition_config_selectorILNS1_17partition_subalgoE8EiNS0_10empty_typeEbEEZZNS1_14partition_implILS5_8ELb0ES3_jN6thrust23THRUST_200600_302600_NS6detail15normal_iteratorINSA_10device_ptrIiEEEEPS6_PKS6_NS0_5tupleIJNSA_16discard_iteratorINSA_11use_defaultEEES6_EEENSJ_IJSG_SG_EEENS0_18inequality_wrapperINSA_8equal_toIiEEEEPmJS6_EEE10hipError_tPvRmT3_T4_T5_T6_T7_T9_mT8_P12ihipStream_tbDpT10_ENKUlT_T0_E_clISt17integral_constantIbLb1EES1D_EEDaS18_S19_EUlS18_E_NS1_11comp_targetILNS1_3genE5ELNS1_11target_archE942ELNS1_3gpuE9ELNS1_3repE0EEENS1_30default_config_static_selectorELNS0_4arch9wavefront6targetE1EEEvT1_.num_vgpr, 0
	.set _ZN7rocprim17ROCPRIM_400000_NS6detail17trampoline_kernelINS0_14default_configENS1_25partition_config_selectorILNS1_17partition_subalgoE8EiNS0_10empty_typeEbEEZZNS1_14partition_implILS5_8ELb0ES3_jN6thrust23THRUST_200600_302600_NS6detail15normal_iteratorINSA_10device_ptrIiEEEEPS6_PKS6_NS0_5tupleIJNSA_16discard_iteratorINSA_11use_defaultEEES6_EEENSJ_IJSG_SG_EEENS0_18inequality_wrapperINSA_8equal_toIiEEEEPmJS6_EEE10hipError_tPvRmT3_T4_T5_T6_T7_T9_mT8_P12ihipStream_tbDpT10_ENKUlT_T0_E_clISt17integral_constantIbLb1EES1D_EEDaS18_S19_EUlS18_E_NS1_11comp_targetILNS1_3genE5ELNS1_11target_archE942ELNS1_3gpuE9ELNS1_3repE0EEENS1_30default_config_static_selectorELNS0_4arch9wavefront6targetE1EEEvT1_.num_agpr, 0
	.set _ZN7rocprim17ROCPRIM_400000_NS6detail17trampoline_kernelINS0_14default_configENS1_25partition_config_selectorILNS1_17partition_subalgoE8EiNS0_10empty_typeEbEEZZNS1_14partition_implILS5_8ELb0ES3_jN6thrust23THRUST_200600_302600_NS6detail15normal_iteratorINSA_10device_ptrIiEEEEPS6_PKS6_NS0_5tupleIJNSA_16discard_iteratorINSA_11use_defaultEEES6_EEENSJ_IJSG_SG_EEENS0_18inequality_wrapperINSA_8equal_toIiEEEEPmJS6_EEE10hipError_tPvRmT3_T4_T5_T6_T7_T9_mT8_P12ihipStream_tbDpT10_ENKUlT_T0_E_clISt17integral_constantIbLb1EES1D_EEDaS18_S19_EUlS18_E_NS1_11comp_targetILNS1_3genE5ELNS1_11target_archE942ELNS1_3gpuE9ELNS1_3repE0EEENS1_30default_config_static_selectorELNS0_4arch9wavefront6targetE1EEEvT1_.numbered_sgpr, 0
	.set _ZN7rocprim17ROCPRIM_400000_NS6detail17trampoline_kernelINS0_14default_configENS1_25partition_config_selectorILNS1_17partition_subalgoE8EiNS0_10empty_typeEbEEZZNS1_14partition_implILS5_8ELb0ES3_jN6thrust23THRUST_200600_302600_NS6detail15normal_iteratorINSA_10device_ptrIiEEEEPS6_PKS6_NS0_5tupleIJNSA_16discard_iteratorINSA_11use_defaultEEES6_EEENSJ_IJSG_SG_EEENS0_18inequality_wrapperINSA_8equal_toIiEEEEPmJS6_EEE10hipError_tPvRmT3_T4_T5_T6_T7_T9_mT8_P12ihipStream_tbDpT10_ENKUlT_T0_E_clISt17integral_constantIbLb1EES1D_EEDaS18_S19_EUlS18_E_NS1_11comp_targetILNS1_3genE5ELNS1_11target_archE942ELNS1_3gpuE9ELNS1_3repE0EEENS1_30default_config_static_selectorELNS0_4arch9wavefront6targetE1EEEvT1_.num_named_barrier, 0
	.set _ZN7rocprim17ROCPRIM_400000_NS6detail17trampoline_kernelINS0_14default_configENS1_25partition_config_selectorILNS1_17partition_subalgoE8EiNS0_10empty_typeEbEEZZNS1_14partition_implILS5_8ELb0ES3_jN6thrust23THRUST_200600_302600_NS6detail15normal_iteratorINSA_10device_ptrIiEEEEPS6_PKS6_NS0_5tupleIJNSA_16discard_iteratorINSA_11use_defaultEEES6_EEENSJ_IJSG_SG_EEENS0_18inequality_wrapperINSA_8equal_toIiEEEEPmJS6_EEE10hipError_tPvRmT3_T4_T5_T6_T7_T9_mT8_P12ihipStream_tbDpT10_ENKUlT_T0_E_clISt17integral_constantIbLb1EES1D_EEDaS18_S19_EUlS18_E_NS1_11comp_targetILNS1_3genE5ELNS1_11target_archE942ELNS1_3gpuE9ELNS1_3repE0EEENS1_30default_config_static_selectorELNS0_4arch9wavefront6targetE1EEEvT1_.private_seg_size, 0
	.set _ZN7rocprim17ROCPRIM_400000_NS6detail17trampoline_kernelINS0_14default_configENS1_25partition_config_selectorILNS1_17partition_subalgoE8EiNS0_10empty_typeEbEEZZNS1_14partition_implILS5_8ELb0ES3_jN6thrust23THRUST_200600_302600_NS6detail15normal_iteratorINSA_10device_ptrIiEEEEPS6_PKS6_NS0_5tupleIJNSA_16discard_iteratorINSA_11use_defaultEEES6_EEENSJ_IJSG_SG_EEENS0_18inequality_wrapperINSA_8equal_toIiEEEEPmJS6_EEE10hipError_tPvRmT3_T4_T5_T6_T7_T9_mT8_P12ihipStream_tbDpT10_ENKUlT_T0_E_clISt17integral_constantIbLb1EES1D_EEDaS18_S19_EUlS18_E_NS1_11comp_targetILNS1_3genE5ELNS1_11target_archE942ELNS1_3gpuE9ELNS1_3repE0EEENS1_30default_config_static_selectorELNS0_4arch9wavefront6targetE1EEEvT1_.uses_vcc, 0
	.set _ZN7rocprim17ROCPRIM_400000_NS6detail17trampoline_kernelINS0_14default_configENS1_25partition_config_selectorILNS1_17partition_subalgoE8EiNS0_10empty_typeEbEEZZNS1_14partition_implILS5_8ELb0ES3_jN6thrust23THRUST_200600_302600_NS6detail15normal_iteratorINSA_10device_ptrIiEEEEPS6_PKS6_NS0_5tupleIJNSA_16discard_iteratorINSA_11use_defaultEEES6_EEENSJ_IJSG_SG_EEENS0_18inequality_wrapperINSA_8equal_toIiEEEEPmJS6_EEE10hipError_tPvRmT3_T4_T5_T6_T7_T9_mT8_P12ihipStream_tbDpT10_ENKUlT_T0_E_clISt17integral_constantIbLb1EES1D_EEDaS18_S19_EUlS18_E_NS1_11comp_targetILNS1_3genE5ELNS1_11target_archE942ELNS1_3gpuE9ELNS1_3repE0EEENS1_30default_config_static_selectorELNS0_4arch9wavefront6targetE1EEEvT1_.uses_flat_scratch, 0
	.set _ZN7rocprim17ROCPRIM_400000_NS6detail17trampoline_kernelINS0_14default_configENS1_25partition_config_selectorILNS1_17partition_subalgoE8EiNS0_10empty_typeEbEEZZNS1_14partition_implILS5_8ELb0ES3_jN6thrust23THRUST_200600_302600_NS6detail15normal_iteratorINSA_10device_ptrIiEEEEPS6_PKS6_NS0_5tupleIJNSA_16discard_iteratorINSA_11use_defaultEEES6_EEENSJ_IJSG_SG_EEENS0_18inequality_wrapperINSA_8equal_toIiEEEEPmJS6_EEE10hipError_tPvRmT3_T4_T5_T6_T7_T9_mT8_P12ihipStream_tbDpT10_ENKUlT_T0_E_clISt17integral_constantIbLb1EES1D_EEDaS18_S19_EUlS18_E_NS1_11comp_targetILNS1_3genE5ELNS1_11target_archE942ELNS1_3gpuE9ELNS1_3repE0EEENS1_30default_config_static_selectorELNS0_4arch9wavefront6targetE1EEEvT1_.has_dyn_sized_stack, 0
	.set _ZN7rocprim17ROCPRIM_400000_NS6detail17trampoline_kernelINS0_14default_configENS1_25partition_config_selectorILNS1_17partition_subalgoE8EiNS0_10empty_typeEbEEZZNS1_14partition_implILS5_8ELb0ES3_jN6thrust23THRUST_200600_302600_NS6detail15normal_iteratorINSA_10device_ptrIiEEEEPS6_PKS6_NS0_5tupleIJNSA_16discard_iteratorINSA_11use_defaultEEES6_EEENSJ_IJSG_SG_EEENS0_18inequality_wrapperINSA_8equal_toIiEEEEPmJS6_EEE10hipError_tPvRmT3_T4_T5_T6_T7_T9_mT8_P12ihipStream_tbDpT10_ENKUlT_T0_E_clISt17integral_constantIbLb1EES1D_EEDaS18_S19_EUlS18_E_NS1_11comp_targetILNS1_3genE5ELNS1_11target_archE942ELNS1_3gpuE9ELNS1_3repE0EEENS1_30default_config_static_selectorELNS0_4arch9wavefront6targetE1EEEvT1_.has_recursion, 0
	.set _ZN7rocprim17ROCPRIM_400000_NS6detail17trampoline_kernelINS0_14default_configENS1_25partition_config_selectorILNS1_17partition_subalgoE8EiNS0_10empty_typeEbEEZZNS1_14partition_implILS5_8ELb0ES3_jN6thrust23THRUST_200600_302600_NS6detail15normal_iteratorINSA_10device_ptrIiEEEEPS6_PKS6_NS0_5tupleIJNSA_16discard_iteratorINSA_11use_defaultEEES6_EEENSJ_IJSG_SG_EEENS0_18inequality_wrapperINSA_8equal_toIiEEEEPmJS6_EEE10hipError_tPvRmT3_T4_T5_T6_T7_T9_mT8_P12ihipStream_tbDpT10_ENKUlT_T0_E_clISt17integral_constantIbLb1EES1D_EEDaS18_S19_EUlS18_E_NS1_11comp_targetILNS1_3genE5ELNS1_11target_archE942ELNS1_3gpuE9ELNS1_3repE0EEENS1_30default_config_static_selectorELNS0_4arch9wavefront6targetE1EEEvT1_.has_indirect_call, 0
	.section	.AMDGPU.csdata,"",@progbits
; Kernel info:
; codeLenInByte = 0
; TotalNumSgprs: 4
; NumVgprs: 0
; ScratchSize: 0
; MemoryBound: 0
; FloatMode: 240
; IeeeMode: 1
; LDSByteSize: 0 bytes/workgroup (compile time only)
; SGPRBlocks: 0
; VGPRBlocks: 0
; NumSGPRsForWavesPerEU: 4
; NumVGPRsForWavesPerEU: 1
; Occupancy: 10
; WaveLimiterHint : 0
; COMPUTE_PGM_RSRC2:SCRATCH_EN: 0
; COMPUTE_PGM_RSRC2:USER_SGPR: 6
; COMPUTE_PGM_RSRC2:TRAP_HANDLER: 0
; COMPUTE_PGM_RSRC2:TGID_X_EN: 1
; COMPUTE_PGM_RSRC2:TGID_Y_EN: 0
; COMPUTE_PGM_RSRC2:TGID_Z_EN: 0
; COMPUTE_PGM_RSRC2:TIDIG_COMP_CNT: 0
	.section	.text._ZN7rocprim17ROCPRIM_400000_NS6detail17trampoline_kernelINS0_14default_configENS1_25partition_config_selectorILNS1_17partition_subalgoE8EiNS0_10empty_typeEbEEZZNS1_14partition_implILS5_8ELb0ES3_jN6thrust23THRUST_200600_302600_NS6detail15normal_iteratorINSA_10device_ptrIiEEEEPS6_PKS6_NS0_5tupleIJNSA_16discard_iteratorINSA_11use_defaultEEES6_EEENSJ_IJSG_SG_EEENS0_18inequality_wrapperINSA_8equal_toIiEEEEPmJS6_EEE10hipError_tPvRmT3_T4_T5_T6_T7_T9_mT8_P12ihipStream_tbDpT10_ENKUlT_T0_E_clISt17integral_constantIbLb1EES1D_EEDaS18_S19_EUlS18_E_NS1_11comp_targetILNS1_3genE4ELNS1_11target_archE910ELNS1_3gpuE8ELNS1_3repE0EEENS1_30default_config_static_selectorELNS0_4arch9wavefront6targetE1EEEvT1_,"axG",@progbits,_ZN7rocprim17ROCPRIM_400000_NS6detail17trampoline_kernelINS0_14default_configENS1_25partition_config_selectorILNS1_17partition_subalgoE8EiNS0_10empty_typeEbEEZZNS1_14partition_implILS5_8ELb0ES3_jN6thrust23THRUST_200600_302600_NS6detail15normal_iteratorINSA_10device_ptrIiEEEEPS6_PKS6_NS0_5tupleIJNSA_16discard_iteratorINSA_11use_defaultEEES6_EEENSJ_IJSG_SG_EEENS0_18inequality_wrapperINSA_8equal_toIiEEEEPmJS6_EEE10hipError_tPvRmT3_T4_T5_T6_T7_T9_mT8_P12ihipStream_tbDpT10_ENKUlT_T0_E_clISt17integral_constantIbLb1EES1D_EEDaS18_S19_EUlS18_E_NS1_11comp_targetILNS1_3genE4ELNS1_11target_archE910ELNS1_3gpuE8ELNS1_3repE0EEENS1_30default_config_static_selectorELNS0_4arch9wavefront6targetE1EEEvT1_,comdat
	.protected	_ZN7rocprim17ROCPRIM_400000_NS6detail17trampoline_kernelINS0_14default_configENS1_25partition_config_selectorILNS1_17partition_subalgoE8EiNS0_10empty_typeEbEEZZNS1_14partition_implILS5_8ELb0ES3_jN6thrust23THRUST_200600_302600_NS6detail15normal_iteratorINSA_10device_ptrIiEEEEPS6_PKS6_NS0_5tupleIJNSA_16discard_iteratorINSA_11use_defaultEEES6_EEENSJ_IJSG_SG_EEENS0_18inequality_wrapperINSA_8equal_toIiEEEEPmJS6_EEE10hipError_tPvRmT3_T4_T5_T6_T7_T9_mT8_P12ihipStream_tbDpT10_ENKUlT_T0_E_clISt17integral_constantIbLb1EES1D_EEDaS18_S19_EUlS18_E_NS1_11comp_targetILNS1_3genE4ELNS1_11target_archE910ELNS1_3gpuE8ELNS1_3repE0EEENS1_30default_config_static_selectorELNS0_4arch9wavefront6targetE1EEEvT1_ ; -- Begin function _ZN7rocprim17ROCPRIM_400000_NS6detail17trampoline_kernelINS0_14default_configENS1_25partition_config_selectorILNS1_17partition_subalgoE8EiNS0_10empty_typeEbEEZZNS1_14partition_implILS5_8ELb0ES3_jN6thrust23THRUST_200600_302600_NS6detail15normal_iteratorINSA_10device_ptrIiEEEEPS6_PKS6_NS0_5tupleIJNSA_16discard_iteratorINSA_11use_defaultEEES6_EEENSJ_IJSG_SG_EEENS0_18inequality_wrapperINSA_8equal_toIiEEEEPmJS6_EEE10hipError_tPvRmT3_T4_T5_T6_T7_T9_mT8_P12ihipStream_tbDpT10_ENKUlT_T0_E_clISt17integral_constantIbLb1EES1D_EEDaS18_S19_EUlS18_E_NS1_11comp_targetILNS1_3genE4ELNS1_11target_archE910ELNS1_3gpuE8ELNS1_3repE0EEENS1_30default_config_static_selectorELNS0_4arch9wavefront6targetE1EEEvT1_
	.globl	_ZN7rocprim17ROCPRIM_400000_NS6detail17trampoline_kernelINS0_14default_configENS1_25partition_config_selectorILNS1_17partition_subalgoE8EiNS0_10empty_typeEbEEZZNS1_14partition_implILS5_8ELb0ES3_jN6thrust23THRUST_200600_302600_NS6detail15normal_iteratorINSA_10device_ptrIiEEEEPS6_PKS6_NS0_5tupleIJNSA_16discard_iteratorINSA_11use_defaultEEES6_EEENSJ_IJSG_SG_EEENS0_18inequality_wrapperINSA_8equal_toIiEEEEPmJS6_EEE10hipError_tPvRmT3_T4_T5_T6_T7_T9_mT8_P12ihipStream_tbDpT10_ENKUlT_T0_E_clISt17integral_constantIbLb1EES1D_EEDaS18_S19_EUlS18_E_NS1_11comp_targetILNS1_3genE4ELNS1_11target_archE910ELNS1_3gpuE8ELNS1_3repE0EEENS1_30default_config_static_selectorELNS0_4arch9wavefront6targetE1EEEvT1_
	.p2align	8
	.type	_ZN7rocprim17ROCPRIM_400000_NS6detail17trampoline_kernelINS0_14default_configENS1_25partition_config_selectorILNS1_17partition_subalgoE8EiNS0_10empty_typeEbEEZZNS1_14partition_implILS5_8ELb0ES3_jN6thrust23THRUST_200600_302600_NS6detail15normal_iteratorINSA_10device_ptrIiEEEEPS6_PKS6_NS0_5tupleIJNSA_16discard_iteratorINSA_11use_defaultEEES6_EEENSJ_IJSG_SG_EEENS0_18inequality_wrapperINSA_8equal_toIiEEEEPmJS6_EEE10hipError_tPvRmT3_T4_T5_T6_T7_T9_mT8_P12ihipStream_tbDpT10_ENKUlT_T0_E_clISt17integral_constantIbLb1EES1D_EEDaS18_S19_EUlS18_E_NS1_11comp_targetILNS1_3genE4ELNS1_11target_archE910ELNS1_3gpuE8ELNS1_3repE0EEENS1_30default_config_static_selectorELNS0_4arch9wavefront6targetE1EEEvT1_,@function
_ZN7rocprim17ROCPRIM_400000_NS6detail17trampoline_kernelINS0_14default_configENS1_25partition_config_selectorILNS1_17partition_subalgoE8EiNS0_10empty_typeEbEEZZNS1_14partition_implILS5_8ELb0ES3_jN6thrust23THRUST_200600_302600_NS6detail15normal_iteratorINSA_10device_ptrIiEEEEPS6_PKS6_NS0_5tupleIJNSA_16discard_iteratorINSA_11use_defaultEEES6_EEENSJ_IJSG_SG_EEENS0_18inequality_wrapperINSA_8equal_toIiEEEEPmJS6_EEE10hipError_tPvRmT3_T4_T5_T6_T7_T9_mT8_P12ihipStream_tbDpT10_ENKUlT_T0_E_clISt17integral_constantIbLb1EES1D_EEDaS18_S19_EUlS18_E_NS1_11comp_targetILNS1_3genE4ELNS1_11target_archE910ELNS1_3gpuE8ELNS1_3repE0EEENS1_30default_config_static_selectorELNS0_4arch9wavefront6targetE1EEEvT1_: ; @_ZN7rocprim17ROCPRIM_400000_NS6detail17trampoline_kernelINS0_14default_configENS1_25partition_config_selectorILNS1_17partition_subalgoE8EiNS0_10empty_typeEbEEZZNS1_14partition_implILS5_8ELb0ES3_jN6thrust23THRUST_200600_302600_NS6detail15normal_iteratorINSA_10device_ptrIiEEEEPS6_PKS6_NS0_5tupleIJNSA_16discard_iteratorINSA_11use_defaultEEES6_EEENSJ_IJSG_SG_EEENS0_18inequality_wrapperINSA_8equal_toIiEEEEPmJS6_EEE10hipError_tPvRmT3_T4_T5_T6_T7_T9_mT8_P12ihipStream_tbDpT10_ENKUlT_T0_E_clISt17integral_constantIbLb1EES1D_EEDaS18_S19_EUlS18_E_NS1_11comp_targetILNS1_3genE4ELNS1_11target_archE910ELNS1_3gpuE8ELNS1_3repE0EEENS1_30default_config_static_selectorELNS0_4arch9wavefront6targetE1EEEvT1_
; %bb.0:
	.section	.rodata,"a",@progbits
	.p2align	6, 0x0
	.amdhsa_kernel _ZN7rocprim17ROCPRIM_400000_NS6detail17trampoline_kernelINS0_14default_configENS1_25partition_config_selectorILNS1_17partition_subalgoE8EiNS0_10empty_typeEbEEZZNS1_14partition_implILS5_8ELb0ES3_jN6thrust23THRUST_200600_302600_NS6detail15normal_iteratorINSA_10device_ptrIiEEEEPS6_PKS6_NS0_5tupleIJNSA_16discard_iteratorINSA_11use_defaultEEES6_EEENSJ_IJSG_SG_EEENS0_18inequality_wrapperINSA_8equal_toIiEEEEPmJS6_EEE10hipError_tPvRmT3_T4_T5_T6_T7_T9_mT8_P12ihipStream_tbDpT10_ENKUlT_T0_E_clISt17integral_constantIbLb1EES1D_EEDaS18_S19_EUlS18_E_NS1_11comp_targetILNS1_3genE4ELNS1_11target_archE910ELNS1_3gpuE8ELNS1_3repE0EEENS1_30default_config_static_selectorELNS0_4arch9wavefront6targetE1EEEvT1_
		.amdhsa_group_segment_fixed_size 0
		.amdhsa_private_segment_fixed_size 0
		.amdhsa_kernarg_size 136
		.amdhsa_user_sgpr_count 6
		.amdhsa_user_sgpr_private_segment_buffer 1
		.amdhsa_user_sgpr_dispatch_ptr 0
		.amdhsa_user_sgpr_queue_ptr 0
		.amdhsa_user_sgpr_kernarg_segment_ptr 1
		.amdhsa_user_sgpr_dispatch_id 0
		.amdhsa_user_sgpr_flat_scratch_init 0
		.amdhsa_user_sgpr_private_segment_size 0
		.amdhsa_uses_dynamic_stack 0
		.amdhsa_system_sgpr_private_segment_wavefront_offset 0
		.amdhsa_system_sgpr_workgroup_id_x 1
		.amdhsa_system_sgpr_workgroup_id_y 0
		.amdhsa_system_sgpr_workgroup_id_z 0
		.amdhsa_system_sgpr_workgroup_info 0
		.amdhsa_system_vgpr_workitem_id 0
		.amdhsa_next_free_vgpr 1
		.amdhsa_next_free_sgpr 0
		.amdhsa_reserve_vcc 0
		.amdhsa_reserve_flat_scratch 0
		.amdhsa_float_round_mode_32 0
		.amdhsa_float_round_mode_16_64 0
		.amdhsa_float_denorm_mode_32 3
		.amdhsa_float_denorm_mode_16_64 3
		.amdhsa_dx10_clamp 1
		.amdhsa_ieee_mode 1
		.amdhsa_fp16_overflow 0
		.amdhsa_exception_fp_ieee_invalid_op 0
		.amdhsa_exception_fp_denorm_src 0
		.amdhsa_exception_fp_ieee_div_zero 0
		.amdhsa_exception_fp_ieee_overflow 0
		.amdhsa_exception_fp_ieee_underflow 0
		.amdhsa_exception_fp_ieee_inexact 0
		.amdhsa_exception_int_div_zero 0
	.end_amdhsa_kernel
	.section	.text._ZN7rocprim17ROCPRIM_400000_NS6detail17trampoline_kernelINS0_14default_configENS1_25partition_config_selectorILNS1_17partition_subalgoE8EiNS0_10empty_typeEbEEZZNS1_14partition_implILS5_8ELb0ES3_jN6thrust23THRUST_200600_302600_NS6detail15normal_iteratorINSA_10device_ptrIiEEEEPS6_PKS6_NS0_5tupleIJNSA_16discard_iteratorINSA_11use_defaultEEES6_EEENSJ_IJSG_SG_EEENS0_18inequality_wrapperINSA_8equal_toIiEEEEPmJS6_EEE10hipError_tPvRmT3_T4_T5_T6_T7_T9_mT8_P12ihipStream_tbDpT10_ENKUlT_T0_E_clISt17integral_constantIbLb1EES1D_EEDaS18_S19_EUlS18_E_NS1_11comp_targetILNS1_3genE4ELNS1_11target_archE910ELNS1_3gpuE8ELNS1_3repE0EEENS1_30default_config_static_selectorELNS0_4arch9wavefront6targetE1EEEvT1_,"axG",@progbits,_ZN7rocprim17ROCPRIM_400000_NS6detail17trampoline_kernelINS0_14default_configENS1_25partition_config_selectorILNS1_17partition_subalgoE8EiNS0_10empty_typeEbEEZZNS1_14partition_implILS5_8ELb0ES3_jN6thrust23THRUST_200600_302600_NS6detail15normal_iteratorINSA_10device_ptrIiEEEEPS6_PKS6_NS0_5tupleIJNSA_16discard_iteratorINSA_11use_defaultEEES6_EEENSJ_IJSG_SG_EEENS0_18inequality_wrapperINSA_8equal_toIiEEEEPmJS6_EEE10hipError_tPvRmT3_T4_T5_T6_T7_T9_mT8_P12ihipStream_tbDpT10_ENKUlT_T0_E_clISt17integral_constantIbLb1EES1D_EEDaS18_S19_EUlS18_E_NS1_11comp_targetILNS1_3genE4ELNS1_11target_archE910ELNS1_3gpuE8ELNS1_3repE0EEENS1_30default_config_static_selectorELNS0_4arch9wavefront6targetE1EEEvT1_,comdat
.Lfunc_end671:
	.size	_ZN7rocprim17ROCPRIM_400000_NS6detail17trampoline_kernelINS0_14default_configENS1_25partition_config_selectorILNS1_17partition_subalgoE8EiNS0_10empty_typeEbEEZZNS1_14partition_implILS5_8ELb0ES3_jN6thrust23THRUST_200600_302600_NS6detail15normal_iteratorINSA_10device_ptrIiEEEEPS6_PKS6_NS0_5tupleIJNSA_16discard_iteratorINSA_11use_defaultEEES6_EEENSJ_IJSG_SG_EEENS0_18inequality_wrapperINSA_8equal_toIiEEEEPmJS6_EEE10hipError_tPvRmT3_T4_T5_T6_T7_T9_mT8_P12ihipStream_tbDpT10_ENKUlT_T0_E_clISt17integral_constantIbLb1EES1D_EEDaS18_S19_EUlS18_E_NS1_11comp_targetILNS1_3genE4ELNS1_11target_archE910ELNS1_3gpuE8ELNS1_3repE0EEENS1_30default_config_static_selectorELNS0_4arch9wavefront6targetE1EEEvT1_, .Lfunc_end671-_ZN7rocprim17ROCPRIM_400000_NS6detail17trampoline_kernelINS0_14default_configENS1_25partition_config_selectorILNS1_17partition_subalgoE8EiNS0_10empty_typeEbEEZZNS1_14partition_implILS5_8ELb0ES3_jN6thrust23THRUST_200600_302600_NS6detail15normal_iteratorINSA_10device_ptrIiEEEEPS6_PKS6_NS0_5tupleIJNSA_16discard_iteratorINSA_11use_defaultEEES6_EEENSJ_IJSG_SG_EEENS0_18inequality_wrapperINSA_8equal_toIiEEEEPmJS6_EEE10hipError_tPvRmT3_T4_T5_T6_T7_T9_mT8_P12ihipStream_tbDpT10_ENKUlT_T0_E_clISt17integral_constantIbLb1EES1D_EEDaS18_S19_EUlS18_E_NS1_11comp_targetILNS1_3genE4ELNS1_11target_archE910ELNS1_3gpuE8ELNS1_3repE0EEENS1_30default_config_static_selectorELNS0_4arch9wavefront6targetE1EEEvT1_
                                        ; -- End function
	.set _ZN7rocprim17ROCPRIM_400000_NS6detail17trampoline_kernelINS0_14default_configENS1_25partition_config_selectorILNS1_17partition_subalgoE8EiNS0_10empty_typeEbEEZZNS1_14partition_implILS5_8ELb0ES3_jN6thrust23THRUST_200600_302600_NS6detail15normal_iteratorINSA_10device_ptrIiEEEEPS6_PKS6_NS0_5tupleIJNSA_16discard_iteratorINSA_11use_defaultEEES6_EEENSJ_IJSG_SG_EEENS0_18inequality_wrapperINSA_8equal_toIiEEEEPmJS6_EEE10hipError_tPvRmT3_T4_T5_T6_T7_T9_mT8_P12ihipStream_tbDpT10_ENKUlT_T0_E_clISt17integral_constantIbLb1EES1D_EEDaS18_S19_EUlS18_E_NS1_11comp_targetILNS1_3genE4ELNS1_11target_archE910ELNS1_3gpuE8ELNS1_3repE0EEENS1_30default_config_static_selectorELNS0_4arch9wavefront6targetE1EEEvT1_.num_vgpr, 0
	.set _ZN7rocprim17ROCPRIM_400000_NS6detail17trampoline_kernelINS0_14default_configENS1_25partition_config_selectorILNS1_17partition_subalgoE8EiNS0_10empty_typeEbEEZZNS1_14partition_implILS5_8ELb0ES3_jN6thrust23THRUST_200600_302600_NS6detail15normal_iteratorINSA_10device_ptrIiEEEEPS6_PKS6_NS0_5tupleIJNSA_16discard_iteratorINSA_11use_defaultEEES6_EEENSJ_IJSG_SG_EEENS0_18inequality_wrapperINSA_8equal_toIiEEEEPmJS6_EEE10hipError_tPvRmT3_T4_T5_T6_T7_T9_mT8_P12ihipStream_tbDpT10_ENKUlT_T0_E_clISt17integral_constantIbLb1EES1D_EEDaS18_S19_EUlS18_E_NS1_11comp_targetILNS1_3genE4ELNS1_11target_archE910ELNS1_3gpuE8ELNS1_3repE0EEENS1_30default_config_static_selectorELNS0_4arch9wavefront6targetE1EEEvT1_.num_agpr, 0
	.set _ZN7rocprim17ROCPRIM_400000_NS6detail17trampoline_kernelINS0_14default_configENS1_25partition_config_selectorILNS1_17partition_subalgoE8EiNS0_10empty_typeEbEEZZNS1_14partition_implILS5_8ELb0ES3_jN6thrust23THRUST_200600_302600_NS6detail15normal_iteratorINSA_10device_ptrIiEEEEPS6_PKS6_NS0_5tupleIJNSA_16discard_iteratorINSA_11use_defaultEEES6_EEENSJ_IJSG_SG_EEENS0_18inequality_wrapperINSA_8equal_toIiEEEEPmJS6_EEE10hipError_tPvRmT3_T4_T5_T6_T7_T9_mT8_P12ihipStream_tbDpT10_ENKUlT_T0_E_clISt17integral_constantIbLb1EES1D_EEDaS18_S19_EUlS18_E_NS1_11comp_targetILNS1_3genE4ELNS1_11target_archE910ELNS1_3gpuE8ELNS1_3repE0EEENS1_30default_config_static_selectorELNS0_4arch9wavefront6targetE1EEEvT1_.numbered_sgpr, 0
	.set _ZN7rocprim17ROCPRIM_400000_NS6detail17trampoline_kernelINS0_14default_configENS1_25partition_config_selectorILNS1_17partition_subalgoE8EiNS0_10empty_typeEbEEZZNS1_14partition_implILS5_8ELb0ES3_jN6thrust23THRUST_200600_302600_NS6detail15normal_iteratorINSA_10device_ptrIiEEEEPS6_PKS6_NS0_5tupleIJNSA_16discard_iteratorINSA_11use_defaultEEES6_EEENSJ_IJSG_SG_EEENS0_18inequality_wrapperINSA_8equal_toIiEEEEPmJS6_EEE10hipError_tPvRmT3_T4_T5_T6_T7_T9_mT8_P12ihipStream_tbDpT10_ENKUlT_T0_E_clISt17integral_constantIbLb1EES1D_EEDaS18_S19_EUlS18_E_NS1_11comp_targetILNS1_3genE4ELNS1_11target_archE910ELNS1_3gpuE8ELNS1_3repE0EEENS1_30default_config_static_selectorELNS0_4arch9wavefront6targetE1EEEvT1_.num_named_barrier, 0
	.set _ZN7rocprim17ROCPRIM_400000_NS6detail17trampoline_kernelINS0_14default_configENS1_25partition_config_selectorILNS1_17partition_subalgoE8EiNS0_10empty_typeEbEEZZNS1_14partition_implILS5_8ELb0ES3_jN6thrust23THRUST_200600_302600_NS6detail15normal_iteratorINSA_10device_ptrIiEEEEPS6_PKS6_NS0_5tupleIJNSA_16discard_iteratorINSA_11use_defaultEEES6_EEENSJ_IJSG_SG_EEENS0_18inequality_wrapperINSA_8equal_toIiEEEEPmJS6_EEE10hipError_tPvRmT3_T4_T5_T6_T7_T9_mT8_P12ihipStream_tbDpT10_ENKUlT_T0_E_clISt17integral_constantIbLb1EES1D_EEDaS18_S19_EUlS18_E_NS1_11comp_targetILNS1_3genE4ELNS1_11target_archE910ELNS1_3gpuE8ELNS1_3repE0EEENS1_30default_config_static_selectorELNS0_4arch9wavefront6targetE1EEEvT1_.private_seg_size, 0
	.set _ZN7rocprim17ROCPRIM_400000_NS6detail17trampoline_kernelINS0_14default_configENS1_25partition_config_selectorILNS1_17partition_subalgoE8EiNS0_10empty_typeEbEEZZNS1_14partition_implILS5_8ELb0ES3_jN6thrust23THRUST_200600_302600_NS6detail15normal_iteratorINSA_10device_ptrIiEEEEPS6_PKS6_NS0_5tupleIJNSA_16discard_iteratorINSA_11use_defaultEEES6_EEENSJ_IJSG_SG_EEENS0_18inequality_wrapperINSA_8equal_toIiEEEEPmJS6_EEE10hipError_tPvRmT3_T4_T5_T6_T7_T9_mT8_P12ihipStream_tbDpT10_ENKUlT_T0_E_clISt17integral_constantIbLb1EES1D_EEDaS18_S19_EUlS18_E_NS1_11comp_targetILNS1_3genE4ELNS1_11target_archE910ELNS1_3gpuE8ELNS1_3repE0EEENS1_30default_config_static_selectorELNS0_4arch9wavefront6targetE1EEEvT1_.uses_vcc, 0
	.set _ZN7rocprim17ROCPRIM_400000_NS6detail17trampoline_kernelINS0_14default_configENS1_25partition_config_selectorILNS1_17partition_subalgoE8EiNS0_10empty_typeEbEEZZNS1_14partition_implILS5_8ELb0ES3_jN6thrust23THRUST_200600_302600_NS6detail15normal_iteratorINSA_10device_ptrIiEEEEPS6_PKS6_NS0_5tupleIJNSA_16discard_iteratorINSA_11use_defaultEEES6_EEENSJ_IJSG_SG_EEENS0_18inequality_wrapperINSA_8equal_toIiEEEEPmJS6_EEE10hipError_tPvRmT3_T4_T5_T6_T7_T9_mT8_P12ihipStream_tbDpT10_ENKUlT_T0_E_clISt17integral_constantIbLb1EES1D_EEDaS18_S19_EUlS18_E_NS1_11comp_targetILNS1_3genE4ELNS1_11target_archE910ELNS1_3gpuE8ELNS1_3repE0EEENS1_30default_config_static_selectorELNS0_4arch9wavefront6targetE1EEEvT1_.uses_flat_scratch, 0
	.set _ZN7rocprim17ROCPRIM_400000_NS6detail17trampoline_kernelINS0_14default_configENS1_25partition_config_selectorILNS1_17partition_subalgoE8EiNS0_10empty_typeEbEEZZNS1_14partition_implILS5_8ELb0ES3_jN6thrust23THRUST_200600_302600_NS6detail15normal_iteratorINSA_10device_ptrIiEEEEPS6_PKS6_NS0_5tupleIJNSA_16discard_iteratorINSA_11use_defaultEEES6_EEENSJ_IJSG_SG_EEENS0_18inequality_wrapperINSA_8equal_toIiEEEEPmJS6_EEE10hipError_tPvRmT3_T4_T5_T6_T7_T9_mT8_P12ihipStream_tbDpT10_ENKUlT_T0_E_clISt17integral_constantIbLb1EES1D_EEDaS18_S19_EUlS18_E_NS1_11comp_targetILNS1_3genE4ELNS1_11target_archE910ELNS1_3gpuE8ELNS1_3repE0EEENS1_30default_config_static_selectorELNS0_4arch9wavefront6targetE1EEEvT1_.has_dyn_sized_stack, 0
	.set _ZN7rocprim17ROCPRIM_400000_NS6detail17trampoline_kernelINS0_14default_configENS1_25partition_config_selectorILNS1_17partition_subalgoE8EiNS0_10empty_typeEbEEZZNS1_14partition_implILS5_8ELb0ES3_jN6thrust23THRUST_200600_302600_NS6detail15normal_iteratorINSA_10device_ptrIiEEEEPS6_PKS6_NS0_5tupleIJNSA_16discard_iteratorINSA_11use_defaultEEES6_EEENSJ_IJSG_SG_EEENS0_18inequality_wrapperINSA_8equal_toIiEEEEPmJS6_EEE10hipError_tPvRmT3_T4_T5_T6_T7_T9_mT8_P12ihipStream_tbDpT10_ENKUlT_T0_E_clISt17integral_constantIbLb1EES1D_EEDaS18_S19_EUlS18_E_NS1_11comp_targetILNS1_3genE4ELNS1_11target_archE910ELNS1_3gpuE8ELNS1_3repE0EEENS1_30default_config_static_selectorELNS0_4arch9wavefront6targetE1EEEvT1_.has_recursion, 0
	.set _ZN7rocprim17ROCPRIM_400000_NS6detail17trampoline_kernelINS0_14default_configENS1_25partition_config_selectorILNS1_17partition_subalgoE8EiNS0_10empty_typeEbEEZZNS1_14partition_implILS5_8ELb0ES3_jN6thrust23THRUST_200600_302600_NS6detail15normal_iteratorINSA_10device_ptrIiEEEEPS6_PKS6_NS0_5tupleIJNSA_16discard_iteratorINSA_11use_defaultEEES6_EEENSJ_IJSG_SG_EEENS0_18inequality_wrapperINSA_8equal_toIiEEEEPmJS6_EEE10hipError_tPvRmT3_T4_T5_T6_T7_T9_mT8_P12ihipStream_tbDpT10_ENKUlT_T0_E_clISt17integral_constantIbLb1EES1D_EEDaS18_S19_EUlS18_E_NS1_11comp_targetILNS1_3genE4ELNS1_11target_archE910ELNS1_3gpuE8ELNS1_3repE0EEENS1_30default_config_static_selectorELNS0_4arch9wavefront6targetE1EEEvT1_.has_indirect_call, 0
	.section	.AMDGPU.csdata,"",@progbits
; Kernel info:
; codeLenInByte = 0
; TotalNumSgprs: 4
; NumVgprs: 0
; ScratchSize: 0
; MemoryBound: 0
; FloatMode: 240
; IeeeMode: 1
; LDSByteSize: 0 bytes/workgroup (compile time only)
; SGPRBlocks: 0
; VGPRBlocks: 0
; NumSGPRsForWavesPerEU: 4
; NumVGPRsForWavesPerEU: 1
; Occupancy: 10
; WaveLimiterHint : 0
; COMPUTE_PGM_RSRC2:SCRATCH_EN: 0
; COMPUTE_PGM_RSRC2:USER_SGPR: 6
; COMPUTE_PGM_RSRC2:TRAP_HANDLER: 0
; COMPUTE_PGM_RSRC2:TGID_X_EN: 1
; COMPUTE_PGM_RSRC2:TGID_Y_EN: 0
; COMPUTE_PGM_RSRC2:TGID_Z_EN: 0
; COMPUTE_PGM_RSRC2:TIDIG_COMP_CNT: 0
	.section	.text._ZN7rocprim17ROCPRIM_400000_NS6detail17trampoline_kernelINS0_14default_configENS1_25partition_config_selectorILNS1_17partition_subalgoE8EiNS0_10empty_typeEbEEZZNS1_14partition_implILS5_8ELb0ES3_jN6thrust23THRUST_200600_302600_NS6detail15normal_iteratorINSA_10device_ptrIiEEEEPS6_PKS6_NS0_5tupleIJNSA_16discard_iteratorINSA_11use_defaultEEES6_EEENSJ_IJSG_SG_EEENS0_18inequality_wrapperINSA_8equal_toIiEEEEPmJS6_EEE10hipError_tPvRmT3_T4_T5_T6_T7_T9_mT8_P12ihipStream_tbDpT10_ENKUlT_T0_E_clISt17integral_constantIbLb1EES1D_EEDaS18_S19_EUlS18_E_NS1_11comp_targetILNS1_3genE3ELNS1_11target_archE908ELNS1_3gpuE7ELNS1_3repE0EEENS1_30default_config_static_selectorELNS0_4arch9wavefront6targetE1EEEvT1_,"axG",@progbits,_ZN7rocprim17ROCPRIM_400000_NS6detail17trampoline_kernelINS0_14default_configENS1_25partition_config_selectorILNS1_17partition_subalgoE8EiNS0_10empty_typeEbEEZZNS1_14partition_implILS5_8ELb0ES3_jN6thrust23THRUST_200600_302600_NS6detail15normal_iteratorINSA_10device_ptrIiEEEEPS6_PKS6_NS0_5tupleIJNSA_16discard_iteratorINSA_11use_defaultEEES6_EEENSJ_IJSG_SG_EEENS0_18inequality_wrapperINSA_8equal_toIiEEEEPmJS6_EEE10hipError_tPvRmT3_T4_T5_T6_T7_T9_mT8_P12ihipStream_tbDpT10_ENKUlT_T0_E_clISt17integral_constantIbLb1EES1D_EEDaS18_S19_EUlS18_E_NS1_11comp_targetILNS1_3genE3ELNS1_11target_archE908ELNS1_3gpuE7ELNS1_3repE0EEENS1_30default_config_static_selectorELNS0_4arch9wavefront6targetE1EEEvT1_,comdat
	.protected	_ZN7rocprim17ROCPRIM_400000_NS6detail17trampoline_kernelINS0_14default_configENS1_25partition_config_selectorILNS1_17partition_subalgoE8EiNS0_10empty_typeEbEEZZNS1_14partition_implILS5_8ELb0ES3_jN6thrust23THRUST_200600_302600_NS6detail15normal_iteratorINSA_10device_ptrIiEEEEPS6_PKS6_NS0_5tupleIJNSA_16discard_iteratorINSA_11use_defaultEEES6_EEENSJ_IJSG_SG_EEENS0_18inequality_wrapperINSA_8equal_toIiEEEEPmJS6_EEE10hipError_tPvRmT3_T4_T5_T6_T7_T9_mT8_P12ihipStream_tbDpT10_ENKUlT_T0_E_clISt17integral_constantIbLb1EES1D_EEDaS18_S19_EUlS18_E_NS1_11comp_targetILNS1_3genE3ELNS1_11target_archE908ELNS1_3gpuE7ELNS1_3repE0EEENS1_30default_config_static_selectorELNS0_4arch9wavefront6targetE1EEEvT1_ ; -- Begin function _ZN7rocprim17ROCPRIM_400000_NS6detail17trampoline_kernelINS0_14default_configENS1_25partition_config_selectorILNS1_17partition_subalgoE8EiNS0_10empty_typeEbEEZZNS1_14partition_implILS5_8ELb0ES3_jN6thrust23THRUST_200600_302600_NS6detail15normal_iteratorINSA_10device_ptrIiEEEEPS6_PKS6_NS0_5tupleIJNSA_16discard_iteratorINSA_11use_defaultEEES6_EEENSJ_IJSG_SG_EEENS0_18inequality_wrapperINSA_8equal_toIiEEEEPmJS6_EEE10hipError_tPvRmT3_T4_T5_T6_T7_T9_mT8_P12ihipStream_tbDpT10_ENKUlT_T0_E_clISt17integral_constantIbLb1EES1D_EEDaS18_S19_EUlS18_E_NS1_11comp_targetILNS1_3genE3ELNS1_11target_archE908ELNS1_3gpuE7ELNS1_3repE0EEENS1_30default_config_static_selectorELNS0_4arch9wavefront6targetE1EEEvT1_
	.globl	_ZN7rocprim17ROCPRIM_400000_NS6detail17trampoline_kernelINS0_14default_configENS1_25partition_config_selectorILNS1_17partition_subalgoE8EiNS0_10empty_typeEbEEZZNS1_14partition_implILS5_8ELb0ES3_jN6thrust23THRUST_200600_302600_NS6detail15normal_iteratorINSA_10device_ptrIiEEEEPS6_PKS6_NS0_5tupleIJNSA_16discard_iteratorINSA_11use_defaultEEES6_EEENSJ_IJSG_SG_EEENS0_18inequality_wrapperINSA_8equal_toIiEEEEPmJS6_EEE10hipError_tPvRmT3_T4_T5_T6_T7_T9_mT8_P12ihipStream_tbDpT10_ENKUlT_T0_E_clISt17integral_constantIbLb1EES1D_EEDaS18_S19_EUlS18_E_NS1_11comp_targetILNS1_3genE3ELNS1_11target_archE908ELNS1_3gpuE7ELNS1_3repE0EEENS1_30default_config_static_selectorELNS0_4arch9wavefront6targetE1EEEvT1_
	.p2align	8
	.type	_ZN7rocprim17ROCPRIM_400000_NS6detail17trampoline_kernelINS0_14default_configENS1_25partition_config_selectorILNS1_17partition_subalgoE8EiNS0_10empty_typeEbEEZZNS1_14partition_implILS5_8ELb0ES3_jN6thrust23THRUST_200600_302600_NS6detail15normal_iteratorINSA_10device_ptrIiEEEEPS6_PKS6_NS0_5tupleIJNSA_16discard_iteratorINSA_11use_defaultEEES6_EEENSJ_IJSG_SG_EEENS0_18inequality_wrapperINSA_8equal_toIiEEEEPmJS6_EEE10hipError_tPvRmT3_T4_T5_T6_T7_T9_mT8_P12ihipStream_tbDpT10_ENKUlT_T0_E_clISt17integral_constantIbLb1EES1D_EEDaS18_S19_EUlS18_E_NS1_11comp_targetILNS1_3genE3ELNS1_11target_archE908ELNS1_3gpuE7ELNS1_3repE0EEENS1_30default_config_static_selectorELNS0_4arch9wavefront6targetE1EEEvT1_,@function
_ZN7rocprim17ROCPRIM_400000_NS6detail17trampoline_kernelINS0_14default_configENS1_25partition_config_selectorILNS1_17partition_subalgoE8EiNS0_10empty_typeEbEEZZNS1_14partition_implILS5_8ELb0ES3_jN6thrust23THRUST_200600_302600_NS6detail15normal_iteratorINSA_10device_ptrIiEEEEPS6_PKS6_NS0_5tupleIJNSA_16discard_iteratorINSA_11use_defaultEEES6_EEENSJ_IJSG_SG_EEENS0_18inequality_wrapperINSA_8equal_toIiEEEEPmJS6_EEE10hipError_tPvRmT3_T4_T5_T6_T7_T9_mT8_P12ihipStream_tbDpT10_ENKUlT_T0_E_clISt17integral_constantIbLb1EES1D_EEDaS18_S19_EUlS18_E_NS1_11comp_targetILNS1_3genE3ELNS1_11target_archE908ELNS1_3gpuE7ELNS1_3repE0EEENS1_30default_config_static_selectorELNS0_4arch9wavefront6targetE1EEEvT1_: ; @_ZN7rocprim17ROCPRIM_400000_NS6detail17trampoline_kernelINS0_14default_configENS1_25partition_config_selectorILNS1_17partition_subalgoE8EiNS0_10empty_typeEbEEZZNS1_14partition_implILS5_8ELb0ES3_jN6thrust23THRUST_200600_302600_NS6detail15normal_iteratorINSA_10device_ptrIiEEEEPS6_PKS6_NS0_5tupleIJNSA_16discard_iteratorINSA_11use_defaultEEES6_EEENSJ_IJSG_SG_EEENS0_18inequality_wrapperINSA_8equal_toIiEEEEPmJS6_EEE10hipError_tPvRmT3_T4_T5_T6_T7_T9_mT8_P12ihipStream_tbDpT10_ENKUlT_T0_E_clISt17integral_constantIbLb1EES1D_EEDaS18_S19_EUlS18_E_NS1_11comp_targetILNS1_3genE3ELNS1_11target_archE908ELNS1_3gpuE7ELNS1_3repE0EEENS1_30default_config_static_selectorELNS0_4arch9wavefront6targetE1EEEvT1_
; %bb.0:
	.section	.rodata,"a",@progbits
	.p2align	6, 0x0
	.amdhsa_kernel _ZN7rocprim17ROCPRIM_400000_NS6detail17trampoline_kernelINS0_14default_configENS1_25partition_config_selectorILNS1_17partition_subalgoE8EiNS0_10empty_typeEbEEZZNS1_14partition_implILS5_8ELb0ES3_jN6thrust23THRUST_200600_302600_NS6detail15normal_iteratorINSA_10device_ptrIiEEEEPS6_PKS6_NS0_5tupleIJNSA_16discard_iteratorINSA_11use_defaultEEES6_EEENSJ_IJSG_SG_EEENS0_18inequality_wrapperINSA_8equal_toIiEEEEPmJS6_EEE10hipError_tPvRmT3_T4_T5_T6_T7_T9_mT8_P12ihipStream_tbDpT10_ENKUlT_T0_E_clISt17integral_constantIbLb1EES1D_EEDaS18_S19_EUlS18_E_NS1_11comp_targetILNS1_3genE3ELNS1_11target_archE908ELNS1_3gpuE7ELNS1_3repE0EEENS1_30default_config_static_selectorELNS0_4arch9wavefront6targetE1EEEvT1_
		.amdhsa_group_segment_fixed_size 0
		.amdhsa_private_segment_fixed_size 0
		.amdhsa_kernarg_size 136
		.amdhsa_user_sgpr_count 6
		.amdhsa_user_sgpr_private_segment_buffer 1
		.amdhsa_user_sgpr_dispatch_ptr 0
		.amdhsa_user_sgpr_queue_ptr 0
		.amdhsa_user_sgpr_kernarg_segment_ptr 1
		.amdhsa_user_sgpr_dispatch_id 0
		.amdhsa_user_sgpr_flat_scratch_init 0
		.amdhsa_user_sgpr_private_segment_size 0
		.amdhsa_uses_dynamic_stack 0
		.amdhsa_system_sgpr_private_segment_wavefront_offset 0
		.amdhsa_system_sgpr_workgroup_id_x 1
		.amdhsa_system_sgpr_workgroup_id_y 0
		.amdhsa_system_sgpr_workgroup_id_z 0
		.amdhsa_system_sgpr_workgroup_info 0
		.amdhsa_system_vgpr_workitem_id 0
		.amdhsa_next_free_vgpr 1
		.amdhsa_next_free_sgpr 0
		.amdhsa_reserve_vcc 0
		.amdhsa_reserve_flat_scratch 0
		.amdhsa_float_round_mode_32 0
		.amdhsa_float_round_mode_16_64 0
		.amdhsa_float_denorm_mode_32 3
		.amdhsa_float_denorm_mode_16_64 3
		.amdhsa_dx10_clamp 1
		.amdhsa_ieee_mode 1
		.amdhsa_fp16_overflow 0
		.amdhsa_exception_fp_ieee_invalid_op 0
		.amdhsa_exception_fp_denorm_src 0
		.amdhsa_exception_fp_ieee_div_zero 0
		.amdhsa_exception_fp_ieee_overflow 0
		.amdhsa_exception_fp_ieee_underflow 0
		.amdhsa_exception_fp_ieee_inexact 0
		.amdhsa_exception_int_div_zero 0
	.end_amdhsa_kernel
	.section	.text._ZN7rocprim17ROCPRIM_400000_NS6detail17trampoline_kernelINS0_14default_configENS1_25partition_config_selectorILNS1_17partition_subalgoE8EiNS0_10empty_typeEbEEZZNS1_14partition_implILS5_8ELb0ES3_jN6thrust23THRUST_200600_302600_NS6detail15normal_iteratorINSA_10device_ptrIiEEEEPS6_PKS6_NS0_5tupleIJNSA_16discard_iteratorINSA_11use_defaultEEES6_EEENSJ_IJSG_SG_EEENS0_18inequality_wrapperINSA_8equal_toIiEEEEPmJS6_EEE10hipError_tPvRmT3_T4_T5_T6_T7_T9_mT8_P12ihipStream_tbDpT10_ENKUlT_T0_E_clISt17integral_constantIbLb1EES1D_EEDaS18_S19_EUlS18_E_NS1_11comp_targetILNS1_3genE3ELNS1_11target_archE908ELNS1_3gpuE7ELNS1_3repE0EEENS1_30default_config_static_selectorELNS0_4arch9wavefront6targetE1EEEvT1_,"axG",@progbits,_ZN7rocprim17ROCPRIM_400000_NS6detail17trampoline_kernelINS0_14default_configENS1_25partition_config_selectorILNS1_17partition_subalgoE8EiNS0_10empty_typeEbEEZZNS1_14partition_implILS5_8ELb0ES3_jN6thrust23THRUST_200600_302600_NS6detail15normal_iteratorINSA_10device_ptrIiEEEEPS6_PKS6_NS0_5tupleIJNSA_16discard_iteratorINSA_11use_defaultEEES6_EEENSJ_IJSG_SG_EEENS0_18inequality_wrapperINSA_8equal_toIiEEEEPmJS6_EEE10hipError_tPvRmT3_T4_T5_T6_T7_T9_mT8_P12ihipStream_tbDpT10_ENKUlT_T0_E_clISt17integral_constantIbLb1EES1D_EEDaS18_S19_EUlS18_E_NS1_11comp_targetILNS1_3genE3ELNS1_11target_archE908ELNS1_3gpuE7ELNS1_3repE0EEENS1_30default_config_static_selectorELNS0_4arch9wavefront6targetE1EEEvT1_,comdat
.Lfunc_end672:
	.size	_ZN7rocprim17ROCPRIM_400000_NS6detail17trampoline_kernelINS0_14default_configENS1_25partition_config_selectorILNS1_17partition_subalgoE8EiNS0_10empty_typeEbEEZZNS1_14partition_implILS5_8ELb0ES3_jN6thrust23THRUST_200600_302600_NS6detail15normal_iteratorINSA_10device_ptrIiEEEEPS6_PKS6_NS0_5tupleIJNSA_16discard_iteratorINSA_11use_defaultEEES6_EEENSJ_IJSG_SG_EEENS0_18inequality_wrapperINSA_8equal_toIiEEEEPmJS6_EEE10hipError_tPvRmT3_T4_T5_T6_T7_T9_mT8_P12ihipStream_tbDpT10_ENKUlT_T0_E_clISt17integral_constantIbLb1EES1D_EEDaS18_S19_EUlS18_E_NS1_11comp_targetILNS1_3genE3ELNS1_11target_archE908ELNS1_3gpuE7ELNS1_3repE0EEENS1_30default_config_static_selectorELNS0_4arch9wavefront6targetE1EEEvT1_, .Lfunc_end672-_ZN7rocprim17ROCPRIM_400000_NS6detail17trampoline_kernelINS0_14default_configENS1_25partition_config_selectorILNS1_17partition_subalgoE8EiNS0_10empty_typeEbEEZZNS1_14partition_implILS5_8ELb0ES3_jN6thrust23THRUST_200600_302600_NS6detail15normal_iteratorINSA_10device_ptrIiEEEEPS6_PKS6_NS0_5tupleIJNSA_16discard_iteratorINSA_11use_defaultEEES6_EEENSJ_IJSG_SG_EEENS0_18inequality_wrapperINSA_8equal_toIiEEEEPmJS6_EEE10hipError_tPvRmT3_T4_T5_T6_T7_T9_mT8_P12ihipStream_tbDpT10_ENKUlT_T0_E_clISt17integral_constantIbLb1EES1D_EEDaS18_S19_EUlS18_E_NS1_11comp_targetILNS1_3genE3ELNS1_11target_archE908ELNS1_3gpuE7ELNS1_3repE0EEENS1_30default_config_static_selectorELNS0_4arch9wavefront6targetE1EEEvT1_
                                        ; -- End function
	.set _ZN7rocprim17ROCPRIM_400000_NS6detail17trampoline_kernelINS0_14default_configENS1_25partition_config_selectorILNS1_17partition_subalgoE8EiNS0_10empty_typeEbEEZZNS1_14partition_implILS5_8ELb0ES3_jN6thrust23THRUST_200600_302600_NS6detail15normal_iteratorINSA_10device_ptrIiEEEEPS6_PKS6_NS0_5tupleIJNSA_16discard_iteratorINSA_11use_defaultEEES6_EEENSJ_IJSG_SG_EEENS0_18inequality_wrapperINSA_8equal_toIiEEEEPmJS6_EEE10hipError_tPvRmT3_T4_T5_T6_T7_T9_mT8_P12ihipStream_tbDpT10_ENKUlT_T0_E_clISt17integral_constantIbLb1EES1D_EEDaS18_S19_EUlS18_E_NS1_11comp_targetILNS1_3genE3ELNS1_11target_archE908ELNS1_3gpuE7ELNS1_3repE0EEENS1_30default_config_static_selectorELNS0_4arch9wavefront6targetE1EEEvT1_.num_vgpr, 0
	.set _ZN7rocprim17ROCPRIM_400000_NS6detail17trampoline_kernelINS0_14default_configENS1_25partition_config_selectorILNS1_17partition_subalgoE8EiNS0_10empty_typeEbEEZZNS1_14partition_implILS5_8ELb0ES3_jN6thrust23THRUST_200600_302600_NS6detail15normal_iteratorINSA_10device_ptrIiEEEEPS6_PKS6_NS0_5tupleIJNSA_16discard_iteratorINSA_11use_defaultEEES6_EEENSJ_IJSG_SG_EEENS0_18inequality_wrapperINSA_8equal_toIiEEEEPmJS6_EEE10hipError_tPvRmT3_T4_T5_T6_T7_T9_mT8_P12ihipStream_tbDpT10_ENKUlT_T0_E_clISt17integral_constantIbLb1EES1D_EEDaS18_S19_EUlS18_E_NS1_11comp_targetILNS1_3genE3ELNS1_11target_archE908ELNS1_3gpuE7ELNS1_3repE0EEENS1_30default_config_static_selectorELNS0_4arch9wavefront6targetE1EEEvT1_.num_agpr, 0
	.set _ZN7rocprim17ROCPRIM_400000_NS6detail17trampoline_kernelINS0_14default_configENS1_25partition_config_selectorILNS1_17partition_subalgoE8EiNS0_10empty_typeEbEEZZNS1_14partition_implILS5_8ELb0ES3_jN6thrust23THRUST_200600_302600_NS6detail15normal_iteratorINSA_10device_ptrIiEEEEPS6_PKS6_NS0_5tupleIJNSA_16discard_iteratorINSA_11use_defaultEEES6_EEENSJ_IJSG_SG_EEENS0_18inequality_wrapperINSA_8equal_toIiEEEEPmJS6_EEE10hipError_tPvRmT3_T4_T5_T6_T7_T9_mT8_P12ihipStream_tbDpT10_ENKUlT_T0_E_clISt17integral_constantIbLb1EES1D_EEDaS18_S19_EUlS18_E_NS1_11comp_targetILNS1_3genE3ELNS1_11target_archE908ELNS1_3gpuE7ELNS1_3repE0EEENS1_30default_config_static_selectorELNS0_4arch9wavefront6targetE1EEEvT1_.numbered_sgpr, 0
	.set _ZN7rocprim17ROCPRIM_400000_NS6detail17trampoline_kernelINS0_14default_configENS1_25partition_config_selectorILNS1_17partition_subalgoE8EiNS0_10empty_typeEbEEZZNS1_14partition_implILS5_8ELb0ES3_jN6thrust23THRUST_200600_302600_NS6detail15normal_iteratorINSA_10device_ptrIiEEEEPS6_PKS6_NS0_5tupleIJNSA_16discard_iteratorINSA_11use_defaultEEES6_EEENSJ_IJSG_SG_EEENS0_18inequality_wrapperINSA_8equal_toIiEEEEPmJS6_EEE10hipError_tPvRmT3_T4_T5_T6_T7_T9_mT8_P12ihipStream_tbDpT10_ENKUlT_T0_E_clISt17integral_constantIbLb1EES1D_EEDaS18_S19_EUlS18_E_NS1_11comp_targetILNS1_3genE3ELNS1_11target_archE908ELNS1_3gpuE7ELNS1_3repE0EEENS1_30default_config_static_selectorELNS0_4arch9wavefront6targetE1EEEvT1_.num_named_barrier, 0
	.set _ZN7rocprim17ROCPRIM_400000_NS6detail17trampoline_kernelINS0_14default_configENS1_25partition_config_selectorILNS1_17partition_subalgoE8EiNS0_10empty_typeEbEEZZNS1_14partition_implILS5_8ELb0ES3_jN6thrust23THRUST_200600_302600_NS6detail15normal_iteratorINSA_10device_ptrIiEEEEPS6_PKS6_NS0_5tupleIJNSA_16discard_iteratorINSA_11use_defaultEEES6_EEENSJ_IJSG_SG_EEENS0_18inequality_wrapperINSA_8equal_toIiEEEEPmJS6_EEE10hipError_tPvRmT3_T4_T5_T6_T7_T9_mT8_P12ihipStream_tbDpT10_ENKUlT_T0_E_clISt17integral_constantIbLb1EES1D_EEDaS18_S19_EUlS18_E_NS1_11comp_targetILNS1_3genE3ELNS1_11target_archE908ELNS1_3gpuE7ELNS1_3repE0EEENS1_30default_config_static_selectorELNS0_4arch9wavefront6targetE1EEEvT1_.private_seg_size, 0
	.set _ZN7rocprim17ROCPRIM_400000_NS6detail17trampoline_kernelINS0_14default_configENS1_25partition_config_selectorILNS1_17partition_subalgoE8EiNS0_10empty_typeEbEEZZNS1_14partition_implILS5_8ELb0ES3_jN6thrust23THRUST_200600_302600_NS6detail15normal_iteratorINSA_10device_ptrIiEEEEPS6_PKS6_NS0_5tupleIJNSA_16discard_iteratorINSA_11use_defaultEEES6_EEENSJ_IJSG_SG_EEENS0_18inequality_wrapperINSA_8equal_toIiEEEEPmJS6_EEE10hipError_tPvRmT3_T4_T5_T6_T7_T9_mT8_P12ihipStream_tbDpT10_ENKUlT_T0_E_clISt17integral_constantIbLb1EES1D_EEDaS18_S19_EUlS18_E_NS1_11comp_targetILNS1_3genE3ELNS1_11target_archE908ELNS1_3gpuE7ELNS1_3repE0EEENS1_30default_config_static_selectorELNS0_4arch9wavefront6targetE1EEEvT1_.uses_vcc, 0
	.set _ZN7rocprim17ROCPRIM_400000_NS6detail17trampoline_kernelINS0_14default_configENS1_25partition_config_selectorILNS1_17partition_subalgoE8EiNS0_10empty_typeEbEEZZNS1_14partition_implILS5_8ELb0ES3_jN6thrust23THRUST_200600_302600_NS6detail15normal_iteratorINSA_10device_ptrIiEEEEPS6_PKS6_NS0_5tupleIJNSA_16discard_iteratorINSA_11use_defaultEEES6_EEENSJ_IJSG_SG_EEENS0_18inequality_wrapperINSA_8equal_toIiEEEEPmJS6_EEE10hipError_tPvRmT3_T4_T5_T6_T7_T9_mT8_P12ihipStream_tbDpT10_ENKUlT_T0_E_clISt17integral_constantIbLb1EES1D_EEDaS18_S19_EUlS18_E_NS1_11comp_targetILNS1_3genE3ELNS1_11target_archE908ELNS1_3gpuE7ELNS1_3repE0EEENS1_30default_config_static_selectorELNS0_4arch9wavefront6targetE1EEEvT1_.uses_flat_scratch, 0
	.set _ZN7rocprim17ROCPRIM_400000_NS6detail17trampoline_kernelINS0_14default_configENS1_25partition_config_selectorILNS1_17partition_subalgoE8EiNS0_10empty_typeEbEEZZNS1_14partition_implILS5_8ELb0ES3_jN6thrust23THRUST_200600_302600_NS6detail15normal_iteratorINSA_10device_ptrIiEEEEPS6_PKS6_NS0_5tupleIJNSA_16discard_iteratorINSA_11use_defaultEEES6_EEENSJ_IJSG_SG_EEENS0_18inequality_wrapperINSA_8equal_toIiEEEEPmJS6_EEE10hipError_tPvRmT3_T4_T5_T6_T7_T9_mT8_P12ihipStream_tbDpT10_ENKUlT_T0_E_clISt17integral_constantIbLb1EES1D_EEDaS18_S19_EUlS18_E_NS1_11comp_targetILNS1_3genE3ELNS1_11target_archE908ELNS1_3gpuE7ELNS1_3repE0EEENS1_30default_config_static_selectorELNS0_4arch9wavefront6targetE1EEEvT1_.has_dyn_sized_stack, 0
	.set _ZN7rocprim17ROCPRIM_400000_NS6detail17trampoline_kernelINS0_14default_configENS1_25partition_config_selectorILNS1_17partition_subalgoE8EiNS0_10empty_typeEbEEZZNS1_14partition_implILS5_8ELb0ES3_jN6thrust23THRUST_200600_302600_NS6detail15normal_iteratorINSA_10device_ptrIiEEEEPS6_PKS6_NS0_5tupleIJNSA_16discard_iteratorINSA_11use_defaultEEES6_EEENSJ_IJSG_SG_EEENS0_18inequality_wrapperINSA_8equal_toIiEEEEPmJS6_EEE10hipError_tPvRmT3_T4_T5_T6_T7_T9_mT8_P12ihipStream_tbDpT10_ENKUlT_T0_E_clISt17integral_constantIbLb1EES1D_EEDaS18_S19_EUlS18_E_NS1_11comp_targetILNS1_3genE3ELNS1_11target_archE908ELNS1_3gpuE7ELNS1_3repE0EEENS1_30default_config_static_selectorELNS0_4arch9wavefront6targetE1EEEvT1_.has_recursion, 0
	.set _ZN7rocprim17ROCPRIM_400000_NS6detail17trampoline_kernelINS0_14default_configENS1_25partition_config_selectorILNS1_17partition_subalgoE8EiNS0_10empty_typeEbEEZZNS1_14partition_implILS5_8ELb0ES3_jN6thrust23THRUST_200600_302600_NS6detail15normal_iteratorINSA_10device_ptrIiEEEEPS6_PKS6_NS0_5tupleIJNSA_16discard_iteratorINSA_11use_defaultEEES6_EEENSJ_IJSG_SG_EEENS0_18inequality_wrapperINSA_8equal_toIiEEEEPmJS6_EEE10hipError_tPvRmT3_T4_T5_T6_T7_T9_mT8_P12ihipStream_tbDpT10_ENKUlT_T0_E_clISt17integral_constantIbLb1EES1D_EEDaS18_S19_EUlS18_E_NS1_11comp_targetILNS1_3genE3ELNS1_11target_archE908ELNS1_3gpuE7ELNS1_3repE0EEENS1_30default_config_static_selectorELNS0_4arch9wavefront6targetE1EEEvT1_.has_indirect_call, 0
	.section	.AMDGPU.csdata,"",@progbits
; Kernel info:
; codeLenInByte = 0
; TotalNumSgprs: 4
; NumVgprs: 0
; ScratchSize: 0
; MemoryBound: 0
; FloatMode: 240
; IeeeMode: 1
; LDSByteSize: 0 bytes/workgroup (compile time only)
; SGPRBlocks: 0
; VGPRBlocks: 0
; NumSGPRsForWavesPerEU: 4
; NumVGPRsForWavesPerEU: 1
; Occupancy: 10
; WaveLimiterHint : 0
; COMPUTE_PGM_RSRC2:SCRATCH_EN: 0
; COMPUTE_PGM_RSRC2:USER_SGPR: 6
; COMPUTE_PGM_RSRC2:TRAP_HANDLER: 0
; COMPUTE_PGM_RSRC2:TGID_X_EN: 1
; COMPUTE_PGM_RSRC2:TGID_Y_EN: 0
; COMPUTE_PGM_RSRC2:TGID_Z_EN: 0
; COMPUTE_PGM_RSRC2:TIDIG_COMP_CNT: 0
	.section	.text._ZN7rocprim17ROCPRIM_400000_NS6detail17trampoline_kernelINS0_14default_configENS1_25partition_config_selectorILNS1_17partition_subalgoE8EiNS0_10empty_typeEbEEZZNS1_14partition_implILS5_8ELb0ES3_jN6thrust23THRUST_200600_302600_NS6detail15normal_iteratorINSA_10device_ptrIiEEEEPS6_PKS6_NS0_5tupleIJNSA_16discard_iteratorINSA_11use_defaultEEES6_EEENSJ_IJSG_SG_EEENS0_18inequality_wrapperINSA_8equal_toIiEEEEPmJS6_EEE10hipError_tPvRmT3_T4_T5_T6_T7_T9_mT8_P12ihipStream_tbDpT10_ENKUlT_T0_E_clISt17integral_constantIbLb1EES1D_EEDaS18_S19_EUlS18_E_NS1_11comp_targetILNS1_3genE2ELNS1_11target_archE906ELNS1_3gpuE6ELNS1_3repE0EEENS1_30default_config_static_selectorELNS0_4arch9wavefront6targetE1EEEvT1_,"axG",@progbits,_ZN7rocprim17ROCPRIM_400000_NS6detail17trampoline_kernelINS0_14default_configENS1_25partition_config_selectorILNS1_17partition_subalgoE8EiNS0_10empty_typeEbEEZZNS1_14partition_implILS5_8ELb0ES3_jN6thrust23THRUST_200600_302600_NS6detail15normal_iteratorINSA_10device_ptrIiEEEEPS6_PKS6_NS0_5tupleIJNSA_16discard_iteratorINSA_11use_defaultEEES6_EEENSJ_IJSG_SG_EEENS0_18inequality_wrapperINSA_8equal_toIiEEEEPmJS6_EEE10hipError_tPvRmT3_T4_T5_T6_T7_T9_mT8_P12ihipStream_tbDpT10_ENKUlT_T0_E_clISt17integral_constantIbLb1EES1D_EEDaS18_S19_EUlS18_E_NS1_11comp_targetILNS1_3genE2ELNS1_11target_archE906ELNS1_3gpuE6ELNS1_3repE0EEENS1_30default_config_static_selectorELNS0_4arch9wavefront6targetE1EEEvT1_,comdat
	.protected	_ZN7rocprim17ROCPRIM_400000_NS6detail17trampoline_kernelINS0_14default_configENS1_25partition_config_selectorILNS1_17partition_subalgoE8EiNS0_10empty_typeEbEEZZNS1_14partition_implILS5_8ELb0ES3_jN6thrust23THRUST_200600_302600_NS6detail15normal_iteratorINSA_10device_ptrIiEEEEPS6_PKS6_NS0_5tupleIJNSA_16discard_iteratorINSA_11use_defaultEEES6_EEENSJ_IJSG_SG_EEENS0_18inequality_wrapperINSA_8equal_toIiEEEEPmJS6_EEE10hipError_tPvRmT3_T4_T5_T6_T7_T9_mT8_P12ihipStream_tbDpT10_ENKUlT_T0_E_clISt17integral_constantIbLb1EES1D_EEDaS18_S19_EUlS18_E_NS1_11comp_targetILNS1_3genE2ELNS1_11target_archE906ELNS1_3gpuE6ELNS1_3repE0EEENS1_30default_config_static_selectorELNS0_4arch9wavefront6targetE1EEEvT1_ ; -- Begin function _ZN7rocprim17ROCPRIM_400000_NS6detail17trampoline_kernelINS0_14default_configENS1_25partition_config_selectorILNS1_17partition_subalgoE8EiNS0_10empty_typeEbEEZZNS1_14partition_implILS5_8ELb0ES3_jN6thrust23THRUST_200600_302600_NS6detail15normal_iteratorINSA_10device_ptrIiEEEEPS6_PKS6_NS0_5tupleIJNSA_16discard_iteratorINSA_11use_defaultEEES6_EEENSJ_IJSG_SG_EEENS0_18inequality_wrapperINSA_8equal_toIiEEEEPmJS6_EEE10hipError_tPvRmT3_T4_T5_T6_T7_T9_mT8_P12ihipStream_tbDpT10_ENKUlT_T0_E_clISt17integral_constantIbLb1EES1D_EEDaS18_S19_EUlS18_E_NS1_11comp_targetILNS1_3genE2ELNS1_11target_archE906ELNS1_3gpuE6ELNS1_3repE0EEENS1_30default_config_static_selectorELNS0_4arch9wavefront6targetE1EEEvT1_
	.globl	_ZN7rocprim17ROCPRIM_400000_NS6detail17trampoline_kernelINS0_14default_configENS1_25partition_config_selectorILNS1_17partition_subalgoE8EiNS0_10empty_typeEbEEZZNS1_14partition_implILS5_8ELb0ES3_jN6thrust23THRUST_200600_302600_NS6detail15normal_iteratorINSA_10device_ptrIiEEEEPS6_PKS6_NS0_5tupleIJNSA_16discard_iteratorINSA_11use_defaultEEES6_EEENSJ_IJSG_SG_EEENS0_18inequality_wrapperINSA_8equal_toIiEEEEPmJS6_EEE10hipError_tPvRmT3_T4_T5_T6_T7_T9_mT8_P12ihipStream_tbDpT10_ENKUlT_T0_E_clISt17integral_constantIbLb1EES1D_EEDaS18_S19_EUlS18_E_NS1_11comp_targetILNS1_3genE2ELNS1_11target_archE906ELNS1_3gpuE6ELNS1_3repE0EEENS1_30default_config_static_selectorELNS0_4arch9wavefront6targetE1EEEvT1_
	.p2align	8
	.type	_ZN7rocprim17ROCPRIM_400000_NS6detail17trampoline_kernelINS0_14default_configENS1_25partition_config_selectorILNS1_17partition_subalgoE8EiNS0_10empty_typeEbEEZZNS1_14partition_implILS5_8ELb0ES3_jN6thrust23THRUST_200600_302600_NS6detail15normal_iteratorINSA_10device_ptrIiEEEEPS6_PKS6_NS0_5tupleIJNSA_16discard_iteratorINSA_11use_defaultEEES6_EEENSJ_IJSG_SG_EEENS0_18inequality_wrapperINSA_8equal_toIiEEEEPmJS6_EEE10hipError_tPvRmT3_T4_T5_T6_T7_T9_mT8_P12ihipStream_tbDpT10_ENKUlT_T0_E_clISt17integral_constantIbLb1EES1D_EEDaS18_S19_EUlS18_E_NS1_11comp_targetILNS1_3genE2ELNS1_11target_archE906ELNS1_3gpuE6ELNS1_3repE0EEENS1_30default_config_static_selectorELNS0_4arch9wavefront6targetE1EEEvT1_,@function
_ZN7rocprim17ROCPRIM_400000_NS6detail17trampoline_kernelINS0_14default_configENS1_25partition_config_selectorILNS1_17partition_subalgoE8EiNS0_10empty_typeEbEEZZNS1_14partition_implILS5_8ELb0ES3_jN6thrust23THRUST_200600_302600_NS6detail15normal_iteratorINSA_10device_ptrIiEEEEPS6_PKS6_NS0_5tupleIJNSA_16discard_iteratorINSA_11use_defaultEEES6_EEENSJ_IJSG_SG_EEENS0_18inequality_wrapperINSA_8equal_toIiEEEEPmJS6_EEE10hipError_tPvRmT3_T4_T5_T6_T7_T9_mT8_P12ihipStream_tbDpT10_ENKUlT_T0_E_clISt17integral_constantIbLb1EES1D_EEDaS18_S19_EUlS18_E_NS1_11comp_targetILNS1_3genE2ELNS1_11target_archE906ELNS1_3gpuE6ELNS1_3repE0EEENS1_30default_config_static_selectorELNS0_4arch9wavefront6targetE1EEEvT1_: ; @_ZN7rocprim17ROCPRIM_400000_NS6detail17trampoline_kernelINS0_14default_configENS1_25partition_config_selectorILNS1_17partition_subalgoE8EiNS0_10empty_typeEbEEZZNS1_14partition_implILS5_8ELb0ES3_jN6thrust23THRUST_200600_302600_NS6detail15normal_iteratorINSA_10device_ptrIiEEEEPS6_PKS6_NS0_5tupleIJNSA_16discard_iteratorINSA_11use_defaultEEES6_EEENSJ_IJSG_SG_EEENS0_18inequality_wrapperINSA_8equal_toIiEEEEPmJS6_EEE10hipError_tPvRmT3_T4_T5_T6_T7_T9_mT8_P12ihipStream_tbDpT10_ENKUlT_T0_E_clISt17integral_constantIbLb1EES1D_EEDaS18_S19_EUlS18_E_NS1_11comp_targetILNS1_3genE2ELNS1_11target_archE906ELNS1_3gpuE6ELNS1_3repE0EEENS1_30default_config_static_selectorELNS0_4arch9wavefront6targetE1EEEvT1_
; %bb.0:
	s_endpgm
	.section	.rodata,"a",@progbits
	.p2align	6, 0x0
	.amdhsa_kernel _ZN7rocprim17ROCPRIM_400000_NS6detail17trampoline_kernelINS0_14default_configENS1_25partition_config_selectorILNS1_17partition_subalgoE8EiNS0_10empty_typeEbEEZZNS1_14partition_implILS5_8ELb0ES3_jN6thrust23THRUST_200600_302600_NS6detail15normal_iteratorINSA_10device_ptrIiEEEEPS6_PKS6_NS0_5tupleIJNSA_16discard_iteratorINSA_11use_defaultEEES6_EEENSJ_IJSG_SG_EEENS0_18inequality_wrapperINSA_8equal_toIiEEEEPmJS6_EEE10hipError_tPvRmT3_T4_T5_T6_T7_T9_mT8_P12ihipStream_tbDpT10_ENKUlT_T0_E_clISt17integral_constantIbLb1EES1D_EEDaS18_S19_EUlS18_E_NS1_11comp_targetILNS1_3genE2ELNS1_11target_archE906ELNS1_3gpuE6ELNS1_3repE0EEENS1_30default_config_static_selectorELNS0_4arch9wavefront6targetE1EEEvT1_
		.amdhsa_group_segment_fixed_size 0
		.amdhsa_private_segment_fixed_size 0
		.amdhsa_kernarg_size 136
		.amdhsa_user_sgpr_count 6
		.amdhsa_user_sgpr_private_segment_buffer 1
		.amdhsa_user_sgpr_dispatch_ptr 0
		.amdhsa_user_sgpr_queue_ptr 0
		.amdhsa_user_sgpr_kernarg_segment_ptr 1
		.amdhsa_user_sgpr_dispatch_id 0
		.amdhsa_user_sgpr_flat_scratch_init 0
		.amdhsa_user_sgpr_private_segment_size 0
		.amdhsa_uses_dynamic_stack 0
		.amdhsa_system_sgpr_private_segment_wavefront_offset 0
		.amdhsa_system_sgpr_workgroup_id_x 1
		.amdhsa_system_sgpr_workgroup_id_y 0
		.amdhsa_system_sgpr_workgroup_id_z 0
		.amdhsa_system_sgpr_workgroup_info 0
		.amdhsa_system_vgpr_workitem_id 0
		.amdhsa_next_free_vgpr 1
		.amdhsa_next_free_sgpr 0
		.amdhsa_reserve_vcc 0
		.amdhsa_reserve_flat_scratch 0
		.amdhsa_float_round_mode_32 0
		.amdhsa_float_round_mode_16_64 0
		.amdhsa_float_denorm_mode_32 3
		.amdhsa_float_denorm_mode_16_64 3
		.amdhsa_dx10_clamp 1
		.amdhsa_ieee_mode 1
		.amdhsa_fp16_overflow 0
		.amdhsa_exception_fp_ieee_invalid_op 0
		.amdhsa_exception_fp_denorm_src 0
		.amdhsa_exception_fp_ieee_div_zero 0
		.amdhsa_exception_fp_ieee_overflow 0
		.amdhsa_exception_fp_ieee_underflow 0
		.amdhsa_exception_fp_ieee_inexact 0
		.amdhsa_exception_int_div_zero 0
	.end_amdhsa_kernel
	.section	.text._ZN7rocprim17ROCPRIM_400000_NS6detail17trampoline_kernelINS0_14default_configENS1_25partition_config_selectorILNS1_17partition_subalgoE8EiNS0_10empty_typeEbEEZZNS1_14partition_implILS5_8ELb0ES3_jN6thrust23THRUST_200600_302600_NS6detail15normal_iteratorINSA_10device_ptrIiEEEEPS6_PKS6_NS0_5tupleIJNSA_16discard_iteratorINSA_11use_defaultEEES6_EEENSJ_IJSG_SG_EEENS0_18inequality_wrapperINSA_8equal_toIiEEEEPmJS6_EEE10hipError_tPvRmT3_T4_T5_T6_T7_T9_mT8_P12ihipStream_tbDpT10_ENKUlT_T0_E_clISt17integral_constantIbLb1EES1D_EEDaS18_S19_EUlS18_E_NS1_11comp_targetILNS1_3genE2ELNS1_11target_archE906ELNS1_3gpuE6ELNS1_3repE0EEENS1_30default_config_static_selectorELNS0_4arch9wavefront6targetE1EEEvT1_,"axG",@progbits,_ZN7rocprim17ROCPRIM_400000_NS6detail17trampoline_kernelINS0_14default_configENS1_25partition_config_selectorILNS1_17partition_subalgoE8EiNS0_10empty_typeEbEEZZNS1_14partition_implILS5_8ELb0ES3_jN6thrust23THRUST_200600_302600_NS6detail15normal_iteratorINSA_10device_ptrIiEEEEPS6_PKS6_NS0_5tupleIJNSA_16discard_iteratorINSA_11use_defaultEEES6_EEENSJ_IJSG_SG_EEENS0_18inequality_wrapperINSA_8equal_toIiEEEEPmJS6_EEE10hipError_tPvRmT3_T4_T5_T6_T7_T9_mT8_P12ihipStream_tbDpT10_ENKUlT_T0_E_clISt17integral_constantIbLb1EES1D_EEDaS18_S19_EUlS18_E_NS1_11comp_targetILNS1_3genE2ELNS1_11target_archE906ELNS1_3gpuE6ELNS1_3repE0EEENS1_30default_config_static_selectorELNS0_4arch9wavefront6targetE1EEEvT1_,comdat
.Lfunc_end673:
	.size	_ZN7rocprim17ROCPRIM_400000_NS6detail17trampoline_kernelINS0_14default_configENS1_25partition_config_selectorILNS1_17partition_subalgoE8EiNS0_10empty_typeEbEEZZNS1_14partition_implILS5_8ELb0ES3_jN6thrust23THRUST_200600_302600_NS6detail15normal_iteratorINSA_10device_ptrIiEEEEPS6_PKS6_NS0_5tupleIJNSA_16discard_iteratorINSA_11use_defaultEEES6_EEENSJ_IJSG_SG_EEENS0_18inequality_wrapperINSA_8equal_toIiEEEEPmJS6_EEE10hipError_tPvRmT3_T4_T5_T6_T7_T9_mT8_P12ihipStream_tbDpT10_ENKUlT_T0_E_clISt17integral_constantIbLb1EES1D_EEDaS18_S19_EUlS18_E_NS1_11comp_targetILNS1_3genE2ELNS1_11target_archE906ELNS1_3gpuE6ELNS1_3repE0EEENS1_30default_config_static_selectorELNS0_4arch9wavefront6targetE1EEEvT1_, .Lfunc_end673-_ZN7rocprim17ROCPRIM_400000_NS6detail17trampoline_kernelINS0_14default_configENS1_25partition_config_selectorILNS1_17partition_subalgoE8EiNS0_10empty_typeEbEEZZNS1_14partition_implILS5_8ELb0ES3_jN6thrust23THRUST_200600_302600_NS6detail15normal_iteratorINSA_10device_ptrIiEEEEPS6_PKS6_NS0_5tupleIJNSA_16discard_iteratorINSA_11use_defaultEEES6_EEENSJ_IJSG_SG_EEENS0_18inequality_wrapperINSA_8equal_toIiEEEEPmJS6_EEE10hipError_tPvRmT3_T4_T5_T6_T7_T9_mT8_P12ihipStream_tbDpT10_ENKUlT_T0_E_clISt17integral_constantIbLb1EES1D_EEDaS18_S19_EUlS18_E_NS1_11comp_targetILNS1_3genE2ELNS1_11target_archE906ELNS1_3gpuE6ELNS1_3repE0EEENS1_30default_config_static_selectorELNS0_4arch9wavefront6targetE1EEEvT1_
                                        ; -- End function
	.set _ZN7rocprim17ROCPRIM_400000_NS6detail17trampoline_kernelINS0_14default_configENS1_25partition_config_selectorILNS1_17partition_subalgoE8EiNS0_10empty_typeEbEEZZNS1_14partition_implILS5_8ELb0ES3_jN6thrust23THRUST_200600_302600_NS6detail15normal_iteratorINSA_10device_ptrIiEEEEPS6_PKS6_NS0_5tupleIJNSA_16discard_iteratorINSA_11use_defaultEEES6_EEENSJ_IJSG_SG_EEENS0_18inequality_wrapperINSA_8equal_toIiEEEEPmJS6_EEE10hipError_tPvRmT3_T4_T5_T6_T7_T9_mT8_P12ihipStream_tbDpT10_ENKUlT_T0_E_clISt17integral_constantIbLb1EES1D_EEDaS18_S19_EUlS18_E_NS1_11comp_targetILNS1_3genE2ELNS1_11target_archE906ELNS1_3gpuE6ELNS1_3repE0EEENS1_30default_config_static_selectorELNS0_4arch9wavefront6targetE1EEEvT1_.num_vgpr, 0
	.set _ZN7rocprim17ROCPRIM_400000_NS6detail17trampoline_kernelINS0_14default_configENS1_25partition_config_selectorILNS1_17partition_subalgoE8EiNS0_10empty_typeEbEEZZNS1_14partition_implILS5_8ELb0ES3_jN6thrust23THRUST_200600_302600_NS6detail15normal_iteratorINSA_10device_ptrIiEEEEPS6_PKS6_NS0_5tupleIJNSA_16discard_iteratorINSA_11use_defaultEEES6_EEENSJ_IJSG_SG_EEENS0_18inequality_wrapperINSA_8equal_toIiEEEEPmJS6_EEE10hipError_tPvRmT3_T4_T5_T6_T7_T9_mT8_P12ihipStream_tbDpT10_ENKUlT_T0_E_clISt17integral_constantIbLb1EES1D_EEDaS18_S19_EUlS18_E_NS1_11comp_targetILNS1_3genE2ELNS1_11target_archE906ELNS1_3gpuE6ELNS1_3repE0EEENS1_30default_config_static_selectorELNS0_4arch9wavefront6targetE1EEEvT1_.num_agpr, 0
	.set _ZN7rocprim17ROCPRIM_400000_NS6detail17trampoline_kernelINS0_14default_configENS1_25partition_config_selectorILNS1_17partition_subalgoE8EiNS0_10empty_typeEbEEZZNS1_14partition_implILS5_8ELb0ES3_jN6thrust23THRUST_200600_302600_NS6detail15normal_iteratorINSA_10device_ptrIiEEEEPS6_PKS6_NS0_5tupleIJNSA_16discard_iteratorINSA_11use_defaultEEES6_EEENSJ_IJSG_SG_EEENS0_18inequality_wrapperINSA_8equal_toIiEEEEPmJS6_EEE10hipError_tPvRmT3_T4_T5_T6_T7_T9_mT8_P12ihipStream_tbDpT10_ENKUlT_T0_E_clISt17integral_constantIbLb1EES1D_EEDaS18_S19_EUlS18_E_NS1_11comp_targetILNS1_3genE2ELNS1_11target_archE906ELNS1_3gpuE6ELNS1_3repE0EEENS1_30default_config_static_selectorELNS0_4arch9wavefront6targetE1EEEvT1_.numbered_sgpr, 0
	.set _ZN7rocprim17ROCPRIM_400000_NS6detail17trampoline_kernelINS0_14default_configENS1_25partition_config_selectorILNS1_17partition_subalgoE8EiNS0_10empty_typeEbEEZZNS1_14partition_implILS5_8ELb0ES3_jN6thrust23THRUST_200600_302600_NS6detail15normal_iteratorINSA_10device_ptrIiEEEEPS6_PKS6_NS0_5tupleIJNSA_16discard_iteratorINSA_11use_defaultEEES6_EEENSJ_IJSG_SG_EEENS0_18inequality_wrapperINSA_8equal_toIiEEEEPmJS6_EEE10hipError_tPvRmT3_T4_T5_T6_T7_T9_mT8_P12ihipStream_tbDpT10_ENKUlT_T0_E_clISt17integral_constantIbLb1EES1D_EEDaS18_S19_EUlS18_E_NS1_11comp_targetILNS1_3genE2ELNS1_11target_archE906ELNS1_3gpuE6ELNS1_3repE0EEENS1_30default_config_static_selectorELNS0_4arch9wavefront6targetE1EEEvT1_.num_named_barrier, 0
	.set _ZN7rocprim17ROCPRIM_400000_NS6detail17trampoline_kernelINS0_14default_configENS1_25partition_config_selectorILNS1_17partition_subalgoE8EiNS0_10empty_typeEbEEZZNS1_14partition_implILS5_8ELb0ES3_jN6thrust23THRUST_200600_302600_NS6detail15normal_iteratorINSA_10device_ptrIiEEEEPS6_PKS6_NS0_5tupleIJNSA_16discard_iteratorINSA_11use_defaultEEES6_EEENSJ_IJSG_SG_EEENS0_18inequality_wrapperINSA_8equal_toIiEEEEPmJS6_EEE10hipError_tPvRmT3_T4_T5_T6_T7_T9_mT8_P12ihipStream_tbDpT10_ENKUlT_T0_E_clISt17integral_constantIbLb1EES1D_EEDaS18_S19_EUlS18_E_NS1_11comp_targetILNS1_3genE2ELNS1_11target_archE906ELNS1_3gpuE6ELNS1_3repE0EEENS1_30default_config_static_selectorELNS0_4arch9wavefront6targetE1EEEvT1_.private_seg_size, 0
	.set _ZN7rocprim17ROCPRIM_400000_NS6detail17trampoline_kernelINS0_14default_configENS1_25partition_config_selectorILNS1_17partition_subalgoE8EiNS0_10empty_typeEbEEZZNS1_14partition_implILS5_8ELb0ES3_jN6thrust23THRUST_200600_302600_NS6detail15normal_iteratorINSA_10device_ptrIiEEEEPS6_PKS6_NS0_5tupleIJNSA_16discard_iteratorINSA_11use_defaultEEES6_EEENSJ_IJSG_SG_EEENS0_18inequality_wrapperINSA_8equal_toIiEEEEPmJS6_EEE10hipError_tPvRmT3_T4_T5_T6_T7_T9_mT8_P12ihipStream_tbDpT10_ENKUlT_T0_E_clISt17integral_constantIbLb1EES1D_EEDaS18_S19_EUlS18_E_NS1_11comp_targetILNS1_3genE2ELNS1_11target_archE906ELNS1_3gpuE6ELNS1_3repE0EEENS1_30default_config_static_selectorELNS0_4arch9wavefront6targetE1EEEvT1_.uses_vcc, 0
	.set _ZN7rocprim17ROCPRIM_400000_NS6detail17trampoline_kernelINS0_14default_configENS1_25partition_config_selectorILNS1_17partition_subalgoE8EiNS0_10empty_typeEbEEZZNS1_14partition_implILS5_8ELb0ES3_jN6thrust23THRUST_200600_302600_NS6detail15normal_iteratorINSA_10device_ptrIiEEEEPS6_PKS6_NS0_5tupleIJNSA_16discard_iteratorINSA_11use_defaultEEES6_EEENSJ_IJSG_SG_EEENS0_18inequality_wrapperINSA_8equal_toIiEEEEPmJS6_EEE10hipError_tPvRmT3_T4_T5_T6_T7_T9_mT8_P12ihipStream_tbDpT10_ENKUlT_T0_E_clISt17integral_constantIbLb1EES1D_EEDaS18_S19_EUlS18_E_NS1_11comp_targetILNS1_3genE2ELNS1_11target_archE906ELNS1_3gpuE6ELNS1_3repE0EEENS1_30default_config_static_selectorELNS0_4arch9wavefront6targetE1EEEvT1_.uses_flat_scratch, 0
	.set _ZN7rocprim17ROCPRIM_400000_NS6detail17trampoline_kernelINS0_14default_configENS1_25partition_config_selectorILNS1_17partition_subalgoE8EiNS0_10empty_typeEbEEZZNS1_14partition_implILS5_8ELb0ES3_jN6thrust23THRUST_200600_302600_NS6detail15normal_iteratorINSA_10device_ptrIiEEEEPS6_PKS6_NS0_5tupleIJNSA_16discard_iteratorINSA_11use_defaultEEES6_EEENSJ_IJSG_SG_EEENS0_18inequality_wrapperINSA_8equal_toIiEEEEPmJS6_EEE10hipError_tPvRmT3_T4_T5_T6_T7_T9_mT8_P12ihipStream_tbDpT10_ENKUlT_T0_E_clISt17integral_constantIbLb1EES1D_EEDaS18_S19_EUlS18_E_NS1_11comp_targetILNS1_3genE2ELNS1_11target_archE906ELNS1_3gpuE6ELNS1_3repE0EEENS1_30default_config_static_selectorELNS0_4arch9wavefront6targetE1EEEvT1_.has_dyn_sized_stack, 0
	.set _ZN7rocprim17ROCPRIM_400000_NS6detail17trampoline_kernelINS0_14default_configENS1_25partition_config_selectorILNS1_17partition_subalgoE8EiNS0_10empty_typeEbEEZZNS1_14partition_implILS5_8ELb0ES3_jN6thrust23THRUST_200600_302600_NS6detail15normal_iteratorINSA_10device_ptrIiEEEEPS6_PKS6_NS0_5tupleIJNSA_16discard_iteratorINSA_11use_defaultEEES6_EEENSJ_IJSG_SG_EEENS0_18inequality_wrapperINSA_8equal_toIiEEEEPmJS6_EEE10hipError_tPvRmT3_T4_T5_T6_T7_T9_mT8_P12ihipStream_tbDpT10_ENKUlT_T0_E_clISt17integral_constantIbLb1EES1D_EEDaS18_S19_EUlS18_E_NS1_11comp_targetILNS1_3genE2ELNS1_11target_archE906ELNS1_3gpuE6ELNS1_3repE0EEENS1_30default_config_static_selectorELNS0_4arch9wavefront6targetE1EEEvT1_.has_recursion, 0
	.set _ZN7rocprim17ROCPRIM_400000_NS6detail17trampoline_kernelINS0_14default_configENS1_25partition_config_selectorILNS1_17partition_subalgoE8EiNS0_10empty_typeEbEEZZNS1_14partition_implILS5_8ELb0ES3_jN6thrust23THRUST_200600_302600_NS6detail15normal_iteratorINSA_10device_ptrIiEEEEPS6_PKS6_NS0_5tupleIJNSA_16discard_iteratorINSA_11use_defaultEEES6_EEENSJ_IJSG_SG_EEENS0_18inequality_wrapperINSA_8equal_toIiEEEEPmJS6_EEE10hipError_tPvRmT3_T4_T5_T6_T7_T9_mT8_P12ihipStream_tbDpT10_ENKUlT_T0_E_clISt17integral_constantIbLb1EES1D_EEDaS18_S19_EUlS18_E_NS1_11comp_targetILNS1_3genE2ELNS1_11target_archE906ELNS1_3gpuE6ELNS1_3repE0EEENS1_30default_config_static_selectorELNS0_4arch9wavefront6targetE1EEEvT1_.has_indirect_call, 0
	.section	.AMDGPU.csdata,"",@progbits
; Kernel info:
; codeLenInByte = 4
; TotalNumSgprs: 4
; NumVgprs: 0
; ScratchSize: 0
; MemoryBound: 0
; FloatMode: 240
; IeeeMode: 1
; LDSByteSize: 0 bytes/workgroup (compile time only)
; SGPRBlocks: 0
; VGPRBlocks: 0
; NumSGPRsForWavesPerEU: 4
; NumVGPRsForWavesPerEU: 1
; Occupancy: 10
; WaveLimiterHint : 0
; COMPUTE_PGM_RSRC2:SCRATCH_EN: 0
; COMPUTE_PGM_RSRC2:USER_SGPR: 6
; COMPUTE_PGM_RSRC2:TRAP_HANDLER: 0
; COMPUTE_PGM_RSRC2:TGID_X_EN: 1
; COMPUTE_PGM_RSRC2:TGID_Y_EN: 0
; COMPUTE_PGM_RSRC2:TGID_Z_EN: 0
; COMPUTE_PGM_RSRC2:TIDIG_COMP_CNT: 0
	.section	.text._ZN7rocprim17ROCPRIM_400000_NS6detail17trampoline_kernelINS0_14default_configENS1_25partition_config_selectorILNS1_17partition_subalgoE8EiNS0_10empty_typeEbEEZZNS1_14partition_implILS5_8ELb0ES3_jN6thrust23THRUST_200600_302600_NS6detail15normal_iteratorINSA_10device_ptrIiEEEEPS6_PKS6_NS0_5tupleIJNSA_16discard_iteratorINSA_11use_defaultEEES6_EEENSJ_IJSG_SG_EEENS0_18inequality_wrapperINSA_8equal_toIiEEEEPmJS6_EEE10hipError_tPvRmT3_T4_T5_T6_T7_T9_mT8_P12ihipStream_tbDpT10_ENKUlT_T0_E_clISt17integral_constantIbLb1EES1D_EEDaS18_S19_EUlS18_E_NS1_11comp_targetILNS1_3genE10ELNS1_11target_archE1200ELNS1_3gpuE4ELNS1_3repE0EEENS1_30default_config_static_selectorELNS0_4arch9wavefront6targetE1EEEvT1_,"axG",@progbits,_ZN7rocprim17ROCPRIM_400000_NS6detail17trampoline_kernelINS0_14default_configENS1_25partition_config_selectorILNS1_17partition_subalgoE8EiNS0_10empty_typeEbEEZZNS1_14partition_implILS5_8ELb0ES3_jN6thrust23THRUST_200600_302600_NS6detail15normal_iteratorINSA_10device_ptrIiEEEEPS6_PKS6_NS0_5tupleIJNSA_16discard_iteratorINSA_11use_defaultEEES6_EEENSJ_IJSG_SG_EEENS0_18inequality_wrapperINSA_8equal_toIiEEEEPmJS6_EEE10hipError_tPvRmT3_T4_T5_T6_T7_T9_mT8_P12ihipStream_tbDpT10_ENKUlT_T0_E_clISt17integral_constantIbLb1EES1D_EEDaS18_S19_EUlS18_E_NS1_11comp_targetILNS1_3genE10ELNS1_11target_archE1200ELNS1_3gpuE4ELNS1_3repE0EEENS1_30default_config_static_selectorELNS0_4arch9wavefront6targetE1EEEvT1_,comdat
	.protected	_ZN7rocprim17ROCPRIM_400000_NS6detail17trampoline_kernelINS0_14default_configENS1_25partition_config_selectorILNS1_17partition_subalgoE8EiNS0_10empty_typeEbEEZZNS1_14partition_implILS5_8ELb0ES3_jN6thrust23THRUST_200600_302600_NS6detail15normal_iteratorINSA_10device_ptrIiEEEEPS6_PKS6_NS0_5tupleIJNSA_16discard_iteratorINSA_11use_defaultEEES6_EEENSJ_IJSG_SG_EEENS0_18inequality_wrapperINSA_8equal_toIiEEEEPmJS6_EEE10hipError_tPvRmT3_T4_T5_T6_T7_T9_mT8_P12ihipStream_tbDpT10_ENKUlT_T0_E_clISt17integral_constantIbLb1EES1D_EEDaS18_S19_EUlS18_E_NS1_11comp_targetILNS1_3genE10ELNS1_11target_archE1200ELNS1_3gpuE4ELNS1_3repE0EEENS1_30default_config_static_selectorELNS0_4arch9wavefront6targetE1EEEvT1_ ; -- Begin function _ZN7rocprim17ROCPRIM_400000_NS6detail17trampoline_kernelINS0_14default_configENS1_25partition_config_selectorILNS1_17partition_subalgoE8EiNS0_10empty_typeEbEEZZNS1_14partition_implILS5_8ELb0ES3_jN6thrust23THRUST_200600_302600_NS6detail15normal_iteratorINSA_10device_ptrIiEEEEPS6_PKS6_NS0_5tupleIJNSA_16discard_iteratorINSA_11use_defaultEEES6_EEENSJ_IJSG_SG_EEENS0_18inequality_wrapperINSA_8equal_toIiEEEEPmJS6_EEE10hipError_tPvRmT3_T4_T5_T6_T7_T9_mT8_P12ihipStream_tbDpT10_ENKUlT_T0_E_clISt17integral_constantIbLb1EES1D_EEDaS18_S19_EUlS18_E_NS1_11comp_targetILNS1_3genE10ELNS1_11target_archE1200ELNS1_3gpuE4ELNS1_3repE0EEENS1_30default_config_static_selectorELNS0_4arch9wavefront6targetE1EEEvT1_
	.globl	_ZN7rocprim17ROCPRIM_400000_NS6detail17trampoline_kernelINS0_14default_configENS1_25partition_config_selectorILNS1_17partition_subalgoE8EiNS0_10empty_typeEbEEZZNS1_14partition_implILS5_8ELb0ES3_jN6thrust23THRUST_200600_302600_NS6detail15normal_iteratorINSA_10device_ptrIiEEEEPS6_PKS6_NS0_5tupleIJNSA_16discard_iteratorINSA_11use_defaultEEES6_EEENSJ_IJSG_SG_EEENS0_18inequality_wrapperINSA_8equal_toIiEEEEPmJS6_EEE10hipError_tPvRmT3_T4_T5_T6_T7_T9_mT8_P12ihipStream_tbDpT10_ENKUlT_T0_E_clISt17integral_constantIbLb1EES1D_EEDaS18_S19_EUlS18_E_NS1_11comp_targetILNS1_3genE10ELNS1_11target_archE1200ELNS1_3gpuE4ELNS1_3repE0EEENS1_30default_config_static_selectorELNS0_4arch9wavefront6targetE1EEEvT1_
	.p2align	8
	.type	_ZN7rocprim17ROCPRIM_400000_NS6detail17trampoline_kernelINS0_14default_configENS1_25partition_config_selectorILNS1_17partition_subalgoE8EiNS0_10empty_typeEbEEZZNS1_14partition_implILS5_8ELb0ES3_jN6thrust23THRUST_200600_302600_NS6detail15normal_iteratorINSA_10device_ptrIiEEEEPS6_PKS6_NS0_5tupleIJNSA_16discard_iteratorINSA_11use_defaultEEES6_EEENSJ_IJSG_SG_EEENS0_18inequality_wrapperINSA_8equal_toIiEEEEPmJS6_EEE10hipError_tPvRmT3_T4_T5_T6_T7_T9_mT8_P12ihipStream_tbDpT10_ENKUlT_T0_E_clISt17integral_constantIbLb1EES1D_EEDaS18_S19_EUlS18_E_NS1_11comp_targetILNS1_3genE10ELNS1_11target_archE1200ELNS1_3gpuE4ELNS1_3repE0EEENS1_30default_config_static_selectorELNS0_4arch9wavefront6targetE1EEEvT1_,@function
_ZN7rocprim17ROCPRIM_400000_NS6detail17trampoline_kernelINS0_14default_configENS1_25partition_config_selectorILNS1_17partition_subalgoE8EiNS0_10empty_typeEbEEZZNS1_14partition_implILS5_8ELb0ES3_jN6thrust23THRUST_200600_302600_NS6detail15normal_iteratorINSA_10device_ptrIiEEEEPS6_PKS6_NS0_5tupleIJNSA_16discard_iteratorINSA_11use_defaultEEES6_EEENSJ_IJSG_SG_EEENS0_18inequality_wrapperINSA_8equal_toIiEEEEPmJS6_EEE10hipError_tPvRmT3_T4_T5_T6_T7_T9_mT8_P12ihipStream_tbDpT10_ENKUlT_T0_E_clISt17integral_constantIbLb1EES1D_EEDaS18_S19_EUlS18_E_NS1_11comp_targetILNS1_3genE10ELNS1_11target_archE1200ELNS1_3gpuE4ELNS1_3repE0EEENS1_30default_config_static_selectorELNS0_4arch9wavefront6targetE1EEEvT1_: ; @_ZN7rocprim17ROCPRIM_400000_NS6detail17trampoline_kernelINS0_14default_configENS1_25partition_config_selectorILNS1_17partition_subalgoE8EiNS0_10empty_typeEbEEZZNS1_14partition_implILS5_8ELb0ES3_jN6thrust23THRUST_200600_302600_NS6detail15normal_iteratorINSA_10device_ptrIiEEEEPS6_PKS6_NS0_5tupleIJNSA_16discard_iteratorINSA_11use_defaultEEES6_EEENSJ_IJSG_SG_EEENS0_18inequality_wrapperINSA_8equal_toIiEEEEPmJS6_EEE10hipError_tPvRmT3_T4_T5_T6_T7_T9_mT8_P12ihipStream_tbDpT10_ENKUlT_T0_E_clISt17integral_constantIbLb1EES1D_EEDaS18_S19_EUlS18_E_NS1_11comp_targetILNS1_3genE10ELNS1_11target_archE1200ELNS1_3gpuE4ELNS1_3repE0EEENS1_30default_config_static_selectorELNS0_4arch9wavefront6targetE1EEEvT1_
; %bb.0:
	.section	.rodata,"a",@progbits
	.p2align	6, 0x0
	.amdhsa_kernel _ZN7rocprim17ROCPRIM_400000_NS6detail17trampoline_kernelINS0_14default_configENS1_25partition_config_selectorILNS1_17partition_subalgoE8EiNS0_10empty_typeEbEEZZNS1_14partition_implILS5_8ELb0ES3_jN6thrust23THRUST_200600_302600_NS6detail15normal_iteratorINSA_10device_ptrIiEEEEPS6_PKS6_NS0_5tupleIJNSA_16discard_iteratorINSA_11use_defaultEEES6_EEENSJ_IJSG_SG_EEENS0_18inequality_wrapperINSA_8equal_toIiEEEEPmJS6_EEE10hipError_tPvRmT3_T4_T5_T6_T7_T9_mT8_P12ihipStream_tbDpT10_ENKUlT_T0_E_clISt17integral_constantIbLb1EES1D_EEDaS18_S19_EUlS18_E_NS1_11comp_targetILNS1_3genE10ELNS1_11target_archE1200ELNS1_3gpuE4ELNS1_3repE0EEENS1_30default_config_static_selectorELNS0_4arch9wavefront6targetE1EEEvT1_
		.amdhsa_group_segment_fixed_size 0
		.amdhsa_private_segment_fixed_size 0
		.amdhsa_kernarg_size 136
		.amdhsa_user_sgpr_count 6
		.amdhsa_user_sgpr_private_segment_buffer 1
		.amdhsa_user_sgpr_dispatch_ptr 0
		.amdhsa_user_sgpr_queue_ptr 0
		.amdhsa_user_sgpr_kernarg_segment_ptr 1
		.amdhsa_user_sgpr_dispatch_id 0
		.amdhsa_user_sgpr_flat_scratch_init 0
		.amdhsa_user_sgpr_private_segment_size 0
		.amdhsa_uses_dynamic_stack 0
		.amdhsa_system_sgpr_private_segment_wavefront_offset 0
		.amdhsa_system_sgpr_workgroup_id_x 1
		.amdhsa_system_sgpr_workgroup_id_y 0
		.amdhsa_system_sgpr_workgroup_id_z 0
		.amdhsa_system_sgpr_workgroup_info 0
		.amdhsa_system_vgpr_workitem_id 0
		.amdhsa_next_free_vgpr 1
		.amdhsa_next_free_sgpr 0
		.amdhsa_reserve_vcc 0
		.amdhsa_reserve_flat_scratch 0
		.amdhsa_float_round_mode_32 0
		.amdhsa_float_round_mode_16_64 0
		.amdhsa_float_denorm_mode_32 3
		.amdhsa_float_denorm_mode_16_64 3
		.amdhsa_dx10_clamp 1
		.amdhsa_ieee_mode 1
		.amdhsa_fp16_overflow 0
		.amdhsa_exception_fp_ieee_invalid_op 0
		.amdhsa_exception_fp_denorm_src 0
		.amdhsa_exception_fp_ieee_div_zero 0
		.amdhsa_exception_fp_ieee_overflow 0
		.amdhsa_exception_fp_ieee_underflow 0
		.amdhsa_exception_fp_ieee_inexact 0
		.amdhsa_exception_int_div_zero 0
	.end_amdhsa_kernel
	.section	.text._ZN7rocprim17ROCPRIM_400000_NS6detail17trampoline_kernelINS0_14default_configENS1_25partition_config_selectorILNS1_17partition_subalgoE8EiNS0_10empty_typeEbEEZZNS1_14partition_implILS5_8ELb0ES3_jN6thrust23THRUST_200600_302600_NS6detail15normal_iteratorINSA_10device_ptrIiEEEEPS6_PKS6_NS0_5tupleIJNSA_16discard_iteratorINSA_11use_defaultEEES6_EEENSJ_IJSG_SG_EEENS0_18inequality_wrapperINSA_8equal_toIiEEEEPmJS6_EEE10hipError_tPvRmT3_T4_T5_T6_T7_T9_mT8_P12ihipStream_tbDpT10_ENKUlT_T0_E_clISt17integral_constantIbLb1EES1D_EEDaS18_S19_EUlS18_E_NS1_11comp_targetILNS1_3genE10ELNS1_11target_archE1200ELNS1_3gpuE4ELNS1_3repE0EEENS1_30default_config_static_selectorELNS0_4arch9wavefront6targetE1EEEvT1_,"axG",@progbits,_ZN7rocprim17ROCPRIM_400000_NS6detail17trampoline_kernelINS0_14default_configENS1_25partition_config_selectorILNS1_17partition_subalgoE8EiNS0_10empty_typeEbEEZZNS1_14partition_implILS5_8ELb0ES3_jN6thrust23THRUST_200600_302600_NS6detail15normal_iteratorINSA_10device_ptrIiEEEEPS6_PKS6_NS0_5tupleIJNSA_16discard_iteratorINSA_11use_defaultEEES6_EEENSJ_IJSG_SG_EEENS0_18inequality_wrapperINSA_8equal_toIiEEEEPmJS6_EEE10hipError_tPvRmT3_T4_T5_T6_T7_T9_mT8_P12ihipStream_tbDpT10_ENKUlT_T0_E_clISt17integral_constantIbLb1EES1D_EEDaS18_S19_EUlS18_E_NS1_11comp_targetILNS1_3genE10ELNS1_11target_archE1200ELNS1_3gpuE4ELNS1_3repE0EEENS1_30default_config_static_selectorELNS0_4arch9wavefront6targetE1EEEvT1_,comdat
.Lfunc_end674:
	.size	_ZN7rocprim17ROCPRIM_400000_NS6detail17trampoline_kernelINS0_14default_configENS1_25partition_config_selectorILNS1_17partition_subalgoE8EiNS0_10empty_typeEbEEZZNS1_14partition_implILS5_8ELb0ES3_jN6thrust23THRUST_200600_302600_NS6detail15normal_iteratorINSA_10device_ptrIiEEEEPS6_PKS6_NS0_5tupleIJNSA_16discard_iteratorINSA_11use_defaultEEES6_EEENSJ_IJSG_SG_EEENS0_18inequality_wrapperINSA_8equal_toIiEEEEPmJS6_EEE10hipError_tPvRmT3_T4_T5_T6_T7_T9_mT8_P12ihipStream_tbDpT10_ENKUlT_T0_E_clISt17integral_constantIbLb1EES1D_EEDaS18_S19_EUlS18_E_NS1_11comp_targetILNS1_3genE10ELNS1_11target_archE1200ELNS1_3gpuE4ELNS1_3repE0EEENS1_30default_config_static_selectorELNS0_4arch9wavefront6targetE1EEEvT1_, .Lfunc_end674-_ZN7rocprim17ROCPRIM_400000_NS6detail17trampoline_kernelINS0_14default_configENS1_25partition_config_selectorILNS1_17partition_subalgoE8EiNS0_10empty_typeEbEEZZNS1_14partition_implILS5_8ELb0ES3_jN6thrust23THRUST_200600_302600_NS6detail15normal_iteratorINSA_10device_ptrIiEEEEPS6_PKS6_NS0_5tupleIJNSA_16discard_iteratorINSA_11use_defaultEEES6_EEENSJ_IJSG_SG_EEENS0_18inequality_wrapperINSA_8equal_toIiEEEEPmJS6_EEE10hipError_tPvRmT3_T4_T5_T6_T7_T9_mT8_P12ihipStream_tbDpT10_ENKUlT_T0_E_clISt17integral_constantIbLb1EES1D_EEDaS18_S19_EUlS18_E_NS1_11comp_targetILNS1_3genE10ELNS1_11target_archE1200ELNS1_3gpuE4ELNS1_3repE0EEENS1_30default_config_static_selectorELNS0_4arch9wavefront6targetE1EEEvT1_
                                        ; -- End function
	.set _ZN7rocprim17ROCPRIM_400000_NS6detail17trampoline_kernelINS0_14default_configENS1_25partition_config_selectorILNS1_17partition_subalgoE8EiNS0_10empty_typeEbEEZZNS1_14partition_implILS5_8ELb0ES3_jN6thrust23THRUST_200600_302600_NS6detail15normal_iteratorINSA_10device_ptrIiEEEEPS6_PKS6_NS0_5tupleIJNSA_16discard_iteratorINSA_11use_defaultEEES6_EEENSJ_IJSG_SG_EEENS0_18inequality_wrapperINSA_8equal_toIiEEEEPmJS6_EEE10hipError_tPvRmT3_T4_T5_T6_T7_T9_mT8_P12ihipStream_tbDpT10_ENKUlT_T0_E_clISt17integral_constantIbLb1EES1D_EEDaS18_S19_EUlS18_E_NS1_11comp_targetILNS1_3genE10ELNS1_11target_archE1200ELNS1_3gpuE4ELNS1_3repE0EEENS1_30default_config_static_selectorELNS0_4arch9wavefront6targetE1EEEvT1_.num_vgpr, 0
	.set _ZN7rocprim17ROCPRIM_400000_NS6detail17trampoline_kernelINS0_14default_configENS1_25partition_config_selectorILNS1_17partition_subalgoE8EiNS0_10empty_typeEbEEZZNS1_14partition_implILS5_8ELb0ES3_jN6thrust23THRUST_200600_302600_NS6detail15normal_iteratorINSA_10device_ptrIiEEEEPS6_PKS6_NS0_5tupleIJNSA_16discard_iteratorINSA_11use_defaultEEES6_EEENSJ_IJSG_SG_EEENS0_18inequality_wrapperINSA_8equal_toIiEEEEPmJS6_EEE10hipError_tPvRmT3_T4_T5_T6_T7_T9_mT8_P12ihipStream_tbDpT10_ENKUlT_T0_E_clISt17integral_constantIbLb1EES1D_EEDaS18_S19_EUlS18_E_NS1_11comp_targetILNS1_3genE10ELNS1_11target_archE1200ELNS1_3gpuE4ELNS1_3repE0EEENS1_30default_config_static_selectorELNS0_4arch9wavefront6targetE1EEEvT1_.num_agpr, 0
	.set _ZN7rocprim17ROCPRIM_400000_NS6detail17trampoline_kernelINS0_14default_configENS1_25partition_config_selectorILNS1_17partition_subalgoE8EiNS0_10empty_typeEbEEZZNS1_14partition_implILS5_8ELb0ES3_jN6thrust23THRUST_200600_302600_NS6detail15normal_iteratorINSA_10device_ptrIiEEEEPS6_PKS6_NS0_5tupleIJNSA_16discard_iteratorINSA_11use_defaultEEES6_EEENSJ_IJSG_SG_EEENS0_18inequality_wrapperINSA_8equal_toIiEEEEPmJS6_EEE10hipError_tPvRmT3_T4_T5_T6_T7_T9_mT8_P12ihipStream_tbDpT10_ENKUlT_T0_E_clISt17integral_constantIbLb1EES1D_EEDaS18_S19_EUlS18_E_NS1_11comp_targetILNS1_3genE10ELNS1_11target_archE1200ELNS1_3gpuE4ELNS1_3repE0EEENS1_30default_config_static_selectorELNS0_4arch9wavefront6targetE1EEEvT1_.numbered_sgpr, 0
	.set _ZN7rocprim17ROCPRIM_400000_NS6detail17trampoline_kernelINS0_14default_configENS1_25partition_config_selectorILNS1_17partition_subalgoE8EiNS0_10empty_typeEbEEZZNS1_14partition_implILS5_8ELb0ES3_jN6thrust23THRUST_200600_302600_NS6detail15normal_iteratorINSA_10device_ptrIiEEEEPS6_PKS6_NS0_5tupleIJNSA_16discard_iteratorINSA_11use_defaultEEES6_EEENSJ_IJSG_SG_EEENS0_18inequality_wrapperINSA_8equal_toIiEEEEPmJS6_EEE10hipError_tPvRmT3_T4_T5_T6_T7_T9_mT8_P12ihipStream_tbDpT10_ENKUlT_T0_E_clISt17integral_constantIbLb1EES1D_EEDaS18_S19_EUlS18_E_NS1_11comp_targetILNS1_3genE10ELNS1_11target_archE1200ELNS1_3gpuE4ELNS1_3repE0EEENS1_30default_config_static_selectorELNS0_4arch9wavefront6targetE1EEEvT1_.num_named_barrier, 0
	.set _ZN7rocprim17ROCPRIM_400000_NS6detail17trampoline_kernelINS0_14default_configENS1_25partition_config_selectorILNS1_17partition_subalgoE8EiNS0_10empty_typeEbEEZZNS1_14partition_implILS5_8ELb0ES3_jN6thrust23THRUST_200600_302600_NS6detail15normal_iteratorINSA_10device_ptrIiEEEEPS6_PKS6_NS0_5tupleIJNSA_16discard_iteratorINSA_11use_defaultEEES6_EEENSJ_IJSG_SG_EEENS0_18inequality_wrapperINSA_8equal_toIiEEEEPmJS6_EEE10hipError_tPvRmT3_T4_T5_T6_T7_T9_mT8_P12ihipStream_tbDpT10_ENKUlT_T0_E_clISt17integral_constantIbLb1EES1D_EEDaS18_S19_EUlS18_E_NS1_11comp_targetILNS1_3genE10ELNS1_11target_archE1200ELNS1_3gpuE4ELNS1_3repE0EEENS1_30default_config_static_selectorELNS0_4arch9wavefront6targetE1EEEvT1_.private_seg_size, 0
	.set _ZN7rocprim17ROCPRIM_400000_NS6detail17trampoline_kernelINS0_14default_configENS1_25partition_config_selectorILNS1_17partition_subalgoE8EiNS0_10empty_typeEbEEZZNS1_14partition_implILS5_8ELb0ES3_jN6thrust23THRUST_200600_302600_NS6detail15normal_iteratorINSA_10device_ptrIiEEEEPS6_PKS6_NS0_5tupleIJNSA_16discard_iteratorINSA_11use_defaultEEES6_EEENSJ_IJSG_SG_EEENS0_18inequality_wrapperINSA_8equal_toIiEEEEPmJS6_EEE10hipError_tPvRmT3_T4_T5_T6_T7_T9_mT8_P12ihipStream_tbDpT10_ENKUlT_T0_E_clISt17integral_constantIbLb1EES1D_EEDaS18_S19_EUlS18_E_NS1_11comp_targetILNS1_3genE10ELNS1_11target_archE1200ELNS1_3gpuE4ELNS1_3repE0EEENS1_30default_config_static_selectorELNS0_4arch9wavefront6targetE1EEEvT1_.uses_vcc, 0
	.set _ZN7rocprim17ROCPRIM_400000_NS6detail17trampoline_kernelINS0_14default_configENS1_25partition_config_selectorILNS1_17partition_subalgoE8EiNS0_10empty_typeEbEEZZNS1_14partition_implILS5_8ELb0ES3_jN6thrust23THRUST_200600_302600_NS6detail15normal_iteratorINSA_10device_ptrIiEEEEPS6_PKS6_NS0_5tupleIJNSA_16discard_iteratorINSA_11use_defaultEEES6_EEENSJ_IJSG_SG_EEENS0_18inequality_wrapperINSA_8equal_toIiEEEEPmJS6_EEE10hipError_tPvRmT3_T4_T5_T6_T7_T9_mT8_P12ihipStream_tbDpT10_ENKUlT_T0_E_clISt17integral_constantIbLb1EES1D_EEDaS18_S19_EUlS18_E_NS1_11comp_targetILNS1_3genE10ELNS1_11target_archE1200ELNS1_3gpuE4ELNS1_3repE0EEENS1_30default_config_static_selectorELNS0_4arch9wavefront6targetE1EEEvT1_.uses_flat_scratch, 0
	.set _ZN7rocprim17ROCPRIM_400000_NS6detail17trampoline_kernelINS0_14default_configENS1_25partition_config_selectorILNS1_17partition_subalgoE8EiNS0_10empty_typeEbEEZZNS1_14partition_implILS5_8ELb0ES3_jN6thrust23THRUST_200600_302600_NS6detail15normal_iteratorINSA_10device_ptrIiEEEEPS6_PKS6_NS0_5tupleIJNSA_16discard_iteratorINSA_11use_defaultEEES6_EEENSJ_IJSG_SG_EEENS0_18inequality_wrapperINSA_8equal_toIiEEEEPmJS6_EEE10hipError_tPvRmT3_T4_T5_T6_T7_T9_mT8_P12ihipStream_tbDpT10_ENKUlT_T0_E_clISt17integral_constantIbLb1EES1D_EEDaS18_S19_EUlS18_E_NS1_11comp_targetILNS1_3genE10ELNS1_11target_archE1200ELNS1_3gpuE4ELNS1_3repE0EEENS1_30default_config_static_selectorELNS0_4arch9wavefront6targetE1EEEvT1_.has_dyn_sized_stack, 0
	.set _ZN7rocprim17ROCPRIM_400000_NS6detail17trampoline_kernelINS0_14default_configENS1_25partition_config_selectorILNS1_17partition_subalgoE8EiNS0_10empty_typeEbEEZZNS1_14partition_implILS5_8ELb0ES3_jN6thrust23THRUST_200600_302600_NS6detail15normal_iteratorINSA_10device_ptrIiEEEEPS6_PKS6_NS0_5tupleIJNSA_16discard_iteratorINSA_11use_defaultEEES6_EEENSJ_IJSG_SG_EEENS0_18inequality_wrapperINSA_8equal_toIiEEEEPmJS6_EEE10hipError_tPvRmT3_T4_T5_T6_T7_T9_mT8_P12ihipStream_tbDpT10_ENKUlT_T0_E_clISt17integral_constantIbLb1EES1D_EEDaS18_S19_EUlS18_E_NS1_11comp_targetILNS1_3genE10ELNS1_11target_archE1200ELNS1_3gpuE4ELNS1_3repE0EEENS1_30default_config_static_selectorELNS0_4arch9wavefront6targetE1EEEvT1_.has_recursion, 0
	.set _ZN7rocprim17ROCPRIM_400000_NS6detail17trampoline_kernelINS0_14default_configENS1_25partition_config_selectorILNS1_17partition_subalgoE8EiNS0_10empty_typeEbEEZZNS1_14partition_implILS5_8ELb0ES3_jN6thrust23THRUST_200600_302600_NS6detail15normal_iteratorINSA_10device_ptrIiEEEEPS6_PKS6_NS0_5tupleIJNSA_16discard_iteratorINSA_11use_defaultEEES6_EEENSJ_IJSG_SG_EEENS0_18inequality_wrapperINSA_8equal_toIiEEEEPmJS6_EEE10hipError_tPvRmT3_T4_T5_T6_T7_T9_mT8_P12ihipStream_tbDpT10_ENKUlT_T0_E_clISt17integral_constantIbLb1EES1D_EEDaS18_S19_EUlS18_E_NS1_11comp_targetILNS1_3genE10ELNS1_11target_archE1200ELNS1_3gpuE4ELNS1_3repE0EEENS1_30default_config_static_selectorELNS0_4arch9wavefront6targetE1EEEvT1_.has_indirect_call, 0
	.section	.AMDGPU.csdata,"",@progbits
; Kernel info:
; codeLenInByte = 0
; TotalNumSgprs: 4
; NumVgprs: 0
; ScratchSize: 0
; MemoryBound: 0
; FloatMode: 240
; IeeeMode: 1
; LDSByteSize: 0 bytes/workgroup (compile time only)
; SGPRBlocks: 0
; VGPRBlocks: 0
; NumSGPRsForWavesPerEU: 4
; NumVGPRsForWavesPerEU: 1
; Occupancy: 10
; WaveLimiterHint : 0
; COMPUTE_PGM_RSRC2:SCRATCH_EN: 0
; COMPUTE_PGM_RSRC2:USER_SGPR: 6
; COMPUTE_PGM_RSRC2:TRAP_HANDLER: 0
; COMPUTE_PGM_RSRC2:TGID_X_EN: 1
; COMPUTE_PGM_RSRC2:TGID_Y_EN: 0
; COMPUTE_PGM_RSRC2:TGID_Z_EN: 0
; COMPUTE_PGM_RSRC2:TIDIG_COMP_CNT: 0
	.section	.text._ZN7rocprim17ROCPRIM_400000_NS6detail17trampoline_kernelINS0_14default_configENS1_25partition_config_selectorILNS1_17partition_subalgoE8EiNS0_10empty_typeEbEEZZNS1_14partition_implILS5_8ELb0ES3_jN6thrust23THRUST_200600_302600_NS6detail15normal_iteratorINSA_10device_ptrIiEEEEPS6_PKS6_NS0_5tupleIJNSA_16discard_iteratorINSA_11use_defaultEEES6_EEENSJ_IJSG_SG_EEENS0_18inequality_wrapperINSA_8equal_toIiEEEEPmJS6_EEE10hipError_tPvRmT3_T4_T5_T6_T7_T9_mT8_P12ihipStream_tbDpT10_ENKUlT_T0_E_clISt17integral_constantIbLb1EES1D_EEDaS18_S19_EUlS18_E_NS1_11comp_targetILNS1_3genE9ELNS1_11target_archE1100ELNS1_3gpuE3ELNS1_3repE0EEENS1_30default_config_static_selectorELNS0_4arch9wavefront6targetE1EEEvT1_,"axG",@progbits,_ZN7rocprim17ROCPRIM_400000_NS6detail17trampoline_kernelINS0_14default_configENS1_25partition_config_selectorILNS1_17partition_subalgoE8EiNS0_10empty_typeEbEEZZNS1_14partition_implILS5_8ELb0ES3_jN6thrust23THRUST_200600_302600_NS6detail15normal_iteratorINSA_10device_ptrIiEEEEPS6_PKS6_NS0_5tupleIJNSA_16discard_iteratorINSA_11use_defaultEEES6_EEENSJ_IJSG_SG_EEENS0_18inequality_wrapperINSA_8equal_toIiEEEEPmJS6_EEE10hipError_tPvRmT3_T4_T5_T6_T7_T9_mT8_P12ihipStream_tbDpT10_ENKUlT_T0_E_clISt17integral_constantIbLb1EES1D_EEDaS18_S19_EUlS18_E_NS1_11comp_targetILNS1_3genE9ELNS1_11target_archE1100ELNS1_3gpuE3ELNS1_3repE0EEENS1_30default_config_static_selectorELNS0_4arch9wavefront6targetE1EEEvT1_,comdat
	.protected	_ZN7rocprim17ROCPRIM_400000_NS6detail17trampoline_kernelINS0_14default_configENS1_25partition_config_selectorILNS1_17partition_subalgoE8EiNS0_10empty_typeEbEEZZNS1_14partition_implILS5_8ELb0ES3_jN6thrust23THRUST_200600_302600_NS6detail15normal_iteratorINSA_10device_ptrIiEEEEPS6_PKS6_NS0_5tupleIJNSA_16discard_iteratorINSA_11use_defaultEEES6_EEENSJ_IJSG_SG_EEENS0_18inequality_wrapperINSA_8equal_toIiEEEEPmJS6_EEE10hipError_tPvRmT3_T4_T5_T6_T7_T9_mT8_P12ihipStream_tbDpT10_ENKUlT_T0_E_clISt17integral_constantIbLb1EES1D_EEDaS18_S19_EUlS18_E_NS1_11comp_targetILNS1_3genE9ELNS1_11target_archE1100ELNS1_3gpuE3ELNS1_3repE0EEENS1_30default_config_static_selectorELNS0_4arch9wavefront6targetE1EEEvT1_ ; -- Begin function _ZN7rocprim17ROCPRIM_400000_NS6detail17trampoline_kernelINS0_14default_configENS1_25partition_config_selectorILNS1_17partition_subalgoE8EiNS0_10empty_typeEbEEZZNS1_14partition_implILS5_8ELb0ES3_jN6thrust23THRUST_200600_302600_NS6detail15normal_iteratorINSA_10device_ptrIiEEEEPS6_PKS6_NS0_5tupleIJNSA_16discard_iteratorINSA_11use_defaultEEES6_EEENSJ_IJSG_SG_EEENS0_18inequality_wrapperINSA_8equal_toIiEEEEPmJS6_EEE10hipError_tPvRmT3_T4_T5_T6_T7_T9_mT8_P12ihipStream_tbDpT10_ENKUlT_T0_E_clISt17integral_constantIbLb1EES1D_EEDaS18_S19_EUlS18_E_NS1_11comp_targetILNS1_3genE9ELNS1_11target_archE1100ELNS1_3gpuE3ELNS1_3repE0EEENS1_30default_config_static_selectorELNS0_4arch9wavefront6targetE1EEEvT1_
	.globl	_ZN7rocprim17ROCPRIM_400000_NS6detail17trampoline_kernelINS0_14default_configENS1_25partition_config_selectorILNS1_17partition_subalgoE8EiNS0_10empty_typeEbEEZZNS1_14partition_implILS5_8ELb0ES3_jN6thrust23THRUST_200600_302600_NS6detail15normal_iteratorINSA_10device_ptrIiEEEEPS6_PKS6_NS0_5tupleIJNSA_16discard_iteratorINSA_11use_defaultEEES6_EEENSJ_IJSG_SG_EEENS0_18inequality_wrapperINSA_8equal_toIiEEEEPmJS6_EEE10hipError_tPvRmT3_T4_T5_T6_T7_T9_mT8_P12ihipStream_tbDpT10_ENKUlT_T0_E_clISt17integral_constantIbLb1EES1D_EEDaS18_S19_EUlS18_E_NS1_11comp_targetILNS1_3genE9ELNS1_11target_archE1100ELNS1_3gpuE3ELNS1_3repE0EEENS1_30default_config_static_selectorELNS0_4arch9wavefront6targetE1EEEvT1_
	.p2align	8
	.type	_ZN7rocprim17ROCPRIM_400000_NS6detail17trampoline_kernelINS0_14default_configENS1_25partition_config_selectorILNS1_17partition_subalgoE8EiNS0_10empty_typeEbEEZZNS1_14partition_implILS5_8ELb0ES3_jN6thrust23THRUST_200600_302600_NS6detail15normal_iteratorINSA_10device_ptrIiEEEEPS6_PKS6_NS0_5tupleIJNSA_16discard_iteratorINSA_11use_defaultEEES6_EEENSJ_IJSG_SG_EEENS0_18inequality_wrapperINSA_8equal_toIiEEEEPmJS6_EEE10hipError_tPvRmT3_T4_T5_T6_T7_T9_mT8_P12ihipStream_tbDpT10_ENKUlT_T0_E_clISt17integral_constantIbLb1EES1D_EEDaS18_S19_EUlS18_E_NS1_11comp_targetILNS1_3genE9ELNS1_11target_archE1100ELNS1_3gpuE3ELNS1_3repE0EEENS1_30default_config_static_selectorELNS0_4arch9wavefront6targetE1EEEvT1_,@function
_ZN7rocprim17ROCPRIM_400000_NS6detail17trampoline_kernelINS0_14default_configENS1_25partition_config_selectorILNS1_17partition_subalgoE8EiNS0_10empty_typeEbEEZZNS1_14partition_implILS5_8ELb0ES3_jN6thrust23THRUST_200600_302600_NS6detail15normal_iteratorINSA_10device_ptrIiEEEEPS6_PKS6_NS0_5tupleIJNSA_16discard_iteratorINSA_11use_defaultEEES6_EEENSJ_IJSG_SG_EEENS0_18inequality_wrapperINSA_8equal_toIiEEEEPmJS6_EEE10hipError_tPvRmT3_T4_T5_T6_T7_T9_mT8_P12ihipStream_tbDpT10_ENKUlT_T0_E_clISt17integral_constantIbLb1EES1D_EEDaS18_S19_EUlS18_E_NS1_11comp_targetILNS1_3genE9ELNS1_11target_archE1100ELNS1_3gpuE3ELNS1_3repE0EEENS1_30default_config_static_selectorELNS0_4arch9wavefront6targetE1EEEvT1_: ; @_ZN7rocprim17ROCPRIM_400000_NS6detail17trampoline_kernelINS0_14default_configENS1_25partition_config_selectorILNS1_17partition_subalgoE8EiNS0_10empty_typeEbEEZZNS1_14partition_implILS5_8ELb0ES3_jN6thrust23THRUST_200600_302600_NS6detail15normal_iteratorINSA_10device_ptrIiEEEEPS6_PKS6_NS0_5tupleIJNSA_16discard_iteratorINSA_11use_defaultEEES6_EEENSJ_IJSG_SG_EEENS0_18inequality_wrapperINSA_8equal_toIiEEEEPmJS6_EEE10hipError_tPvRmT3_T4_T5_T6_T7_T9_mT8_P12ihipStream_tbDpT10_ENKUlT_T0_E_clISt17integral_constantIbLb1EES1D_EEDaS18_S19_EUlS18_E_NS1_11comp_targetILNS1_3genE9ELNS1_11target_archE1100ELNS1_3gpuE3ELNS1_3repE0EEENS1_30default_config_static_selectorELNS0_4arch9wavefront6targetE1EEEvT1_
; %bb.0:
	.section	.rodata,"a",@progbits
	.p2align	6, 0x0
	.amdhsa_kernel _ZN7rocprim17ROCPRIM_400000_NS6detail17trampoline_kernelINS0_14default_configENS1_25partition_config_selectorILNS1_17partition_subalgoE8EiNS0_10empty_typeEbEEZZNS1_14partition_implILS5_8ELb0ES3_jN6thrust23THRUST_200600_302600_NS6detail15normal_iteratorINSA_10device_ptrIiEEEEPS6_PKS6_NS0_5tupleIJNSA_16discard_iteratorINSA_11use_defaultEEES6_EEENSJ_IJSG_SG_EEENS0_18inequality_wrapperINSA_8equal_toIiEEEEPmJS6_EEE10hipError_tPvRmT3_T4_T5_T6_T7_T9_mT8_P12ihipStream_tbDpT10_ENKUlT_T0_E_clISt17integral_constantIbLb1EES1D_EEDaS18_S19_EUlS18_E_NS1_11comp_targetILNS1_3genE9ELNS1_11target_archE1100ELNS1_3gpuE3ELNS1_3repE0EEENS1_30default_config_static_selectorELNS0_4arch9wavefront6targetE1EEEvT1_
		.amdhsa_group_segment_fixed_size 0
		.amdhsa_private_segment_fixed_size 0
		.amdhsa_kernarg_size 136
		.amdhsa_user_sgpr_count 6
		.amdhsa_user_sgpr_private_segment_buffer 1
		.amdhsa_user_sgpr_dispatch_ptr 0
		.amdhsa_user_sgpr_queue_ptr 0
		.amdhsa_user_sgpr_kernarg_segment_ptr 1
		.amdhsa_user_sgpr_dispatch_id 0
		.amdhsa_user_sgpr_flat_scratch_init 0
		.amdhsa_user_sgpr_private_segment_size 0
		.amdhsa_uses_dynamic_stack 0
		.amdhsa_system_sgpr_private_segment_wavefront_offset 0
		.amdhsa_system_sgpr_workgroup_id_x 1
		.amdhsa_system_sgpr_workgroup_id_y 0
		.amdhsa_system_sgpr_workgroup_id_z 0
		.amdhsa_system_sgpr_workgroup_info 0
		.amdhsa_system_vgpr_workitem_id 0
		.amdhsa_next_free_vgpr 1
		.amdhsa_next_free_sgpr 0
		.amdhsa_reserve_vcc 0
		.amdhsa_reserve_flat_scratch 0
		.amdhsa_float_round_mode_32 0
		.amdhsa_float_round_mode_16_64 0
		.amdhsa_float_denorm_mode_32 3
		.amdhsa_float_denorm_mode_16_64 3
		.amdhsa_dx10_clamp 1
		.amdhsa_ieee_mode 1
		.amdhsa_fp16_overflow 0
		.amdhsa_exception_fp_ieee_invalid_op 0
		.amdhsa_exception_fp_denorm_src 0
		.amdhsa_exception_fp_ieee_div_zero 0
		.amdhsa_exception_fp_ieee_overflow 0
		.amdhsa_exception_fp_ieee_underflow 0
		.amdhsa_exception_fp_ieee_inexact 0
		.amdhsa_exception_int_div_zero 0
	.end_amdhsa_kernel
	.section	.text._ZN7rocprim17ROCPRIM_400000_NS6detail17trampoline_kernelINS0_14default_configENS1_25partition_config_selectorILNS1_17partition_subalgoE8EiNS0_10empty_typeEbEEZZNS1_14partition_implILS5_8ELb0ES3_jN6thrust23THRUST_200600_302600_NS6detail15normal_iteratorINSA_10device_ptrIiEEEEPS6_PKS6_NS0_5tupleIJNSA_16discard_iteratorINSA_11use_defaultEEES6_EEENSJ_IJSG_SG_EEENS0_18inequality_wrapperINSA_8equal_toIiEEEEPmJS6_EEE10hipError_tPvRmT3_T4_T5_T6_T7_T9_mT8_P12ihipStream_tbDpT10_ENKUlT_T0_E_clISt17integral_constantIbLb1EES1D_EEDaS18_S19_EUlS18_E_NS1_11comp_targetILNS1_3genE9ELNS1_11target_archE1100ELNS1_3gpuE3ELNS1_3repE0EEENS1_30default_config_static_selectorELNS0_4arch9wavefront6targetE1EEEvT1_,"axG",@progbits,_ZN7rocprim17ROCPRIM_400000_NS6detail17trampoline_kernelINS0_14default_configENS1_25partition_config_selectorILNS1_17partition_subalgoE8EiNS0_10empty_typeEbEEZZNS1_14partition_implILS5_8ELb0ES3_jN6thrust23THRUST_200600_302600_NS6detail15normal_iteratorINSA_10device_ptrIiEEEEPS6_PKS6_NS0_5tupleIJNSA_16discard_iteratorINSA_11use_defaultEEES6_EEENSJ_IJSG_SG_EEENS0_18inequality_wrapperINSA_8equal_toIiEEEEPmJS6_EEE10hipError_tPvRmT3_T4_T5_T6_T7_T9_mT8_P12ihipStream_tbDpT10_ENKUlT_T0_E_clISt17integral_constantIbLb1EES1D_EEDaS18_S19_EUlS18_E_NS1_11comp_targetILNS1_3genE9ELNS1_11target_archE1100ELNS1_3gpuE3ELNS1_3repE0EEENS1_30default_config_static_selectorELNS0_4arch9wavefront6targetE1EEEvT1_,comdat
.Lfunc_end675:
	.size	_ZN7rocprim17ROCPRIM_400000_NS6detail17trampoline_kernelINS0_14default_configENS1_25partition_config_selectorILNS1_17partition_subalgoE8EiNS0_10empty_typeEbEEZZNS1_14partition_implILS5_8ELb0ES3_jN6thrust23THRUST_200600_302600_NS6detail15normal_iteratorINSA_10device_ptrIiEEEEPS6_PKS6_NS0_5tupleIJNSA_16discard_iteratorINSA_11use_defaultEEES6_EEENSJ_IJSG_SG_EEENS0_18inequality_wrapperINSA_8equal_toIiEEEEPmJS6_EEE10hipError_tPvRmT3_T4_T5_T6_T7_T9_mT8_P12ihipStream_tbDpT10_ENKUlT_T0_E_clISt17integral_constantIbLb1EES1D_EEDaS18_S19_EUlS18_E_NS1_11comp_targetILNS1_3genE9ELNS1_11target_archE1100ELNS1_3gpuE3ELNS1_3repE0EEENS1_30default_config_static_selectorELNS0_4arch9wavefront6targetE1EEEvT1_, .Lfunc_end675-_ZN7rocprim17ROCPRIM_400000_NS6detail17trampoline_kernelINS0_14default_configENS1_25partition_config_selectorILNS1_17partition_subalgoE8EiNS0_10empty_typeEbEEZZNS1_14partition_implILS5_8ELb0ES3_jN6thrust23THRUST_200600_302600_NS6detail15normal_iteratorINSA_10device_ptrIiEEEEPS6_PKS6_NS0_5tupleIJNSA_16discard_iteratorINSA_11use_defaultEEES6_EEENSJ_IJSG_SG_EEENS0_18inequality_wrapperINSA_8equal_toIiEEEEPmJS6_EEE10hipError_tPvRmT3_T4_T5_T6_T7_T9_mT8_P12ihipStream_tbDpT10_ENKUlT_T0_E_clISt17integral_constantIbLb1EES1D_EEDaS18_S19_EUlS18_E_NS1_11comp_targetILNS1_3genE9ELNS1_11target_archE1100ELNS1_3gpuE3ELNS1_3repE0EEENS1_30default_config_static_selectorELNS0_4arch9wavefront6targetE1EEEvT1_
                                        ; -- End function
	.set _ZN7rocprim17ROCPRIM_400000_NS6detail17trampoline_kernelINS0_14default_configENS1_25partition_config_selectorILNS1_17partition_subalgoE8EiNS0_10empty_typeEbEEZZNS1_14partition_implILS5_8ELb0ES3_jN6thrust23THRUST_200600_302600_NS6detail15normal_iteratorINSA_10device_ptrIiEEEEPS6_PKS6_NS0_5tupleIJNSA_16discard_iteratorINSA_11use_defaultEEES6_EEENSJ_IJSG_SG_EEENS0_18inequality_wrapperINSA_8equal_toIiEEEEPmJS6_EEE10hipError_tPvRmT3_T4_T5_T6_T7_T9_mT8_P12ihipStream_tbDpT10_ENKUlT_T0_E_clISt17integral_constantIbLb1EES1D_EEDaS18_S19_EUlS18_E_NS1_11comp_targetILNS1_3genE9ELNS1_11target_archE1100ELNS1_3gpuE3ELNS1_3repE0EEENS1_30default_config_static_selectorELNS0_4arch9wavefront6targetE1EEEvT1_.num_vgpr, 0
	.set _ZN7rocprim17ROCPRIM_400000_NS6detail17trampoline_kernelINS0_14default_configENS1_25partition_config_selectorILNS1_17partition_subalgoE8EiNS0_10empty_typeEbEEZZNS1_14partition_implILS5_8ELb0ES3_jN6thrust23THRUST_200600_302600_NS6detail15normal_iteratorINSA_10device_ptrIiEEEEPS6_PKS6_NS0_5tupleIJNSA_16discard_iteratorINSA_11use_defaultEEES6_EEENSJ_IJSG_SG_EEENS0_18inequality_wrapperINSA_8equal_toIiEEEEPmJS6_EEE10hipError_tPvRmT3_T4_T5_T6_T7_T9_mT8_P12ihipStream_tbDpT10_ENKUlT_T0_E_clISt17integral_constantIbLb1EES1D_EEDaS18_S19_EUlS18_E_NS1_11comp_targetILNS1_3genE9ELNS1_11target_archE1100ELNS1_3gpuE3ELNS1_3repE0EEENS1_30default_config_static_selectorELNS0_4arch9wavefront6targetE1EEEvT1_.num_agpr, 0
	.set _ZN7rocprim17ROCPRIM_400000_NS6detail17trampoline_kernelINS0_14default_configENS1_25partition_config_selectorILNS1_17partition_subalgoE8EiNS0_10empty_typeEbEEZZNS1_14partition_implILS5_8ELb0ES3_jN6thrust23THRUST_200600_302600_NS6detail15normal_iteratorINSA_10device_ptrIiEEEEPS6_PKS6_NS0_5tupleIJNSA_16discard_iteratorINSA_11use_defaultEEES6_EEENSJ_IJSG_SG_EEENS0_18inequality_wrapperINSA_8equal_toIiEEEEPmJS6_EEE10hipError_tPvRmT3_T4_T5_T6_T7_T9_mT8_P12ihipStream_tbDpT10_ENKUlT_T0_E_clISt17integral_constantIbLb1EES1D_EEDaS18_S19_EUlS18_E_NS1_11comp_targetILNS1_3genE9ELNS1_11target_archE1100ELNS1_3gpuE3ELNS1_3repE0EEENS1_30default_config_static_selectorELNS0_4arch9wavefront6targetE1EEEvT1_.numbered_sgpr, 0
	.set _ZN7rocprim17ROCPRIM_400000_NS6detail17trampoline_kernelINS0_14default_configENS1_25partition_config_selectorILNS1_17partition_subalgoE8EiNS0_10empty_typeEbEEZZNS1_14partition_implILS5_8ELb0ES3_jN6thrust23THRUST_200600_302600_NS6detail15normal_iteratorINSA_10device_ptrIiEEEEPS6_PKS6_NS0_5tupleIJNSA_16discard_iteratorINSA_11use_defaultEEES6_EEENSJ_IJSG_SG_EEENS0_18inequality_wrapperINSA_8equal_toIiEEEEPmJS6_EEE10hipError_tPvRmT3_T4_T5_T6_T7_T9_mT8_P12ihipStream_tbDpT10_ENKUlT_T0_E_clISt17integral_constantIbLb1EES1D_EEDaS18_S19_EUlS18_E_NS1_11comp_targetILNS1_3genE9ELNS1_11target_archE1100ELNS1_3gpuE3ELNS1_3repE0EEENS1_30default_config_static_selectorELNS0_4arch9wavefront6targetE1EEEvT1_.num_named_barrier, 0
	.set _ZN7rocprim17ROCPRIM_400000_NS6detail17trampoline_kernelINS0_14default_configENS1_25partition_config_selectorILNS1_17partition_subalgoE8EiNS0_10empty_typeEbEEZZNS1_14partition_implILS5_8ELb0ES3_jN6thrust23THRUST_200600_302600_NS6detail15normal_iteratorINSA_10device_ptrIiEEEEPS6_PKS6_NS0_5tupleIJNSA_16discard_iteratorINSA_11use_defaultEEES6_EEENSJ_IJSG_SG_EEENS0_18inequality_wrapperINSA_8equal_toIiEEEEPmJS6_EEE10hipError_tPvRmT3_T4_T5_T6_T7_T9_mT8_P12ihipStream_tbDpT10_ENKUlT_T0_E_clISt17integral_constantIbLb1EES1D_EEDaS18_S19_EUlS18_E_NS1_11comp_targetILNS1_3genE9ELNS1_11target_archE1100ELNS1_3gpuE3ELNS1_3repE0EEENS1_30default_config_static_selectorELNS0_4arch9wavefront6targetE1EEEvT1_.private_seg_size, 0
	.set _ZN7rocprim17ROCPRIM_400000_NS6detail17trampoline_kernelINS0_14default_configENS1_25partition_config_selectorILNS1_17partition_subalgoE8EiNS0_10empty_typeEbEEZZNS1_14partition_implILS5_8ELb0ES3_jN6thrust23THRUST_200600_302600_NS6detail15normal_iteratorINSA_10device_ptrIiEEEEPS6_PKS6_NS0_5tupleIJNSA_16discard_iteratorINSA_11use_defaultEEES6_EEENSJ_IJSG_SG_EEENS0_18inequality_wrapperINSA_8equal_toIiEEEEPmJS6_EEE10hipError_tPvRmT3_T4_T5_T6_T7_T9_mT8_P12ihipStream_tbDpT10_ENKUlT_T0_E_clISt17integral_constantIbLb1EES1D_EEDaS18_S19_EUlS18_E_NS1_11comp_targetILNS1_3genE9ELNS1_11target_archE1100ELNS1_3gpuE3ELNS1_3repE0EEENS1_30default_config_static_selectorELNS0_4arch9wavefront6targetE1EEEvT1_.uses_vcc, 0
	.set _ZN7rocprim17ROCPRIM_400000_NS6detail17trampoline_kernelINS0_14default_configENS1_25partition_config_selectorILNS1_17partition_subalgoE8EiNS0_10empty_typeEbEEZZNS1_14partition_implILS5_8ELb0ES3_jN6thrust23THRUST_200600_302600_NS6detail15normal_iteratorINSA_10device_ptrIiEEEEPS6_PKS6_NS0_5tupleIJNSA_16discard_iteratorINSA_11use_defaultEEES6_EEENSJ_IJSG_SG_EEENS0_18inequality_wrapperINSA_8equal_toIiEEEEPmJS6_EEE10hipError_tPvRmT3_T4_T5_T6_T7_T9_mT8_P12ihipStream_tbDpT10_ENKUlT_T0_E_clISt17integral_constantIbLb1EES1D_EEDaS18_S19_EUlS18_E_NS1_11comp_targetILNS1_3genE9ELNS1_11target_archE1100ELNS1_3gpuE3ELNS1_3repE0EEENS1_30default_config_static_selectorELNS0_4arch9wavefront6targetE1EEEvT1_.uses_flat_scratch, 0
	.set _ZN7rocprim17ROCPRIM_400000_NS6detail17trampoline_kernelINS0_14default_configENS1_25partition_config_selectorILNS1_17partition_subalgoE8EiNS0_10empty_typeEbEEZZNS1_14partition_implILS5_8ELb0ES3_jN6thrust23THRUST_200600_302600_NS6detail15normal_iteratorINSA_10device_ptrIiEEEEPS6_PKS6_NS0_5tupleIJNSA_16discard_iteratorINSA_11use_defaultEEES6_EEENSJ_IJSG_SG_EEENS0_18inequality_wrapperINSA_8equal_toIiEEEEPmJS6_EEE10hipError_tPvRmT3_T4_T5_T6_T7_T9_mT8_P12ihipStream_tbDpT10_ENKUlT_T0_E_clISt17integral_constantIbLb1EES1D_EEDaS18_S19_EUlS18_E_NS1_11comp_targetILNS1_3genE9ELNS1_11target_archE1100ELNS1_3gpuE3ELNS1_3repE0EEENS1_30default_config_static_selectorELNS0_4arch9wavefront6targetE1EEEvT1_.has_dyn_sized_stack, 0
	.set _ZN7rocprim17ROCPRIM_400000_NS6detail17trampoline_kernelINS0_14default_configENS1_25partition_config_selectorILNS1_17partition_subalgoE8EiNS0_10empty_typeEbEEZZNS1_14partition_implILS5_8ELb0ES3_jN6thrust23THRUST_200600_302600_NS6detail15normal_iteratorINSA_10device_ptrIiEEEEPS6_PKS6_NS0_5tupleIJNSA_16discard_iteratorINSA_11use_defaultEEES6_EEENSJ_IJSG_SG_EEENS0_18inequality_wrapperINSA_8equal_toIiEEEEPmJS6_EEE10hipError_tPvRmT3_T4_T5_T6_T7_T9_mT8_P12ihipStream_tbDpT10_ENKUlT_T0_E_clISt17integral_constantIbLb1EES1D_EEDaS18_S19_EUlS18_E_NS1_11comp_targetILNS1_3genE9ELNS1_11target_archE1100ELNS1_3gpuE3ELNS1_3repE0EEENS1_30default_config_static_selectorELNS0_4arch9wavefront6targetE1EEEvT1_.has_recursion, 0
	.set _ZN7rocprim17ROCPRIM_400000_NS6detail17trampoline_kernelINS0_14default_configENS1_25partition_config_selectorILNS1_17partition_subalgoE8EiNS0_10empty_typeEbEEZZNS1_14partition_implILS5_8ELb0ES3_jN6thrust23THRUST_200600_302600_NS6detail15normal_iteratorINSA_10device_ptrIiEEEEPS6_PKS6_NS0_5tupleIJNSA_16discard_iteratorINSA_11use_defaultEEES6_EEENSJ_IJSG_SG_EEENS0_18inequality_wrapperINSA_8equal_toIiEEEEPmJS6_EEE10hipError_tPvRmT3_T4_T5_T6_T7_T9_mT8_P12ihipStream_tbDpT10_ENKUlT_T0_E_clISt17integral_constantIbLb1EES1D_EEDaS18_S19_EUlS18_E_NS1_11comp_targetILNS1_3genE9ELNS1_11target_archE1100ELNS1_3gpuE3ELNS1_3repE0EEENS1_30default_config_static_selectorELNS0_4arch9wavefront6targetE1EEEvT1_.has_indirect_call, 0
	.section	.AMDGPU.csdata,"",@progbits
; Kernel info:
; codeLenInByte = 0
; TotalNumSgprs: 4
; NumVgprs: 0
; ScratchSize: 0
; MemoryBound: 0
; FloatMode: 240
; IeeeMode: 1
; LDSByteSize: 0 bytes/workgroup (compile time only)
; SGPRBlocks: 0
; VGPRBlocks: 0
; NumSGPRsForWavesPerEU: 4
; NumVGPRsForWavesPerEU: 1
; Occupancy: 10
; WaveLimiterHint : 0
; COMPUTE_PGM_RSRC2:SCRATCH_EN: 0
; COMPUTE_PGM_RSRC2:USER_SGPR: 6
; COMPUTE_PGM_RSRC2:TRAP_HANDLER: 0
; COMPUTE_PGM_RSRC2:TGID_X_EN: 1
; COMPUTE_PGM_RSRC2:TGID_Y_EN: 0
; COMPUTE_PGM_RSRC2:TGID_Z_EN: 0
; COMPUTE_PGM_RSRC2:TIDIG_COMP_CNT: 0
	.section	.text._ZN7rocprim17ROCPRIM_400000_NS6detail17trampoline_kernelINS0_14default_configENS1_25partition_config_selectorILNS1_17partition_subalgoE8EiNS0_10empty_typeEbEEZZNS1_14partition_implILS5_8ELb0ES3_jN6thrust23THRUST_200600_302600_NS6detail15normal_iteratorINSA_10device_ptrIiEEEEPS6_PKS6_NS0_5tupleIJNSA_16discard_iteratorINSA_11use_defaultEEES6_EEENSJ_IJSG_SG_EEENS0_18inequality_wrapperINSA_8equal_toIiEEEEPmJS6_EEE10hipError_tPvRmT3_T4_T5_T6_T7_T9_mT8_P12ihipStream_tbDpT10_ENKUlT_T0_E_clISt17integral_constantIbLb1EES1D_EEDaS18_S19_EUlS18_E_NS1_11comp_targetILNS1_3genE8ELNS1_11target_archE1030ELNS1_3gpuE2ELNS1_3repE0EEENS1_30default_config_static_selectorELNS0_4arch9wavefront6targetE1EEEvT1_,"axG",@progbits,_ZN7rocprim17ROCPRIM_400000_NS6detail17trampoline_kernelINS0_14default_configENS1_25partition_config_selectorILNS1_17partition_subalgoE8EiNS0_10empty_typeEbEEZZNS1_14partition_implILS5_8ELb0ES3_jN6thrust23THRUST_200600_302600_NS6detail15normal_iteratorINSA_10device_ptrIiEEEEPS6_PKS6_NS0_5tupleIJNSA_16discard_iteratorINSA_11use_defaultEEES6_EEENSJ_IJSG_SG_EEENS0_18inequality_wrapperINSA_8equal_toIiEEEEPmJS6_EEE10hipError_tPvRmT3_T4_T5_T6_T7_T9_mT8_P12ihipStream_tbDpT10_ENKUlT_T0_E_clISt17integral_constantIbLb1EES1D_EEDaS18_S19_EUlS18_E_NS1_11comp_targetILNS1_3genE8ELNS1_11target_archE1030ELNS1_3gpuE2ELNS1_3repE0EEENS1_30default_config_static_selectorELNS0_4arch9wavefront6targetE1EEEvT1_,comdat
	.protected	_ZN7rocprim17ROCPRIM_400000_NS6detail17trampoline_kernelINS0_14default_configENS1_25partition_config_selectorILNS1_17partition_subalgoE8EiNS0_10empty_typeEbEEZZNS1_14partition_implILS5_8ELb0ES3_jN6thrust23THRUST_200600_302600_NS6detail15normal_iteratorINSA_10device_ptrIiEEEEPS6_PKS6_NS0_5tupleIJNSA_16discard_iteratorINSA_11use_defaultEEES6_EEENSJ_IJSG_SG_EEENS0_18inequality_wrapperINSA_8equal_toIiEEEEPmJS6_EEE10hipError_tPvRmT3_T4_T5_T6_T7_T9_mT8_P12ihipStream_tbDpT10_ENKUlT_T0_E_clISt17integral_constantIbLb1EES1D_EEDaS18_S19_EUlS18_E_NS1_11comp_targetILNS1_3genE8ELNS1_11target_archE1030ELNS1_3gpuE2ELNS1_3repE0EEENS1_30default_config_static_selectorELNS0_4arch9wavefront6targetE1EEEvT1_ ; -- Begin function _ZN7rocprim17ROCPRIM_400000_NS6detail17trampoline_kernelINS0_14default_configENS1_25partition_config_selectorILNS1_17partition_subalgoE8EiNS0_10empty_typeEbEEZZNS1_14partition_implILS5_8ELb0ES3_jN6thrust23THRUST_200600_302600_NS6detail15normal_iteratorINSA_10device_ptrIiEEEEPS6_PKS6_NS0_5tupleIJNSA_16discard_iteratorINSA_11use_defaultEEES6_EEENSJ_IJSG_SG_EEENS0_18inequality_wrapperINSA_8equal_toIiEEEEPmJS6_EEE10hipError_tPvRmT3_T4_T5_T6_T7_T9_mT8_P12ihipStream_tbDpT10_ENKUlT_T0_E_clISt17integral_constantIbLb1EES1D_EEDaS18_S19_EUlS18_E_NS1_11comp_targetILNS1_3genE8ELNS1_11target_archE1030ELNS1_3gpuE2ELNS1_3repE0EEENS1_30default_config_static_selectorELNS0_4arch9wavefront6targetE1EEEvT1_
	.globl	_ZN7rocprim17ROCPRIM_400000_NS6detail17trampoline_kernelINS0_14default_configENS1_25partition_config_selectorILNS1_17partition_subalgoE8EiNS0_10empty_typeEbEEZZNS1_14partition_implILS5_8ELb0ES3_jN6thrust23THRUST_200600_302600_NS6detail15normal_iteratorINSA_10device_ptrIiEEEEPS6_PKS6_NS0_5tupleIJNSA_16discard_iteratorINSA_11use_defaultEEES6_EEENSJ_IJSG_SG_EEENS0_18inequality_wrapperINSA_8equal_toIiEEEEPmJS6_EEE10hipError_tPvRmT3_T4_T5_T6_T7_T9_mT8_P12ihipStream_tbDpT10_ENKUlT_T0_E_clISt17integral_constantIbLb1EES1D_EEDaS18_S19_EUlS18_E_NS1_11comp_targetILNS1_3genE8ELNS1_11target_archE1030ELNS1_3gpuE2ELNS1_3repE0EEENS1_30default_config_static_selectorELNS0_4arch9wavefront6targetE1EEEvT1_
	.p2align	8
	.type	_ZN7rocprim17ROCPRIM_400000_NS6detail17trampoline_kernelINS0_14default_configENS1_25partition_config_selectorILNS1_17partition_subalgoE8EiNS0_10empty_typeEbEEZZNS1_14partition_implILS5_8ELb0ES3_jN6thrust23THRUST_200600_302600_NS6detail15normal_iteratorINSA_10device_ptrIiEEEEPS6_PKS6_NS0_5tupleIJNSA_16discard_iteratorINSA_11use_defaultEEES6_EEENSJ_IJSG_SG_EEENS0_18inequality_wrapperINSA_8equal_toIiEEEEPmJS6_EEE10hipError_tPvRmT3_T4_T5_T6_T7_T9_mT8_P12ihipStream_tbDpT10_ENKUlT_T0_E_clISt17integral_constantIbLb1EES1D_EEDaS18_S19_EUlS18_E_NS1_11comp_targetILNS1_3genE8ELNS1_11target_archE1030ELNS1_3gpuE2ELNS1_3repE0EEENS1_30default_config_static_selectorELNS0_4arch9wavefront6targetE1EEEvT1_,@function
_ZN7rocprim17ROCPRIM_400000_NS6detail17trampoline_kernelINS0_14default_configENS1_25partition_config_selectorILNS1_17partition_subalgoE8EiNS0_10empty_typeEbEEZZNS1_14partition_implILS5_8ELb0ES3_jN6thrust23THRUST_200600_302600_NS6detail15normal_iteratorINSA_10device_ptrIiEEEEPS6_PKS6_NS0_5tupleIJNSA_16discard_iteratorINSA_11use_defaultEEES6_EEENSJ_IJSG_SG_EEENS0_18inequality_wrapperINSA_8equal_toIiEEEEPmJS6_EEE10hipError_tPvRmT3_T4_T5_T6_T7_T9_mT8_P12ihipStream_tbDpT10_ENKUlT_T0_E_clISt17integral_constantIbLb1EES1D_EEDaS18_S19_EUlS18_E_NS1_11comp_targetILNS1_3genE8ELNS1_11target_archE1030ELNS1_3gpuE2ELNS1_3repE0EEENS1_30default_config_static_selectorELNS0_4arch9wavefront6targetE1EEEvT1_: ; @_ZN7rocprim17ROCPRIM_400000_NS6detail17trampoline_kernelINS0_14default_configENS1_25partition_config_selectorILNS1_17partition_subalgoE8EiNS0_10empty_typeEbEEZZNS1_14partition_implILS5_8ELb0ES3_jN6thrust23THRUST_200600_302600_NS6detail15normal_iteratorINSA_10device_ptrIiEEEEPS6_PKS6_NS0_5tupleIJNSA_16discard_iteratorINSA_11use_defaultEEES6_EEENSJ_IJSG_SG_EEENS0_18inequality_wrapperINSA_8equal_toIiEEEEPmJS6_EEE10hipError_tPvRmT3_T4_T5_T6_T7_T9_mT8_P12ihipStream_tbDpT10_ENKUlT_T0_E_clISt17integral_constantIbLb1EES1D_EEDaS18_S19_EUlS18_E_NS1_11comp_targetILNS1_3genE8ELNS1_11target_archE1030ELNS1_3gpuE2ELNS1_3repE0EEENS1_30default_config_static_selectorELNS0_4arch9wavefront6targetE1EEEvT1_
; %bb.0:
	.section	.rodata,"a",@progbits
	.p2align	6, 0x0
	.amdhsa_kernel _ZN7rocprim17ROCPRIM_400000_NS6detail17trampoline_kernelINS0_14default_configENS1_25partition_config_selectorILNS1_17partition_subalgoE8EiNS0_10empty_typeEbEEZZNS1_14partition_implILS5_8ELb0ES3_jN6thrust23THRUST_200600_302600_NS6detail15normal_iteratorINSA_10device_ptrIiEEEEPS6_PKS6_NS0_5tupleIJNSA_16discard_iteratorINSA_11use_defaultEEES6_EEENSJ_IJSG_SG_EEENS0_18inequality_wrapperINSA_8equal_toIiEEEEPmJS6_EEE10hipError_tPvRmT3_T4_T5_T6_T7_T9_mT8_P12ihipStream_tbDpT10_ENKUlT_T0_E_clISt17integral_constantIbLb1EES1D_EEDaS18_S19_EUlS18_E_NS1_11comp_targetILNS1_3genE8ELNS1_11target_archE1030ELNS1_3gpuE2ELNS1_3repE0EEENS1_30default_config_static_selectorELNS0_4arch9wavefront6targetE1EEEvT1_
		.amdhsa_group_segment_fixed_size 0
		.amdhsa_private_segment_fixed_size 0
		.amdhsa_kernarg_size 136
		.amdhsa_user_sgpr_count 6
		.amdhsa_user_sgpr_private_segment_buffer 1
		.amdhsa_user_sgpr_dispatch_ptr 0
		.amdhsa_user_sgpr_queue_ptr 0
		.amdhsa_user_sgpr_kernarg_segment_ptr 1
		.amdhsa_user_sgpr_dispatch_id 0
		.amdhsa_user_sgpr_flat_scratch_init 0
		.amdhsa_user_sgpr_private_segment_size 0
		.amdhsa_uses_dynamic_stack 0
		.amdhsa_system_sgpr_private_segment_wavefront_offset 0
		.amdhsa_system_sgpr_workgroup_id_x 1
		.amdhsa_system_sgpr_workgroup_id_y 0
		.amdhsa_system_sgpr_workgroup_id_z 0
		.amdhsa_system_sgpr_workgroup_info 0
		.amdhsa_system_vgpr_workitem_id 0
		.amdhsa_next_free_vgpr 1
		.amdhsa_next_free_sgpr 0
		.amdhsa_reserve_vcc 0
		.amdhsa_reserve_flat_scratch 0
		.amdhsa_float_round_mode_32 0
		.amdhsa_float_round_mode_16_64 0
		.amdhsa_float_denorm_mode_32 3
		.amdhsa_float_denorm_mode_16_64 3
		.amdhsa_dx10_clamp 1
		.amdhsa_ieee_mode 1
		.amdhsa_fp16_overflow 0
		.amdhsa_exception_fp_ieee_invalid_op 0
		.amdhsa_exception_fp_denorm_src 0
		.amdhsa_exception_fp_ieee_div_zero 0
		.amdhsa_exception_fp_ieee_overflow 0
		.amdhsa_exception_fp_ieee_underflow 0
		.amdhsa_exception_fp_ieee_inexact 0
		.amdhsa_exception_int_div_zero 0
	.end_amdhsa_kernel
	.section	.text._ZN7rocprim17ROCPRIM_400000_NS6detail17trampoline_kernelINS0_14default_configENS1_25partition_config_selectorILNS1_17partition_subalgoE8EiNS0_10empty_typeEbEEZZNS1_14partition_implILS5_8ELb0ES3_jN6thrust23THRUST_200600_302600_NS6detail15normal_iteratorINSA_10device_ptrIiEEEEPS6_PKS6_NS0_5tupleIJNSA_16discard_iteratorINSA_11use_defaultEEES6_EEENSJ_IJSG_SG_EEENS0_18inequality_wrapperINSA_8equal_toIiEEEEPmJS6_EEE10hipError_tPvRmT3_T4_T5_T6_T7_T9_mT8_P12ihipStream_tbDpT10_ENKUlT_T0_E_clISt17integral_constantIbLb1EES1D_EEDaS18_S19_EUlS18_E_NS1_11comp_targetILNS1_3genE8ELNS1_11target_archE1030ELNS1_3gpuE2ELNS1_3repE0EEENS1_30default_config_static_selectorELNS0_4arch9wavefront6targetE1EEEvT1_,"axG",@progbits,_ZN7rocprim17ROCPRIM_400000_NS6detail17trampoline_kernelINS0_14default_configENS1_25partition_config_selectorILNS1_17partition_subalgoE8EiNS0_10empty_typeEbEEZZNS1_14partition_implILS5_8ELb0ES3_jN6thrust23THRUST_200600_302600_NS6detail15normal_iteratorINSA_10device_ptrIiEEEEPS6_PKS6_NS0_5tupleIJNSA_16discard_iteratorINSA_11use_defaultEEES6_EEENSJ_IJSG_SG_EEENS0_18inequality_wrapperINSA_8equal_toIiEEEEPmJS6_EEE10hipError_tPvRmT3_T4_T5_T6_T7_T9_mT8_P12ihipStream_tbDpT10_ENKUlT_T0_E_clISt17integral_constantIbLb1EES1D_EEDaS18_S19_EUlS18_E_NS1_11comp_targetILNS1_3genE8ELNS1_11target_archE1030ELNS1_3gpuE2ELNS1_3repE0EEENS1_30default_config_static_selectorELNS0_4arch9wavefront6targetE1EEEvT1_,comdat
.Lfunc_end676:
	.size	_ZN7rocprim17ROCPRIM_400000_NS6detail17trampoline_kernelINS0_14default_configENS1_25partition_config_selectorILNS1_17partition_subalgoE8EiNS0_10empty_typeEbEEZZNS1_14partition_implILS5_8ELb0ES3_jN6thrust23THRUST_200600_302600_NS6detail15normal_iteratorINSA_10device_ptrIiEEEEPS6_PKS6_NS0_5tupleIJNSA_16discard_iteratorINSA_11use_defaultEEES6_EEENSJ_IJSG_SG_EEENS0_18inequality_wrapperINSA_8equal_toIiEEEEPmJS6_EEE10hipError_tPvRmT3_T4_T5_T6_T7_T9_mT8_P12ihipStream_tbDpT10_ENKUlT_T0_E_clISt17integral_constantIbLb1EES1D_EEDaS18_S19_EUlS18_E_NS1_11comp_targetILNS1_3genE8ELNS1_11target_archE1030ELNS1_3gpuE2ELNS1_3repE0EEENS1_30default_config_static_selectorELNS0_4arch9wavefront6targetE1EEEvT1_, .Lfunc_end676-_ZN7rocprim17ROCPRIM_400000_NS6detail17trampoline_kernelINS0_14default_configENS1_25partition_config_selectorILNS1_17partition_subalgoE8EiNS0_10empty_typeEbEEZZNS1_14partition_implILS5_8ELb0ES3_jN6thrust23THRUST_200600_302600_NS6detail15normal_iteratorINSA_10device_ptrIiEEEEPS6_PKS6_NS0_5tupleIJNSA_16discard_iteratorINSA_11use_defaultEEES6_EEENSJ_IJSG_SG_EEENS0_18inequality_wrapperINSA_8equal_toIiEEEEPmJS6_EEE10hipError_tPvRmT3_T4_T5_T6_T7_T9_mT8_P12ihipStream_tbDpT10_ENKUlT_T0_E_clISt17integral_constantIbLb1EES1D_EEDaS18_S19_EUlS18_E_NS1_11comp_targetILNS1_3genE8ELNS1_11target_archE1030ELNS1_3gpuE2ELNS1_3repE0EEENS1_30default_config_static_selectorELNS0_4arch9wavefront6targetE1EEEvT1_
                                        ; -- End function
	.set _ZN7rocprim17ROCPRIM_400000_NS6detail17trampoline_kernelINS0_14default_configENS1_25partition_config_selectorILNS1_17partition_subalgoE8EiNS0_10empty_typeEbEEZZNS1_14partition_implILS5_8ELb0ES3_jN6thrust23THRUST_200600_302600_NS6detail15normal_iteratorINSA_10device_ptrIiEEEEPS6_PKS6_NS0_5tupleIJNSA_16discard_iteratorINSA_11use_defaultEEES6_EEENSJ_IJSG_SG_EEENS0_18inequality_wrapperINSA_8equal_toIiEEEEPmJS6_EEE10hipError_tPvRmT3_T4_T5_T6_T7_T9_mT8_P12ihipStream_tbDpT10_ENKUlT_T0_E_clISt17integral_constantIbLb1EES1D_EEDaS18_S19_EUlS18_E_NS1_11comp_targetILNS1_3genE8ELNS1_11target_archE1030ELNS1_3gpuE2ELNS1_3repE0EEENS1_30default_config_static_selectorELNS0_4arch9wavefront6targetE1EEEvT1_.num_vgpr, 0
	.set _ZN7rocprim17ROCPRIM_400000_NS6detail17trampoline_kernelINS0_14default_configENS1_25partition_config_selectorILNS1_17partition_subalgoE8EiNS0_10empty_typeEbEEZZNS1_14partition_implILS5_8ELb0ES3_jN6thrust23THRUST_200600_302600_NS6detail15normal_iteratorINSA_10device_ptrIiEEEEPS6_PKS6_NS0_5tupleIJNSA_16discard_iteratorINSA_11use_defaultEEES6_EEENSJ_IJSG_SG_EEENS0_18inequality_wrapperINSA_8equal_toIiEEEEPmJS6_EEE10hipError_tPvRmT3_T4_T5_T6_T7_T9_mT8_P12ihipStream_tbDpT10_ENKUlT_T0_E_clISt17integral_constantIbLb1EES1D_EEDaS18_S19_EUlS18_E_NS1_11comp_targetILNS1_3genE8ELNS1_11target_archE1030ELNS1_3gpuE2ELNS1_3repE0EEENS1_30default_config_static_selectorELNS0_4arch9wavefront6targetE1EEEvT1_.num_agpr, 0
	.set _ZN7rocprim17ROCPRIM_400000_NS6detail17trampoline_kernelINS0_14default_configENS1_25partition_config_selectorILNS1_17partition_subalgoE8EiNS0_10empty_typeEbEEZZNS1_14partition_implILS5_8ELb0ES3_jN6thrust23THRUST_200600_302600_NS6detail15normal_iteratorINSA_10device_ptrIiEEEEPS6_PKS6_NS0_5tupleIJNSA_16discard_iteratorINSA_11use_defaultEEES6_EEENSJ_IJSG_SG_EEENS0_18inequality_wrapperINSA_8equal_toIiEEEEPmJS6_EEE10hipError_tPvRmT3_T4_T5_T6_T7_T9_mT8_P12ihipStream_tbDpT10_ENKUlT_T0_E_clISt17integral_constantIbLb1EES1D_EEDaS18_S19_EUlS18_E_NS1_11comp_targetILNS1_3genE8ELNS1_11target_archE1030ELNS1_3gpuE2ELNS1_3repE0EEENS1_30default_config_static_selectorELNS0_4arch9wavefront6targetE1EEEvT1_.numbered_sgpr, 0
	.set _ZN7rocprim17ROCPRIM_400000_NS6detail17trampoline_kernelINS0_14default_configENS1_25partition_config_selectorILNS1_17partition_subalgoE8EiNS0_10empty_typeEbEEZZNS1_14partition_implILS5_8ELb0ES3_jN6thrust23THRUST_200600_302600_NS6detail15normal_iteratorINSA_10device_ptrIiEEEEPS6_PKS6_NS0_5tupleIJNSA_16discard_iteratorINSA_11use_defaultEEES6_EEENSJ_IJSG_SG_EEENS0_18inequality_wrapperINSA_8equal_toIiEEEEPmJS6_EEE10hipError_tPvRmT3_T4_T5_T6_T7_T9_mT8_P12ihipStream_tbDpT10_ENKUlT_T0_E_clISt17integral_constantIbLb1EES1D_EEDaS18_S19_EUlS18_E_NS1_11comp_targetILNS1_3genE8ELNS1_11target_archE1030ELNS1_3gpuE2ELNS1_3repE0EEENS1_30default_config_static_selectorELNS0_4arch9wavefront6targetE1EEEvT1_.num_named_barrier, 0
	.set _ZN7rocprim17ROCPRIM_400000_NS6detail17trampoline_kernelINS0_14default_configENS1_25partition_config_selectorILNS1_17partition_subalgoE8EiNS0_10empty_typeEbEEZZNS1_14partition_implILS5_8ELb0ES3_jN6thrust23THRUST_200600_302600_NS6detail15normal_iteratorINSA_10device_ptrIiEEEEPS6_PKS6_NS0_5tupleIJNSA_16discard_iteratorINSA_11use_defaultEEES6_EEENSJ_IJSG_SG_EEENS0_18inequality_wrapperINSA_8equal_toIiEEEEPmJS6_EEE10hipError_tPvRmT3_T4_T5_T6_T7_T9_mT8_P12ihipStream_tbDpT10_ENKUlT_T0_E_clISt17integral_constantIbLb1EES1D_EEDaS18_S19_EUlS18_E_NS1_11comp_targetILNS1_3genE8ELNS1_11target_archE1030ELNS1_3gpuE2ELNS1_3repE0EEENS1_30default_config_static_selectorELNS0_4arch9wavefront6targetE1EEEvT1_.private_seg_size, 0
	.set _ZN7rocprim17ROCPRIM_400000_NS6detail17trampoline_kernelINS0_14default_configENS1_25partition_config_selectorILNS1_17partition_subalgoE8EiNS0_10empty_typeEbEEZZNS1_14partition_implILS5_8ELb0ES3_jN6thrust23THRUST_200600_302600_NS6detail15normal_iteratorINSA_10device_ptrIiEEEEPS6_PKS6_NS0_5tupleIJNSA_16discard_iteratorINSA_11use_defaultEEES6_EEENSJ_IJSG_SG_EEENS0_18inequality_wrapperINSA_8equal_toIiEEEEPmJS6_EEE10hipError_tPvRmT3_T4_T5_T6_T7_T9_mT8_P12ihipStream_tbDpT10_ENKUlT_T0_E_clISt17integral_constantIbLb1EES1D_EEDaS18_S19_EUlS18_E_NS1_11comp_targetILNS1_3genE8ELNS1_11target_archE1030ELNS1_3gpuE2ELNS1_3repE0EEENS1_30default_config_static_selectorELNS0_4arch9wavefront6targetE1EEEvT1_.uses_vcc, 0
	.set _ZN7rocprim17ROCPRIM_400000_NS6detail17trampoline_kernelINS0_14default_configENS1_25partition_config_selectorILNS1_17partition_subalgoE8EiNS0_10empty_typeEbEEZZNS1_14partition_implILS5_8ELb0ES3_jN6thrust23THRUST_200600_302600_NS6detail15normal_iteratorINSA_10device_ptrIiEEEEPS6_PKS6_NS0_5tupleIJNSA_16discard_iteratorINSA_11use_defaultEEES6_EEENSJ_IJSG_SG_EEENS0_18inequality_wrapperINSA_8equal_toIiEEEEPmJS6_EEE10hipError_tPvRmT3_T4_T5_T6_T7_T9_mT8_P12ihipStream_tbDpT10_ENKUlT_T0_E_clISt17integral_constantIbLb1EES1D_EEDaS18_S19_EUlS18_E_NS1_11comp_targetILNS1_3genE8ELNS1_11target_archE1030ELNS1_3gpuE2ELNS1_3repE0EEENS1_30default_config_static_selectorELNS0_4arch9wavefront6targetE1EEEvT1_.uses_flat_scratch, 0
	.set _ZN7rocprim17ROCPRIM_400000_NS6detail17trampoline_kernelINS0_14default_configENS1_25partition_config_selectorILNS1_17partition_subalgoE8EiNS0_10empty_typeEbEEZZNS1_14partition_implILS5_8ELb0ES3_jN6thrust23THRUST_200600_302600_NS6detail15normal_iteratorINSA_10device_ptrIiEEEEPS6_PKS6_NS0_5tupleIJNSA_16discard_iteratorINSA_11use_defaultEEES6_EEENSJ_IJSG_SG_EEENS0_18inequality_wrapperINSA_8equal_toIiEEEEPmJS6_EEE10hipError_tPvRmT3_T4_T5_T6_T7_T9_mT8_P12ihipStream_tbDpT10_ENKUlT_T0_E_clISt17integral_constantIbLb1EES1D_EEDaS18_S19_EUlS18_E_NS1_11comp_targetILNS1_3genE8ELNS1_11target_archE1030ELNS1_3gpuE2ELNS1_3repE0EEENS1_30default_config_static_selectorELNS0_4arch9wavefront6targetE1EEEvT1_.has_dyn_sized_stack, 0
	.set _ZN7rocprim17ROCPRIM_400000_NS6detail17trampoline_kernelINS0_14default_configENS1_25partition_config_selectorILNS1_17partition_subalgoE8EiNS0_10empty_typeEbEEZZNS1_14partition_implILS5_8ELb0ES3_jN6thrust23THRUST_200600_302600_NS6detail15normal_iteratorINSA_10device_ptrIiEEEEPS6_PKS6_NS0_5tupleIJNSA_16discard_iteratorINSA_11use_defaultEEES6_EEENSJ_IJSG_SG_EEENS0_18inequality_wrapperINSA_8equal_toIiEEEEPmJS6_EEE10hipError_tPvRmT3_T4_T5_T6_T7_T9_mT8_P12ihipStream_tbDpT10_ENKUlT_T0_E_clISt17integral_constantIbLb1EES1D_EEDaS18_S19_EUlS18_E_NS1_11comp_targetILNS1_3genE8ELNS1_11target_archE1030ELNS1_3gpuE2ELNS1_3repE0EEENS1_30default_config_static_selectorELNS0_4arch9wavefront6targetE1EEEvT1_.has_recursion, 0
	.set _ZN7rocprim17ROCPRIM_400000_NS6detail17trampoline_kernelINS0_14default_configENS1_25partition_config_selectorILNS1_17partition_subalgoE8EiNS0_10empty_typeEbEEZZNS1_14partition_implILS5_8ELb0ES3_jN6thrust23THRUST_200600_302600_NS6detail15normal_iteratorINSA_10device_ptrIiEEEEPS6_PKS6_NS0_5tupleIJNSA_16discard_iteratorINSA_11use_defaultEEES6_EEENSJ_IJSG_SG_EEENS0_18inequality_wrapperINSA_8equal_toIiEEEEPmJS6_EEE10hipError_tPvRmT3_T4_T5_T6_T7_T9_mT8_P12ihipStream_tbDpT10_ENKUlT_T0_E_clISt17integral_constantIbLb1EES1D_EEDaS18_S19_EUlS18_E_NS1_11comp_targetILNS1_3genE8ELNS1_11target_archE1030ELNS1_3gpuE2ELNS1_3repE0EEENS1_30default_config_static_selectorELNS0_4arch9wavefront6targetE1EEEvT1_.has_indirect_call, 0
	.section	.AMDGPU.csdata,"",@progbits
; Kernel info:
; codeLenInByte = 0
; TotalNumSgprs: 4
; NumVgprs: 0
; ScratchSize: 0
; MemoryBound: 0
; FloatMode: 240
; IeeeMode: 1
; LDSByteSize: 0 bytes/workgroup (compile time only)
; SGPRBlocks: 0
; VGPRBlocks: 0
; NumSGPRsForWavesPerEU: 4
; NumVGPRsForWavesPerEU: 1
; Occupancy: 10
; WaveLimiterHint : 0
; COMPUTE_PGM_RSRC2:SCRATCH_EN: 0
; COMPUTE_PGM_RSRC2:USER_SGPR: 6
; COMPUTE_PGM_RSRC2:TRAP_HANDLER: 0
; COMPUTE_PGM_RSRC2:TGID_X_EN: 1
; COMPUTE_PGM_RSRC2:TGID_Y_EN: 0
; COMPUTE_PGM_RSRC2:TGID_Z_EN: 0
; COMPUTE_PGM_RSRC2:TIDIG_COMP_CNT: 0
	.section	.text._ZN7rocprim17ROCPRIM_400000_NS6detail17trampoline_kernelINS0_14default_configENS1_25partition_config_selectorILNS1_17partition_subalgoE8EiNS0_10empty_typeEbEEZZNS1_14partition_implILS5_8ELb0ES3_jN6thrust23THRUST_200600_302600_NS6detail15normal_iteratorINSA_10device_ptrIiEEEEPS6_PKS6_NS0_5tupleIJNSA_16discard_iteratorINSA_11use_defaultEEES6_EEENSJ_IJSG_SG_EEENS0_18inequality_wrapperINSA_8equal_toIiEEEEPmJS6_EEE10hipError_tPvRmT3_T4_T5_T6_T7_T9_mT8_P12ihipStream_tbDpT10_ENKUlT_T0_E_clISt17integral_constantIbLb1EES1C_IbLb0EEEEDaS18_S19_EUlS18_E_NS1_11comp_targetILNS1_3genE0ELNS1_11target_archE4294967295ELNS1_3gpuE0ELNS1_3repE0EEENS1_30default_config_static_selectorELNS0_4arch9wavefront6targetE1EEEvT1_,"axG",@progbits,_ZN7rocprim17ROCPRIM_400000_NS6detail17trampoline_kernelINS0_14default_configENS1_25partition_config_selectorILNS1_17partition_subalgoE8EiNS0_10empty_typeEbEEZZNS1_14partition_implILS5_8ELb0ES3_jN6thrust23THRUST_200600_302600_NS6detail15normal_iteratorINSA_10device_ptrIiEEEEPS6_PKS6_NS0_5tupleIJNSA_16discard_iteratorINSA_11use_defaultEEES6_EEENSJ_IJSG_SG_EEENS0_18inequality_wrapperINSA_8equal_toIiEEEEPmJS6_EEE10hipError_tPvRmT3_T4_T5_T6_T7_T9_mT8_P12ihipStream_tbDpT10_ENKUlT_T0_E_clISt17integral_constantIbLb1EES1C_IbLb0EEEEDaS18_S19_EUlS18_E_NS1_11comp_targetILNS1_3genE0ELNS1_11target_archE4294967295ELNS1_3gpuE0ELNS1_3repE0EEENS1_30default_config_static_selectorELNS0_4arch9wavefront6targetE1EEEvT1_,comdat
	.protected	_ZN7rocprim17ROCPRIM_400000_NS6detail17trampoline_kernelINS0_14default_configENS1_25partition_config_selectorILNS1_17partition_subalgoE8EiNS0_10empty_typeEbEEZZNS1_14partition_implILS5_8ELb0ES3_jN6thrust23THRUST_200600_302600_NS6detail15normal_iteratorINSA_10device_ptrIiEEEEPS6_PKS6_NS0_5tupleIJNSA_16discard_iteratorINSA_11use_defaultEEES6_EEENSJ_IJSG_SG_EEENS0_18inequality_wrapperINSA_8equal_toIiEEEEPmJS6_EEE10hipError_tPvRmT3_T4_T5_T6_T7_T9_mT8_P12ihipStream_tbDpT10_ENKUlT_T0_E_clISt17integral_constantIbLb1EES1C_IbLb0EEEEDaS18_S19_EUlS18_E_NS1_11comp_targetILNS1_3genE0ELNS1_11target_archE4294967295ELNS1_3gpuE0ELNS1_3repE0EEENS1_30default_config_static_selectorELNS0_4arch9wavefront6targetE1EEEvT1_ ; -- Begin function _ZN7rocprim17ROCPRIM_400000_NS6detail17trampoline_kernelINS0_14default_configENS1_25partition_config_selectorILNS1_17partition_subalgoE8EiNS0_10empty_typeEbEEZZNS1_14partition_implILS5_8ELb0ES3_jN6thrust23THRUST_200600_302600_NS6detail15normal_iteratorINSA_10device_ptrIiEEEEPS6_PKS6_NS0_5tupleIJNSA_16discard_iteratorINSA_11use_defaultEEES6_EEENSJ_IJSG_SG_EEENS0_18inequality_wrapperINSA_8equal_toIiEEEEPmJS6_EEE10hipError_tPvRmT3_T4_T5_T6_T7_T9_mT8_P12ihipStream_tbDpT10_ENKUlT_T0_E_clISt17integral_constantIbLb1EES1C_IbLb0EEEEDaS18_S19_EUlS18_E_NS1_11comp_targetILNS1_3genE0ELNS1_11target_archE4294967295ELNS1_3gpuE0ELNS1_3repE0EEENS1_30default_config_static_selectorELNS0_4arch9wavefront6targetE1EEEvT1_
	.globl	_ZN7rocprim17ROCPRIM_400000_NS6detail17trampoline_kernelINS0_14default_configENS1_25partition_config_selectorILNS1_17partition_subalgoE8EiNS0_10empty_typeEbEEZZNS1_14partition_implILS5_8ELb0ES3_jN6thrust23THRUST_200600_302600_NS6detail15normal_iteratorINSA_10device_ptrIiEEEEPS6_PKS6_NS0_5tupleIJNSA_16discard_iteratorINSA_11use_defaultEEES6_EEENSJ_IJSG_SG_EEENS0_18inequality_wrapperINSA_8equal_toIiEEEEPmJS6_EEE10hipError_tPvRmT3_T4_T5_T6_T7_T9_mT8_P12ihipStream_tbDpT10_ENKUlT_T0_E_clISt17integral_constantIbLb1EES1C_IbLb0EEEEDaS18_S19_EUlS18_E_NS1_11comp_targetILNS1_3genE0ELNS1_11target_archE4294967295ELNS1_3gpuE0ELNS1_3repE0EEENS1_30default_config_static_selectorELNS0_4arch9wavefront6targetE1EEEvT1_
	.p2align	8
	.type	_ZN7rocprim17ROCPRIM_400000_NS6detail17trampoline_kernelINS0_14default_configENS1_25partition_config_selectorILNS1_17partition_subalgoE8EiNS0_10empty_typeEbEEZZNS1_14partition_implILS5_8ELb0ES3_jN6thrust23THRUST_200600_302600_NS6detail15normal_iteratorINSA_10device_ptrIiEEEEPS6_PKS6_NS0_5tupleIJNSA_16discard_iteratorINSA_11use_defaultEEES6_EEENSJ_IJSG_SG_EEENS0_18inequality_wrapperINSA_8equal_toIiEEEEPmJS6_EEE10hipError_tPvRmT3_T4_T5_T6_T7_T9_mT8_P12ihipStream_tbDpT10_ENKUlT_T0_E_clISt17integral_constantIbLb1EES1C_IbLb0EEEEDaS18_S19_EUlS18_E_NS1_11comp_targetILNS1_3genE0ELNS1_11target_archE4294967295ELNS1_3gpuE0ELNS1_3repE0EEENS1_30default_config_static_selectorELNS0_4arch9wavefront6targetE1EEEvT1_,@function
_ZN7rocprim17ROCPRIM_400000_NS6detail17trampoline_kernelINS0_14default_configENS1_25partition_config_selectorILNS1_17partition_subalgoE8EiNS0_10empty_typeEbEEZZNS1_14partition_implILS5_8ELb0ES3_jN6thrust23THRUST_200600_302600_NS6detail15normal_iteratorINSA_10device_ptrIiEEEEPS6_PKS6_NS0_5tupleIJNSA_16discard_iteratorINSA_11use_defaultEEES6_EEENSJ_IJSG_SG_EEENS0_18inequality_wrapperINSA_8equal_toIiEEEEPmJS6_EEE10hipError_tPvRmT3_T4_T5_T6_T7_T9_mT8_P12ihipStream_tbDpT10_ENKUlT_T0_E_clISt17integral_constantIbLb1EES1C_IbLb0EEEEDaS18_S19_EUlS18_E_NS1_11comp_targetILNS1_3genE0ELNS1_11target_archE4294967295ELNS1_3gpuE0ELNS1_3repE0EEENS1_30default_config_static_selectorELNS0_4arch9wavefront6targetE1EEEvT1_: ; @_ZN7rocprim17ROCPRIM_400000_NS6detail17trampoline_kernelINS0_14default_configENS1_25partition_config_selectorILNS1_17partition_subalgoE8EiNS0_10empty_typeEbEEZZNS1_14partition_implILS5_8ELb0ES3_jN6thrust23THRUST_200600_302600_NS6detail15normal_iteratorINSA_10device_ptrIiEEEEPS6_PKS6_NS0_5tupleIJNSA_16discard_iteratorINSA_11use_defaultEEES6_EEENSJ_IJSG_SG_EEENS0_18inequality_wrapperINSA_8equal_toIiEEEEPmJS6_EEE10hipError_tPvRmT3_T4_T5_T6_T7_T9_mT8_P12ihipStream_tbDpT10_ENKUlT_T0_E_clISt17integral_constantIbLb1EES1C_IbLb0EEEEDaS18_S19_EUlS18_E_NS1_11comp_targetILNS1_3genE0ELNS1_11target_archE4294967295ELNS1_3gpuE0ELNS1_3repE0EEENS1_30default_config_static_selectorELNS0_4arch9wavefront6targetE1EEEvT1_
; %bb.0:
	.section	.rodata,"a",@progbits
	.p2align	6, 0x0
	.amdhsa_kernel _ZN7rocprim17ROCPRIM_400000_NS6detail17trampoline_kernelINS0_14default_configENS1_25partition_config_selectorILNS1_17partition_subalgoE8EiNS0_10empty_typeEbEEZZNS1_14partition_implILS5_8ELb0ES3_jN6thrust23THRUST_200600_302600_NS6detail15normal_iteratorINSA_10device_ptrIiEEEEPS6_PKS6_NS0_5tupleIJNSA_16discard_iteratorINSA_11use_defaultEEES6_EEENSJ_IJSG_SG_EEENS0_18inequality_wrapperINSA_8equal_toIiEEEEPmJS6_EEE10hipError_tPvRmT3_T4_T5_T6_T7_T9_mT8_P12ihipStream_tbDpT10_ENKUlT_T0_E_clISt17integral_constantIbLb1EES1C_IbLb0EEEEDaS18_S19_EUlS18_E_NS1_11comp_targetILNS1_3genE0ELNS1_11target_archE4294967295ELNS1_3gpuE0ELNS1_3repE0EEENS1_30default_config_static_selectorELNS0_4arch9wavefront6targetE1EEEvT1_
		.amdhsa_group_segment_fixed_size 0
		.amdhsa_private_segment_fixed_size 0
		.amdhsa_kernarg_size 120
		.amdhsa_user_sgpr_count 6
		.amdhsa_user_sgpr_private_segment_buffer 1
		.amdhsa_user_sgpr_dispatch_ptr 0
		.amdhsa_user_sgpr_queue_ptr 0
		.amdhsa_user_sgpr_kernarg_segment_ptr 1
		.amdhsa_user_sgpr_dispatch_id 0
		.amdhsa_user_sgpr_flat_scratch_init 0
		.amdhsa_user_sgpr_private_segment_size 0
		.amdhsa_uses_dynamic_stack 0
		.amdhsa_system_sgpr_private_segment_wavefront_offset 0
		.amdhsa_system_sgpr_workgroup_id_x 1
		.amdhsa_system_sgpr_workgroup_id_y 0
		.amdhsa_system_sgpr_workgroup_id_z 0
		.amdhsa_system_sgpr_workgroup_info 0
		.amdhsa_system_vgpr_workitem_id 0
		.amdhsa_next_free_vgpr 1
		.amdhsa_next_free_sgpr 0
		.amdhsa_reserve_vcc 0
		.amdhsa_reserve_flat_scratch 0
		.amdhsa_float_round_mode_32 0
		.amdhsa_float_round_mode_16_64 0
		.amdhsa_float_denorm_mode_32 3
		.amdhsa_float_denorm_mode_16_64 3
		.amdhsa_dx10_clamp 1
		.amdhsa_ieee_mode 1
		.amdhsa_fp16_overflow 0
		.amdhsa_exception_fp_ieee_invalid_op 0
		.amdhsa_exception_fp_denorm_src 0
		.amdhsa_exception_fp_ieee_div_zero 0
		.amdhsa_exception_fp_ieee_overflow 0
		.amdhsa_exception_fp_ieee_underflow 0
		.amdhsa_exception_fp_ieee_inexact 0
		.amdhsa_exception_int_div_zero 0
	.end_amdhsa_kernel
	.section	.text._ZN7rocprim17ROCPRIM_400000_NS6detail17trampoline_kernelINS0_14default_configENS1_25partition_config_selectorILNS1_17partition_subalgoE8EiNS0_10empty_typeEbEEZZNS1_14partition_implILS5_8ELb0ES3_jN6thrust23THRUST_200600_302600_NS6detail15normal_iteratorINSA_10device_ptrIiEEEEPS6_PKS6_NS0_5tupleIJNSA_16discard_iteratorINSA_11use_defaultEEES6_EEENSJ_IJSG_SG_EEENS0_18inequality_wrapperINSA_8equal_toIiEEEEPmJS6_EEE10hipError_tPvRmT3_T4_T5_T6_T7_T9_mT8_P12ihipStream_tbDpT10_ENKUlT_T0_E_clISt17integral_constantIbLb1EES1C_IbLb0EEEEDaS18_S19_EUlS18_E_NS1_11comp_targetILNS1_3genE0ELNS1_11target_archE4294967295ELNS1_3gpuE0ELNS1_3repE0EEENS1_30default_config_static_selectorELNS0_4arch9wavefront6targetE1EEEvT1_,"axG",@progbits,_ZN7rocprim17ROCPRIM_400000_NS6detail17trampoline_kernelINS0_14default_configENS1_25partition_config_selectorILNS1_17partition_subalgoE8EiNS0_10empty_typeEbEEZZNS1_14partition_implILS5_8ELb0ES3_jN6thrust23THRUST_200600_302600_NS6detail15normal_iteratorINSA_10device_ptrIiEEEEPS6_PKS6_NS0_5tupleIJNSA_16discard_iteratorINSA_11use_defaultEEES6_EEENSJ_IJSG_SG_EEENS0_18inequality_wrapperINSA_8equal_toIiEEEEPmJS6_EEE10hipError_tPvRmT3_T4_T5_T6_T7_T9_mT8_P12ihipStream_tbDpT10_ENKUlT_T0_E_clISt17integral_constantIbLb1EES1C_IbLb0EEEEDaS18_S19_EUlS18_E_NS1_11comp_targetILNS1_3genE0ELNS1_11target_archE4294967295ELNS1_3gpuE0ELNS1_3repE0EEENS1_30default_config_static_selectorELNS0_4arch9wavefront6targetE1EEEvT1_,comdat
.Lfunc_end677:
	.size	_ZN7rocprim17ROCPRIM_400000_NS6detail17trampoline_kernelINS0_14default_configENS1_25partition_config_selectorILNS1_17partition_subalgoE8EiNS0_10empty_typeEbEEZZNS1_14partition_implILS5_8ELb0ES3_jN6thrust23THRUST_200600_302600_NS6detail15normal_iteratorINSA_10device_ptrIiEEEEPS6_PKS6_NS0_5tupleIJNSA_16discard_iteratorINSA_11use_defaultEEES6_EEENSJ_IJSG_SG_EEENS0_18inequality_wrapperINSA_8equal_toIiEEEEPmJS6_EEE10hipError_tPvRmT3_T4_T5_T6_T7_T9_mT8_P12ihipStream_tbDpT10_ENKUlT_T0_E_clISt17integral_constantIbLb1EES1C_IbLb0EEEEDaS18_S19_EUlS18_E_NS1_11comp_targetILNS1_3genE0ELNS1_11target_archE4294967295ELNS1_3gpuE0ELNS1_3repE0EEENS1_30default_config_static_selectorELNS0_4arch9wavefront6targetE1EEEvT1_, .Lfunc_end677-_ZN7rocprim17ROCPRIM_400000_NS6detail17trampoline_kernelINS0_14default_configENS1_25partition_config_selectorILNS1_17partition_subalgoE8EiNS0_10empty_typeEbEEZZNS1_14partition_implILS5_8ELb0ES3_jN6thrust23THRUST_200600_302600_NS6detail15normal_iteratorINSA_10device_ptrIiEEEEPS6_PKS6_NS0_5tupleIJNSA_16discard_iteratorINSA_11use_defaultEEES6_EEENSJ_IJSG_SG_EEENS0_18inequality_wrapperINSA_8equal_toIiEEEEPmJS6_EEE10hipError_tPvRmT3_T4_T5_T6_T7_T9_mT8_P12ihipStream_tbDpT10_ENKUlT_T0_E_clISt17integral_constantIbLb1EES1C_IbLb0EEEEDaS18_S19_EUlS18_E_NS1_11comp_targetILNS1_3genE0ELNS1_11target_archE4294967295ELNS1_3gpuE0ELNS1_3repE0EEENS1_30default_config_static_selectorELNS0_4arch9wavefront6targetE1EEEvT1_
                                        ; -- End function
	.set _ZN7rocprim17ROCPRIM_400000_NS6detail17trampoline_kernelINS0_14default_configENS1_25partition_config_selectorILNS1_17partition_subalgoE8EiNS0_10empty_typeEbEEZZNS1_14partition_implILS5_8ELb0ES3_jN6thrust23THRUST_200600_302600_NS6detail15normal_iteratorINSA_10device_ptrIiEEEEPS6_PKS6_NS0_5tupleIJNSA_16discard_iteratorINSA_11use_defaultEEES6_EEENSJ_IJSG_SG_EEENS0_18inequality_wrapperINSA_8equal_toIiEEEEPmJS6_EEE10hipError_tPvRmT3_T4_T5_T6_T7_T9_mT8_P12ihipStream_tbDpT10_ENKUlT_T0_E_clISt17integral_constantIbLb1EES1C_IbLb0EEEEDaS18_S19_EUlS18_E_NS1_11comp_targetILNS1_3genE0ELNS1_11target_archE4294967295ELNS1_3gpuE0ELNS1_3repE0EEENS1_30default_config_static_selectorELNS0_4arch9wavefront6targetE1EEEvT1_.num_vgpr, 0
	.set _ZN7rocprim17ROCPRIM_400000_NS6detail17trampoline_kernelINS0_14default_configENS1_25partition_config_selectorILNS1_17partition_subalgoE8EiNS0_10empty_typeEbEEZZNS1_14partition_implILS5_8ELb0ES3_jN6thrust23THRUST_200600_302600_NS6detail15normal_iteratorINSA_10device_ptrIiEEEEPS6_PKS6_NS0_5tupleIJNSA_16discard_iteratorINSA_11use_defaultEEES6_EEENSJ_IJSG_SG_EEENS0_18inequality_wrapperINSA_8equal_toIiEEEEPmJS6_EEE10hipError_tPvRmT3_T4_T5_T6_T7_T9_mT8_P12ihipStream_tbDpT10_ENKUlT_T0_E_clISt17integral_constantIbLb1EES1C_IbLb0EEEEDaS18_S19_EUlS18_E_NS1_11comp_targetILNS1_3genE0ELNS1_11target_archE4294967295ELNS1_3gpuE0ELNS1_3repE0EEENS1_30default_config_static_selectorELNS0_4arch9wavefront6targetE1EEEvT1_.num_agpr, 0
	.set _ZN7rocprim17ROCPRIM_400000_NS6detail17trampoline_kernelINS0_14default_configENS1_25partition_config_selectorILNS1_17partition_subalgoE8EiNS0_10empty_typeEbEEZZNS1_14partition_implILS5_8ELb0ES3_jN6thrust23THRUST_200600_302600_NS6detail15normal_iteratorINSA_10device_ptrIiEEEEPS6_PKS6_NS0_5tupleIJNSA_16discard_iteratorINSA_11use_defaultEEES6_EEENSJ_IJSG_SG_EEENS0_18inequality_wrapperINSA_8equal_toIiEEEEPmJS6_EEE10hipError_tPvRmT3_T4_T5_T6_T7_T9_mT8_P12ihipStream_tbDpT10_ENKUlT_T0_E_clISt17integral_constantIbLb1EES1C_IbLb0EEEEDaS18_S19_EUlS18_E_NS1_11comp_targetILNS1_3genE0ELNS1_11target_archE4294967295ELNS1_3gpuE0ELNS1_3repE0EEENS1_30default_config_static_selectorELNS0_4arch9wavefront6targetE1EEEvT1_.numbered_sgpr, 0
	.set _ZN7rocprim17ROCPRIM_400000_NS6detail17trampoline_kernelINS0_14default_configENS1_25partition_config_selectorILNS1_17partition_subalgoE8EiNS0_10empty_typeEbEEZZNS1_14partition_implILS5_8ELb0ES3_jN6thrust23THRUST_200600_302600_NS6detail15normal_iteratorINSA_10device_ptrIiEEEEPS6_PKS6_NS0_5tupleIJNSA_16discard_iteratorINSA_11use_defaultEEES6_EEENSJ_IJSG_SG_EEENS0_18inequality_wrapperINSA_8equal_toIiEEEEPmJS6_EEE10hipError_tPvRmT3_T4_T5_T6_T7_T9_mT8_P12ihipStream_tbDpT10_ENKUlT_T0_E_clISt17integral_constantIbLb1EES1C_IbLb0EEEEDaS18_S19_EUlS18_E_NS1_11comp_targetILNS1_3genE0ELNS1_11target_archE4294967295ELNS1_3gpuE0ELNS1_3repE0EEENS1_30default_config_static_selectorELNS0_4arch9wavefront6targetE1EEEvT1_.num_named_barrier, 0
	.set _ZN7rocprim17ROCPRIM_400000_NS6detail17trampoline_kernelINS0_14default_configENS1_25partition_config_selectorILNS1_17partition_subalgoE8EiNS0_10empty_typeEbEEZZNS1_14partition_implILS5_8ELb0ES3_jN6thrust23THRUST_200600_302600_NS6detail15normal_iteratorINSA_10device_ptrIiEEEEPS6_PKS6_NS0_5tupleIJNSA_16discard_iteratorINSA_11use_defaultEEES6_EEENSJ_IJSG_SG_EEENS0_18inequality_wrapperINSA_8equal_toIiEEEEPmJS6_EEE10hipError_tPvRmT3_T4_T5_T6_T7_T9_mT8_P12ihipStream_tbDpT10_ENKUlT_T0_E_clISt17integral_constantIbLb1EES1C_IbLb0EEEEDaS18_S19_EUlS18_E_NS1_11comp_targetILNS1_3genE0ELNS1_11target_archE4294967295ELNS1_3gpuE0ELNS1_3repE0EEENS1_30default_config_static_selectorELNS0_4arch9wavefront6targetE1EEEvT1_.private_seg_size, 0
	.set _ZN7rocprim17ROCPRIM_400000_NS6detail17trampoline_kernelINS0_14default_configENS1_25partition_config_selectorILNS1_17partition_subalgoE8EiNS0_10empty_typeEbEEZZNS1_14partition_implILS5_8ELb0ES3_jN6thrust23THRUST_200600_302600_NS6detail15normal_iteratorINSA_10device_ptrIiEEEEPS6_PKS6_NS0_5tupleIJNSA_16discard_iteratorINSA_11use_defaultEEES6_EEENSJ_IJSG_SG_EEENS0_18inequality_wrapperINSA_8equal_toIiEEEEPmJS6_EEE10hipError_tPvRmT3_T4_T5_T6_T7_T9_mT8_P12ihipStream_tbDpT10_ENKUlT_T0_E_clISt17integral_constantIbLb1EES1C_IbLb0EEEEDaS18_S19_EUlS18_E_NS1_11comp_targetILNS1_3genE0ELNS1_11target_archE4294967295ELNS1_3gpuE0ELNS1_3repE0EEENS1_30default_config_static_selectorELNS0_4arch9wavefront6targetE1EEEvT1_.uses_vcc, 0
	.set _ZN7rocprim17ROCPRIM_400000_NS6detail17trampoline_kernelINS0_14default_configENS1_25partition_config_selectorILNS1_17partition_subalgoE8EiNS0_10empty_typeEbEEZZNS1_14partition_implILS5_8ELb0ES3_jN6thrust23THRUST_200600_302600_NS6detail15normal_iteratorINSA_10device_ptrIiEEEEPS6_PKS6_NS0_5tupleIJNSA_16discard_iteratorINSA_11use_defaultEEES6_EEENSJ_IJSG_SG_EEENS0_18inequality_wrapperINSA_8equal_toIiEEEEPmJS6_EEE10hipError_tPvRmT3_T4_T5_T6_T7_T9_mT8_P12ihipStream_tbDpT10_ENKUlT_T0_E_clISt17integral_constantIbLb1EES1C_IbLb0EEEEDaS18_S19_EUlS18_E_NS1_11comp_targetILNS1_3genE0ELNS1_11target_archE4294967295ELNS1_3gpuE0ELNS1_3repE0EEENS1_30default_config_static_selectorELNS0_4arch9wavefront6targetE1EEEvT1_.uses_flat_scratch, 0
	.set _ZN7rocprim17ROCPRIM_400000_NS6detail17trampoline_kernelINS0_14default_configENS1_25partition_config_selectorILNS1_17partition_subalgoE8EiNS0_10empty_typeEbEEZZNS1_14partition_implILS5_8ELb0ES3_jN6thrust23THRUST_200600_302600_NS6detail15normal_iteratorINSA_10device_ptrIiEEEEPS6_PKS6_NS0_5tupleIJNSA_16discard_iteratorINSA_11use_defaultEEES6_EEENSJ_IJSG_SG_EEENS0_18inequality_wrapperINSA_8equal_toIiEEEEPmJS6_EEE10hipError_tPvRmT3_T4_T5_T6_T7_T9_mT8_P12ihipStream_tbDpT10_ENKUlT_T0_E_clISt17integral_constantIbLb1EES1C_IbLb0EEEEDaS18_S19_EUlS18_E_NS1_11comp_targetILNS1_3genE0ELNS1_11target_archE4294967295ELNS1_3gpuE0ELNS1_3repE0EEENS1_30default_config_static_selectorELNS0_4arch9wavefront6targetE1EEEvT1_.has_dyn_sized_stack, 0
	.set _ZN7rocprim17ROCPRIM_400000_NS6detail17trampoline_kernelINS0_14default_configENS1_25partition_config_selectorILNS1_17partition_subalgoE8EiNS0_10empty_typeEbEEZZNS1_14partition_implILS5_8ELb0ES3_jN6thrust23THRUST_200600_302600_NS6detail15normal_iteratorINSA_10device_ptrIiEEEEPS6_PKS6_NS0_5tupleIJNSA_16discard_iteratorINSA_11use_defaultEEES6_EEENSJ_IJSG_SG_EEENS0_18inequality_wrapperINSA_8equal_toIiEEEEPmJS6_EEE10hipError_tPvRmT3_T4_T5_T6_T7_T9_mT8_P12ihipStream_tbDpT10_ENKUlT_T0_E_clISt17integral_constantIbLb1EES1C_IbLb0EEEEDaS18_S19_EUlS18_E_NS1_11comp_targetILNS1_3genE0ELNS1_11target_archE4294967295ELNS1_3gpuE0ELNS1_3repE0EEENS1_30default_config_static_selectorELNS0_4arch9wavefront6targetE1EEEvT1_.has_recursion, 0
	.set _ZN7rocprim17ROCPRIM_400000_NS6detail17trampoline_kernelINS0_14default_configENS1_25partition_config_selectorILNS1_17partition_subalgoE8EiNS0_10empty_typeEbEEZZNS1_14partition_implILS5_8ELb0ES3_jN6thrust23THRUST_200600_302600_NS6detail15normal_iteratorINSA_10device_ptrIiEEEEPS6_PKS6_NS0_5tupleIJNSA_16discard_iteratorINSA_11use_defaultEEES6_EEENSJ_IJSG_SG_EEENS0_18inequality_wrapperINSA_8equal_toIiEEEEPmJS6_EEE10hipError_tPvRmT3_T4_T5_T6_T7_T9_mT8_P12ihipStream_tbDpT10_ENKUlT_T0_E_clISt17integral_constantIbLb1EES1C_IbLb0EEEEDaS18_S19_EUlS18_E_NS1_11comp_targetILNS1_3genE0ELNS1_11target_archE4294967295ELNS1_3gpuE0ELNS1_3repE0EEENS1_30default_config_static_selectorELNS0_4arch9wavefront6targetE1EEEvT1_.has_indirect_call, 0
	.section	.AMDGPU.csdata,"",@progbits
; Kernel info:
; codeLenInByte = 0
; TotalNumSgprs: 4
; NumVgprs: 0
; ScratchSize: 0
; MemoryBound: 0
; FloatMode: 240
; IeeeMode: 1
; LDSByteSize: 0 bytes/workgroup (compile time only)
; SGPRBlocks: 0
; VGPRBlocks: 0
; NumSGPRsForWavesPerEU: 4
; NumVGPRsForWavesPerEU: 1
; Occupancy: 10
; WaveLimiterHint : 0
; COMPUTE_PGM_RSRC2:SCRATCH_EN: 0
; COMPUTE_PGM_RSRC2:USER_SGPR: 6
; COMPUTE_PGM_RSRC2:TRAP_HANDLER: 0
; COMPUTE_PGM_RSRC2:TGID_X_EN: 1
; COMPUTE_PGM_RSRC2:TGID_Y_EN: 0
; COMPUTE_PGM_RSRC2:TGID_Z_EN: 0
; COMPUTE_PGM_RSRC2:TIDIG_COMP_CNT: 0
	.section	.text._ZN7rocprim17ROCPRIM_400000_NS6detail17trampoline_kernelINS0_14default_configENS1_25partition_config_selectorILNS1_17partition_subalgoE8EiNS0_10empty_typeEbEEZZNS1_14partition_implILS5_8ELb0ES3_jN6thrust23THRUST_200600_302600_NS6detail15normal_iteratorINSA_10device_ptrIiEEEEPS6_PKS6_NS0_5tupleIJNSA_16discard_iteratorINSA_11use_defaultEEES6_EEENSJ_IJSG_SG_EEENS0_18inequality_wrapperINSA_8equal_toIiEEEEPmJS6_EEE10hipError_tPvRmT3_T4_T5_T6_T7_T9_mT8_P12ihipStream_tbDpT10_ENKUlT_T0_E_clISt17integral_constantIbLb1EES1C_IbLb0EEEEDaS18_S19_EUlS18_E_NS1_11comp_targetILNS1_3genE5ELNS1_11target_archE942ELNS1_3gpuE9ELNS1_3repE0EEENS1_30default_config_static_selectorELNS0_4arch9wavefront6targetE1EEEvT1_,"axG",@progbits,_ZN7rocprim17ROCPRIM_400000_NS6detail17trampoline_kernelINS0_14default_configENS1_25partition_config_selectorILNS1_17partition_subalgoE8EiNS0_10empty_typeEbEEZZNS1_14partition_implILS5_8ELb0ES3_jN6thrust23THRUST_200600_302600_NS6detail15normal_iteratorINSA_10device_ptrIiEEEEPS6_PKS6_NS0_5tupleIJNSA_16discard_iteratorINSA_11use_defaultEEES6_EEENSJ_IJSG_SG_EEENS0_18inequality_wrapperINSA_8equal_toIiEEEEPmJS6_EEE10hipError_tPvRmT3_T4_T5_T6_T7_T9_mT8_P12ihipStream_tbDpT10_ENKUlT_T0_E_clISt17integral_constantIbLb1EES1C_IbLb0EEEEDaS18_S19_EUlS18_E_NS1_11comp_targetILNS1_3genE5ELNS1_11target_archE942ELNS1_3gpuE9ELNS1_3repE0EEENS1_30default_config_static_selectorELNS0_4arch9wavefront6targetE1EEEvT1_,comdat
	.protected	_ZN7rocprim17ROCPRIM_400000_NS6detail17trampoline_kernelINS0_14default_configENS1_25partition_config_selectorILNS1_17partition_subalgoE8EiNS0_10empty_typeEbEEZZNS1_14partition_implILS5_8ELb0ES3_jN6thrust23THRUST_200600_302600_NS6detail15normal_iteratorINSA_10device_ptrIiEEEEPS6_PKS6_NS0_5tupleIJNSA_16discard_iteratorINSA_11use_defaultEEES6_EEENSJ_IJSG_SG_EEENS0_18inequality_wrapperINSA_8equal_toIiEEEEPmJS6_EEE10hipError_tPvRmT3_T4_T5_T6_T7_T9_mT8_P12ihipStream_tbDpT10_ENKUlT_T0_E_clISt17integral_constantIbLb1EES1C_IbLb0EEEEDaS18_S19_EUlS18_E_NS1_11comp_targetILNS1_3genE5ELNS1_11target_archE942ELNS1_3gpuE9ELNS1_3repE0EEENS1_30default_config_static_selectorELNS0_4arch9wavefront6targetE1EEEvT1_ ; -- Begin function _ZN7rocprim17ROCPRIM_400000_NS6detail17trampoline_kernelINS0_14default_configENS1_25partition_config_selectorILNS1_17partition_subalgoE8EiNS0_10empty_typeEbEEZZNS1_14partition_implILS5_8ELb0ES3_jN6thrust23THRUST_200600_302600_NS6detail15normal_iteratorINSA_10device_ptrIiEEEEPS6_PKS6_NS0_5tupleIJNSA_16discard_iteratorINSA_11use_defaultEEES6_EEENSJ_IJSG_SG_EEENS0_18inequality_wrapperINSA_8equal_toIiEEEEPmJS6_EEE10hipError_tPvRmT3_T4_T5_T6_T7_T9_mT8_P12ihipStream_tbDpT10_ENKUlT_T0_E_clISt17integral_constantIbLb1EES1C_IbLb0EEEEDaS18_S19_EUlS18_E_NS1_11comp_targetILNS1_3genE5ELNS1_11target_archE942ELNS1_3gpuE9ELNS1_3repE0EEENS1_30default_config_static_selectorELNS0_4arch9wavefront6targetE1EEEvT1_
	.globl	_ZN7rocprim17ROCPRIM_400000_NS6detail17trampoline_kernelINS0_14default_configENS1_25partition_config_selectorILNS1_17partition_subalgoE8EiNS0_10empty_typeEbEEZZNS1_14partition_implILS5_8ELb0ES3_jN6thrust23THRUST_200600_302600_NS6detail15normal_iteratorINSA_10device_ptrIiEEEEPS6_PKS6_NS0_5tupleIJNSA_16discard_iteratorINSA_11use_defaultEEES6_EEENSJ_IJSG_SG_EEENS0_18inequality_wrapperINSA_8equal_toIiEEEEPmJS6_EEE10hipError_tPvRmT3_T4_T5_T6_T7_T9_mT8_P12ihipStream_tbDpT10_ENKUlT_T0_E_clISt17integral_constantIbLb1EES1C_IbLb0EEEEDaS18_S19_EUlS18_E_NS1_11comp_targetILNS1_3genE5ELNS1_11target_archE942ELNS1_3gpuE9ELNS1_3repE0EEENS1_30default_config_static_selectorELNS0_4arch9wavefront6targetE1EEEvT1_
	.p2align	8
	.type	_ZN7rocprim17ROCPRIM_400000_NS6detail17trampoline_kernelINS0_14default_configENS1_25partition_config_selectorILNS1_17partition_subalgoE8EiNS0_10empty_typeEbEEZZNS1_14partition_implILS5_8ELb0ES3_jN6thrust23THRUST_200600_302600_NS6detail15normal_iteratorINSA_10device_ptrIiEEEEPS6_PKS6_NS0_5tupleIJNSA_16discard_iteratorINSA_11use_defaultEEES6_EEENSJ_IJSG_SG_EEENS0_18inequality_wrapperINSA_8equal_toIiEEEEPmJS6_EEE10hipError_tPvRmT3_T4_T5_T6_T7_T9_mT8_P12ihipStream_tbDpT10_ENKUlT_T0_E_clISt17integral_constantIbLb1EES1C_IbLb0EEEEDaS18_S19_EUlS18_E_NS1_11comp_targetILNS1_3genE5ELNS1_11target_archE942ELNS1_3gpuE9ELNS1_3repE0EEENS1_30default_config_static_selectorELNS0_4arch9wavefront6targetE1EEEvT1_,@function
_ZN7rocprim17ROCPRIM_400000_NS6detail17trampoline_kernelINS0_14default_configENS1_25partition_config_selectorILNS1_17partition_subalgoE8EiNS0_10empty_typeEbEEZZNS1_14partition_implILS5_8ELb0ES3_jN6thrust23THRUST_200600_302600_NS6detail15normal_iteratorINSA_10device_ptrIiEEEEPS6_PKS6_NS0_5tupleIJNSA_16discard_iteratorINSA_11use_defaultEEES6_EEENSJ_IJSG_SG_EEENS0_18inequality_wrapperINSA_8equal_toIiEEEEPmJS6_EEE10hipError_tPvRmT3_T4_T5_T6_T7_T9_mT8_P12ihipStream_tbDpT10_ENKUlT_T0_E_clISt17integral_constantIbLb1EES1C_IbLb0EEEEDaS18_S19_EUlS18_E_NS1_11comp_targetILNS1_3genE5ELNS1_11target_archE942ELNS1_3gpuE9ELNS1_3repE0EEENS1_30default_config_static_selectorELNS0_4arch9wavefront6targetE1EEEvT1_: ; @_ZN7rocprim17ROCPRIM_400000_NS6detail17trampoline_kernelINS0_14default_configENS1_25partition_config_selectorILNS1_17partition_subalgoE8EiNS0_10empty_typeEbEEZZNS1_14partition_implILS5_8ELb0ES3_jN6thrust23THRUST_200600_302600_NS6detail15normal_iteratorINSA_10device_ptrIiEEEEPS6_PKS6_NS0_5tupleIJNSA_16discard_iteratorINSA_11use_defaultEEES6_EEENSJ_IJSG_SG_EEENS0_18inequality_wrapperINSA_8equal_toIiEEEEPmJS6_EEE10hipError_tPvRmT3_T4_T5_T6_T7_T9_mT8_P12ihipStream_tbDpT10_ENKUlT_T0_E_clISt17integral_constantIbLb1EES1C_IbLb0EEEEDaS18_S19_EUlS18_E_NS1_11comp_targetILNS1_3genE5ELNS1_11target_archE942ELNS1_3gpuE9ELNS1_3repE0EEENS1_30default_config_static_selectorELNS0_4arch9wavefront6targetE1EEEvT1_
; %bb.0:
	.section	.rodata,"a",@progbits
	.p2align	6, 0x0
	.amdhsa_kernel _ZN7rocprim17ROCPRIM_400000_NS6detail17trampoline_kernelINS0_14default_configENS1_25partition_config_selectorILNS1_17partition_subalgoE8EiNS0_10empty_typeEbEEZZNS1_14partition_implILS5_8ELb0ES3_jN6thrust23THRUST_200600_302600_NS6detail15normal_iteratorINSA_10device_ptrIiEEEEPS6_PKS6_NS0_5tupleIJNSA_16discard_iteratorINSA_11use_defaultEEES6_EEENSJ_IJSG_SG_EEENS0_18inequality_wrapperINSA_8equal_toIiEEEEPmJS6_EEE10hipError_tPvRmT3_T4_T5_T6_T7_T9_mT8_P12ihipStream_tbDpT10_ENKUlT_T0_E_clISt17integral_constantIbLb1EES1C_IbLb0EEEEDaS18_S19_EUlS18_E_NS1_11comp_targetILNS1_3genE5ELNS1_11target_archE942ELNS1_3gpuE9ELNS1_3repE0EEENS1_30default_config_static_selectorELNS0_4arch9wavefront6targetE1EEEvT1_
		.amdhsa_group_segment_fixed_size 0
		.amdhsa_private_segment_fixed_size 0
		.amdhsa_kernarg_size 120
		.amdhsa_user_sgpr_count 6
		.amdhsa_user_sgpr_private_segment_buffer 1
		.amdhsa_user_sgpr_dispatch_ptr 0
		.amdhsa_user_sgpr_queue_ptr 0
		.amdhsa_user_sgpr_kernarg_segment_ptr 1
		.amdhsa_user_sgpr_dispatch_id 0
		.amdhsa_user_sgpr_flat_scratch_init 0
		.amdhsa_user_sgpr_private_segment_size 0
		.amdhsa_uses_dynamic_stack 0
		.amdhsa_system_sgpr_private_segment_wavefront_offset 0
		.amdhsa_system_sgpr_workgroup_id_x 1
		.amdhsa_system_sgpr_workgroup_id_y 0
		.amdhsa_system_sgpr_workgroup_id_z 0
		.amdhsa_system_sgpr_workgroup_info 0
		.amdhsa_system_vgpr_workitem_id 0
		.amdhsa_next_free_vgpr 1
		.amdhsa_next_free_sgpr 0
		.amdhsa_reserve_vcc 0
		.amdhsa_reserve_flat_scratch 0
		.amdhsa_float_round_mode_32 0
		.amdhsa_float_round_mode_16_64 0
		.amdhsa_float_denorm_mode_32 3
		.amdhsa_float_denorm_mode_16_64 3
		.amdhsa_dx10_clamp 1
		.amdhsa_ieee_mode 1
		.amdhsa_fp16_overflow 0
		.amdhsa_exception_fp_ieee_invalid_op 0
		.amdhsa_exception_fp_denorm_src 0
		.amdhsa_exception_fp_ieee_div_zero 0
		.amdhsa_exception_fp_ieee_overflow 0
		.amdhsa_exception_fp_ieee_underflow 0
		.amdhsa_exception_fp_ieee_inexact 0
		.amdhsa_exception_int_div_zero 0
	.end_amdhsa_kernel
	.section	.text._ZN7rocprim17ROCPRIM_400000_NS6detail17trampoline_kernelINS0_14default_configENS1_25partition_config_selectorILNS1_17partition_subalgoE8EiNS0_10empty_typeEbEEZZNS1_14partition_implILS5_8ELb0ES3_jN6thrust23THRUST_200600_302600_NS6detail15normal_iteratorINSA_10device_ptrIiEEEEPS6_PKS6_NS0_5tupleIJNSA_16discard_iteratorINSA_11use_defaultEEES6_EEENSJ_IJSG_SG_EEENS0_18inequality_wrapperINSA_8equal_toIiEEEEPmJS6_EEE10hipError_tPvRmT3_T4_T5_T6_T7_T9_mT8_P12ihipStream_tbDpT10_ENKUlT_T0_E_clISt17integral_constantIbLb1EES1C_IbLb0EEEEDaS18_S19_EUlS18_E_NS1_11comp_targetILNS1_3genE5ELNS1_11target_archE942ELNS1_3gpuE9ELNS1_3repE0EEENS1_30default_config_static_selectorELNS0_4arch9wavefront6targetE1EEEvT1_,"axG",@progbits,_ZN7rocprim17ROCPRIM_400000_NS6detail17trampoline_kernelINS0_14default_configENS1_25partition_config_selectorILNS1_17partition_subalgoE8EiNS0_10empty_typeEbEEZZNS1_14partition_implILS5_8ELb0ES3_jN6thrust23THRUST_200600_302600_NS6detail15normal_iteratorINSA_10device_ptrIiEEEEPS6_PKS6_NS0_5tupleIJNSA_16discard_iteratorINSA_11use_defaultEEES6_EEENSJ_IJSG_SG_EEENS0_18inequality_wrapperINSA_8equal_toIiEEEEPmJS6_EEE10hipError_tPvRmT3_T4_T5_T6_T7_T9_mT8_P12ihipStream_tbDpT10_ENKUlT_T0_E_clISt17integral_constantIbLb1EES1C_IbLb0EEEEDaS18_S19_EUlS18_E_NS1_11comp_targetILNS1_3genE5ELNS1_11target_archE942ELNS1_3gpuE9ELNS1_3repE0EEENS1_30default_config_static_selectorELNS0_4arch9wavefront6targetE1EEEvT1_,comdat
.Lfunc_end678:
	.size	_ZN7rocprim17ROCPRIM_400000_NS6detail17trampoline_kernelINS0_14default_configENS1_25partition_config_selectorILNS1_17partition_subalgoE8EiNS0_10empty_typeEbEEZZNS1_14partition_implILS5_8ELb0ES3_jN6thrust23THRUST_200600_302600_NS6detail15normal_iteratorINSA_10device_ptrIiEEEEPS6_PKS6_NS0_5tupleIJNSA_16discard_iteratorINSA_11use_defaultEEES6_EEENSJ_IJSG_SG_EEENS0_18inequality_wrapperINSA_8equal_toIiEEEEPmJS6_EEE10hipError_tPvRmT3_T4_T5_T6_T7_T9_mT8_P12ihipStream_tbDpT10_ENKUlT_T0_E_clISt17integral_constantIbLb1EES1C_IbLb0EEEEDaS18_S19_EUlS18_E_NS1_11comp_targetILNS1_3genE5ELNS1_11target_archE942ELNS1_3gpuE9ELNS1_3repE0EEENS1_30default_config_static_selectorELNS0_4arch9wavefront6targetE1EEEvT1_, .Lfunc_end678-_ZN7rocprim17ROCPRIM_400000_NS6detail17trampoline_kernelINS0_14default_configENS1_25partition_config_selectorILNS1_17partition_subalgoE8EiNS0_10empty_typeEbEEZZNS1_14partition_implILS5_8ELb0ES3_jN6thrust23THRUST_200600_302600_NS6detail15normal_iteratorINSA_10device_ptrIiEEEEPS6_PKS6_NS0_5tupleIJNSA_16discard_iteratorINSA_11use_defaultEEES6_EEENSJ_IJSG_SG_EEENS0_18inequality_wrapperINSA_8equal_toIiEEEEPmJS6_EEE10hipError_tPvRmT3_T4_T5_T6_T7_T9_mT8_P12ihipStream_tbDpT10_ENKUlT_T0_E_clISt17integral_constantIbLb1EES1C_IbLb0EEEEDaS18_S19_EUlS18_E_NS1_11comp_targetILNS1_3genE5ELNS1_11target_archE942ELNS1_3gpuE9ELNS1_3repE0EEENS1_30default_config_static_selectorELNS0_4arch9wavefront6targetE1EEEvT1_
                                        ; -- End function
	.set _ZN7rocprim17ROCPRIM_400000_NS6detail17trampoline_kernelINS0_14default_configENS1_25partition_config_selectorILNS1_17partition_subalgoE8EiNS0_10empty_typeEbEEZZNS1_14partition_implILS5_8ELb0ES3_jN6thrust23THRUST_200600_302600_NS6detail15normal_iteratorINSA_10device_ptrIiEEEEPS6_PKS6_NS0_5tupleIJNSA_16discard_iteratorINSA_11use_defaultEEES6_EEENSJ_IJSG_SG_EEENS0_18inequality_wrapperINSA_8equal_toIiEEEEPmJS6_EEE10hipError_tPvRmT3_T4_T5_T6_T7_T9_mT8_P12ihipStream_tbDpT10_ENKUlT_T0_E_clISt17integral_constantIbLb1EES1C_IbLb0EEEEDaS18_S19_EUlS18_E_NS1_11comp_targetILNS1_3genE5ELNS1_11target_archE942ELNS1_3gpuE9ELNS1_3repE0EEENS1_30default_config_static_selectorELNS0_4arch9wavefront6targetE1EEEvT1_.num_vgpr, 0
	.set _ZN7rocprim17ROCPRIM_400000_NS6detail17trampoline_kernelINS0_14default_configENS1_25partition_config_selectorILNS1_17partition_subalgoE8EiNS0_10empty_typeEbEEZZNS1_14partition_implILS5_8ELb0ES3_jN6thrust23THRUST_200600_302600_NS6detail15normal_iteratorINSA_10device_ptrIiEEEEPS6_PKS6_NS0_5tupleIJNSA_16discard_iteratorINSA_11use_defaultEEES6_EEENSJ_IJSG_SG_EEENS0_18inequality_wrapperINSA_8equal_toIiEEEEPmJS6_EEE10hipError_tPvRmT3_T4_T5_T6_T7_T9_mT8_P12ihipStream_tbDpT10_ENKUlT_T0_E_clISt17integral_constantIbLb1EES1C_IbLb0EEEEDaS18_S19_EUlS18_E_NS1_11comp_targetILNS1_3genE5ELNS1_11target_archE942ELNS1_3gpuE9ELNS1_3repE0EEENS1_30default_config_static_selectorELNS0_4arch9wavefront6targetE1EEEvT1_.num_agpr, 0
	.set _ZN7rocprim17ROCPRIM_400000_NS6detail17trampoline_kernelINS0_14default_configENS1_25partition_config_selectorILNS1_17partition_subalgoE8EiNS0_10empty_typeEbEEZZNS1_14partition_implILS5_8ELb0ES3_jN6thrust23THRUST_200600_302600_NS6detail15normal_iteratorINSA_10device_ptrIiEEEEPS6_PKS6_NS0_5tupleIJNSA_16discard_iteratorINSA_11use_defaultEEES6_EEENSJ_IJSG_SG_EEENS0_18inequality_wrapperINSA_8equal_toIiEEEEPmJS6_EEE10hipError_tPvRmT3_T4_T5_T6_T7_T9_mT8_P12ihipStream_tbDpT10_ENKUlT_T0_E_clISt17integral_constantIbLb1EES1C_IbLb0EEEEDaS18_S19_EUlS18_E_NS1_11comp_targetILNS1_3genE5ELNS1_11target_archE942ELNS1_3gpuE9ELNS1_3repE0EEENS1_30default_config_static_selectorELNS0_4arch9wavefront6targetE1EEEvT1_.numbered_sgpr, 0
	.set _ZN7rocprim17ROCPRIM_400000_NS6detail17trampoline_kernelINS0_14default_configENS1_25partition_config_selectorILNS1_17partition_subalgoE8EiNS0_10empty_typeEbEEZZNS1_14partition_implILS5_8ELb0ES3_jN6thrust23THRUST_200600_302600_NS6detail15normal_iteratorINSA_10device_ptrIiEEEEPS6_PKS6_NS0_5tupleIJNSA_16discard_iteratorINSA_11use_defaultEEES6_EEENSJ_IJSG_SG_EEENS0_18inequality_wrapperINSA_8equal_toIiEEEEPmJS6_EEE10hipError_tPvRmT3_T4_T5_T6_T7_T9_mT8_P12ihipStream_tbDpT10_ENKUlT_T0_E_clISt17integral_constantIbLb1EES1C_IbLb0EEEEDaS18_S19_EUlS18_E_NS1_11comp_targetILNS1_3genE5ELNS1_11target_archE942ELNS1_3gpuE9ELNS1_3repE0EEENS1_30default_config_static_selectorELNS0_4arch9wavefront6targetE1EEEvT1_.num_named_barrier, 0
	.set _ZN7rocprim17ROCPRIM_400000_NS6detail17trampoline_kernelINS0_14default_configENS1_25partition_config_selectorILNS1_17partition_subalgoE8EiNS0_10empty_typeEbEEZZNS1_14partition_implILS5_8ELb0ES3_jN6thrust23THRUST_200600_302600_NS6detail15normal_iteratorINSA_10device_ptrIiEEEEPS6_PKS6_NS0_5tupleIJNSA_16discard_iteratorINSA_11use_defaultEEES6_EEENSJ_IJSG_SG_EEENS0_18inequality_wrapperINSA_8equal_toIiEEEEPmJS6_EEE10hipError_tPvRmT3_T4_T5_T6_T7_T9_mT8_P12ihipStream_tbDpT10_ENKUlT_T0_E_clISt17integral_constantIbLb1EES1C_IbLb0EEEEDaS18_S19_EUlS18_E_NS1_11comp_targetILNS1_3genE5ELNS1_11target_archE942ELNS1_3gpuE9ELNS1_3repE0EEENS1_30default_config_static_selectorELNS0_4arch9wavefront6targetE1EEEvT1_.private_seg_size, 0
	.set _ZN7rocprim17ROCPRIM_400000_NS6detail17trampoline_kernelINS0_14default_configENS1_25partition_config_selectorILNS1_17partition_subalgoE8EiNS0_10empty_typeEbEEZZNS1_14partition_implILS5_8ELb0ES3_jN6thrust23THRUST_200600_302600_NS6detail15normal_iteratorINSA_10device_ptrIiEEEEPS6_PKS6_NS0_5tupleIJNSA_16discard_iteratorINSA_11use_defaultEEES6_EEENSJ_IJSG_SG_EEENS0_18inequality_wrapperINSA_8equal_toIiEEEEPmJS6_EEE10hipError_tPvRmT3_T4_T5_T6_T7_T9_mT8_P12ihipStream_tbDpT10_ENKUlT_T0_E_clISt17integral_constantIbLb1EES1C_IbLb0EEEEDaS18_S19_EUlS18_E_NS1_11comp_targetILNS1_3genE5ELNS1_11target_archE942ELNS1_3gpuE9ELNS1_3repE0EEENS1_30default_config_static_selectorELNS0_4arch9wavefront6targetE1EEEvT1_.uses_vcc, 0
	.set _ZN7rocprim17ROCPRIM_400000_NS6detail17trampoline_kernelINS0_14default_configENS1_25partition_config_selectorILNS1_17partition_subalgoE8EiNS0_10empty_typeEbEEZZNS1_14partition_implILS5_8ELb0ES3_jN6thrust23THRUST_200600_302600_NS6detail15normal_iteratorINSA_10device_ptrIiEEEEPS6_PKS6_NS0_5tupleIJNSA_16discard_iteratorINSA_11use_defaultEEES6_EEENSJ_IJSG_SG_EEENS0_18inequality_wrapperINSA_8equal_toIiEEEEPmJS6_EEE10hipError_tPvRmT3_T4_T5_T6_T7_T9_mT8_P12ihipStream_tbDpT10_ENKUlT_T0_E_clISt17integral_constantIbLb1EES1C_IbLb0EEEEDaS18_S19_EUlS18_E_NS1_11comp_targetILNS1_3genE5ELNS1_11target_archE942ELNS1_3gpuE9ELNS1_3repE0EEENS1_30default_config_static_selectorELNS0_4arch9wavefront6targetE1EEEvT1_.uses_flat_scratch, 0
	.set _ZN7rocprim17ROCPRIM_400000_NS6detail17trampoline_kernelINS0_14default_configENS1_25partition_config_selectorILNS1_17partition_subalgoE8EiNS0_10empty_typeEbEEZZNS1_14partition_implILS5_8ELb0ES3_jN6thrust23THRUST_200600_302600_NS6detail15normal_iteratorINSA_10device_ptrIiEEEEPS6_PKS6_NS0_5tupleIJNSA_16discard_iteratorINSA_11use_defaultEEES6_EEENSJ_IJSG_SG_EEENS0_18inequality_wrapperINSA_8equal_toIiEEEEPmJS6_EEE10hipError_tPvRmT3_T4_T5_T6_T7_T9_mT8_P12ihipStream_tbDpT10_ENKUlT_T0_E_clISt17integral_constantIbLb1EES1C_IbLb0EEEEDaS18_S19_EUlS18_E_NS1_11comp_targetILNS1_3genE5ELNS1_11target_archE942ELNS1_3gpuE9ELNS1_3repE0EEENS1_30default_config_static_selectorELNS0_4arch9wavefront6targetE1EEEvT1_.has_dyn_sized_stack, 0
	.set _ZN7rocprim17ROCPRIM_400000_NS6detail17trampoline_kernelINS0_14default_configENS1_25partition_config_selectorILNS1_17partition_subalgoE8EiNS0_10empty_typeEbEEZZNS1_14partition_implILS5_8ELb0ES3_jN6thrust23THRUST_200600_302600_NS6detail15normal_iteratorINSA_10device_ptrIiEEEEPS6_PKS6_NS0_5tupleIJNSA_16discard_iteratorINSA_11use_defaultEEES6_EEENSJ_IJSG_SG_EEENS0_18inequality_wrapperINSA_8equal_toIiEEEEPmJS6_EEE10hipError_tPvRmT3_T4_T5_T6_T7_T9_mT8_P12ihipStream_tbDpT10_ENKUlT_T0_E_clISt17integral_constantIbLb1EES1C_IbLb0EEEEDaS18_S19_EUlS18_E_NS1_11comp_targetILNS1_3genE5ELNS1_11target_archE942ELNS1_3gpuE9ELNS1_3repE0EEENS1_30default_config_static_selectorELNS0_4arch9wavefront6targetE1EEEvT1_.has_recursion, 0
	.set _ZN7rocprim17ROCPRIM_400000_NS6detail17trampoline_kernelINS0_14default_configENS1_25partition_config_selectorILNS1_17partition_subalgoE8EiNS0_10empty_typeEbEEZZNS1_14partition_implILS5_8ELb0ES3_jN6thrust23THRUST_200600_302600_NS6detail15normal_iteratorINSA_10device_ptrIiEEEEPS6_PKS6_NS0_5tupleIJNSA_16discard_iteratorINSA_11use_defaultEEES6_EEENSJ_IJSG_SG_EEENS0_18inequality_wrapperINSA_8equal_toIiEEEEPmJS6_EEE10hipError_tPvRmT3_T4_T5_T6_T7_T9_mT8_P12ihipStream_tbDpT10_ENKUlT_T0_E_clISt17integral_constantIbLb1EES1C_IbLb0EEEEDaS18_S19_EUlS18_E_NS1_11comp_targetILNS1_3genE5ELNS1_11target_archE942ELNS1_3gpuE9ELNS1_3repE0EEENS1_30default_config_static_selectorELNS0_4arch9wavefront6targetE1EEEvT1_.has_indirect_call, 0
	.section	.AMDGPU.csdata,"",@progbits
; Kernel info:
; codeLenInByte = 0
; TotalNumSgprs: 4
; NumVgprs: 0
; ScratchSize: 0
; MemoryBound: 0
; FloatMode: 240
; IeeeMode: 1
; LDSByteSize: 0 bytes/workgroup (compile time only)
; SGPRBlocks: 0
; VGPRBlocks: 0
; NumSGPRsForWavesPerEU: 4
; NumVGPRsForWavesPerEU: 1
; Occupancy: 10
; WaveLimiterHint : 0
; COMPUTE_PGM_RSRC2:SCRATCH_EN: 0
; COMPUTE_PGM_RSRC2:USER_SGPR: 6
; COMPUTE_PGM_RSRC2:TRAP_HANDLER: 0
; COMPUTE_PGM_RSRC2:TGID_X_EN: 1
; COMPUTE_PGM_RSRC2:TGID_Y_EN: 0
; COMPUTE_PGM_RSRC2:TGID_Z_EN: 0
; COMPUTE_PGM_RSRC2:TIDIG_COMP_CNT: 0
	.section	.text._ZN7rocprim17ROCPRIM_400000_NS6detail17trampoline_kernelINS0_14default_configENS1_25partition_config_selectorILNS1_17partition_subalgoE8EiNS0_10empty_typeEbEEZZNS1_14partition_implILS5_8ELb0ES3_jN6thrust23THRUST_200600_302600_NS6detail15normal_iteratorINSA_10device_ptrIiEEEEPS6_PKS6_NS0_5tupleIJNSA_16discard_iteratorINSA_11use_defaultEEES6_EEENSJ_IJSG_SG_EEENS0_18inequality_wrapperINSA_8equal_toIiEEEEPmJS6_EEE10hipError_tPvRmT3_T4_T5_T6_T7_T9_mT8_P12ihipStream_tbDpT10_ENKUlT_T0_E_clISt17integral_constantIbLb1EES1C_IbLb0EEEEDaS18_S19_EUlS18_E_NS1_11comp_targetILNS1_3genE4ELNS1_11target_archE910ELNS1_3gpuE8ELNS1_3repE0EEENS1_30default_config_static_selectorELNS0_4arch9wavefront6targetE1EEEvT1_,"axG",@progbits,_ZN7rocprim17ROCPRIM_400000_NS6detail17trampoline_kernelINS0_14default_configENS1_25partition_config_selectorILNS1_17partition_subalgoE8EiNS0_10empty_typeEbEEZZNS1_14partition_implILS5_8ELb0ES3_jN6thrust23THRUST_200600_302600_NS6detail15normal_iteratorINSA_10device_ptrIiEEEEPS6_PKS6_NS0_5tupleIJNSA_16discard_iteratorINSA_11use_defaultEEES6_EEENSJ_IJSG_SG_EEENS0_18inequality_wrapperINSA_8equal_toIiEEEEPmJS6_EEE10hipError_tPvRmT3_T4_T5_T6_T7_T9_mT8_P12ihipStream_tbDpT10_ENKUlT_T0_E_clISt17integral_constantIbLb1EES1C_IbLb0EEEEDaS18_S19_EUlS18_E_NS1_11comp_targetILNS1_3genE4ELNS1_11target_archE910ELNS1_3gpuE8ELNS1_3repE0EEENS1_30default_config_static_selectorELNS0_4arch9wavefront6targetE1EEEvT1_,comdat
	.protected	_ZN7rocprim17ROCPRIM_400000_NS6detail17trampoline_kernelINS0_14default_configENS1_25partition_config_selectorILNS1_17partition_subalgoE8EiNS0_10empty_typeEbEEZZNS1_14partition_implILS5_8ELb0ES3_jN6thrust23THRUST_200600_302600_NS6detail15normal_iteratorINSA_10device_ptrIiEEEEPS6_PKS6_NS0_5tupleIJNSA_16discard_iteratorINSA_11use_defaultEEES6_EEENSJ_IJSG_SG_EEENS0_18inequality_wrapperINSA_8equal_toIiEEEEPmJS6_EEE10hipError_tPvRmT3_T4_T5_T6_T7_T9_mT8_P12ihipStream_tbDpT10_ENKUlT_T0_E_clISt17integral_constantIbLb1EES1C_IbLb0EEEEDaS18_S19_EUlS18_E_NS1_11comp_targetILNS1_3genE4ELNS1_11target_archE910ELNS1_3gpuE8ELNS1_3repE0EEENS1_30default_config_static_selectorELNS0_4arch9wavefront6targetE1EEEvT1_ ; -- Begin function _ZN7rocprim17ROCPRIM_400000_NS6detail17trampoline_kernelINS0_14default_configENS1_25partition_config_selectorILNS1_17partition_subalgoE8EiNS0_10empty_typeEbEEZZNS1_14partition_implILS5_8ELb0ES3_jN6thrust23THRUST_200600_302600_NS6detail15normal_iteratorINSA_10device_ptrIiEEEEPS6_PKS6_NS0_5tupleIJNSA_16discard_iteratorINSA_11use_defaultEEES6_EEENSJ_IJSG_SG_EEENS0_18inequality_wrapperINSA_8equal_toIiEEEEPmJS6_EEE10hipError_tPvRmT3_T4_T5_T6_T7_T9_mT8_P12ihipStream_tbDpT10_ENKUlT_T0_E_clISt17integral_constantIbLb1EES1C_IbLb0EEEEDaS18_S19_EUlS18_E_NS1_11comp_targetILNS1_3genE4ELNS1_11target_archE910ELNS1_3gpuE8ELNS1_3repE0EEENS1_30default_config_static_selectorELNS0_4arch9wavefront6targetE1EEEvT1_
	.globl	_ZN7rocprim17ROCPRIM_400000_NS6detail17trampoline_kernelINS0_14default_configENS1_25partition_config_selectorILNS1_17partition_subalgoE8EiNS0_10empty_typeEbEEZZNS1_14partition_implILS5_8ELb0ES3_jN6thrust23THRUST_200600_302600_NS6detail15normal_iteratorINSA_10device_ptrIiEEEEPS6_PKS6_NS0_5tupleIJNSA_16discard_iteratorINSA_11use_defaultEEES6_EEENSJ_IJSG_SG_EEENS0_18inequality_wrapperINSA_8equal_toIiEEEEPmJS6_EEE10hipError_tPvRmT3_T4_T5_T6_T7_T9_mT8_P12ihipStream_tbDpT10_ENKUlT_T0_E_clISt17integral_constantIbLb1EES1C_IbLb0EEEEDaS18_S19_EUlS18_E_NS1_11comp_targetILNS1_3genE4ELNS1_11target_archE910ELNS1_3gpuE8ELNS1_3repE0EEENS1_30default_config_static_selectorELNS0_4arch9wavefront6targetE1EEEvT1_
	.p2align	8
	.type	_ZN7rocprim17ROCPRIM_400000_NS6detail17trampoline_kernelINS0_14default_configENS1_25partition_config_selectorILNS1_17partition_subalgoE8EiNS0_10empty_typeEbEEZZNS1_14partition_implILS5_8ELb0ES3_jN6thrust23THRUST_200600_302600_NS6detail15normal_iteratorINSA_10device_ptrIiEEEEPS6_PKS6_NS0_5tupleIJNSA_16discard_iteratorINSA_11use_defaultEEES6_EEENSJ_IJSG_SG_EEENS0_18inequality_wrapperINSA_8equal_toIiEEEEPmJS6_EEE10hipError_tPvRmT3_T4_T5_T6_T7_T9_mT8_P12ihipStream_tbDpT10_ENKUlT_T0_E_clISt17integral_constantIbLb1EES1C_IbLb0EEEEDaS18_S19_EUlS18_E_NS1_11comp_targetILNS1_3genE4ELNS1_11target_archE910ELNS1_3gpuE8ELNS1_3repE0EEENS1_30default_config_static_selectorELNS0_4arch9wavefront6targetE1EEEvT1_,@function
_ZN7rocprim17ROCPRIM_400000_NS6detail17trampoline_kernelINS0_14default_configENS1_25partition_config_selectorILNS1_17partition_subalgoE8EiNS0_10empty_typeEbEEZZNS1_14partition_implILS5_8ELb0ES3_jN6thrust23THRUST_200600_302600_NS6detail15normal_iteratorINSA_10device_ptrIiEEEEPS6_PKS6_NS0_5tupleIJNSA_16discard_iteratorINSA_11use_defaultEEES6_EEENSJ_IJSG_SG_EEENS0_18inequality_wrapperINSA_8equal_toIiEEEEPmJS6_EEE10hipError_tPvRmT3_T4_T5_T6_T7_T9_mT8_P12ihipStream_tbDpT10_ENKUlT_T0_E_clISt17integral_constantIbLb1EES1C_IbLb0EEEEDaS18_S19_EUlS18_E_NS1_11comp_targetILNS1_3genE4ELNS1_11target_archE910ELNS1_3gpuE8ELNS1_3repE0EEENS1_30default_config_static_selectorELNS0_4arch9wavefront6targetE1EEEvT1_: ; @_ZN7rocprim17ROCPRIM_400000_NS6detail17trampoline_kernelINS0_14default_configENS1_25partition_config_selectorILNS1_17partition_subalgoE8EiNS0_10empty_typeEbEEZZNS1_14partition_implILS5_8ELb0ES3_jN6thrust23THRUST_200600_302600_NS6detail15normal_iteratorINSA_10device_ptrIiEEEEPS6_PKS6_NS0_5tupleIJNSA_16discard_iteratorINSA_11use_defaultEEES6_EEENSJ_IJSG_SG_EEENS0_18inequality_wrapperINSA_8equal_toIiEEEEPmJS6_EEE10hipError_tPvRmT3_T4_T5_T6_T7_T9_mT8_P12ihipStream_tbDpT10_ENKUlT_T0_E_clISt17integral_constantIbLb1EES1C_IbLb0EEEEDaS18_S19_EUlS18_E_NS1_11comp_targetILNS1_3genE4ELNS1_11target_archE910ELNS1_3gpuE8ELNS1_3repE0EEENS1_30default_config_static_selectorELNS0_4arch9wavefront6targetE1EEEvT1_
; %bb.0:
	.section	.rodata,"a",@progbits
	.p2align	6, 0x0
	.amdhsa_kernel _ZN7rocprim17ROCPRIM_400000_NS6detail17trampoline_kernelINS0_14default_configENS1_25partition_config_selectorILNS1_17partition_subalgoE8EiNS0_10empty_typeEbEEZZNS1_14partition_implILS5_8ELb0ES3_jN6thrust23THRUST_200600_302600_NS6detail15normal_iteratorINSA_10device_ptrIiEEEEPS6_PKS6_NS0_5tupleIJNSA_16discard_iteratorINSA_11use_defaultEEES6_EEENSJ_IJSG_SG_EEENS0_18inequality_wrapperINSA_8equal_toIiEEEEPmJS6_EEE10hipError_tPvRmT3_T4_T5_T6_T7_T9_mT8_P12ihipStream_tbDpT10_ENKUlT_T0_E_clISt17integral_constantIbLb1EES1C_IbLb0EEEEDaS18_S19_EUlS18_E_NS1_11comp_targetILNS1_3genE4ELNS1_11target_archE910ELNS1_3gpuE8ELNS1_3repE0EEENS1_30default_config_static_selectorELNS0_4arch9wavefront6targetE1EEEvT1_
		.amdhsa_group_segment_fixed_size 0
		.amdhsa_private_segment_fixed_size 0
		.amdhsa_kernarg_size 120
		.amdhsa_user_sgpr_count 6
		.amdhsa_user_sgpr_private_segment_buffer 1
		.amdhsa_user_sgpr_dispatch_ptr 0
		.amdhsa_user_sgpr_queue_ptr 0
		.amdhsa_user_sgpr_kernarg_segment_ptr 1
		.amdhsa_user_sgpr_dispatch_id 0
		.amdhsa_user_sgpr_flat_scratch_init 0
		.amdhsa_user_sgpr_private_segment_size 0
		.amdhsa_uses_dynamic_stack 0
		.amdhsa_system_sgpr_private_segment_wavefront_offset 0
		.amdhsa_system_sgpr_workgroup_id_x 1
		.amdhsa_system_sgpr_workgroup_id_y 0
		.amdhsa_system_sgpr_workgroup_id_z 0
		.amdhsa_system_sgpr_workgroup_info 0
		.amdhsa_system_vgpr_workitem_id 0
		.amdhsa_next_free_vgpr 1
		.amdhsa_next_free_sgpr 0
		.amdhsa_reserve_vcc 0
		.amdhsa_reserve_flat_scratch 0
		.amdhsa_float_round_mode_32 0
		.amdhsa_float_round_mode_16_64 0
		.amdhsa_float_denorm_mode_32 3
		.amdhsa_float_denorm_mode_16_64 3
		.amdhsa_dx10_clamp 1
		.amdhsa_ieee_mode 1
		.amdhsa_fp16_overflow 0
		.amdhsa_exception_fp_ieee_invalid_op 0
		.amdhsa_exception_fp_denorm_src 0
		.amdhsa_exception_fp_ieee_div_zero 0
		.amdhsa_exception_fp_ieee_overflow 0
		.amdhsa_exception_fp_ieee_underflow 0
		.amdhsa_exception_fp_ieee_inexact 0
		.amdhsa_exception_int_div_zero 0
	.end_amdhsa_kernel
	.section	.text._ZN7rocprim17ROCPRIM_400000_NS6detail17trampoline_kernelINS0_14default_configENS1_25partition_config_selectorILNS1_17partition_subalgoE8EiNS0_10empty_typeEbEEZZNS1_14partition_implILS5_8ELb0ES3_jN6thrust23THRUST_200600_302600_NS6detail15normal_iteratorINSA_10device_ptrIiEEEEPS6_PKS6_NS0_5tupleIJNSA_16discard_iteratorINSA_11use_defaultEEES6_EEENSJ_IJSG_SG_EEENS0_18inequality_wrapperINSA_8equal_toIiEEEEPmJS6_EEE10hipError_tPvRmT3_T4_T5_T6_T7_T9_mT8_P12ihipStream_tbDpT10_ENKUlT_T0_E_clISt17integral_constantIbLb1EES1C_IbLb0EEEEDaS18_S19_EUlS18_E_NS1_11comp_targetILNS1_3genE4ELNS1_11target_archE910ELNS1_3gpuE8ELNS1_3repE0EEENS1_30default_config_static_selectorELNS0_4arch9wavefront6targetE1EEEvT1_,"axG",@progbits,_ZN7rocprim17ROCPRIM_400000_NS6detail17trampoline_kernelINS0_14default_configENS1_25partition_config_selectorILNS1_17partition_subalgoE8EiNS0_10empty_typeEbEEZZNS1_14partition_implILS5_8ELb0ES3_jN6thrust23THRUST_200600_302600_NS6detail15normal_iteratorINSA_10device_ptrIiEEEEPS6_PKS6_NS0_5tupleIJNSA_16discard_iteratorINSA_11use_defaultEEES6_EEENSJ_IJSG_SG_EEENS0_18inequality_wrapperINSA_8equal_toIiEEEEPmJS6_EEE10hipError_tPvRmT3_T4_T5_T6_T7_T9_mT8_P12ihipStream_tbDpT10_ENKUlT_T0_E_clISt17integral_constantIbLb1EES1C_IbLb0EEEEDaS18_S19_EUlS18_E_NS1_11comp_targetILNS1_3genE4ELNS1_11target_archE910ELNS1_3gpuE8ELNS1_3repE0EEENS1_30default_config_static_selectorELNS0_4arch9wavefront6targetE1EEEvT1_,comdat
.Lfunc_end679:
	.size	_ZN7rocprim17ROCPRIM_400000_NS6detail17trampoline_kernelINS0_14default_configENS1_25partition_config_selectorILNS1_17partition_subalgoE8EiNS0_10empty_typeEbEEZZNS1_14partition_implILS5_8ELb0ES3_jN6thrust23THRUST_200600_302600_NS6detail15normal_iteratorINSA_10device_ptrIiEEEEPS6_PKS6_NS0_5tupleIJNSA_16discard_iteratorINSA_11use_defaultEEES6_EEENSJ_IJSG_SG_EEENS0_18inequality_wrapperINSA_8equal_toIiEEEEPmJS6_EEE10hipError_tPvRmT3_T4_T5_T6_T7_T9_mT8_P12ihipStream_tbDpT10_ENKUlT_T0_E_clISt17integral_constantIbLb1EES1C_IbLb0EEEEDaS18_S19_EUlS18_E_NS1_11comp_targetILNS1_3genE4ELNS1_11target_archE910ELNS1_3gpuE8ELNS1_3repE0EEENS1_30default_config_static_selectorELNS0_4arch9wavefront6targetE1EEEvT1_, .Lfunc_end679-_ZN7rocprim17ROCPRIM_400000_NS6detail17trampoline_kernelINS0_14default_configENS1_25partition_config_selectorILNS1_17partition_subalgoE8EiNS0_10empty_typeEbEEZZNS1_14partition_implILS5_8ELb0ES3_jN6thrust23THRUST_200600_302600_NS6detail15normal_iteratorINSA_10device_ptrIiEEEEPS6_PKS6_NS0_5tupleIJNSA_16discard_iteratorINSA_11use_defaultEEES6_EEENSJ_IJSG_SG_EEENS0_18inequality_wrapperINSA_8equal_toIiEEEEPmJS6_EEE10hipError_tPvRmT3_T4_T5_T6_T7_T9_mT8_P12ihipStream_tbDpT10_ENKUlT_T0_E_clISt17integral_constantIbLb1EES1C_IbLb0EEEEDaS18_S19_EUlS18_E_NS1_11comp_targetILNS1_3genE4ELNS1_11target_archE910ELNS1_3gpuE8ELNS1_3repE0EEENS1_30default_config_static_selectorELNS0_4arch9wavefront6targetE1EEEvT1_
                                        ; -- End function
	.set _ZN7rocprim17ROCPRIM_400000_NS6detail17trampoline_kernelINS0_14default_configENS1_25partition_config_selectorILNS1_17partition_subalgoE8EiNS0_10empty_typeEbEEZZNS1_14partition_implILS5_8ELb0ES3_jN6thrust23THRUST_200600_302600_NS6detail15normal_iteratorINSA_10device_ptrIiEEEEPS6_PKS6_NS0_5tupleIJNSA_16discard_iteratorINSA_11use_defaultEEES6_EEENSJ_IJSG_SG_EEENS0_18inequality_wrapperINSA_8equal_toIiEEEEPmJS6_EEE10hipError_tPvRmT3_T4_T5_T6_T7_T9_mT8_P12ihipStream_tbDpT10_ENKUlT_T0_E_clISt17integral_constantIbLb1EES1C_IbLb0EEEEDaS18_S19_EUlS18_E_NS1_11comp_targetILNS1_3genE4ELNS1_11target_archE910ELNS1_3gpuE8ELNS1_3repE0EEENS1_30default_config_static_selectorELNS0_4arch9wavefront6targetE1EEEvT1_.num_vgpr, 0
	.set _ZN7rocprim17ROCPRIM_400000_NS6detail17trampoline_kernelINS0_14default_configENS1_25partition_config_selectorILNS1_17partition_subalgoE8EiNS0_10empty_typeEbEEZZNS1_14partition_implILS5_8ELb0ES3_jN6thrust23THRUST_200600_302600_NS6detail15normal_iteratorINSA_10device_ptrIiEEEEPS6_PKS6_NS0_5tupleIJNSA_16discard_iteratorINSA_11use_defaultEEES6_EEENSJ_IJSG_SG_EEENS0_18inequality_wrapperINSA_8equal_toIiEEEEPmJS6_EEE10hipError_tPvRmT3_T4_T5_T6_T7_T9_mT8_P12ihipStream_tbDpT10_ENKUlT_T0_E_clISt17integral_constantIbLb1EES1C_IbLb0EEEEDaS18_S19_EUlS18_E_NS1_11comp_targetILNS1_3genE4ELNS1_11target_archE910ELNS1_3gpuE8ELNS1_3repE0EEENS1_30default_config_static_selectorELNS0_4arch9wavefront6targetE1EEEvT1_.num_agpr, 0
	.set _ZN7rocprim17ROCPRIM_400000_NS6detail17trampoline_kernelINS0_14default_configENS1_25partition_config_selectorILNS1_17partition_subalgoE8EiNS0_10empty_typeEbEEZZNS1_14partition_implILS5_8ELb0ES3_jN6thrust23THRUST_200600_302600_NS6detail15normal_iteratorINSA_10device_ptrIiEEEEPS6_PKS6_NS0_5tupleIJNSA_16discard_iteratorINSA_11use_defaultEEES6_EEENSJ_IJSG_SG_EEENS0_18inequality_wrapperINSA_8equal_toIiEEEEPmJS6_EEE10hipError_tPvRmT3_T4_T5_T6_T7_T9_mT8_P12ihipStream_tbDpT10_ENKUlT_T0_E_clISt17integral_constantIbLb1EES1C_IbLb0EEEEDaS18_S19_EUlS18_E_NS1_11comp_targetILNS1_3genE4ELNS1_11target_archE910ELNS1_3gpuE8ELNS1_3repE0EEENS1_30default_config_static_selectorELNS0_4arch9wavefront6targetE1EEEvT1_.numbered_sgpr, 0
	.set _ZN7rocprim17ROCPRIM_400000_NS6detail17trampoline_kernelINS0_14default_configENS1_25partition_config_selectorILNS1_17partition_subalgoE8EiNS0_10empty_typeEbEEZZNS1_14partition_implILS5_8ELb0ES3_jN6thrust23THRUST_200600_302600_NS6detail15normal_iteratorINSA_10device_ptrIiEEEEPS6_PKS6_NS0_5tupleIJNSA_16discard_iteratorINSA_11use_defaultEEES6_EEENSJ_IJSG_SG_EEENS0_18inequality_wrapperINSA_8equal_toIiEEEEPmJS6_EEE10hipError_tPvRmT3_T4_T5_T6_T7_T9_mT8_P12ihipStream_tbDpT10_ENKUlT_T0_E_clISt17integral_constantIbLb1EES1C_IbLb0EEEEDaS18_S19_EUlS18_E_NS1_11comp_targetILNS1_3genE4ELNS1_11target_archE910ELNS1_3gpuE8ELNS1_3repE0EEENS1_30default_config_static_selectorELNS0_4arch9wavefront6targetE1EEEvT1_.num_named_barrier, 0
	.set _ZN7rocprim17ROCPRIM_400000_NS6detail17trampoline_kernelINS0_14default_configENS1_25partition_config_selectorILNS1_17partition_subalgoE8EiNS0_10empty_typeEbEEZZNS1_14partition_implILS5_8ELb0ES3_jN6thrust23THRUST_200600_302600_NS6detail15normal_iteratorINSA_10device_ptrIiEEEEPS6_PKS6_NS0_5tupleIJNSA_16discard_iteratorINSA_11use_defaultEEES6_EEENSJ_IJSG_SG_EEENS0_18inequality_wrapperINSA_8equal_toIiEEEEPmJS6_EEE10hipError_tPvRmT3_T4_T5_T6_T7_T9_mT8_P12ihipStream_tbDpT10_ENKUlT_T0_E_clISt17integral_constantIbLb1EES1C_IbLb0EEEEDaS18_S19_EUlS18_E_NS1_11comp_targetILNS1_3genE4ELNS1_11target_archE910ELNS1_3gpuE8ELNS1_3repE0EEENS1_30default_config_static_selectorELNS0_4arch9wavefront6targetE1EEEvT1_.private_seg_size, 0
	.set _ZN7rocprim17ROCPRIM_400000_NS6detail17trampoline_kernelINS0_14default_configENS1_25partition_config_selectorILNS1_17partition_subalgoE8EiNS0_10empty_typeEbEEZZNS1_14partition_implILS5_8ELb0ES3_jN6thrust23THRUST_200600_302600_NS6detail15normal_iteratorINSA_10device_ptrIiEEEEPS6_PKS6_NS0_5tupleIJNSA_16discard_iteratorINSA_11use_defaultEEES6_EEENSJ_IJSG_SG_EEENS0_18inequality_wrapperINSA_8equal_toIiEEEEPmJS6_EEE10hipError_tPvRmT3_T4_T5_T6_T7_T9_mT8_P12ihipStream_tbDpT10_ENKUlT_T0_E_clISt17integral_constantIbLb1EES1C_IbLb0EEEEDaS18_S19_EUlS18_E_NS1_11comp_targetILNS1_3genE4ELNS1_11target_archE910ELNS1_3gpuE8ELNS1_3repE0EEENS1_30default_config_static_selectorELNS0_4arch9wavefront6targetE1EEEvT1_.uses_vcc, 0
	.set _ZN7rocprim17ROCPRIM_400000_NS6detail17trampoline_kernelINS0_14default_configENS1_25partition_config_selectorILNS1_17partition_subalgoE8EiNS0_10empty_typeEbEEZZNS1_14partition_implILS5_8ELb0ES3_jN6thrust23THRUST_200600_302600_NS6detail15normal_iteratorINSA_10device_ptrIiEEEEPS6_PKS6_NS0_5tupleIJNSA_16discard_iteratorINSA_11use_defaultEEES6_EEENSJ_IJSG_SG_EEENS0_18inequality_wrapperINSA_8equal_toIiEEEEPmJS6_EEE10hipError_tPvRmT3_T4_T5_T6_T7_T9_mT8_P12ihipStream_tbDpT10_ENKUlT_T0_E_clISt17integral_constantIbLb1EES1C_IbLb0EEEEDaS18_S19_EUlS18_E_NS1_11comp_targetILNS1_3genE4ELNS1_11target_archE910ELNS1_3gpuE8ELNS1_3repE0EEENS1_30default_config_static_selectorELNS0_4arch9wavefront6targetE1EEEvT1_.uses_flat_scratch, 0
	.set _ZN7rocprim17ROCPRIM_400000_NS6detail17trampoline_kernelINS0_14default_configENS1_25partition_config_selectorILNS1_17partition_subalgoE8EiNS0_10empty_typeEbEEZZNS1_14partition_implILS5_8ELb0ES3_jN6thrust23THRUST_200600_302600_NS6detail15normal_iteratorINSA_10device_ptrIiEEEEPS6_PKS6_NS0_5tupleIJNSA_16discard_iteratorINSA_11use_defaultEEES6_EEENSJ_IJSG_SG_EEENS0_18inequality_wrapperINSA_8equal_toIiEEEEPmJS6_EEE10hipError_tPvRmT3_T4_T5_T6_T7_T9_mT8_P12ihipStream_tbDpT10_ENKUlT_T0_E_clISt17integral_constantIbLb1EES1C_IbLb0EEEEDaS18_S19_EUlS18_E_NS1_11comp_targetILNS1_3genE4ELNS1_11target_archE910ELNS1_3gpuE8ELNS1_3repE0EEENS1_30default_config_static_selectorELNS0_4arch9wavefront6targetE1EEEvT1_.has_dyn_sized_stack, 0
	.set _ZN7rocprim17ROCPRIM_400000_NS6detail17trampoline_kernelINS0_14default_configENS1_25partition_config_selectorILNS1_17partition_subalgoE8EiNS0_10empty_typeEbEEZZNS1_14partition_implILS5_8ELb0ES3_jN6thrust23THRUST_200600_302600_NS6detail15normal_iteratorINSA_10device_ptrIiEEEEPS6_PKS6_NS0_5tupleIJNSA_16discard_iteratorINSA_11use_defaultEEES6_EEENSJ_IJSG_SG_EEENS0_18inequality_wrapperINSA_8equal_toIiEEEEPmJS6_EEE10hipError_tPvRmT3_T4_T5_T6_T7_T9_mT8_P12ihipStream_tbDpT10_ENKUlT_T0_E_clISt17integral_constantIbLb1EES1C_IbLb0EEEEDaS18_S19_EUlS18_E_NS1_11comp_targetILNS1_3genE4ELNS1_11target_archE910ELNS1_3gpuE8ELNS1_3repE0EEENS1_30default_config_static_selectorELNS0_4arch9wavefront6targetE1EEEvT1_.has_recursion, 0
	.set _ZN7rocprim17ROCPRIM_400000_NS6detail17trampoline_kernelINS0_14default_configENS1_25partition_config_selectorILNS1_17partition_subalgoE8EiNS0_10empty_typeEbEEZZNS1_14partition_implILS5_8ELb0ES3_jN6thrust23THRUST_200600_302600_NS6detail15normal_iteratorINSA_10device_ptrIiEEEEPS6_PKS6_NS0_5tupleIJNSA_16discard_iteratorINSA_11use_defaultEEES6_EEENSJ_IJSG_SG_EEENS0_18inequality_wrapperINSA_8equal_toIiEEEEPmJS6_EEE10hipError_tPvRmT3_T4_T5_T6_T7_T9_mT8_P12ihipStream_tbDpT10_ENKUlT_T0_E_clISt17integral_constantIbLb1EES1C_IbLb0EEEEDaS18_S19_EUlS18_E_NS1_11comp_targetILNS1_3genE4ELNS1_11target_archE910ELNS1_3gpuE8ELNS1_3repE0EEENS1_30default_config_static_selectorELNS0_4arch9wavefront6targetE1EEEvT1_.has_indirect_call, 0
	.section	.AMDGPU.csdata,"",@progbits
; Kernel info:
; codeLenInByte = 0
; TotalNumSgprs: 4
; NumVgprs: 0
; ScratchSize: 0
; MemoryBound: 0
; FloatMode: 240
; IeeeMode: 1
; LDSByteSize: 0 bytes/workgroup (compile time only)
; SGPRBlocks: 0
; VGPRBlocks: 0
; NumSGPRsForWavesPerEU: 4
; NumVGPRsForWavesPerEU: 1
; Occupancy: 10
; WaveLimiterHint : 0
; COMPUTE_PGM_RSRC2:SCRATCH_EN: 0
; COMPUTE_PGM_RSRC2:USER_SGPR: 6
; COMPUTE_PGM_RSRC2:TRAP_HANDLER: 0
; COMPUTE_PGM_RSRC2:TGID_X_EN: 1
; COMPUTE_PGM_RSRC2:TGID_Y_EN: 0
; COMPUTE_PGM_RSRC2:TGID_Z_EN: 0
; COMPUTE_PGM_RSRC2:TIDIG_COMP_CNT: 0
	.section	.text._ZN7rocprim17ROCPRIM_400000_NS6detail17trampoline_kernelINS0_14default_configENS1_25partition_config_selectorILNS1_17partition_subalgoE8EiNS0_10empty_typeEbEEZZNS1_14partition_implILS5_8ELb0ES3_jN6thrust23THRUST_200600_302600_NS6detail15normal_iteratorINSA_10device_ptrIiEEEEPS6_PKS6_NS0_5tupleIJNSA_16discard_iteratorINSA_11use_defaultEEES6_EEENSJ_IJSG_SG_EEENS0_18inequality_wrapperINSA_8equal_toIiEEEEPmJS6_EEE10hipError_tPvRmT3_T4_T5_T6_T7_T9_mT8_P12ihipStream_tbDpT10_ENKUlT_T0_E_clISt17integral_constantIbLb1EES1C_IbLb0EEEEDaS18_S19_EUlS18_E_NS1_11comp_targetILNS1_3genE3ELNS1_11target_archE908ELNS1_3gpuE7ELNS1_3repE0EEENS1_30default_config_static_selectorELNS0_4arch9wavefront6targetE1EEEvT1_,"axG",@progbits,_ZN7rocprim17ROCPRIM_400000_NS6detail17trampoline_kernelINS0_14default_configENS1_25partition_config_selectorILNS1_17partition_subalgoE8EiNS0_10empty_typeEbEEZZNS1_14partition_implILS5_8ELb0ES3_jN6thrust23THRUST_200600_302600_NS6detail15normal_iteratorINSA_10device_ptrIiEEEEPS6_PKS6_NS0_5tupleIJNSA_16discard_iteratorINSA_11use_defaultEEES6_EEENSJ_IJSG_SG_EEENS0_18inequality_wrapperINSA_8equal_toIiEEEEPmJS6_EEE10hipError_tPvRmT3_T4_T5_T6_T7_T9_mT8_P12ihipStream_tbDpT10_ENKUlT_T0_E_clISt17integral_constantIbLb1EES1C_IbLb0EEEEDaS18_S19_EUlS18_E_NS1_11comp_targetILNS1_3genE3ELNS1_11target_archE908ELNS1_3gpuE7ELNS1_3repE0EEENS1_30default_config_static_selectorELNS0_4arch9wavefront6targetE1EEEvT1_,comdat
	.protected	_ZN7rocprim17ROCPRIM_400000_NS6detail17trampoline_kernelINS0_14default_configENS1_25partition_config_selectorILNS1_17partition_subalgoE8EiNS0_10empty_typeEbEEZZNS1_14partition_implILS5_8ELb0ES3_jN6thrust23THRUST_200600_302600_NS6detail15normal_iteratorINSA_10device_ptrIiEEEEPS6_PKS6_NS0_5tupleIJNSA_16discard_iteratorINSA_11use_defaultEEES6_EEENSJ_IJSG_SG_EEENS0_18inequality_wrapperINSA_8equal_toIiEEEEPmJS6_EEE10hipError_tPvRmT3_T4_T5_T6_T7_T9_mT8_P12ihipStream_tbDpT10_ENKUlT_T0_E_clISt17integral_constantIbLb1EES1C_IbLb0EEEEDaS18_S19_EUlS18_E_NS1_11comp_targetILNS1_3genE3ELNS1_11target_archE908ELNS1_3gpuE7ELNS1_3repE0EEENS1_30default_config_static_selectorELNS0_4arch9wavefront6targetE1EEEvT1_ ; -- Begin function _ZN7rocprim17ROCPRIM_400000_NS6detail17trampoline_kernelINS0_14default_configENS1_25partition_config_selectorILNS1_17partition_subalgoE8EiNS0_10empty_typeEbEEZZNS1_14partition_implILS5_8ELb0ES3_jN6thrust23THRUST_200600_302600_NS6detail15normal_iteratorINSA_10device_ptrIiEEEEPS6_PKS6_NS0_5tupleIJNSA_16discard_iteratorINSA_11use_defaultEEES6_EEENSJ_IJSG_SG_EEENS0_18inequality_wrapperINSA_8equal_toIiEEEEPmJS6_EEE10hipError_tPvRmT3_T4_T5_T6_T7_T9_mT8_P12ihipStream_tbDpT10_ENKUlT_T0_E_clISt17integral_constantIbLb1EES1C_IbLb0EEEEDaS18_S19_EUlS18_E_NS1_11comp_targetILNS1_3genE3ELNS1_11target_archE908ELNS1_3gpuE7ELNS1_3repE0EEENS1_30default_config_static_selectorELNS0_4arch9wavefront6targetE1EEEvT1_
	.globl	_ZN7rocprim17ROCPRIM_400000_NS6detail17trampoline_kernelINS0_14default_configENS1_25partition_config_selectorILNS1_17partition_subalgoE8EiNS0_10empty_typeEbEEZZNS1_14partition_implILS5_8ELb0ES3_jN6thrust23THRUST_200600_302600_NS6detail15normal_iteratorINSA_10device_ptrIiEEEEPS6_PKS6_NS0_5tupleIJNSA_16discard_iteratorINSA_11use_defaultEEES6_EEENSJ_IJSG_SG_EEENS0_18inequality_wrapperINSA_8equal_toIiEEEEPmJS6_EEE10hipError_tPvRmT3_T4_T5_T6_T7_T9_mT8_P12ihipStream_tbDpT10_ENKUlT_T0_E_clISt17integral_constantIbLb1EES1C_IbLb0EEEEDaS18_S19_EUlS18_E_NS1_11comp_targetILNS1_3genE3ELNS1_11target_archE908ELNS1_3gpuE7ELNS1_3repE0EEENS1_30default_config_static_selectorELNS0_4arch9wavefront6targetE1EEEvT1_
	.p2align	8
	.type	_ZN7rocprim17ROCPRIM_400000_NS6detail17trampoline_kernelINS0_14default_configENS1_25partition_config_selectorILNS1_17partition_subalgoE8EiNS0_10empty_typeEbEEZZNS1_14partition_implILS5_8ELb0ES3_jN6thrust23THRUST_200600_302600_NS6detail15normal_iteratorINSA_10device_ptrIiEEEEPS6_PKS6_NS0_5tupleIJNSA_16discard_iteratorINSA_11use_defaultEEES6_EEENSJ_IJSG_SG_EEENS0_18inequality_wrapperINSA_8equal_toIiEEEEPmJS6_EEE10hipError_tPvRmT3_T4_T5_T6_T7_T9_mT8_P12ihipStream_tbDpT10_ENKUlT_T0_E_clISt17integral_constantIbLb1EES1C_IbLb0EEEEDaS18_S19_EUlS18_E_NS1_11comp_targetILNS1_3genE3ELNS1_11target_archE908ELNS1_3gpuE7ELNS1_3repE0EEENS1_30default_config_static_selectorELNS0_4arch9wavefront6targetE1EEEvT1_,@function
_ZN7rocprim17ROCPRIM_400000_NS6detail17trampoline_kernelINS0_14default_configENS1_25partition_config_selectorILNS1_17partition_subalgoE8EiNS0_10empty_typeEbEEZZNS1_14partition_implILS5_8ELb0ES3_jN6thrust23THRUST_200600_302600_NS6detail15normal_iteratorINSA_10device_ptrIiEEEEPS6_PKS6_NS0_5tupleIJNSA_16discard_iteratorINSA_11use_defaultEEES6_EEENSJ_IJSG_SG_EEENS0_18inequality_wrapperINSA_8equal_toIiEEEEPmJS6_EEE10hipError_tPvRmT3_T4_T5_T6_T7_T9_mT8_P12ihipStream_tbDpT10_ENKUlT_T0_E_clISt17integral_constantIbLb1EES1C_IbLb0EEEEDaS18_S19_EUlS18_E_NS1_11comp_targetILNS1_3genE3ELNS1_11target_archE908ELNS1_3gpuE7ELNS1_3repE0EEENS1_30default_config_static_selectorELNS0_4arch9wavefront6targetE1EEEvT1_: ; @_ZN7rocprim17ROCPRIM_400000_NS6detail17trampoline_kernelINS0_14default_configENS1_25partition_config_selectorILNS1_17partition_subalgoE8EiNS0_10empty_typeEbEEZZNS1_14partition_implILS5_8ELb0ES3_jN6thrust23THRUST_200600_302600_NS6detail15normal_iteratorINSA_10device_ptrIiEEEEPS6_PKS6_NS0_5tupleIJNSA_16discard_iteratorINSA_11use_defaultEEES6_EEENSJ_IJSG_SG_EEENS0_18inequality_wrapperINSA_8equal_toIiEEEEPmJS6_EEE10hipError_tPvRmT3_T4_T5_T6_T7_T9_mT8_P12ihipStream_tbDpT10_ENKUlT_T0_E_clISt17integral_constantIbLb1EES1C_IbLb0EEEEDaS18_S19_EUlS18_E_NS1_11comp_targetILNS1_3genE3ELNS1_11target_archE908ELNS1_3gpuE7ELNS1_3repE0EEENS1_30default_config_static_selectorELNS0_4arch9wavefront6targetE1EEEvT1_
; %bb.0:
	.section	.rodata,"a",@progbits
	.p2align	6, 0x0
	.amdhsa_kernel _ZN7rocprim17ROCPRIM_400000_NS6detail17trampoline_kernelINS0_14default_configENS1_25partition_config_selectorILNS1_17partition_subalgoE8EiNS0_10empty_typeEbEEZZNS1_14partition_implILS5_8ELb0ES3_jN6thrust23THRUST_200600_302600_NS6detail15normal_iteratorINSA_10device_ptrIiEEEEPS6_PKS6_NS0_5tupleIJNSA_16discard_iteratorINSA_11use_defaultEEES6_EEENSJ_IJSG_SG_EEENS0_18inequality_wrapperINSA_8equal_toIiEEEEPmJS6_EEE10hipError_tPvRmT3_T4_T5_T6_T7_T9_mT8_P12ihipStream_tbDpT10_ENKUlT_T0_E_clISt17integral_constantIbLb1EES1C_IbLb0EEEEDaS18_S19_EUlS18_E_NS1_11comp_targetILNS1_3genE3ELNS1_11target_archE908ELNS1_3gpuE7ELNS1_3repE0EEENS1_30default_config_static_selectorELNS0_4arch9wavefront6targetE1EEEvT1_
		.amdhsa_group_segment_fixed_size 0
		.amdhsa_private_segment_fixed_size 0
		.amdhsa_kernarg_size 120
		.amdhsa_user_sgpr_count 6
		.amdhsa_user_sgpr_private_segment_buffer 1
		.amdhsa_user_sgpr_dispatch_ptr 0
		.amdhsa_user_sgpr_queue_ptr 0
		.amdhsa_user_sgpr_kernarg_segment_ptr 1
		.amdhsa_user_sgpr_dispatch_id 0
		.amdhsa_user_sgpr_flat_scratch_init 0
		.amdhsa_user_sgpr_private_segment_size 0
		.amdhsa_uses_dynamic_stack 0
		.amdhsa_system_sgpr_private_segment_wavefront_offset 0
		.amdhsa_system_sgpr_workgroup_id_x 1
		.amdhsa_system_sgpr_workgroup_id_y 0
		.amdhsa_system_sgpr_workgroup_id_z 0
		.amdhsa_system_sgpr_workgroup_info 0
		.amdhsa_system_vgpr_workitem_id 0
		.amdhsa_next_free_vgpr 1
		.amdhsa_next_free_sgpr 0
		.amdhsa_reserve_vcc 0
		.amdhsa_reserve_flat_scratch 0
		.amdhsa_float_round_mode_32 0
		.amdhsa_float_round_mode_16_64 0
		.amdhsa_float_denorm_mode_32 3
		.amdhsa_float_denorm_mode_16_64 3
		.amdhsa_dx10_clamp 1
		.amdhsa_ieee_mode 1
		.amdhsa_fp16_overflow 0
		.amdhsa_exception_fp_ieee_invalid_op 0
		.amdhsa_exception_fp_denorm_src 0
		.amdhsa_exception_fp_ieee_div_zero 0
		.amdhsa_exception_fp_ieee_overflow 0
		.amdhsa_exception_fp_ieee_underflow 0
		.amdhsa_exception_fp_ieee_inexact 0
		.amdhsa_exception_int_div_zero 0
	.end_amdhsa_kernel
	.section	.text._ZN7rocprim17ROCPRIM_400000_NS6detail17trampoline_kernelINS0_14default_configENS1_25partition_config_selectorILNS1_17partition_subalgoE8EiNS0_10empty_typeEbEEZZNS1_14partition_implILS5_8ELb0ES3_jN6thrust23THRUST_200600_302600_NS6detail15normal_iteratorINSA_10device_ptrIiEEEEPS6_PKS6_NS0_5tupleIJNSA_16discard_iteratorINSA_11use_defaultEEES6_EEENSJ_IJSG_SG_EEENS0_18inequality_wrapperINSA_8equal_toIiEEEEPmJS6_EEE10hipError_tPvRmT3_T4_T5_T6_T7_T9_mT8_P12ihipStream_tbDpT10_ENKUlT_T0_E_clISt17integral_constantIbLb1EES1C_IbLb0EEEEDaS18_S19_EUlS18_E_NS1_11comp_targetILNS1_3genE3ELNS1_11target_archE908ELNS1_3gpuE7ELNS1_3repE0EEENS1_30default_config_static_selectorELNS0_4arch9wavefront6targetE1EEEvT1_,"axG",@progbits,_ZN7rocprim17ROCPRIM_400000_NS6detail17trampoline_kernelINS0_14default_configENS1_25partition_config_selectorILNS1_17partition_subalgoE8EiNS0_10empty_typeEbEEZZNS1_14partition_implILS5_8ELb0ES3_jN6thrust23THRUST_200600_302600_NS6detail15normal_iteratorINSA_10device_ptrIiEEEEPS6_PKS6_NS0_5tupleIJNSA_16discard_iteratorINSA_11use_defaultEEES6_EEENSJ_IJSG_SG_EEENS0_18inequality_wrapperINSA_8equal_toIiEEEEPmJS6_EEE10hipError_tPvRmT3_T4_T5_T6_T7_T9_mT8_P12ihipStream_tbDpT10_ENKUlT_T0_E_clISt17integral_constantIbLb1EES1C_IbLb0EEEEDaS18_S19_EUlS18_E_NS1_11comp_targetILNS1_3genE3ELNS1_11target_archE908ELNS1_3gpuE7ELNS1_3repE0EEENS1_30default_config_static_selectorELNS0_4arch9wavefront6targetE1EEEvT1_,comdat
.Lfunc_end680:
	.size	_ZN7rocprim17ROCPRIM_400000_NS6detail17trampoline_kernelINS0_14default_configENS1_25partition_config_selectorILNS1_17partition_subalgoE8EiNS0_10empty_typeEbEEZZNS1_14partition_implILS5_8ELb0ES3_jN6thrust23THRUST_200600_302600_NS6detail15normal_iteratorINSA_10device_ptrIiEEEEPS6_PKS6_NS0_5tupleIJNSA_16discard_iteratorINSA_11use_defaultEEES6_EEENSJ_IJSG_SG_EEENS0_18inequality_wrapperINSA_8equal_toIiEEEEPmJS6_EEE10hipError_tPvRmT3_T4_T5_T6_T7_T9_mT8_P12ihipStream_tbDpT10_ENKUlT_T0_E_clISt17integral_constantIbLb1EES1C_IbLb0EEEEDaS18_S19_EUlS18_E_NS1_11comp_targetILNS1_3genE3ELNS1_11target_archE908ELNS1_3gpuE7ELNS1_3repE0EEENS1_30default_config_static_selectorELNS0_4arch9wavefront6targetE1EEEvT1_, .Lfunc_end680-_ZN7rocprim17ROCPRIM_400000_NS6detail17trampoline_kernelINS0_14default_configENS1_25partition_config_selectorILNS1_17partition_subalgoE8EiNS0_10empty_typeEbEEZZNS1_14partition_implILS5_8ELb0ES3_jN6thrust23THRUST_200600_302600_NS6detail15normal_iteratorINSA_10device_ptrIiEEEEPS6_PKS6_NS0_5tupleIJNSA_16discard_iteratorINSA_11use_defaultEEES6_EEENSJ_IJSG_SG_EEENS0_18inequality_wrapperINSA_8equal_toIiEEEEPmJS6_EEE10hipError_tPvRmT3_T4_T5_T6_T7_T9_mT8_P12ihipStream_tbDpT10_ENKUlT_T0_E_clISt17integral_constantIbLb1EES1C_IbLb0EEEEDaS18_S19_EUlS18_E_NS1_11comp_targetILNS1_3genE3ELNS1_11target_archE908ELNS1_3gpuE7ELNS1_3repE0EEENS1_30default_config_static_selectorELNS0_4arch9wavefront6targetE1EEEvT1_
                                        ; -- End function
	.set _ZN7rocprim17ROCPRIM_400000_NS6detail17trampoline_kernelINS0_14default_configENS1_25partition_config_selectorILNS1_17partition_subalgoE8EiNS0_10empty_typeEbEEZZNS1_14partition_implILS5_8ELb0ES3_jN6thrust23THRUST_200600_302600_NS6detail15normal_iteratorINSA_10device_ptrIiEEEEPS6_PKS6_NS0_5tupleIJNSA_16discard_iteratorINSA_11use_defaultEEES6_EEENSJ_IJSG_SG_EEENS0_18inequality_wrapperINSA_8equal_toIiEEEEPmJS6_EEE10hipError_tPvRmT3_T4_T5_T6_T7_T9_mT8_P12ihipStream_tbDpT10_ENKUlT_T0_E_clISt17integral_constantIbLb1EES1C_IbLb0EEEEDaS18_S19_EUlS18_E_NS1_11comp_targetILNS1_3genE3ELNS1_11target_archE908ELNS1_3gpuE7ELNS1_3repE0EEENS1_30default_config_static_selectorELNS0_4arch9wavefront6targetE1EEEvT1_.num_vgpr, 0
	.set _ZN7rocprim17ROCPRIM_400000_NS6detail17trampoline_kernelINS0_14default_configENS1_25partition_config_selectorILNS1_17partition_subalgoE8EiNS0_10empty_typeEbEEZZNS1_14partition_implILS5_8ELb0ES3_jN6thrust23THRUST_200600_302600_NS6detail15normal_iteratorINSA_10device_ptrIiEEEEPS6_PKS6_NS0_5tupleIJNSA_16discard_iteratorINSA_11use_defaultEEES6_EEENSJ_IJSG_SG_EEENS0_18inequality_wrapperINSA_8equal_toIiEEEEPmJS6_EEE10hipError_tPvRmT3_T4_T5_T6_T7_T9_mT8_P12ihipStream_tbDpT10_ENKUlT_T0_E_clISt17integral_constantIbLb1EES1C_IbLb0EEEEDaS18_S19_EUlS18_E_NS1_11comp_targetILNS1_3genE3ELNS1_11target_archE908ELNS1_3gpuE7ELNS1_3repE0EEENS1_30default_config_static_selectorELNS0_4arch9wavefront6targetE1EEEvT1_.num_agpr, 0
	.set _ZN7rocprim17ROCPRIM_400000_NS6detail17trampoline_kernelINS0_14default_configENS1_25partition_config_selectorILNS1_17partition_subalgoE8EiNS0_10empty_typeEbEEZZNS1_14partition_implILS5_8ELb0ES3_jN6thrust23THRUST_200600_302600_NS6detail15normal_iteratorINSA_10device_ptrIiEEEEPS6_PKS6_NS0_5tupleIJNSA_16discard_iteratorINSA_11use_defaultEEES6_EEENSJ_IJSG_SG_EEENS0_18inequality_wrapperINSA_8equal_toIiEEEEPmJS6_EEE10hipError_tPvRmT3_T4_T5_T6_T7_T9_mT8_P12ihipStream_tbDpT10_ENKUlT_T0_E_clISt17integral_constantIbLb1EES1C_IbLb0EEEEDaS18_S19_EUlS18_E_NS1_11comp_targetILNS1_3genE3ELNS1_11target_archE908ELNS1_3gpuE7ELNS1_3repE0EEENS1_30default_config_static_selectorELNS0_4arch9wavefront6targetE1EEEvT1_.numbered_sgpr, 0
	.set _ZN7rocprim17ROCPRIM_400000_NS6detail17trampoline_kernelINS0_14default_configENS1_25partition_config_selectorILNS1_17partition_subalgoE8EiNS0_10empty_typeEbEEZZNS1_14partition_implILS5_8ELb0ES3_jN6thrust23THRUST_200600_302600_NS6detail15normal_iteratorINSA_10device_ptrIiEEEEPS6_PKS6_NS0_5tupleIJNSA_16discard_iteratorINSA_11use_defaultEEES6_EEENSJ_IJSG_SG_EEENS0_18inequality_wrapperINSA_8equal_toIiEEEEPmJS6_EEE10hipError_tPvRmT3_T4_T5_T6_T7_T9_mT8_P12ihipStream_tbDpT10_ENKUlT_T0_E_clISt17integral_constantIbLb1EES1C_IbLb0EEEEDaS18_S19_EUlS18_E_NS1_11comp_targetILNS1_3genE3ELNS1_11target_archE908ELNS1_3gpuE7ELNS1_3repE0EEENS1_30default_config_static_selectorELNS0_4arch9wavefront6targetE1EEEvT1_.num_named_barrier, 0
	.set _ZN7rocprim17ROCPRIM_400000_NS6detail17trampoline_kernelINS0_14default_configENS1_25partition_config_selectorILNS1_17partition_subalgoE8EiNS0_10empty_typeEbEEZZNS1_14partition_implILS5_8ELb0ES3_jN6thrust23THRUST_200600_302600_NS6detail15normal_iteratorINSA_10device_ptrIiEEEEPS6_PKS6_NS0_5tupleIJNSA_16discard_iteratorINSA_11use_defaultEEES6_EEENSJ_IJSG_SG_EEENS0_18inequality_wrapperINSA_8equal_toIiEEEEPmJS6_EEE10hipError_tPvRmT3_T4_T5_T6_T7_T9_mT8_P12ihipStream_tbDpT10_ENKUlT_T0_E_clISt17integral_constantIbLb1EES1C_IbLb0EEEEDaS18_S19_EUlS18_E_NS1_11comp_targetILNS1_3genE3ELNS1_11target_archE908ELNS1_3gpuE7ELNS1_3repE0EEENS1_30default_config_static_selectorELNS0_4arch9wavefront6targetE1EEEvT1_.private_seg_size, 0
	.set _ZN7rocprim17ROCPRIM_400000_NS6detail17trampoline_kernelINS0_14default_configENS1_25partition_config_selectorILNS1_17partition_subalgoE8EiNS0_10empty_typeEbEEZZNS1_14partition_implILS5_8ELb0ES3_jN6thrust23THRUST_200600_302600_NS6detail15normal_iteratorINSA_10device_ptrIiEEEEPS6_PKS6_NS0_5tupleIJNSA_16discard_iteratorINSA_11use_defaultEEES6_EEENSJ_IJSG_SG_EEENS0_18inequality_wrapperINSA_8equal_toIiEEEEPmJS6_EEE10hipError_tPvRmT3_T4_T5_T6_T7_T9_mT8_P12ihipStream_tbDpT10_ENKUlT_T0_E_clISt17integral_constantIbLb1EES1C_IbLb0EEEEDaS18_S19_EUlS18_E_NS1_11comp_targetILNS1_3genE3ELNS1_11target_archE908ELNS1_3gpuE7ELNS1_3repE0EEENS1_30default_config_static_selectorELNS0_4arch9wavefront6targetE1EEEvT1_.uses_vcc, 0
	.set _ZN7rocprim17ROCPRIM_400000_NS6detail17trampoline_kernelINS0_14default_configENS1_25partition_config_selectorILNS1_17partition_subalgoE8EiNS0_10empty_typeEbEEZZNS1_14partition_implILS5_8ELb0ES3_jN6thrust23THRUST_200600_302600_NS6detail15normal_iteratorINSA_10device_ptrIiEEEEPS6_PKS6_NS0_5tupleIJNSA_16discard_iteratorINSA_11use_defaultEEES6_EEENSJ_IJSG_SG_EEENS0_18inequality_wrapperINSA_8equal_toIiEEEEPmJS6_EEE10hipError_tPvRmT3_T4_T5_T6_T7_T9_mT8_P12ihipStream_tbDpT10_ENKUlT_T0_E_clISt17integral_constantIbLb1EES1C_IbLb0EEEEDaS18_S19_EUlS18_E_NS1_11comp_targetILNS1_3genE3ELNS1_11target_archE908ELNS1_3gpuE7ELNS1_3repE0EEENS1_30default_config_static_selectorELNS0_4arch9wavefront6targetE1EEEvT1_.uses_flat_scratch, 0
	.set _ZN7rocprim17ROCPRIM_400000_NS6detail17trampoline_kernelINS0_14default_configENS1_25partition_config_selectorILNS1_17partition_subalgoE8EiNS0_10empty_typeEbEEZZNS1_14partition_implILS5_8ELb0ES3_jN6thrust23THRUST_200600_302600_NS6detail15normal_iteratorINSA_10device_ptrIiEEEEPS6_PKS6_NS0_5tupleIJNSA_16discard_iteratorINSA_11use_defaultEEES6_EEENSJ_IJSG_SG_EEENS0_18inequality_wrapperINSA_8equal_toIiEEEEPmJS6_EEE10hipError_tPvRmT3_T4_T5_T6_T7_T9_mT8_P12ihipStream_tbDpT10_ENKUlT_T0_E_clISt17integral_constantIbLb1EES1C_IbLb0EEEEDaS18_S19_EUlS18_E_NS1_11comp_targetILNS1_3genE3ELNS1_11target_archE908ELNS1_3gpuE7ELNS1_3repE0EEENS1_30default_config_static_selectorELNS0_4arch9wavefront6targetE1EEEvT1_.has_dyn_sized_stack, 0
	.set _ZN7rocprim17ROCPRIM_400000_NS6detail17trampoline_kernelINS0_14default_configENS1_25partition_config_selectorILNS1_17partition_subalgoE8EiNS0_10empty_typeEbEEZZNS1_14partition_implILS5_8ELb0ES3_jN6thrust23THRUST_200600_302600_NS6detail15normal_iteratorINSA_10device_ptrIiEEEEPS6_PKS6_NS0_5tupleIJNSA_16discard_iteratorINSA_11use_defaultEEES6_EEENSJ_IJSG_SG_EEENS0_18inequality_wrapperINSA_8equal_toIiEEEEPmJS6_EEE10hipError_tPvRmT3_T4_T5_T6_T7_T9_mT8_P12ihipStream_tbDpT10_ENKUlT_T0_E_clISt17integral_constantIbLb1EES1C_IbLb0EEEEDaS18_S19_EUlS18_E_NS1_11comp_targetILNS1_3genE3ELNS1_11target_archE908ELNS1_3gpuE7ELNS1_3repE0EEENS1_30default_config_static_selectorELNS0_4arch9wavefront6targetE1EEEvT1_.has_recursion, 0
	.set _ZN7rocprim17ROCPRIM_400000_NS6detail17trampoline_kernelINS0_14default_configENS1_25partition_config_selectorILNS1_17partition_subalgoE8EiNS0_10empty_typeEbEEZZNS1_14partition_implILS5_8ELb0ES3_jN6thrust23THRUST_200600_302600_NS6detail15normal_iteratorINSA_10device_ptrIiEEEEPS6_PKS6_NS0_5tupleIJNSA_16discard_iteratorINSA_11use_defaultEEES6_EEENSJ_IJSG_SG_EEENS0_18inequality_wrapperINSA_8equal_toIiEEEEPmJS6_EEE10hipError_tPvRmT3_T4_T5_T6_T7_T9_mT8_P12ihipStream_tbDpT10_ENKUlT_T0_E_clISt17integral_constantIbLb1EES1C_IbLb0EEEEDaS18_S19_EUlS18_E_NS1_11comp_targetILNS1_3genE3ELNS1_11target_archE908ELNS1_3gpuE7ELNS1_3repE0EEENS1_30default_config_static_selectorELNS0_4arch9wavefront6targetE1EEEvT1_.has_indirect_call, 0
	.section	.AMDGPU.csdata,"",@progbits
; Kernel info:
; codeLenInByte = 0
; TotalNumSgprs: 4
; NumVgprs: 0
; ScratchSize: 0
; MemoryBound: 0
; FloatMode: 240
; IeeeMode: 1
; LDSByteSize: 0 bytes/workgroup (compile time only)
; SGPRBlocks: 0
; VGPRBlocks: 0
; NumSGPRsForWavesPerEU: 4
; NumVGPRsForWavesPerEU: 1
; Occupancy: 10
; WaveLimiterHint : 0
; COMPUTE_PGM_RSRC2:SCRATCH_EN: 0
; COMPUTE_PGM_RSRC2:USER_SGPR: 6
; COMPUTE_PGM_RSRC2:TRAP_HANDLER: 0
; COMPUTE_PGM_RSRC2:TGID_X_EN: 1
; COMPUTE_PGM_RSRC2:TGID_Y_EN: 0
; COMPUTE_PGM_RSRC2:TGID_Z_EN: 0
; COMPUTE_PGM_RSRC2:TIDIG_COMP_CNT: 0
	.section	.text._ZN7rocprim17ROCPRIM_400000_NS6detail17trampoline_kernelINS0_14default_configENS1_25partition_config_selectorILNS1_17partition_subalgoE8EiNS0_10empty_typeEbEEZZNS1_14partition_implILS5_8ELb0ES3_jN6thrust23THRUST_200600_302600_NS6detail15normal_iteratorINSA_10device_ptrIiEEEEPS6_PKS6_NS0_5tupleIJNSA_16discard_iteratorINSA_11use_defaultEEES6_EEENSJ_IJSG_SG_EEENS0_18inequality_wrapperINSA_8equal_toIiEEEEPmJS6_EEE10hipError_tPvRmT3_T4_T5_T6_T7_T9_mT8_P12ihipStream_tbDpT10_ENKUlT_T0_E_clISt17integral_constantIbLb1EES1C_IbLb0EEEEDaS18_S19_EUlS18_E_NS1_11comp_targetILNS1_3genE2ELNS1_11target_archE906ELNS1_3gpuE6ELNS1_3repE0EEENS1_30default_config_static_selectorELNS0_4arch9wavefront6targetE1EEEvT1_,"axG",@progbits,_ZN7rocprim17ROCPRIM_400000_NS6detail17trampoline_kernelINS0_14default_configENS1_25partition_config_selectorILNS1_17partition_subalgoE8EiNS0_10empty_typeEbEEZZNS1_14partition_implILS5_8ELb0ES3_jN6thrust23THRUST_200600_302600_NS6detail15normal_iteratorINSA_10device_ptrIiEEEEPS6_PKS6_NS0_5tupleIJNSA_16discard_iteratorINSA_11use_defaultEEES6_EEENSJ_IJSG_SG_EEENS0_18inequality_wrapperINSA_8equal_toIiEEEEPmJS6_EEE10hipError_tPvRmT3_T4_T5_T6_T7_T9_mT8_P12ihipStream_tbDpT10_ENKUlT_T0_E_clISt17integral_constantIbLb1EES1C_IbLb0EEEEDaS18_S19_EUlS18_E_NS1_11comp_targetILNS1_3genE2ELNS1_11target_archE906ELNS1_3gpuE6ELNS1_3repE0EEENS1_30default_config_static_selectorELNS0_4arch9wavefront6targetE1EEEvT1_,comdat
	.protected	_ZN7rocprim17ROCPRIM_400000_NS6detail17trampoline_kernelINS0_14default_configENS1_25partition_config_selectorILNS1_17partition_subalgoE8EiNS0_10empty_typeEbEEZZNS1_14partition_implILS5_8ELb0ES3_jN6thrust23THRUST_200600_302600_NS6detail15normal_iteratorINSA_10device_ptrIiEEEEPS6_PKS6_NS0_5tupleIJNSA_16discard_iteratorINSA_11use_defaultEEES6_EEENSJ_IJSG_SG_EEENS0_18inequality_wrapperINSA_8equal_toIiEEEEPmJS6_EEE10hipError_tPvRmT3_T4_T5_T6_T7_T9_mT8_P12ihipStream_tbDpT10_ENKUlT_T0_E_clISt17integral_constantIbLb1EES1C_IbLb0EEEEDaS18_S19_EUlS18_E_NS1_11comp_targetILNS1_3genE2ELNS1_11target_archE906ELNS1_3gpuE6ELNS1_3repE0EEENS1_30default_config_static_selectorELNS0_4arch9wavefront6targetE1EEEvT1_ ; -- Begin function _ZN7rocprim17ROCPRIM_400000_NS6detail17trampoline_kernelINS0_14default_configENS1_25partition_config_selectorILNS1_17partition_subalgoE8EiNS0_10empty_typeEbEEZZNS1_14partition_implILS5_8ELb0ES3_jN6thrust23THRUST_200600_302600_NS6detail15normal_iteratorINSA_10device_ptrIiEEEEPS6_PKS6_NS0_5tupleIJNSA_16discard_iteratorINSA_11use_defaultEEES6_EEENSJ_IJSG_SG_EEENS0_18inequality_wrapperINSA_8equal_toIiEEEEPmJS6_EEE10hipError_tPvRmT3_T4_T5_T6_T7_T9_mT8_P12ihipStream_tbDpT10_ENKUlT_T0_E_clISt17integral_constantIbLb1EES1C_IbLb0EEEEDaS18_S19_EUlS18_E_NS1_11comp_targetILNS1_3genE2ELNS1_11target_archE906ELNS1_3gpuE6ELNS1_3repE0EEENS1_30default_config_static_selectorELNS0_4arch9wavefront6targetE1EEEvT1_
	.globl	_ZN7rocprim17ROCPRIM_400000_NS6detail17trampoline_kernelINS0_14default_configENS1_25partition_config_selectorILNS1_17partition_subalgoE8EiNS0_10empty_typeEbEEZZNS1_14partition_implILS5_8ELb0ES3_jN6thrust23THRUST_200600_302600_NS6detail15normal_iteratorINSA_10device_ptrIiEEEEPS6_PKS6_NS0_5tupleIJNSA_16discard_iteratorINSA_11use_defaultEEES6_EEENSJ_IJSG_SG_EEENS0_18inequality_wrapperINSA_8equal_toIiEEEEPmJS6_EEE10hipError_tPvRmT3_T4_T5_T6_T7_T9_mT8_P12ihipStream_tbDpT10_ENKUlT_T0_E_clISt17integral_constantIbLb1EES1C_IbLb0EEEEDaS18_S19_EUlS18_E_NS1_11comp_targetILNS1_3genE2ELNS1_11target_archE906ELNS1_3gpuE6ELNS1_3repE0EEENS1_30default_config_static_selectorELNS0_4arch9wavefront6targetE1EEEvT1_
	.p2align	8
	.type	_ZN7rocprim17ROCPRIM_400000_NS6detail17trampoline_kernelINS0_14default_configENS1_25partition_config_selectorILNS1_17partition_subalgoE8EiNS0_10empty_typeEbEEZZNS1_14partition_implILS5_8ELb0ES3_jN6thrust23THRUST_200600_302600_NS6detail15normal_iteratorINSA_10device_ptrIiEEEEPS6_PKS6_NS0_5tupleIJNSA_16discard_iteratorINSA_11use_defaultEEES6_EEENSJ_IJSG_SG_EEENS0_18inequality_wrapperINSA_8equal_toIiEEEEPmJS6_EEE10hipError_tPvRmT3_T4_T5_T6_T7_T9_mT8_P12ihipStream_tbDpT10_ENKUlT_T0_E_clISt17integral_constantIbLb1EES1C_IbLb0EEEEDaS18_S19_EUlS18_E_NS1_11comp_targetILNS1_3genE2ELNS1_11target_archE906ELNS1_3gpuE6ELNS1_3repE0EEENS1_30default_config_static_selectorELNS0_4arch9wavefront6targetE1EEEvT1_,@function
_ZN7rocprim17ROCPRIM_400000_NS6detail17trampoline_kernelINS0_14default_configENS1_25partition_config_selectorILNS1_17partition_subalgoE8EiNS0_10empty_typeEbEEZZNS1_14partition_implILS5_8ELb0ES3_jN6thrust23THRUST_200600_302600_NS6detail15normal_iteratorINSA_10device_ptrIiEEEEPS6_PKS6_NS0_5tupleIJNSA_16discard_iteratorINSA_11use_defaultEEES6_EEENSJ_IJSG_SG_EEENS0_18inequality_wrapperINSA_8equal_toIiEEEEPmJS6_EEE10hipError_tPvRmT3_T4_T5_T6_T7_T9_mT8_P12ihipStream_tbDpT10_ENKUlT_T0_E_clISt17integral_constantIbLb1EES1C_IbLb0EEEEDaS18_S19_EUlS18_E_NS1_11comp_targetILNS1_3genE2ELNS1_11target_archE906ELNS1_3gpuE6ELNS1_3repE0EEENS1_30default_config_static_selectorELNS0_4arch9wavefront6targetE1EEEvT1_: ; @_ZN7rocprim17ROCPRIM_400000_NS6detail17trampoline_kernelINS0_14default_configENS1_25partition_config_selectorILNS1_17partition_subalgoE8EiNS0_10empty_typeEbEEZZNS1_14partition_implILS5_8ELb0ES3_jN6thrust23THRUST_200600_302600_NS6detail15normal_iteratorINSA_10device_ptrIiEEEEPS6_PKS6_NS0_5tupleIJNSA_16discard_iteratorINSA_11use_defaultEEES6_EEENSJ_IJSG_SG_EEENS0_18inequality_wrapperINSA_8equal_toIiEEEEPmJS6_EEE10hipError_tPvRmT3_T4_T5_T6_T7_T9_mT8_P12ihipStream_tbDpT10_ENKUlT_T0_E_clISt17integral_constantIbLb1EES1C_IbLb0EEEEDaS18_S19_EUlS18_E_NS1_11comp_targetILNS1_3genE2ELNS1_11target_archE906ELNS1_3gpuE6ELNS1_3repE0EEENS1_30default_config_static_selectorELNS0_4arch9wavefront6targetE1EEEvT1_
; %bb.0:
	s_endpgm
	.section	.rodata,"a",@progbits
	.p2align	6, 0x0
	.amdhsa_kernel _ZN7rocprim17ROCPRIM_400000_NS6detail17trampoline_kernelINS0_14default_configENS1_25partition_config_selectorILNS1_17partition_subalgoE8EiNS0_10empty_typeEbEEZZNS1_14partition_implILS5_8ELb0ES3_jN6thrust23THRUST_200600_302600_NS6detail15normal_iteratorINSA_10device_ptrIiEEEEPS6_PKS6_NS0_5tupleIJNSA_16discard_iteratorINSA_11use_defaultEEES6_EEENSJ_IJSG_SG_EEENS0_18inequality_wrapperINSA_8equal_toIiEEEEPmJS6_EEE10hipError_tPvRmT3_T4_T5_T6_T7_T9_mT8_P12ihipStream_tbDpT10_ENKUlT_T0_E_clISt17integral_constantIbLb1EES1C_IbLb0EEEEDaS18_S19_EUlS18_E_NS1_11comp_targetILNS1_3genE2ELNS1_11target_archE906ELNS1_3gpuE6ELNS1_3repE0EEENS1_30default_config_static_selectorELNS0_4arch9wavefront6targetE1EEEvT1_
		.amdhsa_group_segment_fixed_size 0
		.amdhsa_private_segment_fixed_size 0
		.amdhsa_kernarg_size 120
		.amdhsa_user_sgpr_count 6
		.amdhsa_user_sgpr_private_segment_buffer 1
		.amdhsa_user_sgpr_dispatch_ptr 0
		.amdhsa_user_sgpr_queue_ptr 0
		.amdhsa_user_sgpr_kernarg_segment_ptr 1
		.amdhsa_user_sgpr_dispatch_id 0
		.amdhsa_user_sgpr_flat_scratch_init 0
		.amdhsa_user_sgpr_private_segment_size 0
		.amdhsa_uses_dynamic_stack 0
		.amdhsa_system_sgpr_private_segment_wavefront_offset 0
		.amdhsa_system_sgpr_workgroup_id_x 1
		.amdhsa_system_sgpr_workgroup_id_y 0
		.amdhsa_system_sgpr_workgroup_id_z 0
		.amdhsa_system_sgpr_workgroup_info 0
		.amdhsa_system_vgpr_workitem_id 0
		.amdhsa_next_free_vgpr 1
		.amdhsa_next_free_sgpr 0
		.amdhsa_reserve_vcc 0
		.amdhsa_reserve_flat_scratch 0
		.amdhsa_float_round_mode_32 0
		.amdhsa_float_round_mode_16_64 0
		.amdhsa_float_denorm_mode_32 3
		.amdhsa_float_denorm_mode_16_64 3
		.amdhsa_dx10_clamp 1
		.amdhsa_ieee_mode 1
		.amdhsa_fp16_overflow 0
		.amdhsa_exception_fp_ieee_invalid_op 0
		.amdhsa_exception_fp_denorm_src 0
		.amdhsa_exception_fp_ieee_div_zero 0
		.amdhsa_exception_fp_ieee_overflow 0
		.amdhsa_exception_fp_ieee_underflow 0
		.amdhsa_exception_fp_ieee_inexact 0
		.amdhsa_exception_int_div_zero 0
	.end_amdhsa_kernel
	.section	.text._ZN7rocprim17ROCPRIM_400000_NS6detail17trampoline_kernelINS0_14default_configENS1_25partition_config_selectorILNS1_17partition_subalgoE8EiNS0_10empty_typeEbEEZZNS1_14partition_implILS5_8ELb0ES3_jN6thrust23THRUST_200600_302600_NS6detail15normal_iteratorINSA_10device_ptrIiEEEEPS6_PKS6_NS0_5tupleIJNSA_16discard_iteratorINSA_11use_defaultEEES6_EEENSJ_IJSG_SG_EEENS0_18inequality_wrapperINSA_8equal_toIiEEEEPmJS6_EEE10hipError_tPvRmT3_T4_T5_T6_T7_T9_mT8_P12ihipStream_tbDpT10_ENKUlT_T0_E_clISt17integral_constantIbLb1EES1C_IbLb0EEEEDaS18_S19_EUlS18_E_NS1_11comp_targetILNS1_3genE2ELNS1_11target_archE906ELNS1_3gpuE6ELNS1_3repE0EEENS1_30default_config_static_selectorELNS0_4arch9wavefront6targetE1EEEvT1_,"axG",@progbits,_ZN7rocprim17ROCPRIM_400000_NS6detail17trampoline_kernelINS0_14default_configENS1_25partition_config_selectorILNS1_17partition_subalgoE8EiNS0_10empty_typeEbEEZZNS1_14partition_implILS5_8ELb0ES3_jN6thrust23THRUST_200600_302600_NS6detail15normal_iteratorINSA_10device_ptrIiEEEEPS6_PKS6_NS0_5tupleIJNSA_16discard_iteratorINSA_11use_defaultEEES6_EEENSJ_IJSG_SG_EEENS0_18inequality_wrapperINSA_8equal_toIiEEEEPmJS6_EEE10hipError_tPvRmT3_T4_T5_T6_T7_T9_mT8_P12ihipStream_tbDpT10_ENKUlT_T0_E_clISt17integral_constantIbLb1EES1C_IbLb0EEEEDaS18_S19_EUlS18_E_NS1_11comp_targetILNS1_3genE2ELNS1_11target_archE906ELNS1_3gpuE6ELNS1_3repE0EEENS1_30default_config_static_selectorELNS0_4arch9wavefront6targetE1EEEvT1_,comdat
.Lfunc_end681:
	.size	_ZN7rocprim17ROCPRIM_400000_NS6detail17trampoline_kernelINS0_14default_configENS1_25partition_config_selectorILNS1_17partition_subalgoE8EiNS0_10empty_typeEbEEZZNS1_14partition_implILS5_8ELb0ES3_jN6thrust23THRUST_200600_302600_NS6detail15normal_iteratorINSA_10device_ptrIiEEEEPS6_PKS6_NS0_5tupleIJNSA_16discard_iteratorINSA_11use_defaultEEES6_EEENSJ_IJSG_SG_EEENS0_18inequality_wrapperINSA_8equal_toIiEEEEPmJS6_EEE10hipError_tPvRmT3_T4_T5_T6_T7_T9_mT8_P12ihipStream_tbDpT10_ENKUlT_T0_E_clISt17integral_constantIbLb1EES1C_IbLb0EEEEDaS18_S19_EUlS18_E_NS1_11comp_targetILNS1_3genE2ELNS1_11target_archE906ELNS1_3gpuE6ELNS1_3repE0EEENS1_30default_config_static_selectorELNS0_4arch9wavefront6targetE1EEEvT1_, .Lfunc_end681-_ZN7rocprim17ROCPRIM_400000_NS6detail17trampoline_kernelINS0_14default_configENS1_25partition_config_selectorILNS1_17partition_subalgoE8EiNS0_10empty_typeEbEEZZNS1_14partition_implILS5_8ELb0ES3_jN6thrust23THRUST_200600_302600_NS6detail15normal_iteratorINSA_10device_ptrIiEEEEPS6_PKS6_NS0_5tupleIJNSA_16discard_iteratorINSA_11use_defaultEEES6_EEENSJ_IJSG_SG_EEENS0_18inequality_wrapperINSA_8equal_toIiEEEEPmJS6_EEE10hipError_tPvRmT3_T4_T5_T6_T7_T9_mT8_P12ihipStream_tbDpT10_ENKUlT_T0_E_clISt17integral_constantIbLb1EES1C_IbLb0EEEEDaS18_S19_EUlS18_E_NS1_11comp_targetILNS1_3genE2ELNS1_11target_archE906ELNS1_3gpuE6ELNS1_3repE0EEENS1_30default_config_static_selectorELNS0_4arch9wavefront6targetE1EEEvT1_
                                        ; -- End function
	.set _ZN7rocprim17ROCPRIM_400000_NS6detail17trampoline_kernelINS0_14default_configENS1_25partition_config_selectorILNS1_17partition_subalgoE8EiNS0_10empty_typeEbEEZZNS1_14partition_implILS5_8ELb0ES3_jN6thrust23THRUST_200600_302600_NS6detail15normal_iteratorINSA_10device_ptrIiEEEEPS6_PKS6_NS0_5tupleIJNSA_16discard_iteratorINSA_11use_defaultEEES6_EEENSJ_IJSG_SG_EEENS0_18inequality_wrapperINSA_8equal_toIiEEEEPmJS6_EEE10hipError_tPvRmT3_T4_T5_T6_T7_T9_mT8_P12ihipStream_tbDpT10_ENKUlT_T0_E_clISt17integral_constantIbLb1EES1C_IbLb0EEEEDaS18_S19_EUlS18_E_NS1_11comp_targetILNS1_3genE2ELNS1_11target_archE906ELNS1_3gpuE6ELNS1_3repE0EEENS1_30default_config_static_selectorELNS0_4arch9wavefront6targetE1EEEvT1_.num_vgpr, 0
	.set _ZN7rocprim17ROCPRIM_400000_NS6detail17trampoline_kernelINS0_14default_configENS1_25partition_config_selectorILNS1_17partition_subalgoE8EiNS0_10empty_typeEbEEZZNS1_14partition_implILS5_8ELb0ES3_jN6thrust23THRUST_200600_302600_NS6detail15normal_iteratorINSA_10device_ptrIiEEEEPS6_PKS6_NS0_5tupleIJNSA_16discard_iteratorINSA_11use_defaultEEES6_EEENSJ_IJSG_SG_EEENS0_18inequality_wrapperINSA_8equal_toIiEEEEPmJS6_EEE10hipError_tPvRmT3_T4_T5_T6_T7_T9_mT8_P12ihipStream_tbDpT10_ENKUlT_T0_E_clISt17integral_constantIbLb1EES1C_IbLb0EEEEDaS18_S19_EUlS18_E_NS1_11comp_targetILNS1_3genE2ELNS1_11target_archE906ELNS1_3gpuE6ELNS1_3repE0EEENS1_30default_config_static_selectorELNS0_4arch9wavefront6targetE1EEEvT1_.num_agpr, 0
	.set _ZN7rocprim17ROCPRIM_400000_NS6detail17trampoline_kernelINS0_14default_configENS1_25partition_config_selectorILNS1_17partition_subalgoE8EiNS0_10empty_typeEbEEZZNS1_14partition_implILS5_8ELb0ES3_jN6thrust23THRUST_200600_302600_NS6detail15normal_iteratorINSA_10device_ptrIiEEEEPS6_PKS6_NS0_5tupleIJNSA_16discard_iteratorINSA_11use_defaultEEES6_EEENSJ_IJSG_SG_EEENS0_18inequality_wrapperINSA_8equal_toIiEEEEPmJS6_EEE10hipError_tPvRmT3_T4_T5_T6_T7_T9_mT8_P12ihipStream_tbDpT10_ENKUlT_T0_E_clISt17integral_constantIbLb1EES1C_IbLb0EEEEDaS18_S19_EUlS18_E_NS1_11comp_targetILNS1_3genE2ELNS1_11target_archE906ELNS1_3gpuE6ELNS1_3repE0EEENS1_30default_config_static_selectorELNS0_4arch9wavefront6targetE1EEEvT1_.numbered_sgpr, 0
	.set _ZN7rocprim17ROCPRIM_400000_NS6detail17trampoline_kernelINS0_14default_configENS1_25partition_config_selectorILNS1_17partition_subalgoE8EiNS0_10empty_typeEbEEZZNS1_14partition_implILS5_8ELb0ES3_jN6thrust23THRUST_200600_302600_NS6detail15normal_iteratorINSA_10device_ptrIiEEEEPS6_PKS6_NS0_5tupleIJNSA_16discard_iteratorINSA_11use_defaultEEES6_EEENSJ_IJSG_SG_EEENS0_18inequality_wrapperINSA_8equal_toIiEEEEPmJS6_EEE10hipError_tPvRmT3_T4_T5_T6_T7_T9_mT8_P12ihipStream_tbDpT10_ENKUlT_T0_E_clISt17integral_constantIbLb1EES1C_IbLb0EEEEDaS18_S19_EUlS18_E_NS1_11comp_targetILNS1_3genE2ELNS1_11target_archE906ELNS1_3gpuE6ELNS1_3repE0EEENS1_30default_config_static_selectorELNS0_4arch9wavefront6targetE1EEEvT1_.num_named_barrier, 0
	.set _ZN7rocprim17ROCPRIM_400000_NS6detail17trampoline_kernelINS0_14default_configENS1_25partition_config_selectorILNS1_17partition_subalgoE8EiNS0_10empty_typeEbEEZZNS1_14partition_implILS5_8ELb0ES3_jN6thrust23THRUST_200600_302600_NS6detail15normal_iteratorINSA_10device_ptrIiEEEEPS6_PKS6_NS0_5tupleIJNSA_16discard_iteratorINSA_11use_defaultEEES6_EEENSJ_IJSG_SG_EEENS0_18inequality_wrapperINSA_8equal_toIiEEEEPmJS6_EEE10hipError_tPvRmT3_T4_T5_T6_T7_T9_mT8_P12ihipStream_tbDpT10_ENKUlT_T0_E_clISt17integral_constantIbLb1EES1C_IbLb0EEEEDaS18_S19_EUlS18_E_NS1_11comp_targetILNS1_3genE2ELNS1_11target_archE906ELNS1_3gpuE6ELNS1_3repE0EEENS1_30default_config_static_selectorELNS0_4arch9wavefront6targetE1EEEvT1_.private_seg_size, 0
	.set _ZN7rocprim17ROCPRIM_400000_NS6detail17trampoline_kernelINS0_14default_configENS1_25partition_config_selectorILNS1_17partition_subalgoE8EiNS0_10empty_typeEbEEZZNS1_14partition_implILS5_8ELb0ES3_jN6thrust23THRUST_200600_302600_NS6detail15normal_iteratorINSA_10device_ptrIiEEEEPS6_PKS6_NS0_5tupleIJNSA_16discard_iteratorINSA_11use_defaultEEES6_EEENSJ_IJSG_SG_EEENS0_18inequality_wrapperINSA_8equal_toIiEEEEPmJS6_EEE10hipError_tPvRmT3_T4_T5_T6_T7_T9_mT8_P12ihipStream_tbDpT10_ENKUlT_T0_E_clISt17integral_constantIbLb1EES1C_IbLb0EEEEDaS18_S19_EUlS18_E_NS1_11comp_targetILNS1_3genE2ELNS1_11target_archE906ELNS1_3gpuE6ELNS1_3repE0EEENS1_30default_config_static_selectorELNS0_4arch9wavefront6targetE1EEEvT1_.uses_vcc, 0
	.set _ZN7rocprim17ROCPRIM_400000_NS6detail17trampoline_kernelINS0_14default_configENS1_25partition_config_selectorILNS1_17partition_subalgoE8EiNS0_10empty_typeEbEEZZNS1_14partition_implILS5_8ELb0ES3_jN6thrust23THRUST_200600_302600_NS6detail15normal_iteratorINSA_10device_ptrIiEEEEPS6_PKS6_NS0_5tupleIJNSA_16discard_iteratorINSA_11use_defaultEEES6_EEENSJ_IJSG_SG_EEENS0_18inequality_wrapperINSA_8equal_toIiEEEEPmJS6_EEE10hipError_tPvRmT3_T4_T5_T6_T7_T9_mT8_P12ihipStream_tbDpT10_ENKUlT_T0_E_clISt17integral_constantIbLb1EES1C_IbLb0EEEEDaS18_S19_EUlS18_E_NS1_11comp_targetILNS1_3genE2ELNS1_11target_archE906ELNS1_3gpuE6ELNS1_3repE0EEENS1_30default_config_static_selectorELNS0_4arch9wavefront6targetE1EEEvT1_.uses_flat_scratch, 0
	.set _ZN7rocprim17ROCPRIM_400000_NS6detail17trampoline_kernelINS0_14default_configENS1_25partition_config_selectorILNS1_17partition_subalgoE8EiNS0_10empty_typeEbEEZZNS1_14partition_implILS5_8ELb0ES3_jN6thrust23THRUST_200600_302600_NS6detail15normal_iteratorINSA_10device_ptrIiEEEEPS6_PKS6_NS0_5tupleIJNSA_16discard_iteratorINSA_11use_defaultEEES6_EEENSJ_IJSG_SG_EEENS0_18inequality_wrapperINSA_8equal_toIiEEEEPmJS6_EEE10hipError_tPvRmT3_T4_T5_T6_T7_T9_mT8_P12ihipStream_tbDpT10_ENKUlT_T0_E_clISt17integral_constantIbLb1EES1C_IbLb0EEEEDaS18_S19_EUlS18_E_NS1_11comp_targetILNS1_3genE2ELNS1_11target_archE906ELNS1_3gpuE6ELNS1_3repE0EEENS1_30default_config_static_selectorELNS0_4arch9wavefront6targetE1EEEvT1_.has_dyn_sized_stack, 0
	.set _ZN7rocprim17ROCPRIM_400000_NS6detail17trampoline_kernelINS0_14default_configENS1_25partition_config_selectorILNS1_17partition_subalgoE8EiNS0_10empty_typeEbEEZZNS1_14partition_implILS5_8ELb0ES3_jN6thrust23THRUST_200600_302600_NS6detail15normal_iteratorINSA_10device_ptrIiEEEEPS6_PKS6_NS0_5tupleIJNSA_16discard_iteratorINSA_11use_defaultEEES6_EEENSJ_IJSG_SG_EEENS0_18inequality_wrapperINSA_8equal_toIiEEEEPmJS6_EEE10hipError_tPvRmT3_T4_T5_T6_T7_T9_mT8_P12ihipStream_tbDpT10_ENKUlT_T0_E_clISt17integral_constantIbLb1EES1C_IbLb0EEEEDaS18_S19_EUlS18_E_NS1_11comp_targetILNS1_3genE2ELNS1_11target_archE906ELNS1_3gpuE6ELNS1_3repE0EEENS1_30default_config_static_selectorELNS0_4arch9wavefront6targetE1EEEvT1_.has_recursion, 0
	.set _ZN7rocprim17ROCPRIM_400000_NS6detail17trampoline_kernelINS0_14default_configENS1_25partition_config_selectorILNS1_17partition_subalgoE8EiNS0_10empty_typeEbEEZZNS1_14partition_implILS5_8ELb0ES3_jN6thrust23THRUST_200600_302600_NS6detail15normal_iteratorINSA_10device_ptrIiEEEEPS6_PKS6_NS0_5tupleIJNSA_16discard_iteratorINSA_11use_defaultEEES6_EEENSJ_IJSG_SG_EEENS0_18inequality_wrapperINSA_8equal_toIiEEEEPmJS6_EEE10hipError_tPvRmT3_T4_T5_T6_T7_T9_mT8_P12ihipStream_tbDpT10_ENKUlT_T0_E_clISt17integral_constantIbLb1EES1C_IbLb0EEEEDaS18_S19_EUlS18_E_NS1_11comp_targetILNS1_3genE2ELNS1_11target_archE906ELNS1_3gpuE6ELNS1_3repE0EEENS1_30default_config_static_selectorELNS0_4arch9wavefront6targetE1EEEvT1_.has_indirect_call, 0
	.section	.AMDGPU.csdata,"",@progbits
; Kernel info:
; codeLenInByte = 4
; TotalNumSgprs: 4
; NumVgprs: 0
; ScratchSize: 0
; MemoryBound: 0
; FloatMode: 240
; IeeeMode: 1
; LDSByteSize: 0 bytes/workgroup (compile time only)
; SGPRBlocks: 0
; VGPRBlocks: 0
; NumSGPRsForWavesPerEU: 4
; NumVGPRsForWavesPerEU: 1
; Occupancy: 10
; WaveLimiterHint : 0
; COMPUTE_PGM_RSRC2:SCRATCH_EN: 0
; COMPUTE_PGM_RSRC2:USER_SGPR: 6
; COMPUTE_PGM_RSRC2:TRAP_HANDLER: 0
; COMPUTE_PGM_RSRC2:TGID_X_EN: 1
; COMPUTE_PGM_RSRC2:TGID_Y_EN: 0
; COMPUTE_PGM_RSRC2:TGID_Z_EN: 0
; COMPUTE_PGM_RSRC2:TIDIG_COMP_CNT: 0
	.section	.text._ZN7rocprim17ROCPRIM_400000_NS6detail17trampoline_kernelINS0_14default_configENS1_25partition_config_selectorILNS1_17partition_subalgoE8EiNS0_10empty_typeEbEEZZNS1_14partition_implILS5_8ELb0ES3_jN6thrust23THRUST_200600_302600_NS6detail15normal_iteratorINSA_10device_ptrIiEEEEPS6_PKS6_NS0_5tupleIJNSA_16discard_iteratorINSA_11use_defaultEEES6_EEENSJ_IJSG_SG_EEENS0_18inequality_wrapperINSA_8equal_toIiEEEEPmJS6_EEE10hipError_tPvRmT3_T4_T5_T6_T7_T9_mT8_P12ihipStream_tbDpT10_ENKUlT_T0_E_clISt17integral_constantIbLb1EES1C_IbLb0EEEEDaS18_S19_EUlS18_E_NS1_11comp_targetILNS1_3genE10ELNS1_11target_archE1200ELNS1_3gpuE4ELNS1_3repE0EEENS1_30default_config_static_selectorELNS0_4arch9wavefront6targetE1EEEvT1_,"axG",@progbits,_ZN7rocprim17ROCPRIM_400000_NS6detail17trampoline_kernelINS0_14default_configENS1_25partition_config_selectorILNS1_17partition_subalgoE8EiNS0_10empty_typeEbEEZZNS1_14partition_implILS5_8ELb0ES3_jN6thrust23THRUST_200600_302600_NS6detail15normal_iteratorINSA_10device_ptrIiEEEEPS6_PKS6_NS0_5tupleIJNSA_16discard_iteratorINSA_11use_defaultEEES6_EEENSJ_IJSG_SG_EEENS0_18inequality_wrapperINSA_8equal_toIiEEEEPmJS6_EEE10hipError_tPvRmT3_T4_T5_T6_T7_T9_mT8_P12ihipStream_tbDpT10_ENKUlT_T0_E_clISt17integral_constantIbLb1EES1C_IbLb0EEEEDaS18_S19_EUlS18_E_NS1_11comp_targetILNS1_3genE10ELNS1_11target_archE1200ELNS1_3gpuE4ELNS1_3repE0EEENS1_30default_config_static_selectorELNS0_4arch9wavefront6targetE1EEEvT1_,comdat
	.protected	_ZN7rocprim17ROCPRIM_400000_NS6detail17trampoline_kernelINS0_14default_configENS1_25partition_config_selectorILNS1_17partition_subalgoE8EiNS0_10empty_typeEbEEZZNS1_14partition_implILS5_8ELb0ES3_jN6thrust23THRUST_200600_302600_NS6detail15normal_iteratorINSA_10device_ptrIiEEEEPS6_PKS6_NS0_5tupleIJNSA_16discard_iteratorINSA_11use_defaultEEES6_EEENSJ_IJSG_SG_EEENS0_18inequality_wrapperINSA_8equal_toIiEEEEPmJS6_EEE10hipError_tPvRmT3_T4_T5_T6_T7_T9_mT8_P12ihipStream_tbDpT10_ENKUlT_T0_E_clISt17integral_constantIbLb1EES1C_IbLb0EEEEDaS18_S19_EUlS18_E_NS1_11comp_targetILNS1_3genE10ELNS1_11target_archE1200ELNS1_3gpuE4ELNS1_3repE0EEENS1_30default_config_static_selectorELNS0_4arch9wavefront6targetE1EEEvT1_ ; -- Begin function _ZN7rocprim17ROCPRIM_400000_NS6detail17trampoline_kernelINS0_14default_configENS1_25partition_config_selectorILNS1_17partition_subalgoE8EiNS0_10empty_typeEbEEZZNS1_14partition_implILS5_8ELb0ES3_jN6thrust23THRUST_200600_302600_NS6detail15normal_iteratorINSA_10device_ptrIiEEEEPS6_PKS6_NS0_5tupleIJNSA_16discard_iteratorINSA_11use_defaultEEES6_EEENSJ_IJSG_SG_EEENS0_18inequality_wrapperINSA_8equal_toIiEEEEPmJS6_EEE10hipError_tPvRmT3_T4_T5_T6_T7_T9_mT8_P12ihipStream_tbDpT10_ENKUlT_T0_E_clISt17integral_constantIbLb1EES1C_IbLb0EEEEDaS18_S19_EUlS18_E_NS1_11comp_targetILNS1_3genE10ELNS1_11target_archE1200ELNS1_3gpuE4ELNS1_3repE0EEENS1_30default_config_static_selectorELNS0_4arch9wavefront6targetE1EEEvT1_
	.globl	_ZN7rocprim17ROCPRIM_400000_NS6detail17trampoline_kernelINS0_14default_configENS1_25partition_config_selectorILNS1_17partition_subalgoE8EiNS0_10empty_typeEbEEZZNS1_14partition_implILS5_8ELb0ES3_jN6thrust23THRUST_200600_302600_NS6detail15normal_iteratorINSA_10device_ptrIiEEEEPS6_PKS6_NS0_5tupleIJNSA_16discard_iteratorINSA_11use_defaultEEES6_EEENSJ_IJSG_SG_EEENS0_18inequality_wrapperINSA_8equal_toIiEEEEPmJS6_EEE10hipError_tPvRmT3_T4_T5_T6_T7_T9_mT8_P12ihipStream_tbDpT10_ENKUlT_T0_E_clISt17integral_constantIbLb1EES1C_IbLb0EEEEDaS18_S19_EUlS18_E_NS1_11comp_targetILNS1_3genE10ELNS1_11target_archE1200ELNS1_3gpuE4ELNS1_3repE0EEENS1_30default_config_static_selectorELNS0_4arch9wavefront6targetE1EEEvT1_
	.p2align	8
	.type	_ZN7rocprim17ROCPRIM_400000_NS6detail17trampoline_kernelINS0_14default_configENS1_25partition_config_selectorILNS1_17partition_subalgoE8EiNS0_10empty_typeEbEEZZNS1_14partition_implILS5_8ELb0ES3_jN6thrust23THRUST_200600_302600_NS6detail15normal_iteratorINSA_10device_ptrIiEEEEPS6_PKS6_NS0_5tupleIJNSA_16discard_iteratorINSA_11use_defaultEEES6_EEENSJ_IJSG_SG_EEENS0_18inequality_wrapperINSA_8equal_toIiEEEEPmJS6_EEE10hipError_tPvRmT3_T4_T5_T6_T7_T9_mT8_P12ihipStream_tbDpT10_ENKUlT_T0_E_clISt17integral_constantIbLb1EES1C_IbLb0EEEEDaS18_S19_EUlS18_E_NS1_11comp_targetILNS1_3genE10ELNS1_11target_archE1200ELNS1_3gpuE4ELNS1_3repE0EEENS1_30default_config_static_selectorELNS0_4arch9wavefront6targetE1EEEvT1_,@function
_ZN7rocprim17ROCPRIM_400000_NS6detail17trampoline_kernelINS0_14default_configENS1_25partition_config_selectorILNS1_17partition_subalgoE8EiNS0_10empty_typeEbEEZZNS1_14partition_implILS5_8ELb0ES3_jN6thrust23THRUST_200600_302600_NS6detail15normal_iteratorINSA_10device_ptrIiEEEEPS6_PKS6_NS0_5tupleIJNSA_16discard_iteratorINSA_11use_defaultEEES6_EEENSJ_IJSG_SG_EEENS0_18inequality_wrapperINSA_8equal_toIiEEEEPmJS6_EEE10hipError_tPvRmT3_T4_T5_T6_T7_T9_mT8_P12ihipStream_tbDpT10_ENKUlT_T0_E_clISt17integral_constantIbLb1EES1C_IbLb0EEEEDaS18_S19_EUlS18_E_NS1_11comp_targetILNS1_3genE10ELNS1_11target_archE1200ELNS1_3gpuE4ELNS1_3repE0EEENS1_30default_config_static_selectorELNS0_4arch9wavefront6targetE1EEEvT1_: ; @_ZN7rocprim17ROCPRIM_400000_NS6detail17trampoline_kernelINS0_14default_configENS1_25partition_config_selectorILNS1_17partition_subalgoE8EiNS0_10empty_typeEbEEZZNS1_14partition_implILS5_8ELb0ES3_jN6thrust23THRUST_200600_302600_NS6detail15normal_iteratorINSA_10device_ptrIiEEEEPS6_PKS6_NS0_5tupleIJNSA_16discard_iteratorINSA_11use_defaultEEES6_EEENSJ_IJSG_SG_EEENS0_18inequality_wrapperINSA_8equal_toIiEEEEPmJS6_EEE10hipError_tPvRmT3_T4_T5_T6_T7_T9_mT8_P12ihipStream_tbDpT10_ENKUlT_T0_E_clISt17integral_constantIbLb1EES1C_IbLb0EEEEDaS18_S19_EUlS18_E_NS1_11comp_targetILNS1_3genE10ELNS1_11target_archE1200ELNS1_3gpuE4ELNS1_3repE0EEENS1_30default_config_static_selectorELNS0_4arch9wavefront6targetE1EEEvT1_
; %bb.0:
	.section	.rodata,"a",@progbits
	.p2align	6, 0x0
	.amdhsa_kernel _ZN7rocprim17ROCPRIM_400000_NS6detail17trampoline_kernelINS0_14default_configENS1_25partition_config_selectorILNS1_17partition_subalgoE8EiNS0_10empty_typeEbEEZZNS1_14partition_implILS5_8ELb0ES3_jN6thrust23THRUST_200600_302600_NS6detail15normal_iteratorINSA_10device_ptrIiEEEEPS6_PKS6_NS0_5tupleIJNSA_16discard_iteratorINSA_11use_defaultEEES6_EEENSJ_IJSG_SG_EEENS0_18inequality_wrapperINSA_8equal_toIiEEEEPmJS6_EEE10hipError_tPvRmT3_T4_T5_T6_T7_T9_mT8_P12ihipStream_tbDpT10_ENKUlT_T0_E_clISt17integral_constantIbLb1EES1C_IbLb0EEEEDaS18_S19_EUlS18_E_NS1_11comp_targetILNS1_3genE10ELNS1_11target_archE1200ELNS1_3gpuE4ELNS1_3repE0EEENS1_30default_config_static_selectorELNS0_4arch9wavefront6targetE1EEEvT1_
		.amdhsa_group_segment_fixed_size 0
		.amdhsa_private_segment_fixed_size 0
		.amdhsa_kernarg_size 120
		.amdhsa_user_sgpr_count 6
		.amdhsa_user_sgpr_private_segment_buffer 1
		.amdhsa_user_sgpr_dispatch_ptr 0
		.amdhsa_user_sgpr_queue_ptr 0
		.amdhsa_user_sgpr_kernarg_segment_ptr 1
		.amdhsa_user_sgpr_dispatch_id 0
		.amdhsa_user_sgpr_flat_scratch_init 0
		.amdhsa_user_sgpr_private_segment_size 0
		.amdhsa_uses_dynamic_stack 0
		.amdhsa_system_sgpr_private_segment_wavefront_offset 0
		.amdhsa_system_sgpr_workgroup_id_x 1
		.amdhsa_system_sgpr_workgroup_id_y 0
		.amdhsa_system_sgpr_workgroup_id_z 0
		.amdhsa_system_sgpr_workgroup_info 0
		.amdhsa_system_vgpr_workitem_id 0
		.amdhsa_next_free_vgpr 1
		.amdhsa_next_free_sgpr 0
		.amdhsa_reserve_vcc 0
		.amdhsa_reserve_flat_scratch 0
		.amdhsa_float_round_mode_32 0
		.amdhsa_float_round_mode_16_64 0
		.amdhsa_float_denorm_mode_32 3
		.amdhsa_float_denorm_mode_16_64 3
		.amdhsa_dx10_clamp 1
		.amdhsa_ieee_mode 1
		.amdhsa_fp16_overflow 0
		.amdhsa_exception_fp_ieee_invalid_op 0
		.amdhsa_exception_fp_denorm_src 0
		.amdhsa_exception_fp_ieee_div_zero 0
		.amdhsa_exception_fp_ieee_overflow 0
		.amdhsa_exception_fp_ieee_underflow 0
		.amdhsa_exception_fp_ieee_inexact 0
		.amdhsa_exception_int_div_zero 0
	.end_amdhsa_kernel
	.section	.text._ZN7rocprim17ROCPRIM_400000_NS6detail17trampoline_kernelINS0_14default_configENS1_25partition_config_selectorILNS1_17partition_subalgoE8EiNS0_10empty_typeEbEEZZNS1_14partition_implILS5_8ELb0ES3_jN6thrust23THRUST_200600_302600_NS6detail15normal_iteratorINSA_10device_ptrIiEEEEPS6_PKS6_NS0_5tupleIJNSA_16discard_iteratorINSA_11use_defaultEEES6_EEENSJ_IJSG_SG_EEENS0_18inequality_wrapperINSA_8equal_toIiEEEEPmJS6_EEE10hipError_tPvRmT3_T4_T5_T6_T7_T9_mT8_P12ihipStream_tbDpT10_ENKUlT_T0_E_clISt17integral_constantIbLb1EES1C_IbLb0EEEEDaS18_S19_EUlS18_E_NS1_11comp_targetILNS1_3genE10ELNS1_11target_archE1200ELNS1_3gpuE4ELNS1_3repE0EEENS1_30default_config_static_selectorELNS0_4arch9wavefront6targetE1EEEvT1_,"axG",@progbits,_ZN7rocprim17ROCPRIM_400000_NS6detail17trampoline_kernelINS0_14default_configENS1_25partition_config_selectorILNS1_17partition_subalgoE8EiNS0_10empty_typeEbEEZZNS1_14partition_implILS5_8ELb0ES3_jN6thrust23THRUST_200600_302600_NS6detail15normal_iteratorINSA_10device_ptrIiEEEEPS6_PKS6_NS0_5tupleIJNSA_16discard_iteratorINSA_11use_defaultEEES6_EEENSJ_IJSG_SG_EEENS0_18inequality_wrapperINSA_8equal_toIiEEEEPmJS6_EEE10hipError_tPvRmT3_T4_T5_T6_T7_T9_mT8_P12ihipStream_tbDpT10_ENKUlT_T0_E_clISt17integral_constantIbLb1EES1C_IbLb0EEEEDaS18_S19_EUlS18_E_NS1_11comp_targetILNS1_3genE10ELNS1_11target_archE1200ELNS1_3gpuE4ELNS1_3repE0EEENS1_30default_config_static_selectorELNS0_4arch9wavefront6targetE1EEEvT1_,comdat
.Lfunc_end682:
	.size	_ZN7rocprim17ROCPRIM_400000_NS6detail17trampoline_kernelINS0_14default_configENS1_25partition_config_selectorILNS1_17partition_subalgoE8EiNS0_10empty_typeEbEEZZNS1_14partition_implILS5_8ELb0ES3_jN6thrust23THRUST_200600_302600_NS6detail15normal_iteratorINSA_10device_ptrIiEEEEPS6_PKS6_NS0_5tupleIJNSA_16discard_iteratorINSA_11use_defaultEEES6_EEENSJ_IJSG_SG_EEENS0_18inequality_wrapperINSA_8equal_toIiEEEEPmJS6_EEE10hipError_tPvRmT3_T4_T5_T6_T7_T9_mT8_P12ihipStream_tbDpT10_ENKUlT_T0_E_clISt17integral_constantIbLb1EES1C_IbLb0EEEEDaS18_S19_EUlS18_E_NS1_11comp_targetILNS1_3genE10ELNS1_11target_archE1200ELNS1_3gpuE4ELNS1_3repE0EEENS1_30default_config_static_selectorELNS0_4arch9wavefront6targetE1EEEvT1_, .Lfunc_end682-_ZN7rocprim17ROCPRIM_400000_NS6detail17trampoline_kernelINS0_14default_configENS1_25partition_config_selectorILNS1_17partition_subalgoE8EiNS0_10empty_typeEbEEZZNS1_14partition_implILS5_8ELb0ES3_jN6thrust23THRUST_200600_302600_NS6detail15normal_iteratorINSA_10device_ptrIiEEEEPS6_PKS6_NS0_5tupleIJNSA_16discard_iteratorINSA_11use_defaultEEES6_EEENSJ_IJSG_SG_EEENS0_18inequality_wrapperINSA_8equal_toIiEEEEPmJS6_EEE10hipError_tPvRmT3_T4_T5_T6_T7_T9_mT8_P12ihipStream_tbDpT10_ENKUlT_T0_E_clISt17integral_constantIbLb1EES1C_IbLb0EEEEDaS18_S19_EUlS18_E_NS1_11comp_targetILNS1_3genE10ELNS1_11target_archE1200ELNS1_3gpuE4ELNS1_3repE0EEENS1_30default_config_static_selectorELNS0_4arch9wavefront6targetE1EEEvT1_
                                        ; -- End function
	.set _ZN7rocprim17ROCPRIM_400000_NS6detail17trampoline_kernelINS0_14default_configENS1_25partition_config_selectorILNS1_17partition_subalgoE8EiNS0_10empty_typeEbEEZZNS1_14partition_implILS5_8ELb0ES3_jN6thrust23THRUST_200600_302600_NS6detail15normal_iteratorINSA_10device_ptrIiEEEEPS6_PKS6_NS0_5tupleIJNSA_16discard_iteratorINSA_11use_defaultEEES6_EEENSJ_IJSG_SG_EEENS0_18inequality_wrapperINSA_8equal_toIiEEEEPmJS6_EEE10hipError_tPvRmT3_T4_T5_T6_T7_T9_mT8_P12ihipStream_tbDpT10_ENKUlT_T0_E_clISt17integral_constantIbLb1EES1C_IbLb0EEEEDaS18_S19_EUlS18_E_NS1_11comp_targetILNS1_3genE10ELNS1_11target_archE1200ELNS1_3gpuE4ELNS1_3repE0EEENS1_30default_config_static_selectorELNS0_4arch9wavefront6targetE1EEEvT1_.num_vgpr, 0
	.set _ZN7rocprim17ROCPRIM_400000_NS6detail17trampoline_kernelINS0_14default_configENS1_25partition_config_selectorILNS1_17partition_subalgoE8EiNS0_10empty_typeEbEEZZNS1_14partition_implILS5_8ELb0ES3_jN6thrust23THRUST_200600_302600_NS6detail15normal_iteratorINSA_10device_ptrIiEEEEPS6_PKS6_NS0_5tupleIJNSA_16discard_iteratorINSA_11use_defaultEEES6_EEENSJ_IJSG_SG_EEENS0_18inequality_wrapperINSA_8equal_toIiEEEEPmJS6_EEE10hipError_tPvRmT3_T4_T5_T6_T7_T9_mT8_P12ihipStream_tbDpT10_ENKUlT_T0_E_clISt17integral_constantIbLb1EES1C_IbLb0EEEEDaS18_S19_EUlS18_E_NS1_11comp_targetILNS1_3genE10ELNS1_11target_archE1200ELNS1_3gpuE4ELNS1_3repE0EEENS1_30default_config_static_selectorELNS0_4arch9wavefront6targetE1EEEvT1_.num_agpr, 0
	.set _ZN7rocprim17ROCPRIM_400000_NS6detail17trampoline_kernelINS0_14default_configENS1_25partition_config_selectorILNS1_17partition_subalgoE8EiNS0_10empty_typeEbEEZZNS1_14partition_implILS5_8ELb0ES3_jN6thrust23THRUST_200600_302600_NS6detail15normal_iteratorINSA_10device_ptrIiEEEEPS6_PKS6_NS0_5tupleIJNSA_16discard_iteratorINSA_11use_defaultEEES6_EEENSJ_IJSG_SG_EEENS0_18inequality_wrapperINSA_8equal_toIiEEEEPmJS6_EEE10hipError_tPvRmT3_T4_T5_T6_T7_T9_mT8_P12ihipStream_tbDpT10_ENKUlT_T0_E_clISt17integral_constantIbLb1EES1C_IbLb0EEEEDaS18_S19_EUlS18_E_NS1_11comp_targetILNS1_3genE10ELNS1_11target_archE1200ELNS1_3gpuE4ELNS1_3repE0EEENS1_30default_config_static_selectorELNS0_4arch9wavefront6targetE1EEEvT1_.numbered_sgpr, 0
	.set _ZN7rocprim17ROCPRIM_400000_NS6detail17trampoline_kernelINS0_14default_configENS1_25partition_config_selectorILNS1_17partition_subalgoE8EiNS0_10empty_typeEbEEZZNS1_14partition_implILS5_8ELb0ES3_jN6thrust23THRUST_200600_302600_NS6detail15normal_iteratorINSA_10device_ptrIiEEEEPS6_PKS6_NS0_5tupleIJNSA_16discard_iteratorINSA_11use_defaultEEES6_EEENSJ_IJSG_SG_EEENS0_18inequality_wrapperINSA_8equal_toIiEEEEPmJS6_EEE10hipError_tPvRmT3_T4_T5_T6_T7_T9_mT8_P12ihipStream_tbDpT10_ENKUlT_T0_E_clISt17integral_constantIbLb1EES1C_IbLb0EEEEDaS18_S19_EUlS18_E_NS1_11comp_targetILNS1_3genE10ELNS1_11target_archE1200ELNS1_3gpuE4ELNS1_3repE0EEENS1_30default_config_static_selectorELNS0_4arch9wavefront6targetE1EEEvT1_.num_named_barrier, 0
	.set _ZN7rocprim17ROCPRIM_400000_NS6detail17trampoline_kernelINS0_14default_configENS1_25partition_config_selectorILNS1_17partition_subalgoE8EiNS0_10empty_typeEbEEZZNS1_14partition_implILS5_8ELb0ES3_jN6thrust23THRUST_200600_302600_NS6detail15normal_iteratorINSA_10device_ptrIiEEEEPS6_PKS6_NS0_5tupleIJNSA_16discard_iteratorINSA_11use_defaultEEES6_EEENSJ_IJSG_SG_EEENS0_18inequality_wrapperINSA_8equal_toIiEEEEPmJS6_EEE10hipError_tPvRmT3_T4_T5_T6_T7_T9_mT8_P12ihipStream_tbDpT10_ENKUlT_T0_E_clISt17integral_constantIbLb1EES1C_IbLb0EEEEDaS18_S19_EUlS18_E_NS1_11comp_targetILNS1_3genE10ELNS1_11target_archE1200ELNS1_3gpuE4ELNS1_3repE0EEENS1_30default_config_static_selectorELNS0_4arch9wavefront6targetE1EEEvT1_.private_seg_size, 0
	.set _ZN7rocprim17ROCPRIM_400000_NS6detail17trampoline_kernelINS0_14default_configENS1_25partition_config_selectorILNS1_17partition_subalgoE8EiNS0_10empty_typeEbEEZZNS1_14partition_implILS5_8ELb0ES3_jN6thrust23THRUST_200600_302600_NS6detail15normal_iteratorINSA_10device_ptrIiEEEEPS6_PKS6_NS0_5tupleIJNSA_16discard_iteratorINSA_11use_defaultEEES6_EEENSJ_IJSG_SG_EEENS0_18inequality_wrapperINSA_8equal_toIiEEEEPmJS6_EEE10hipError_tPvRmT3_T4_T5_T6_T7_T9_mT8_P12ihipStream_tbDpT10_ENKUlT_T0_E_clISt17integral_constantIbLb1EES1C_IbLb0EEEEDaS18_S19_EUlS18_E_NS1_11comp_targetILNS1_3genE10ELNS1_11target_archE1200ELNS1_3gpuE4ELNS1_3repE0EEENS1_30default_config_static_selectorELNS0_4arch9wavefront6targetE1EEEvT1_.uses_vcc, 0
	.set _ZN7rocprim17ROCPRIM_400000_NS6detail17trampoline_kernelINS0_14default_configENS1_25partition_config_selectorILNS1_17partition_subalgoE8EiNS0_10empty_typeEbEEZZNS1_14partition_implILS5_8ELb0ES3_jN6thrust23THRUST_200600_302600_NS6detail15normal_iteratorINSA_10device_ptrIiEEEEPS6_PKS6_NS0_5tupleIJNSA_16discard_iteratorINSA_11use_defaultEEES6_EEENSJ_IJSG_SG_EEENS0_18inequality_wrapperINSA_8equal_toIiEEEEPmJS6_EEE10hipError_tPvRmT3_T4_T5_T6_T7_T9_mT8_P12ihipStream_tbDpT10_ENKUlT_T0_E_clISt17integral_constantIbLb1EES1C_IbLb0EEEEDaS18_S19_EUlS18_E_NS1_11comp_targetILNS1_3genE10ELNS1_11target_archE1200ELNS1_3gpuE4ELNS1_3repE0EEENS1_30default_config_static_selectorELNS0_4arch9wavefront6targetE1EEEvT1_.uses_flat_scratch, 0
	.set _ZN7rocprim17ROCPRIM_400000_NS6detail17trampoline_kernelINS0_14default_configENS1_25partition_config_selectorILNS1_17partition_subalgoE8EiNS0_10empty_typeEbEEZZNS1_14partition_implILS5_8ELb0ES3_jN6thrust23THRUST_200600_302600_NS6detail15normal_iteratorINSA_10device_ptrIiEEEEPS6_PKS6_NS0_5tupleIJNSA_16discard_iteratorINSA_11use_defaultEEES6_EEENSJ_IJSG_SG_EEENS0_18inequality_wrapperINSA_8equal_toIiEEEEPmJS6_EEE10hipError_tPvRmT3_T4_T5_T6_T7_T9_mT8_P12ihipStream_tbDpT10_ENKUlT_T0_E_clISt17integral_constantIbLb1EES1C_IbLb0EEEEDaS18_S19_EUlS18_E_NS1_11comp_targetILNS1_3genE10ELNS1_11target_archE1200ELNS1_3gpuE4ELNS1_3repE0EEENS1_30default_config_static_selectorELNS0_4arch9wavefront6targetE1EEEvT1_.has_dyn_sized_stack, 0
	.set _ZN7rocprim17ROCPRIM_400000_NS6detail17trampoline_kernelINS0_14default_configENS1_25partition_config_selectorILNS1_17partition_subalgoE8EiNS0_10empty_typeEbEEZZNS1_14partition_implILS5_8ELb0ES3_jN6thrust23THRUST_200600_302600_NS6detail15normal_iteratorINSA_10device_ptrIiEEEEPS6_PKS6_NS0_5tupleIJNSA_16discard_iteratorINSA_11use_defaultEEES6_EEENSJ_IJSG_SG_EEENS0_18inequality_wrapperINSA_8equal_toIiEEEEPmJS6_EEE10hipError_tPvRmT3_T4_T5_T6_T7_T9_mT8_P12ihipStream_tbDpT10_ENKUlT_T0_E_clISt17integral_constantIbLb1EES1C_IbLb0EEEEDaS18_S19_EUlS18_E_NS1_11comp_targetILNS1_3genE10ELNS1_11target_archE1200ELNS1_3gpuE4ELNS1_3repE0EEENS1_30default_config_static_selectorELNS0_4arch9wavefront6targetE1EEEvT1_.has_recursion, 0
	.set _ZN7rocprim17ROCPRIM_400000_NS6detail17trampoline_kernelINS0_14default_configENS1_25partition_config_selectorILNS1_17partition_subalgoE8EiNS0_10empty_typeEbEEZZNS1_14partition_implILS5_8ELb0ES3_jN6thrust23THRUST_200600_302600_NS6detail15normal_iteratorINSA_10device_ptrIiEEEEPS6_PKS6_NS0_5tupleIJNSA_16discard_iteratorINSA_11use_defaultEEES6_EEENSJ_IJSG_SG_EEENS0_18inequality_wrapperINSA_8equal_toIiEEEEPmJS6_EEE10hipError_tPvRmT3_T4_T5_T6_T7_T9_mT8_P12ihipStream_tbDpT10_ENKUlT_T0_E_clISt17integral_constantIbLb1EES1C_IbLb0EEEEDaS18_S19_EUlS18_E_NS1_11comp_targetILNS1_3genE10ELNS1_11target_archE1200ELNS1_3gpuE4ELNS1_3repE0EEENS1_30default_config_static_selectorELNS0_4arch9wavefront6targetE1EEEvT1_.has_indirect_call, 0
	.section	.AMDGPU.csdata,"",@progbits
; Kernel info:
; codeLenInByte = 0
; TotalNumSgprs: 4
; NumVgprs: 0
; ScratchSize: 0
; MemoryBound: 0
; FloatMode: 240
; IeeeMode: 1
; LDSByteSize: 0 bytes/workgroup (compile time only)
; SGPRBlocks: 0
; VGPRBlocks: 0
; NumSGPRsForWavesPerEU: 4
; NumVGPRsForWavesPerEU: 1
; Occupancy: 10
; WaveLimiterHint : 0
; COMPUTE_PGM_RSRC2:SCRATCH_EN: 0
; COMPUTE_PGM_RSRC2:USER_SGPR: 6
; COMPUTE_PGM_RSRC2:TRAP_HANDLER: 0
; COMPUTE_PGM_RSRC2:TGID_X_EN: 1
; COMPUTE_PGM_RSRC2:TGID_Y_EN: 0
; COMPUTE_PGM_RSRC2:TGID_Z_EN: 0
; COMPUTE_PGM_RSRC2:TIDIG_COMP_CNT: 0
	.section	.text._ZN7rocprim17ROCPRIM_400000_NS6detail17trampoline_kernelINS0_14default_configENS1_25partition_config_selectorILNS1_17partition_subalgoE8EiNS0_10empty_typeEbEEZZNS1_14partition_implILS5_8ELb0ES3_jN6thrust23THRUST_200600_302600_NS6detail15normal_iteratorINSA_10device_ptrIiEEEEPS6_PKS6_NS0_5tupleIJNSA_16discard_iteratorINSA_11use_defaultEEES6_EEENSJ_IJSG_SG_EEENS0_18inequality_wrapperINSA_8equal_toIiEEEEPmJS6_EEE10hipError_tPvRmT3_T4_T5_T6_T7_T9_mT8_P12ihipStream_tbDpT10_ENKUlT_T0_E_clISt17integral_constantIbLb1EES1C_IbLb0EEEEDaS18_S19_EUlS18_E_NS1_11comp_targetILNS1_3genE9ELNS1_11target_archE1100ELNS1_3gpuE3ELNS1_3repE0EEENS1_30default_config_static_selectorELNS0_4arch9wavefront6targetE1EEEvT1_,"axG",@progbits,_ZN7rocprim17ROCPRIM_400000_NS6detail17trampoline_kernelINS0_14default_configENS1_25partition_config_selectorILNS1_17partition_subalgoE8EiNS0_10empty_typeEbEEZZNS1_14partition_implILS5_8ELb0ES3_jN6thrust23THRUST_200600_302600_NS6detail15normal_iteratorINSA_10device_ptrIiEEEEPS6_PKS6_NS0_5tupleIJNSA_16discard_iteratorINSA_11use_defaultEEES6_EEENSJ_IJSG_SG_EEENS0_18inequality_wrapperINSA_8equal_toIiEEEEPmJS6_EEE10hipError_tPvRmT3_T4_T5_T6_T7_T9_mT8_P12ihipStream_tbDpT10_ENKUlT_T0_E_clISt17integral_constantIbLb1EES1C_IbLb0EEEEDaS18_S19_EUlS18_E_NS1_11comp_targetILNS1_3genE9ELNS1_11target_archE1100ELNS1_3gpuE3ELNS1_3repE0EEENS1_30default_config_static_selectorELNS0_4arch9wavefront6targetE1EEEvT1_,comdat
	.protected	_ZN7rocprim17ROCPRIM_400000_NS6detail17trampoline_kernelINS0_14default_configENS1_25partition_config_selectorILNS1_17partition_subalgoE8EiNS0_10empty_typeEbEEZZNS1_14partition_implILS5_8ELb0ES3_jN6thrust23THRUST_200600_302600_NS6detail15normal_iteratorINSA_10device_ptrIiEEEEPS6_PKS6_NS0_5tupleIJNSA_16discard_iteratorINSA_11use_defaultEEES6_EEENSJ_IJSG_SG_EEENS0_18inequality_wrapperINSA_8equal_toIiEEEEPmJS6_EEE10hipError_tPvRmT3_T4_T5_T6_T7_T9_mT8_P12ihipStream_tbDpT10_ENKUlT_T0_E_clISt17integral_constantIbLb1EES1C_IbLb0EEEEDaS18_S19_EUlS18_E_NS1_11comp_targetILNS1_3genE9ELNS1_11target_archE1100ELNS1_3gpuE3ELNS1_3repE0EEENS1_30default_config_static_selectorELNS0_4arch9wavefront6targetE1EEEvT1_ ; -- Begin function _ZN7rocprim17ROCPRIM_400000_NS6detail17trampoline_kernelINS0_14default_configENS1_25partition_config_selectorILNS1_17partition_subalgoE8EiNS0_10empty_typeEbEEZZNS1_14partition_implILS5_8ELb0ES3_jN6thrust23THRUST_200600_302600_NS6detail15normal_iteratorINSA_10device_ptrIiEEEEPS6_PKS6_NS0_5tupleIJNSA_16discard_iteratorINSA_11use_defaultEEES6_EEENSJ_IJSG_SG_EEENS0_18inequality_wrapperINSA_8equal_toIiEEEEPmJS6_EEE10hipError_tPvRmT3_T4_T5_T6_T7_T9_mT8_P12ihipStream_tbDpT10_ENKUlT_T0_E_clISt17integral_constantIbLb1EES1C_IbLb0EEEEDaS18_S19_EUlS18_E_NS1_11comp_targetILNS1_3genE9ELNS1_11target_archE1100ELNS1_3gpuE3ELNS1_3repE0EEENS1_30default_config_static_selectorELNS0_4arch9wavefront6targetE1EEEvT1_
	.globl	_ZN7rocprim17ROCPRIM_400000_NS6detail17trampoline_kernelINS0_14default_configENS1_25partition_config_selectorILNS1_17partition_subalgoE8EiNS0_10empty_typeEbEEZZNS1_14partition_implILS5_8ELb0ES3_jN6thrust23THRUST_200600_302600_NS6detail15normal_iteratorINSA_10device_ptrIiEEEEPS6_PKS6_NS0_5tupleIJNSA_16discard_iteratorINSA_11use_defaultEEES6_EEENSJ_IJSG_SG_EEENS0_18inequality_wrapperINSA_8equal_toIiEEEEPmJS6_EEE10hipError_tPvRmT3_T4_T5_T6_T7_T9_mT8_P12ihipStream_tbDpT10_ENKUlT_T0_E_clISt17integral_constantIbLb1EES1C_IbLb0EEEEDaS18_S19_EUlS18_E_NS1_11comp_targetILNS1_3genE9ELNS1_11target_archE1100ELNS1_3gpuE3ELNS1_3repE0EEENS1_30default_config_static_selectorELNS0_4arch9wavefront6targetE1EEEvT1_
	.p2align	8
	.type	_ZN7rocprim17ROCPRIM_400000_NS6detail17trampoline_kernelINS0_14default_configENS1_25partition_config_selectorILNS1_17partition_subalgoE8EiNS0_10empty_typeEbEEZZNS1_14partition_implILS5_8ELb0ES3_jN6thrust23THRUST_200600_302600_NS6detail15normal_iteratorINSA_10device_ptrIiEEEEPS6_PKS6_NS0_5tupleIJNSA_16discard_iteratorINSA_11use_defaultEEES6_EEENSJ_IJSG_SG_EEENS0_18inequality_wrapperINSA_8equal_toIiEEEEPmJS6_EEE10hipError_tPvRmT3_T4_T5_T6_T7_T9_mT8_P12ihipStream_tbDpT10_ENKUlT_T0_E_clISt17integral_constantIbLb1EES1C_IbLb0EEEEDaS18_S19_EUlS18_E_NS1_11comp_targetILNS1_3genE9ELNS1_11target_archE1100ELNS1_3gpuE3ELNS1_3repE0EEENS1_30default_config_static_selectorELNS0_4arch9wavefront6targetE1EEEvT1_,@function
_ZN7rocprim17ROCPRIM_400000_NS6detail17trampoline_kernelINS0_14default_configENS1_25partition_config_selectorILNS1_17partition_subalgoE8EiNS0_10empty_typeEbEEZZNS1_14partition_implILS5_8ELb0ES3_jN6thrust23THRUST_200600_302600_NS6detail15normal_iteratorINSA_10device_ptrIiEEEEPS6_PKS6_NS0_5tupleIJNSA_16discard_iteratorINSA_11use_defaultEEES6_EEENSJ_IJSG_SG_EEENS0_18inequality_wrapperINSA_8equal_toIiEEEEPmJS6_EEE10hipError_tPvRmT3_T4_T5_T6_T7_T9_mT8_P12ihipStream_tbDpT10_ENKUlT_T0_E_clISt17integral_constantIbLb1EES1C_IbLb0EEEEDaS18_S19_EUlS18_E_NS1_11comp_targetILNS1_3genE9ELNS1_11target_archE1100ELNS1_3gpuE3ELNS1_3repE0EEENS1_30default_config_static_selectorELNS0_4arch9wavefront6targetE1EEEvT1_: ; @_ZN7rocprim17ROCPRIM_400000_NS6detail17trampoline_kernelINS0_14default_configENS1_25partition_config_selectorILNS1_17partition_subalgoE8EiNS0_10empty_typeEbEEZZNS1_14partition_implILS5_8ELb0ES3_jN6thrust23THRUST_200600_302600_NS6detail15normal_iteratorINSA_10device_ptrIiEEEEPS6_PKS6_NS0_5tupleIJNSA_16discard_iteratorINSA_11use_defaultEEES6_EEENSJ_IJSG_SG_EEENS0_18inequality_wrapperINSA_8equal_toIiEEEEPmJS6_EEE10hipError_tPvRmT3_T4_T5_T6_T7_T9_mT8_P12ihipStream_tbDpT10_ENKUlT_T0_E_clISt17integral_constantIbLb1EES1C_IbLb0EEEEDaS18_S19_EUlS18_E_NS1_11comp_targetILNS1_3genE9ELNS1_11target_archE1100ELNS1_3gpuE3ELNS1_3repE0EEENS1_30default_config_static_selectorELNS0_4arch9wavefront6targetE1EEEvT1_
; %bb.0:
	.section	.rodata,"a",@progbits
	.p2align	6, 0x0
	.amdhsa_kernel _ZN7rocprim17ROCPRIM_400000_NS6detail17trampoline_kernelINS0_14default_configENS1_25partition_config_selectorILNS1_17partition_subalgoE8EiNS0_10empty_typeEbEEZZNS1_14partition_implILS5_8ELb0ES3_jN6thrust23THRUST_200600_302600_NS6detail15normal_iteratorINSA_10device_ptrIiEEEEPS6_PKS6_NS0_5tupleIJNSA_16discard_iteratorINSA_11use_defaultEEES6_EEENSJ_IJSG_SG_EEENS0_18inequality_wrapperINSA_8equal_toIiEEEEPmJS6_EEE10hipError_tPvRmT3_T4_T5_T6_T7_T9_mT8_P12ihipStream_tbDpT10_ENKUlT_T0_E_clISt17integral_constantIbLb1EES1C_IbLb0EEEEDaS18_S19_EUlS18_E_NS1_11comp_targetILNS1_3genE9ELNS1_11target_archE1100ELNS1_3gpuE3ELNS1_3repE0EEENS1_30default_config_static_selectorELNS0_4arch9wavefront6targetE1EEEvT1_
		.amdhsa_group_segment_fixed_size 0
		.amdhsa_private_segment_fixed_size 0
		.amdhsa_kernarg_size 120
		.amdhsa_user_sgpr_count 6
		.amdhsa_user_sgpr_private_segment_buffer 1
		.amdhsa_user_sgpr_dispatch_ptr 0
		.amdhsa_user_sgpr_queue_ptr 0
		.amdhsa_user_sgpr_kernarg_segment_ptr 1
		.amdhsa_user_sgpr_dispatch_id 0
		.amdhsa_user_sgpr_flat_scratch_init 0
		.amdhsa_user_sgpr_private_segment_size 0
		.amdhsa_uses_dynamic_stack 0
		.amdhsa_system_sgpr_private_segment_wavefront_offset 0
		.amdhsa_system_sgpr_workgroup_id_x 1
		.amdhsa_system_sgpr_workgroup_id_y 0
		.amdhsa_system_sgpr_workgroup_id_z 0
		.amdhsa_system_sgpr_workgroup_info 0
		.amdhsa_system_vgpr_workitem_id 0
		.amdhsa_next_free_vgpr 1
		.amdhsa_next_free_sgpr 0
		.amdhsa_reserve_vcc 0
		.amdhsa_reserve_flat_scratch 0
		.amdhsa_float_round_mode_32 0
		.amdhsa_float_round_mode_16_64 0
		.amdhsa_float_denorm_mode_32 3
		.amdhsa_float_denorm_mode_16_64 3
		.amdhsa_dx10_clamp 1
		.amdhsa_ieee_mode 1
		.amdhsa_fp16_overflow 0
		.amdhsa_exception_fp_ieee_invalid_op 0
		.amdhsa_exception_fp_denorm_src 0
		.amdhsa_exception_fp_ieee_div_zero 0
		.amdhsa_exception_fp_ieee_overflow 0
		.amdhsa_exception_fp_ieee_underflow 0
		.amdhsa_exception_fp_ieee_inexact 0
		.amdhsa_exception_int_div_zero 0
	.end_amdhsa_kernel
	.section	.text._ZN7rocprim17ROCPRIM_400000_NS6detail17trampoline_kernelINS0_14default_configENS1_25partition_config_selectorILNS1_17partition_subalgoE8EiNS0_10empty_typeEbEEZZNS1_14partition_implILS5_8ELb0ES3_jN6thrust23THRUST_200600_302600_NS6detail15normal_iteratorINSA_10device_ptrIiEEEEPS6_PKS6_NS0_5tupleIJNSA_16discard_iteratorINSA_11use_defaultEEES6_EEENSJ_IJSG_SG_EEENS0_18inequality_wrapperINSA_8equal_toIiEEEEPmJS6_EEE10hipError_tPvRmT3_T4_T5_T6_T7_T9_mT8_P12ihipStream_tbDpT10_ENKUlT_T0_E_clISt17integral_constantIbLb1EES1C_IbLb0EEEEDaS18_S19_EUlS18_E_NS1_11comp_targetILNS1_3genE9ELNS1_11target_archE1100ELNS1_3gpuE3ELNS1_3repE0EEENS1_30default_config_static_selectorELNS0_4arch9wavefront6targetE1EEEvT1_,"axG",@progbits,_ZN7rocprim17ROCPRIM_400000_NS6detail17trampoline_kernelINS0_14default_configENS1_25partition_config_selectorILNS1_17partition_subalgoE8EiNS0_10empty_typeEbEEZZNS1_14partition_implILS5_8ELb0ES3_jN6thrust23THRUST_200600_302600_NS6detail15normal_iteratorINSA_10device_ptrIiEEEEPS6_PKS6_NS0_5tupleIJNSA_16discard_iteratorINSA_11use_defaultEEES6_EEENSJ_IJSG_SG_EEENS0_18inequality_wrapperINSA_8equal_toIiEEEEPmJS6_EEE10hipError_tPvRmT3_T4_T5_T6_T7_T9_mT8_P12ihipStream_tbDpT10_ENKUlT_T0_E_clISt17integral_constantIbLb1EES1C_IbLb0EEEEDaS18_S19_EUlS18_E_NS1_11comp_targetILNS1_3genE9ELNS1_11target_archE1100ELNS1_3gpuE3ELNS1_3repE0EEENS1_30default_config_static_selectorELNS0_4arch9wavefront6targetE1EEEvT1_,comdat
.Lfunc_end683:
	.size	_ZN7rocprim17ROCPRIM_400000_NS6detail17trampoline_kernelINS0_14default_configENS1_25partition_config_selectorILNS1_17partition_subalgoE8EiNS0_10empty_typeEbEEZZNS1_14partition_implILS5_8ELb0ES3_jN6thrust23THRUST_200600_302600_NS6detail15normal_iteratorINSA_10device_ptrIiEEEEPS6_PKS6_NS0_5tupleIJNSA_16discard_iteratorINSA_11use_defaultEEES6_EEENSJ_IJSG_SG_EEENS0_18inequality_wrapperINSA_8equal_toIiEEEEPmJS6_EEE10hipError_tPvRmT3_T4_T5_T6_T7_T9_mT8_P12ihipStream_tbDpT10_ENKUlT_T0_E_clISt17integral_constantIbLb1EES1C_IbLb0EEEEDaS18_S19_EUlS18_E_NS1_11comp_targetILNS1_3genE9ELNS1_11target_archE1100ELNS1_3gpuE3ELNS1_3repE0EEENS1_30default_config_static_selectorELNS0_4arch9wavefront6targetE1EEEvT1_, .Lfunc_end683-_ZN7rocprim17ROCPRIM_400000_NS6detail17trampoline_kernelINS0_14default_configENS1_25partition_config_selectorILNS1_17partition_subalgoE8EiNS0_10empty_typeEbEEZZNS1_14partition_implILS5_8ELb0ES3_jN6thrust23THRUST_200600_302600_NS6detail15normal_iteratorINSA_10device_ptrIiEEEEPS6_PKS6_NS0_5tupleIJNSA_16discard_iteratorINSA_11use_defaultEEES6_EEENSJ_IJSG_SG_EEENS0_18inequality_wrapperINSA_8equal_toIiEEEEPmJS6_EEE10hipError_tPvRmT3_T4_T5_T6_T7_T9_mT8_P12ihipStream_tbDpT10_ENKUlT_T0_E_clISt17integral_constantIbLb1EES1C_IbLb0EEEEDaS18_S19_EUlS18_E_NS1_11comp_targetILNS1_3genE9ELNS1_11target_archE1100ELNS1_3gpuE3ELNS1_3repE0EEENS1_30default_config_static_selectorELNS0_4arch9wavefront6targetE1EEEvT1_
                                        ; -- End function
	.set _ZN7rocprim17ROCPRIM_400000_NS6detail17trampoline_kernelINS0_14default_configENS1_25partition_config_selectorILNS1_17partition_subalgoE8EiNS0_10empty_typeEbEEZZNS1_14partition_implILS5_8ELb0ES3_jN6thrust23THRUST_200600_302600_NS6detail15normal_iteratorINSA_10device_ptrIiEEEEPS6_PKS6_NS0_5tupleIJNSA_16discard_iteratorINSA_11use_defaultEEES6_EEENSJ_IJSG_SG_EEENS0_18inequality_wrapperINSA_8equal_toIiEEEEPmJS6_EEE10hipError_tPvRmT3_T4_T5_T6_T7_T9_mT8_P12ihipStream_tbDpT10_ENKUlT_T0_E_clISt17integral_constantIbLb1EES1C_IbLb0EEEEDaS18_S19_EUlS18_E_NS1_11comp_targetILNS1_3genE9ELNS1_11target_archE1100ELNS1_3gpuE3ELNS1_3repE0EEENS1_30default_config_static_selectorELNS0_4arch9wavefront6targetE1EEEvT1_.num_vgpr, 0
	.set _ZN7rocprim17ROCPRIM_400000_NS6detail17trampoline_kernelINS0_14default_configENS1_25partition_config_selectorILNS1_17partition_subalgoE8EiNS0_10empty_typeEbEEZZNS1_14partition_implILS5_8ELb0ES3_jN6thrust23THRUST_200600_302600_NS6detail15normal_iteratorINSA_10device_ptrIiEEEEPS6_PKS6_NS0_5tupleIJNSA_16discard_iteratorINSA_11use_defaultEEES6_EEENSJ_IJSG_SG_EEENS0_18inequality_wrapperINSA_8equal_toIiEEEEPmJS6_EEE10hipError_tPvRmT3_T4_T5_T6_T7_T9_mT8_P12ihipStream_tbDpT10_ENKUlT_T0_E_clISt17integral_constantIbLb1EES1C_IbLb0EEEEDaS18_S19_EUlS18_E_NS1_11comp_targetILNS1_3genE9ELNS1_11target_archE1100ELNS1_3gpuE3ELNS1_3repE0EEENS1_30default_config_static_selectorELNS0_4arch9wavefront6targetE1EEEvT1_.num_agpr, 0
	.set _ZN7rocprim17ROCPRIM_400000_NS6detail17trampoline_kernelINS0_14default_configENS1_25partition_config_selectorILNS1_17partition_subalgoE8EiNS0_10empty_typeEbEEZZNS1_14partition_implILS5_8ELb0ES3_jN6thrust23THRUST_200600_302600_NS6detail15normal_iteratorINSA_10device_ptrIiEEEEPS6_PKS6_NS0_5tupleIJNSA_16discard_iteratorINSA_11use_defaultEEES6_EEENSJ_IJSG_SG_EEENS0_18inequality_wrapperINSA_8equal_toIiEEEEPmJS6_EEE10hipError_tPvRmT3_T4_T5_T6_T7_T9_mT8_P12ihipStream_tbDpT10_ENKUlT_T0_E_clISt17integral_constantIbLb1EES1C_IbLb0EEEEDaS18_S19_EUlS18_E_NS1_11comp_targetILNS1_3genE9ELNS1_11target_archE1100ELNS1_3gpuE3ELNS1_3repE0EEENS1_30default_config_static_selectorELNS0_4arch9wavefront6targetE1EEEvT1_.numbered_sgpr, 0
	.set _ZN7rocprim17ROCPRIM_400000_NS6detail17trampoline_kernelINS0_14default_configENS1_25partition_config_selectorILNS1_17partition_subalgoE8EiNS0_10empty_typeEbEEZZNS1_14partition_implILS5_8ELb0ES3_jN6thrust23THRUST_200600_302600_NS6detail15normal_iteratorINSA_10device_ptrIiEEEEPS6_PKS6_NS0_5tupleIJNSA_16discard_iteratorINSA_11use_defaultEEES6_EEENSJ_IJSG_SG_EEENS0_18inequality_wrapperINSA_8equal_toIiEEEEPmJS6_EEE10hipError_tPvRmT3_T4_T5_T6_T7_T9_mT8_P12ihipStream_tbDpT10_ENKUlT_T0_E_clISt17integral_constantIbLb1EES1C_IbLb0EEEEDaS18_S19_EUlS18_E_NS1_11comp_targetILNS1_3genE9ELNS1_11target_archE1100ELNS1_3gpuE3ELNS1_3repE0EEENS1_30default_config_static_selectorELNS0_4arch9wavefront6targetE1EEEvT1_.num_named_barrier, 0
	.set _ZN7rocprim17ROCPRIM_400000_NS6detail17trampoline_kernelINS0_14default_configENS1_25partition_config_selectorILNS1_17partition_subalgoE8EiNS0_10empty_typeEbEEZZNS1_14partition_implILS5_8ELb0ES3_jN6thrust23THRUST_200600_302600_NS6detail15normal_iteratorINSA_10device_ptrIiEEEEPS6_PKS6_NS0_5tupleIJNSA_16discard_iteratorINSA_11use_defaultEEES6_EEENSJ_IJSG_SG_EEENS0_18inequality_wrapperINSA_8equal_toIiEEEEPmJS6_EEE10hipError_tPvRmT3_T4_T5_T6_T7_T9_mT8_P12ihipStream_tbDpT10_ENKUlT_T0_E_clISt17integral_constantIbLb1EES1C_IbLb0EEEEDaS18_S19_EUlS18_E_NS1_11comp_targetILNS1_3genE9ELNS1_11target_archE1100ELNS1_3gpuE3ELNS1_3repE0EEENS1_30default_config_static_selectorELNS0_4arch9wavefront6targetE1EEEvT1_.private_seg_size, 0
	.set _ZN7rocprim17ROCPRIM_400000_NS6detail17trampoline_kernelINS0_14default_configENS1_25partition_config_selectorILNS1_17partition_subalgoE8EiNS0_10empty_typeEbEEZZNS1_14partition_implILS5_8ELb0ES3_jN6thrust23THRUST_200600_302600_NS6detail15normal_iteratorINSA_10device_ptrIiEEEEPS6_PKS6_NS0_5tupleIJNSA_16discard_iteratorINSA_11use_defaultEEES6_EEENSJ_IJSG_SG_EEENS0_18inequality_wrapperINSA_8equal_toIiEEEEPmJS6_EEE10hipError_tPvRmT3_T4_T5_T6_T7_T9_mT8_P12ihipStream_tbDpT10_ENKUlT_T0_E_clISt17integral_constantIbLb1EES1C_IbLb0EEEEDaS18_S19_EUlS18_E_NS1_11comp_targetILNS1_3genE9ELNS1_11target_archE1100ELNS1_3gpuE3ELNS1_3repE0EEENS1_30default_config_static_selectorELNS0_4arch9wavefront6targetE1EEEvT1_.uses_vcc, 0
	.set _ZN7rocprim17ROCPRIM_400000_NS6detail17trampoline_kernelINS0_14default_configENS1_25partition_config_selectorILNS1_17partition_subalgoE8EiNS0_10empty_typeEbEEZZNS1_14partition_implILS5_8ELb0ES3_jN6thrust23THRUST_200600_302600_NS6detail15normal_iteratorINSA_10device_ptrIiEEEEPS6_PKS6_NS0_5tupleIJNSA_16discard_iteratorINSA_11use_defaultEEES6_EEENSJ_IJSG_SG_EEENS0_18inequality_wrapperINSA_8equal_toIiEEEEPmJS6_EEE10hipError_tPvRmT3_T4_T5_T6_T7_T9_mT8_P12ihipStream_tbDpT10_ENKUlT_T0_E_clISt17integral_constantIbLb1EES1C_IbLb0EEEEDaS18_S19_EUlS18_E_NS1_11comp_targetILNS1_3genE9ELNS1_11target_archE1100ELNS1_3gpuE3ELNS1_3repE0EEENS1_30default_config_static_selectorELNS0_4arch9wavefront6targetE1EEEvT1_.uses_flat_scratch, 0
	.set _ZN7rocprim17ROCPRIM_400000_NS6detail17trampoline_kernelINS0_14default_configENS1_25partition_config_selectorILNS1_17partition_subalgoE8EiNS0_10empty_typeEbEEZZNS1_14partition_implILS5_8ELb0ES3_jN6thrust23THRUST_200600_302600_NS6detail15normal_iteratorINSA_10device_ptrIiEEEEPS6_PKS6_NS0_5tupleIJNSA_16discard_iteratorINSA_11use_defaultEEES6_EEENSJ_IJSG_SG_EEENS0_18inequality_wrapperINSA_8equal_toIiEEEEPmJS6_EEE10hipError_tPvRmT3_T4_T5_T6_T7_T9_mT8_P12ihipStream_tbDpT10_ENKUlT_T0_E_clISt17integral_constantIbLb1EES1C_IbLb0EEEEDaS18_S19_EUlS18_E_NS1_11comp_targetILNS1_3genE9ELNS1_11target_archE1100ELNS1_3gpuE3ELNS1_3repE0EEENS1_30default_config_static_selectorELNS0_4arch9wavefront6targetE1EEEvT1_.has_dyn_sized_stack, 0
	.set _ZN7rocprim17ROCPRIM_400000_NS6detail17trampoline_kernelINS0_14default_configENS1_25partition_config_selectorILNS1_17partition_subalgoE8EiNS0_10empty_typeEbEEZZNS1_14partition_implILS5_8ELb0ES3_jN6thrust23THRUST_200600_302600_NS6detail15normal_iteratorINSA_10device_ptrIiEEEEPS6_PKS6_NS0_5tupleIJNSA_16discard_iteratorINSA_11use_defaultEEES6_EEENSJ_IJSG_SG_EEENS0_18inequality_wrapperINSA_8equal_toIiEEEEPmJS6_EEE10hipError_tPvRmT3_T4_T5_T6_T7_T9_mT8_P12ihipStream_tbDpT10_ENKUlT_T0_E_clISt17integral_constantIbLb1EES1C_IbLb0EEEEDaS18_S19_EUlS18_E_NS1_11comp_targetILNS1_3genE9ELNS1_11target_archE1100ELNS1_3gpuE3ELNS1_3repE0EEENS1_30default_config_static_selectorELNS0_4arch9wavefront6targetE1EEEvT1_.has_recursion, 0
	.set _ZN7rocprim17ROCPRIM_400000_NS6detail17trampoline_kernelINS0_14default_configENS1_25partition_config_selectorILNS1_17partition_subalgoE8EiNS0_10empty_typeEbEEZZNS1_14partition_implILS5_8ELb0ES3_jN6thrust23THRUST_200600_302600_NS6detail15normal_iteratorINSA_10device_ptrIiEEEEPS6_PKS6_NS0_5tupleIJNSA_16discard_iteratorINSA_11use_defaultEEES6_EEENSJ_IJSG_SG_EEENS0_18inequality_wrapperINSA_8equal_toIiEEEEPmJS6_EEE10hipError_tPvRmT3_T4_T5_T6_T7_T9_mT8_P12ihipStream_tbDpT10_ENKUlT_T0_E_clISt17integral_constantIbLb1EES1C_IbLb0EEEEDaS18_S19_EUlS18_E_NS1_11comp_targetILNS1_3genE9ELNS1_11target_archE1100ELNS1_3gpuE3ELNS1_3repE0EEENS1_30default_config_static_selectorELNS0_4arch9wavefront6targetE1EEEvT1_.has_indirect_call, 0
	.section	.AMDGPU.csdata,"",@progbits
; Kernel info:
; codeLenInByte = 0
; TotalNumSgprs: 4
; NumVgprs: 0
; ScratchSize: 0
; MemoryBound: 0
; FloatMode: 240
; IeeeMode: 1
; LDSByteSize: 0 bytes/workgroup (compile time only)
; SGPRBlocks: 0
; VGPRBlocks: 0
; NumSGPRsForWavesPerEU: 4
; NumVGPRsForWavesPerEU: 1
; Occupancy: 10
; WaveLimiterHint : 0
; COMPUTE_PGM_RSRC2:SCRATCH_EN: 0
; COMPUTE_PGM_RSRC2:USER_SGPR: 6
; COMPUTE_PGM_RSRC2:TRAP_HANDLER: 0
; COMPUTE_PGM_RSRC2:TGID_X_EN: 1
; COMPUTE_PGM_RSRC2:TGID_Y_EN: 0
; COMPUTE_PGM_RSRC2:TGID_Z_EN: 0
; COMPUTE_PGM_RSRC2:TIDIG_COMP_CNT: 0
	.section	.text._ZN7rocprim17ROCPRIM_400000_NS6detail17trampoline_kernelINS0_14default_configENS1_25partition_config_selectorILNS1_17partition_subalgoE8EiNS0_10empty_typeEbEEZZNS1_14partition_implILS5_8ELb0ES3_jN6thrust23THRUST_200600_302600_NS6detail15normal_iteratorINSA_10device_ptrIiEEEEPS6_PKS6_NS0_5tupleIJNSA_16discard_iteratorINSA_11use_defaultEEES6_EEENSJ_IJSG_SG_EEENS0_18inequality_wrapperINSA_8equal_toIiEEEEPmJS6_EEE10hipError_tPvRmT3_T4_T5_T6_T7_T9_mT8_P12ihipStream_tbDpT10_ENKUlT_T0_E_clISt17integral_constantIbLb1EES1C_IbLb0EEEEDaS18_S19_EUlS18_E_NS1_11comp_targetILNS1_3genE8ELNS1_11target_archE1030ELNS1_3gpuE2ELNS1_3repE0EEENS1_30default_config_static_selectorELNS0_4arch9wavefront6targetE1EEEvT1_,"axG",@progbits,_ZN7rocprim17ROCPRIM_400000_NS6detail17trampoline_kernelINS0_14default_configENS1_25partition_config_selectorILNS1_17partition_subalgoE8EiNS0_10empty_typeEbEEZZNS1_14partition_implILS5_8ELb0ES3_jN6thrust23THRUST_200600_302600_NS6detail15normal_iteratorINSA_10device_ptrIiEEEEPS6_PKS6_NS0_5tupleIJNSA_16discard_iteratorINSA_11use_defaultEEES6_EEENSJ_IJSG_SG_EEENS0_18inequality_wrapperINSA_8equal_toIiEEEEPmJS6_EEE10hipError_tPvRmT3_T4_T5_T6_T7_T9_mT8_P12ihipStream_tbDpT10_ENKUlT_T0_E_clISt17integral_constantIbLb1EES1C_IbLb0EEEEDaS18_S19_EUlS18_E_NS1_11comp_targetILNS1_3genE8ELNS1_11target_archE1030ELNS1_3gpuE2ELNS1_3repE0EEENS1_30default_config_static_selectorELNS0_4arch9wavefront6targetE1EEEvT1_,comdat
	.protected	_ZN7rocprim17ROCPRIM_400000_NS6detail17trampoline_kernelINS0_14default_configENS1_25partition_config_selectorILNS1_17partition_subalgoE8EiNS0_10empty_typeEbEEZZNS1_14partition_implILS5_8ELb0ES3_jN6thrust23THRUST_200600_302600_NS6detail15normal_iteratorINSA_10device_ptrIiEEEEPS6_PKS6_NS0_5tupleIJNSA_16discard_iteratorINSA_11use_defaultEEES6_EEENSJ_IJSG_SG_EEENS0_18inequality_wrapperINSA_8equal_toIiEEEEPmJS6_EEE10hipError_tPvRmT3_T4_T5_T6_T7_T9_mT8_P12ihipStream_tbDpT10_ENKUlT_T0_E_clISt17integral_constantIbLb1EES1C_IbLb0EEEEDaS18_S19_EUlS18_E_NS1_11comp_targetILNS1_3genE8ELNS1_11target_archE1030ELNS1_3gpuE2ELNS1_3repE0EEENS1_30default_config_static_selectorELNS0_4arch9wavefront6targetE1EEEvT1_ ; -- Begin function _ZN7rocprim17ROCPRIM_400000_NS6detail17trampoline_kernelINS0_14default_configENS1_25partition_config_selectorILNS1_17partition_subalgoE8EiNS0_10empty_typeEbEEZZNS1_14partition_implILS5_8ELb0ES3_jN6thrust23THRUST_200600_302600_NS6detail15normal_iteratorINSA_10device_ptrIiEEEEPS6_PKS6_NS0_5tupleIJNSA_16discard_iteratorINSA_11use_defaultEEES6_EEENSJ_IJSG_SG_EEENS0_18inequality_wrapperINSA_8equal_toIiEEEEPmJS6_EEE10hipError_tPvRmT3_T4_T5_T6_T7_T9_mT8_P12ihipStream_tbDpT10_ENKUlT_T0_E_clISt17integral_constantIbLb1EES1C_IbLb0EEEEDaS18_S19_EUlS18_E_NS1_11comp_targetILNS1_3genE8ELNS1_11target_archE1030ELNS1_3gpuE2ELNS1_3repE0EEENS1_30default_config_static_selectorELNS0_4arch9wavefront6targetE1EEEvT1_
	.globl	_ZN7rocprim17ROCPRIM_400000_NS6detail17trampoline_kernelINS0_14default_configENS1_25partition_config_selectorILNS1_17partition_subalgoE8EiNS0_10empty_typeEbEEZZNS1_14partition_implILS5_8ELb0ES3_jN6thrust23THRUST_200600_302600_NS6detail15normal_iteratorINSA_10device_ptrIiEEEEPS6_PKS6_NS0_5tupleIJNSA_16discard_iteratorINSA_11use_defaultEEES6_EEENSJ_IJSG_SG_EEENS0_18inequality_wrapperINSA_8equal_toIiEEEEPmJS6_EEE10hipError_tPvRmT3_T4_T5_T6_T7_T9_mT8_P12ihipStream_tbDpT10_ENKUlT_T0_E_clISt17integral_constantIbLb1EES1C_IbLb0EEEEDaS18_S19_EUlS18_E_NS1_11comp_targetILNS1_3genE8ELNS1_11target_archE1030ELNS1_3gpuE2ELNS1_3repE0EEENS1_30default_config_static_selectorELNS0_4arch9wavefront6targetE1EEEvT1_
	.p2align	8
	.type	_ZN7rocprim17ROCPRIM_400000_NS6detail17trampoline_kernelINS0_14default_configENS1_25partition_config_selectorILNS1_17partition_subalgoE8EiNS0_10empty_typeEbEEZZNS1_14partition_implILS5_8ELb0ES3_jN6thrust23THRUST_200600_302600_NS6detail15normal_iteratorINSA_10device_ptrIiEEEEPS6_PKS6_NS0_5tupleIJNSA_16discard_iteratorINSA_11use_defaultEEES6_EEENSJ_IJSG_SG_EEENS0_18inequality_wrapperINSA_8equal_toIiEEEEPmJS6_EEE10hipError_tPvRmT3_T4_T5_T6_T7_T9_mT8_P12ihipStream_tbDpT10_ENKUlT_T0_E_clISt17integral_constantIbLb1EES1C_IbLb0EEEEDaS18_S19_EUlS18_E_NS1_11comp_targetILNS1_3genE8ELNS1_11target_archE1030ELNS1_3gpuE2ELNS1_3repE0EEENS1_30default_config_static_selectorELNS0_4arch9wavefront6targetE1EEEvT1_,@function
_ZN7rocprim17ROCPRIM_400000_NS6detail17trampoline_kernelINS0_14default_configENS1_25partition_config_selectorILNS1_17partition_subalgoE8EiNS0_10empty_typeEbEEZZNS1_14partition_implILS5_8ELb0ES3_jN6thrust23THRUST_200600_302600_NS6detail15normal_iteratorINSA_10device_ptrIiEEEEPS6_PKS6_NS0_5tupleIJNSA_16discard_iteratorINSA_11use_defaultEEES6_EEENSJ_IJSG_SG_EEENS0_18inequality_wrapperINSA_8equal_toIiEEEEPmJS6_EEE10hipError_tPvRmT3_T4_T5_T6_T7_T9_mT8_P12ihipStream_tbDpT10_ENKUlT_T0_E_clISt17integral_constantIbLb1EES1C_IbLb0EEEEDaS18_S19_EUlS18_E_NS1_11comp_targetILNS1_3genE8ELNS1_11target_archE1030ELNS1_3gpuE2ELNS1_3repE0EEENS1_30default_config_static_selectorELNS0_4arch9wavefront6targetE1EEEvT1_: ; @_ZN7rocprim17ROCPRIM_400000_NS6detail17trampoline_kernelINS0_14default_configENS1_25partition_config_selectorILNS1_17partition_subalgoE8EiNS0_10empty_typeEbEEZZNS1_14partition_implILS5_8ELb0ES3_jN6thrust23THRUST_200600_302600_NS6detail15normal_iteratorINSA_10device_ptrIiEEEEPS6_PKS6_NS0_5tupleIJNSA_16discard_iteratorINSA_11use_defaultEEES6_EEENSJ_IJSG_SG_EEENS0_18inequality_wrapperINSA_8equal_toIiEEEEPmJS6_EEE10hipError_tPvRmT3_T4_T5_T6_T7_T9_mT8_P12ihipStream_tbDpT10_ENKUlT_T0_E_clISt17integral_constantIbLb1EES1C_IbLb0EEEEDaS18_S19_EUlS18_E_NS1_11comp_targetILNS1_3genE8ELNS1_11target_archE1030ELNS1_3gpuE2ELNS1_3repE0EEENS1_30default_config_static_selectorELNS0_4arch9wavefront6targetE1EEEvT1_
; %bb.0:
	.section	.rodata,"a",@progbits
	.p2align	6, 0x0
	.amdhsa_kernel _ZN7rocprim17ROCPRIM_400000_NS6detail17trampoline_kernelINS0_14default_configENS1_25partition_config_selectorILNS1_17partition_subalgoE8EiNS0_10empty_typeEbEEZZNS1_14partition_implILS5_8ELb0ES3_jN6thrust23THRUST_200600_302600_NS6detail15normal_iteratorINSA_10device_ptrIiEEEEPS6_PKS6_NS0_5tupleIJNSA_16discard_iteratorINSA_11use_defaultEEES6_EEENSJ_IJSG_SG_EEENS0_18inequality_wrapperINSA_8equal_toIiEEEEPmJS6_EEE10hipError_tPvRmT3_T4_T5_T6_T7_T9_mT8_P12ihipStream_tbDpT10_ENKUlT_T0_E_clISt17integral_constantIbLb1EES1C_IbLb0EEEEDaS18_S19_EUlS18_E_NS1_11comp_targetILNS1_3genE8ELNS1_11target_archE1030ELNS1_3gpuE2ELNS1_3repE0EEENS1_30default_config_static_selectorELNS0_4arch9wavefront6targetE1EEEvT1_
		.amdhsa_group_segment_fixed_size 0
		.amdhsa_private_segment_fixed_size 0
		.amdhsa_kernarg_size 120
		.amdhsa_user_sgpr_count 6
		.amdhsa_user_sgpr_private_segment_buffer 1
		.amdhsa_user_sgpr_dispatch_ptr 0
		.amdhsa_user_sgpr_queue_ptr 0
		.amdhsa_user_sgpr_kernarg_segment_ptr 1
		.amdhsa_user_sgpr_dispatch_id 0
		.amdhsa_user_sgpr_flat_scratch_init 0
		.amdhsa_user_sgpr_private_segment_size 0
		.amdhsa_uses_dynamic_stack 0
		.amdhsa_system_sgpr_private_segment_wavefront_offset 0
		.amdhsa_system_sgpr_workgroup_id_x 1
		.amdhsa_system_sgpr_workgroup_id_y 0
		.amdhsa_system_sgpr_workgroup_id_z 0
		.amdhsa_system_sgpr_workgroup_info 0
		.amdhsa_system_vgpr_workitem_id 0
		.amdhsa_next_free_vgpr 1
		.amdhsa_next_free_sgpr 0
		.amdhsa_reserve_vcc 0
		.amdhsa_reserve_flat_scratch 0
		.amdhsa_float_round_mode_32 0
		.amdhsa_float_round_mode_16_64 0
		.amdhsa_float_denorm_mode_32 3
		.amdhsa_float_denorm_mode_16_64 3
		.amdhsa_dx10_clamp 1
		.amdhsa_ieee_mode 1
		.amdhsa_fp16_overflow 0
		.amdhsa_exception_fp_ieee_invalid_op 0
		.amdhsa_exception_fp_denorm_src 0
		.amdhsa_exception_fp_ieee_div_zero 0
		.amdhsa_exception_fp_ieee_overflow 0
		.amdhsa_exception_fp_ieee_underflow 0
		.amdhsa_exception_fp_ieee_inexact 0
		.amdhsa_exception_int_div_zero 0
	.end_amdhsa_kernel
	.section	.text._ZN7rocprim17ROCPRIM_400000_NS6detail17trampoline_kernelINS0_14default_configENS1_25partition_config_selectorILNS1_17partition_subalgoE8EiNS0_10empty_typeEbEEZZNS1_14partition_implILS5_8ELb0ES3_jN6thrust23THRUST_200600_302600_NS6detail15normal_iteratorINSA_10device_ptrIiEEEEPS6_PKS6_NS0_5tupleIJNSA_16discard_iteratorINSA_11use_defaultEEES6_EEENSJ_IJSG_SG_EEENS0_18inequality_wrapperINSA_8equal_toIiEEEEPmJS6_EEE10hipError_tPvRmT3_T4_T5_T6_T7_T9_mT8_P12ihipStream_tbDpT10_ENKUlT_T0_E_clISt17integral_constantIbLb1EES1C_IbLb0EEEEDaS18_S19_EUlS18_E_NS1_11comp_targetILNS1_3genE8ELNS1_11target_archE1030ELNS1_3gpuE2ELNS1_3repE0EEENS1_30default_config_static_selectorELNS0_4arch9wavefront6targetE1EEEvT1_,"axG",@progbits,_ZN7rocprim17ROCPRIM_400000_NS6detail17trampoline_kernelINS0_14default_configENS1_25partition_config_selectorILNS1_17partition_subalgoE8EiNS0_10empty_typeEbEEZZNS1_14partition_implILS5_8ELb0ES3_jN6thrust23THRUST_200600_302600_NS6detail15normal_iteratorINSA_10device_ptrIiEEEEPS6_PKS6_NS0_5tupleIJNSA_16discard_iteratorINSA_11use_defaultEEES6_EEENSJ_IJSG_SG_EEENS0_18inequality_wrapperINSA_8equal_toIiEEEEPmJS6_EEE10hipError_tPvRmT3_T4_T5_T6_T7_T9_mT8_P12ihipStream_tbDpT10_ENKUlT_T0_E_clISt17integral_constantIbLb1EES1C_IbLb0EEEEDaS18_S19_EUlS18_E_NS1_11comp_targetILNS1_3genE8ELNS1_11target_archE1030ELNS1_3gpuE2ELNS1_3repE0EEENS1_30default_config_static_selectorELNS0_4arch9wavefront6targetE1EEEvT1_,comdat
.Lfunc_end684:
	.size	_ZN7rocprim17ROCPRIM_400000_NS6detail17trampoline_kernelINS0_14default_configENS1_25partition_config_selectorILNS1_17partition_subalgoE8EiNS0_10empty_typeEbEEZZNS1_14partition_implILS5_8ELb0ES3_jN6thrust23THRUST_200600_302600_NS6detail15normal_iteratorINSA_10device_ptrIiEEEEPS6_PKS6_NS0_5tupleIJNSA_16discard_iteratorINSA_11use_defaultEEES6_EEENSJ_IJSG_SG_EEENS0_18inequality_wrapperINSA_8equal_toIiEEEEPmJS6_EEE10hipError_tPvRmT3_T4_T5_T6_T7_T9_mT8_P12ihipStream_tbDpT10_ENKUlT_T0_E_clISt17integral_constantIbLb1EES1C_IbLb0EEEEDaS18_S19_EUlS18_E_NS1_11comp_targetILNS1_3genE8ELNS1_11target_archE1030ELNS1_3gpuE2ELNS1_3repE0EEENS1_30default_config_static_selectorELNS0_4arch9wavefront6targetE1EEEvT1_, .Lfunc_end684-_ZN7rocprim17ROCPRIM_400000_NS6detail17trampoline_kernelINS0_14default_configENS1_25partition_config_selectorILNS1_17partition_subalgoE8EiNS0_10empty_typeEbEEZZNS1_14partition_implILS5_8ELb0ES3_jN6thrust23THRUST_200600_302600_NS6detail15normal_iteratorINSA_10device_ptrIiEEEEPS6_PKS6_NS0_5tupleIJNSA_16discard_iteratorINSA_11use_defaultEEES6_EEENSJ_IJSG_SG_EEENS0_18inequality_wrapperINSA_8equal_toIiEEEEPmJS6_EEE10hipError_tPvRmT3_T4_T5_T6_T7_T9_mT8_P12ihipStream_tbDpT10_ENKUlT_T0_E_clISt17integral_constantIbLb1EES1C_IbLb0EEEEDaS18_S19_EUlS18_E_NS1_11comp_targetILNS1_3genE8ELNS1_11target_archE1030ELNS1_3gpuE2ELNS1_3repE0EEENS1_30default_config_static_selectorELNS0_4arch9wavefront6targetE1EEEvT1_
                                        ; -- End function
	.set _ZN7rocprim17ROCPRIM_400000_NS6detail17trampoline_kernelINS0_14default_configENS1_25partition_config_selectorILNS1_17partition_subalgoE8EiNS0_10empty_typeEbEEZZNS1_14partition_implILS5_8ELb0ES3_jN6thrust23THRUST_200600_302600_NS6detail15normal_iteratorINSA_10device_ptrIiEEEEPS6_PKS6_NS0_5tupleIJNSA_16discard_iteratorINSA_11use_defaultEEES6_EEENSJ_IJSG_SG_EEENS0_18inequality_wrapperINSA_8equal_toIiEEEEPmJS6_EEE10hipError_tPvRmT3_T4_T5_T6_T7_T9_mT8_P12ihipStream_tbDpT10_ENKUlT_T0_E_clISt17integral_constantIbLb1EES1C_IbLb0EEEEDaS18_S19_EUlS18_E_NS1_11comp_targetILNS1_3genE8ELNS1_11target_archE1030ELNS1_3gpuE2ELNS1_3repE0EEENS1_30default_config_static_selectorELNS0_4arch9wavefront6targetE1EEEvT1_.num_vgpr, 0
	.set _ZN7rocprim17ROCPRIM_400000_NS6detail17trampoline_kernelINS0_14default_configENS1_25partition_config_selectorILNS1_17partition_subalgoE8EiNS0_10empty_typeEbEEZZNS1_14partition_implILS5_8ELb0ES3_jN6thrust23THRUST_200600_302600_NS6detail15normal_iteratorINSA_10device_ptrIiEEEEPS6_PKS6_NS0_5tupleIJNSA_16discard_iteratorINSA_11use_defaultEEES6_EEENSJ_IJSG_SG_EEENS0_18inequality_wrapperINSA_8equal_toIiEEEEPmJS6_EEE10hipError_tPvRmT3_T4_T5_T6_T7_T9_mT8_P12ihipStream_tbDpT10_ENKUlT_T0_E_clISt17integral_constantIbLb1EES1C_IbLb0EEEEDaS18_S19_EUlS18_E_NS1_11comp_targetILNS1_3genE8ELNS1_11target_archE1030ELNS1_3gpuE2ELNS1_3repE0EEENS1_30default_config_static_selectorELNS0_4arch9wavefront6targetE1EEEvT1_.num_agpr, 0
	.set _ZN7rocprim17ROCPRIM_400000_NS6detail17trampoline_kernelINS0_14default_configENS1_25partition_config_selectorILNS1_17partition_subalgoE8EiNS0_10empty_typeEbEEZZNS1_14partition_implILS5_8ELb0ES3_jN6thrust23THRUST_200600_302600_NS6detail15normal_iteratorINSA_10device_ptrIiEEEEPS6_PKS6_NS0_5tupleIJNSA_16discard_iteratorINSA_11use_defaultEEES6_EEENSJ_IJSG_SG_EEENS0_18inequality_wrapperINSA_8equal_toIiEEEEPmJS6_EEE10hipError_tPvRmT3_T4_T5_T6_T7_T9_mT8_P12ihipStream_tbDpT10_ENKUlT_T0_E_clISt17integral_constantIbLb1EES1C_IbLb0EEEEDaS18_S19_EUlS18_E_NS1_11comp_targetILNS1_3genE8ELNS1_11target_archE1030ELNS1_3gpuE2ELNS1_3repE0EEENS1_30default_config_static_selectorELNS0_4arch9wavefront6targetE1EEEvT1_.numbered_sgpr, 0
	.set _ZN7rocprim17ROCPRIM_400000_NS6detail17trampoline_kernelINS0_14default_configENS1_25partition_config_selectorILNS1_17partition_subalgoE8EiNS0_10empty_typeEbEEZZNS1_14partition_implILS5_8ELb0ES3_jN6thrust23THRUST_200600_302600_NS6detail15normal_iteratorINSA_10device_ptrIiEEEEPS6_PKS6_NS0_5tupleIJNSA_16discard_iteratorINSA_11use_defaultEEES6_EEENSJ_IJSG_SG_EEENS0_18inequality_wrapperINSA_8equal_toIiEEEEPmJS6_EEE10hipError_tPvRmT3_T4_T5_T6_T7_T9_mT8_P12ihipStream_tbDpT10_ENKUlT_T0_E_clISt17integral_constantIbLb1EES1C_IbLb0EEEEDaS18_S19_EUlS18_E_NS1_11comp_targetILNS1_3genE8ELNS1_11target_archE1030ELNS1_3gpuE2ELNS1_3repE0EEENS1_30default_config_static_selectorELNS0_4arch9wavefront6targetE1EEEvT1_.num_named_barrier, 0
	.set _ZN7rocprim17ROCPRIM_400000_NS6detail17trampoline_kernelINS0_14default_configENS1_25partition_config_selectorILNS1_17partition_subalgoE8EiNS0_10empty_typeEbEEZZNS1_14partition_implILS5_8ELb0ES3_jN6thrust23THRUST_200600_302600_NS6detail15normal_iteratorINSA_10device_ptrIiEEEEPS6_PKS6_NS0_5tupleIJNSA_16discard_iteratorINSA_11use_defaultEEES6_EEENSJ_IJSG_SG_EEENS0_18inequality_wrapperINSA_8equal_toIiEEEEPmJS6_EEE10hipError_tPvRmT3_T4_T5_T6_T7_T9_mT8_P12ihipStream_tbDpT10_ENKUlT_T0_E_clISt17integral_constantIbLb1EES1C_IbLb0EEEEDaS18_S19_EUlS18_E_NS1_11comp_targetILNS1_3genE8ELNS1_11target_archE1030ELNS1_3gpuE2ELNS1_3repE0EEENS1_30default_config_static_selectorELNS0_4arch9wavefront6targetE1EEEvT1_.private_seg_size, 0
	.set _ZN7rocprim17ROCPRIM_400000_NS6detail17trampoline_kernelINS0_14default_configENS1_25partition_config_selectorILNS1_17partition_subalgoE8EiNS0_10empty_typeEbEEZZNS1_14partition_implILS5_8ELb0ES3_jN6thrust23THRUST_200600_302600_NS6detail15normal_iteratorINSA_10device_ptrIiEEEEPS6_PKS6_NS0_5tupleIJNSA_16discard_iteratorINSA_11use_defaultEEES6_EEENSJ_IJSG_SG_EEENS0_18inequality_wrapperINSA_8equal_toIiEEEEPmJS6_EEE10hipError_tPvRmT3_T4_T5_T6_T7_T9_mT8_P12ihipStream_tbDpT10_ENKUlT_T0_E_clISt17integral_constantIbLb1EES1C_IbLb0EEEEDaS18_S19_EUlS18_E_NS1_11comp_targetILNS1_3genE8ELNS1_11target_archE1030ELNS1_3gpuE2ELNS1_3repE0EEENS1_30default_config_static_selectorELNS0_4arch9wavefront6targetE1EEEvT1_.uses_vcc, 0
	.set _ZN7rocprim17ROCPRIM_400000_NS6detail17trampoline_kernelINS0_14default_configENS1_25partition_config_selectorILNS1_17partition_subalgoE8EiNS0_10empty_typeEbEEZZNS1_14partition_implILS5_8ELb0ES3_jN6thrust23THRUST_200600_302600_NS6detail15normal_iteratorINSA_10device_ptrIiEEEEPS6_PKS6_NS0_5tupleIJNSA_16discard_iteratorINSA_11use_defaultEEES6_EEENSJ_IJSG_SG_EEENS0_18inequality_wrapperINSA_8equal_toIiEEEEPmJS6_EEE10hipError_tPvRmT3_T4_T5_T6_T7_T9_mT8_P12ihipStream_tbDpT10_ENKUlT_T0_E_clISt17integral_constantIbLb1EES1C_IbLb0EEEEDaS18_S19_EUlS18_E_NS1_11comp_targetILNS1_3genE8ELNS1_11target_archE1030ELNS1_3gpuE2ELNS1_3repE0EEENS1_30default_config_static_selectorELNS0_4arch9wavefront6targetE1EEEvT1_.uses_flat_scratch, 0
	.set _ZN7rocprim17ROCPRIM_400000_NS6detail17trampoline_kernelINS0_14default_configENS1_25partition_config_selectorILNS1_17partition_subalgoE8EiNS0_10empty_typeEbEEZZNS1_14partition_implILS5_8ELb0ES3_jN6thrust23THRUST_200600_302600_NS6detail15normal_iteratorINSA_10device_ptrIiEEEEPS6_PKS6_NS0_5tupleIJNSA_16discard_iteratorINSA_11use_defaultEEES6_EEENSJ_IJSG_SG_EEENS0_18inequality_wrapperINSA_8equal_toIiEEEEPmJS6_EEE10hipError_tPvRmT3_T4_T5_T6_T7_T9_mT8_P12ihipStream_tbDpT10_ENKUlT_T0_E_clISt17integral_constantIbLb1EES1C_IbLb0EEEEDaS18_S19_EUlS18_E_NS1_11comp_targetILNS1_3genE8ELNS1_11target_archE1030ELNS1_3gpuE2ELNS1_3repE0EEENS1_30default_config_static_selectorELNS0_4arch9wavefront6targetE1EEEvT1_.has_dyn_sized_stack, 0
	.set _ZN7rocprim17ROCPRIM_400000_NS6detail17trampoline_kernelINS0_14default_configENS1_25partition_config_selectorILNS1_17partition_subalgoE8EiNS0_10empty_typeEbEEZZNS1_14partition_implILS5_8ELb0ES3_jN6thrust23THRUST_200600_302600_NS6detail15normal_iteratorINSA_10device_ptrIiEEEEPS6_PKS6_NS0_5tupleIJNSA_16discard_iteratorINSA_11use_defaultEEES6_EEENSJ_IJSG_SG_EEENS0_18inequality_wrapperINSA_8equal_toIiEEEEPmJS6_EEE10hipError_tPvRmT3_T4_T5_T6_T7_T9_mT8_P12ihipStream_tbDpT10_ENKUlT_T0_E_clISt17integral_constantIbLb1EES1C_IbLb0EEEEDaS18_S19_EUlS18_E_NS1_11comp_targetILNS1_3genE8ELNS1_11target_archE1030ELNS1_3gpuE2ELNS1_3repE0EEENS1_30default_config_static_selectorELNS0_4arch9wavefront6targetE1EEEvT1_.has_recursion, 0
	.set _ZN7rocprim17ROCPRIM_400000_NS6detail17trampoline_kernelINS0_14default_configENS1_25partition_config_selectorILNS1_17partition_subalgoE8EiNS0_10empty_typeEbEEZZNS1_14partition_implILS5_8ELb0ES3_jN6thrust23THRUST_200600_302600_NS6detail15normal_iteratorINSA_10device_ptrIiEEEEPS6_PKS6_NS0_5tupleIJNSA_16discard_iteratorINSA_11use_defaultEEES6_EEENSJ_IJSG_SG_EEENS0_18inequality_wrapperINSA_8equal_toIiEEEEPmJS6_EEE10hipError_tPvRmT3_T4_T5_T6_T7_T9_mT8_P12ihipStream_tbDpT10_ENKUlT_T0_E_clISt17integral_constantIbLb1EES1C_IbLb0EEEEDaS18_S19_EUlS18_E_NS1_11comp_targetILNS1_3genE8ELNS1_11target_archE1030ELNS1_3gpuE2ELNS1_3repE0EEENS1_30default_config_static_selectorELNS0_4arch9wavefront6targetE1EEEvT1_.has_indirect_call, 0
	.section	.AMDGPU.csdata,"",@progbits
; Kernel info:
; codeLenInByte = 0
; TotalNumSgprs: 4
; NumVgprs: 0
; ScratchSize: 0
; MemoryBound: 0
; FloatMode: 240
; IeeeMode: 1
; LDSByteSize: 0 bytes/workgroup (compile time only)
; SGPRBlocks: 0
; VGPRBlocks: 0
; NumSGPRsForWavesPerEU: 4
; NumVGPRsForWavesPerEU: 1
; Occupancy: 10
; WaveLimiterHint : 0
; COMPUTE_PGM_RSRC2:SCRATCH_EN: 0
; COMPUTE_PGM_RSRC2:USER_SGPR: 6
; COMPUTE_PGM_RSRC2:TRAP_HANDLER: 0
; COMPUTE_PGM_RSRC2:TGID_X_EN: 1
; COMPUTE_PGM_RSRC2:TGID_Y_EN: 0
; COMPUTE_PGM_RSRC2:TGID_Z_EN: 0
; COMPUTE_PGM_RSRC2:TIDIG_COMP_CNT: 0
	.section	.text._ZN7rocprim17ROCPRIM_400000_NS6detail17trampoline_kernelINS0_14default_configENS1_25partition_config_selectorILNS1_17partition_subalgoE8EiNS0_10empty_typeEbEEZZNS1_14partition_implILS5_8ELb0ES3_jN6thrust23THRUST_200600_302600_NS6detail15normal_iteratorINSA_10device_ptrIiEEEEPS6_PKS6_NS0_5tupleIJNSA_16discard_iteratorINSA_11use_defaultEEES6_EEENSJ_IJSG_SG_EEENS0_18inequality_wrapperINSA_8equal_toIiEEEEPmJS6_EEE10hipError_tPvRmT3_T4_T5_T6_T7_T9_mT8_P12ihipStream_tbDpT10_ENKUlT_T0_E_clISt17integral_constantIbLb0EES1C_IbLb1EEEEDaS18_S19_EUlS18_E_NS1_11comp_targetILNS1_3genE0ELNS1_11target_archE4294967295ELNS1_3gpuE0ELNS1_3repE0EEENS1_30default_config_static_selectorELNS0_4arch9wavefront6targetE1EEEvT1_,"axG",@progbits,_ZN7rocprim17ROCPRIM_400000_NS6detail17trampoline_kernelINS0_14default_configENS1_25partition_config_selectorILNS1_17partition_subalgoE8EiNS0_10empty_typeEbEEZZNS1_14partition_implILS5_8ELb0ES3_jN6thrust23THRUST_200600_302600_NS6detail15normal_iteratorINSA_10device_ptrIiEEEEPS6_PKS6_NS0_5tupleIJNSA_16discard_iteratorINSA_11use_defaultEEES6_EEENSJ_IJSG_SG_EEENS0_18inequality_wrapperINSA_8equal_toIiEEEEPmJS6_EEE10hipError_tPvRmT3_T4_T5_T6_T7_T9_mT8_P12ihipStream_tbDpT10_ENKUlT_T0_E_clISt17integral_constantIbLb0EES1C_IbLb1EEEEDaS18_S19_EUlS18_E_NS1_11comp_targetILNS1_3genE0ELNS1_11target_archE4294967295ELNS1_3gpuE0ELNS1_3repE0EEENS1_30default_config_static_selectorELNS0_4arch9wavefront6targetE1EEEvT1_,comdat
	.protected	_ZN7rocprim17ROCPRIM_400000_NS6detail17trampoline_kernelINS0_14default_configENS1_25partition_config_selectorILNS1_17partition_subalgoE8EiNS0_10empty_typeEbEEZZNS1_14partition_implILS5_8ELb0ES3_jN6thrust23THRUST_200600_302600_NS6detail15normal_iteratorINSA_10device_ptrIiEEEEPS6_PKS6_NS0_5tupleIJNSA_16discard_iteratorINSA_11use_defaultEEES6_EEENSJ_IJSG_SG_EEENS0_18inequality_wrapperINSA_8equal_toIiEEEEPmJS6_EEE10hipError_tPvRmT3_T4_T5_T6_T7_T9_mT8_P12ihipStream_tbDpT10_ENKUlT_T0_E_clISt17integral_constantIbLb0EES1C_IbLb1EEEEDaS18_S19_EUlS18_E_NS1_11comp_targetILNS1_3genE0ELNS1_11target_archE4294967295ELNS1_3gpuE0ELNS1_3repE0EEENS1_30default_config_static_selectorELNS0_4arch9wavefront6targetE1EEEvT1_ ; -- Begin function _ZN7rocprim17ROCPRIM_400000_NS6detail17trampoline_kernelINS0_14default_configENS1_25partition_config_selectorILNS1_17partition_subalgoE8EiNS0_10empty_typeEbEEZZNS1_14partition_implILS5_8ELb0ES3_jN6thrust23THRUST_200600_302600_NS6detail15normal_iteratorINSA_10device_ptrIiEEEEPS6_PKS6_NS0_5tupleIJNSA_16discard_iteratorINSA_11use_defaultEEES6_EEENSJ_IJSG_SG_EEENS0_18inequality_wrapperINSA_8equal_toIiEEEEPmJS6_EEE10hipError_tPvRmT3_T4_T5_T6_T7_T9_mT8_P12ihipStream_tbDpT10_ENKUlT_T0_E_clISt17integral_constantIbLb0EES1C_IbLb1EEEEDaS18_S19_EUlS18_E_NS1_11comp_targetILNS1_3genE0ELNS1_11target_archE4294967295ELNS1_3gpuE0ELNS1_3repE0EEENS1_30default_config_static_selectorELNS0_4arch9wavefront6targetE1EEEvT1_
	.globl	_ZN7rocprim17ROCPRIM_400000_NS6detail17trampoline_kernelINS0_14default_configENS1_25partition_config_selectorILNS1_17partition_subalgoE8EiNS0_10empty_typeEbEEZZNS1_14partition_implILS5_8ELb0ES3_jN6thrust23THRUST_200600_302600_NS6detail15normal_iteratorINSA_10device_ptrIiEEEEPS6_PKS6_NS0_5tupleIJNSA_16discard_iteratorINSA_11use_defaultEEES6_EEENSJ_IJSG_SG_EEENS0_18inequality_wrapperINSA_8equal_toIiEEEEPmJS6_EEE10hipError_tPvRmT3_T4_T5_T6_T7_T9_mT8_P12ihipStream_tbDpT10_ENKUlT_T0_E_clISt17integral_constantIbLb0EES1C_IbLb1EEEEDaS18_S19_EUlS18_E_NS1_11comp_targetILNS1_3genE0ELNS1_11target_archE4294967295ELNS1_3gpuE0ELNS1_3repE0EEENS1_30default_config_static_selectorELNS0_4arch9wavefront6targetE1EEEvT1_
	.p2align	8
	.type	_ZN7rocprim17ROCPRIM_400000_NS6detail17trampoline_kernelINS0_14default_configENS1_25partition_config_selectorILNS1_17partition_subalgoE8EiNS0_10empty_typeEbEEZZNS1_14partition_implILS5_8ELb0ES3_jN6thrust23THRUST_200600_302600_NS6detail15normal_iteratorINSA_10device_ptrIiEEEEPS6_PKS6_NS0_5tupleIJNSA_16discard_iteratorINSA_11use_defaultEEES6_EEENSJ_IJSG_SG_EEENS0_18inequality_wrapperINSA_8equal_toIiEEEEPmJS6_EEE10hipError_tPvRmT3_T4_T5_T6_T7_T9_mT8_P12ihipStream_tbDpT10_ENKUlT_T0_E_clISt17integral_constantIbLb0EES1C_IbLb1EEEEDaS18_S19_EUlS18_E_NS1_11comp_targetILNS1_3genE0ELNS1_11target_archE4294967295ELNS1_3gpuE0ELNS1_3repE0EEENS1_30default_config_static_selectorELNS0_4arch9wavefront6targetE1EEEvT1_,@function
_ZN7rocprim17ROCPRIM_400000_NS6detail17trampoline_kernelINS0_14default_configENS1_25partition_config_selectorILNS1_17partition_subalgoE8EiNS0_10empty_typeEbEEZZNS1_14partition_implILS5_8ELb0ES3_jN6thrust23THRUST_200600_302600_NS6detail15normal_iteratorINSA_10device_ptrIiEEEEPS6_PKS6_NS0_5tupleIJNSA_16discard_iteratorINSA_11use_defaultEEES6_EEENSJ_IJSG_SG_EEENS0_18inequality_wrapperINSA_8equal_toIiEEEEPmJS6_EEE10hipError_tPvRmT3_T4_T5_T6_T7_T9_mT8_P12ihipStream_tbDpT10_ENKUlT_T0_E_clISt17integral_constantIbLb0EES1C_IbLb1EEEEDaS18_S19_EUlS18_E_NS1_11comp_targetILNS1_3genE0ELNS1_11target_archE4294967295ELNS1_3gpuE0ELNS1_3repE0EEENS1_30default_config_static_selectorELNS0_4arch9wavefront6targetE1EEEvT1_: ; @_ZN7rocprim17ROCPRIM_400000_NS6detail17trampoline_kernelINS0_14default_configENS1_25partition_config_selectorILNS1_17partition_subalgoE8EiNS0_10empty_typeEbEEZZNS1_14partition_implILS5_8ELb0ES3_jN6thrust23THRUST_200600_302600_NS6detail15normal_iteratorINSA_10device_ptrIiEEEEPS6_PKS6_NS0_5tupleIJNSA_16discard_iteratorINSA_11use_defaultEEES6_EEENSJ_IJSG_SG_EEENS0_18inequality_wrapperINSA_8equal_toIiEEEEPmJS6_EEE10hipError_tPvRmT3_T4_T5_T6_T7_T9_mT8_P12ihipStream_tbDpT10_ENKUlT_T0_E_clISt17integral_constantIbLb0EES1C_IbLb1EEEEDaS18_S19_EUlS18_E_NS1_11comp_targetILNS1_3genE0ELNS1_11target_archE4294967295ELNS1_3gpuE0ELNS1_3repE0EEENS1_30default_config_static_selectorELNS0_4arch9wavefront6targetE1EEEvT1_
; %bb.0:
	.section	.rodata,"a",@progbits
	.p2align	6, 0x0
	.amdhsa_kernel _ZN7rocprim17ROCPRIM_400000_NS6detail17trampoline_kernelINS0_14default_configENS1_25partition_config_selectorILNS1_17partition_subalgoE8EiNS0_10empty_typeEbEEZZNS1_14partition_implILS5_8ELb0ES3_jN6thrust23THRUST_200600_302600_NS6detail15normal_iteratorINSA_10device_ptrIiEEEEPS6_PKS6_NS0_5tupleIJNSA_16discard_iteratorINSA_11use_defaultEEES6_EEENSJ_IJSG_SG_EEENS0_18inequality_wrapperINSA_8equal_toIiEEEEPmJS6_EEE10hipError_tPvRmT3_T4_T5_T6_T7_T9_mT8_P12ihipStream_tbDpT10_ENKUlT_T0_E_clISt17integral_constantIbLb0EES1C_IbLb1EEEEDaS18_S19_EUlS18_E_NS1_11comp_targetILNS1_3genE0ELNS1_11target_archE4294967295ELNS1_3gpuE0ELNS1_3repE0EEENS1_30default_config_static_selectorELNS0_4arch9wavefront6targetE1EEEvT1_
		.amdhsa_group_segment_fixed_size 0
		.amdhsa_private_segment_fixed_size 0
		.amdhsa_kernarg_size 136
		.amdhsa_user_sgpr_count 6
		.amdhsa_user_sgpr_private_segment_buffer 1
		.amdhsa_user_sgpr_dispatch_ptr 0
		.amdhsa_user_sgpr_queue_ptr 0
		.amdhsa_user_sgpr_kernarg_segment_ptr 1
		.amdhsa_user_sgpr_dispatch_id 0
		.amdhsa_user_sgpr_flat_scratch_init 0
		.amdhsa_user_sgpr_private_segment_size 0
		.amdhsa_uses_dynamic_stack 0
		.amdhsa_system_sgpr_private_segment_wavefront_offset 0
		.amdhsa_system_sgpr_workgroup_id_x 1
		.amdhsa_system_sgpr_workgroup_id_y 0
		.amdhsa_system_sgpr_workgroup_id_z 0
		.amdhsa_system_sgpr_workgroup_info 0
		.amdhsa_system_vgpr_workitem_id 0
		.amdhsa_next_free_vgpr 1
		.amdhsa_next_free_sgpr 0
		.amdhsa_reserve_vcc 0
		.amdhsa_reserve_flat_scratch 0
		.amdhsa_float_round_mode_32 0
		.amdhsa_float_round_mode_16_64 0
		.amdhsa_float_denorm_mode_32 3
		.amdhsa_float_denorm_mode_16_64 3
		.amdhsa_dx10_clamp 1
		.amdhsa_ieee_mode 1
		.amdhsa_fp16_overflow 0
		.amdhsa_exception_fp_ieee_invalid_op 0
		.amdhsa_exception_fp_denorm_src 0
		.amdhsa_exception_fp_ieee_div_zero 0
		.amdhsa_exception_fp_ieee_overflow 0
		.amdhsa_exception_fp_ieee_underflow 0
		.amdhsa_exception_fp_ieee_inexact 0
		.amdhsa_exception_int_div_zero 0
	.end_amdhsa_kernel
	.section	.text._ZN7rocprim17ROCPRIM_400000_NS6detail17trampoline_kernelINS0_14default_configENS1_25partition_config_selectorILNS1_17partition_subalgoE8EiNS0_10empty_typeEbEEZZNS1_14partition_implILS5_8ELb0ES3_jN6thrust23THRUST_200600_302600_NS6detail15normal_iteratorINSA_10device_ptrIiEEEEPS6_PKS6_NS0_5tupleIJNSA_16discard_iteratorINSA_11use_defaultEEES6_EEENSJ_IJSG_SG_EEENS0_18inequality_wrapperINSA_8equal_toIiEEEEPmJS6_EEE10hipError_tPvRmT3_T4_T5_T6_T7_T9_mT8_P12ihipStream_tbDpT10_ENKUlT_T0_E_clISt17integral_constantIbLb0EES1C_IbLb1EEEEDaS18_S19_EUlS18_E_NS1_11comp_targetILNS1_3genE0ELNS1_11target_archE4294967295ELNS1_3gpuE0ELNS1_3repE0EEENS1_30default_config_static_selectorELNS0_4arch9wavefront6targetE1EEEvT1_,"axG",@progbits,_ZN7rocprim17ROCPRIM_400000_NS6detail17trampoline_kernelINS0_14default_configENS1_25partition_config_selectorILNS1_17partition_subalgoE8EiNS0_10empty_typeEbEEZZNS1_14partition_implILS5_8ELb0ES3_jN6thrust23THRUST_200600_302600_NS6detail15normal_iteratorINSA_10device_ptrIiEEEEPS6_PKS6_NS0_5tupleIJNSA_16discard_iteratorINSA_11use_defaultEEES6_EEENSJ_IJSG_SG_EEENS0_18inequality_wrapperINSA_8equal_toIiEEEEPmJS6_EEE10hipError_tPvRmT3_T4_T5_T6_T7_T9_mT8_P12ihipStream_tbDpT10_ENKUlT_T0_E_clISt17integral_constantIbLb0EES1C_IbLb1EEEEDaS18_S19_EUlS18_E_NS1_11comp_targetILNS1_3genE0ELNS1_11target_archE4294967295ELNS1_3gpuE0ELNS1_3repE0EEENS1_30default_config_static_selectorELNS0_4arch9wavefront6targetE1EEEvT1_,comdat
.Lfunc_end685:
	.size	_ZN7rocprim17ROCPRIM_400000_NS6detail17trampoline_kernelINS0_14default_configENS1_25partition_config_selectorILNS1_17partition_subalgoE8EiNS0_10empty_typeEbEEZZNS1_14partition_implILS5_8ELb0ES3_jN6thrust23THRUST_200600_302600_NS6detail15normal_iteratorINSA_10device_ptrIiEEEEPS6_PKS6_NS0_5tupleIJNSA_16discard_iteratorINSA_11use_defaultEEES6_EEENSJ_IJSG_SG_EEENS0_18inequality_wrapperINSA_8equal_toIiEEEEPmJS6_EEE10hipError_tPvRmT3_T4_T5_T6_T7_T9_mT8_P12ihipStream_tbDpT10_ENKUlT_T0_E_clISt17integral_constantIbLb0EES1C_IbLb1EEEEDaS18_S19_EUlS18_E_NS1_11comp_targetILNS1_3genE0ELNS1_11target_archE4294967295ELNS1_3gpuE0ELNS1_3repE0EEENS1_30default_config_static_selectorELNS0_4arch9wavefront6targetE1EEEvT1_, .Lfunc_end685-_ZN7rocprim17ROCPRIM_400000_NS6detail17trampoline_kernelINS0_14default_configENS1_25partition_config_selectorILNS1_17partition_subalgoE8EiNS0_10empty_typeEbEEZZNS1_14partition_implILS5_8ELb0ES3_jN6thrust23THRUST_200600_302600_NS6detail15normal_iteratorINSA_10device_ptrIiEEEEPS6_PKS6_NS0_5tupleIJNSA_16discard_iteratorINSA_11use_defaultEEES6_EEENSJ_IJSG_SG_EEENS0_18inequality_wrapperINSA_8equal_toIiEEEEPmJS6_EEE10hipError_tPvRmT3_T4_T5_T6_T7_T9_mT8_P12ihipStream_tbDpT10_ENKUlT_T0_E_clISt17integral_constantIbLb0EES1C_IbLb1EEEEDaS18_S19_EUlS18_E_NS1_11comp_targetILNS1_3genE0ELNS1_11target_archE4294967295ELNS1_3gpuE0ELNS1_3repE0EEENS1_30default_config_static_selectorELNS0_4arch9wavefront6targetE1EEEvT1_
                                        ; -- End function
	.set _ZN7rocprim17ROCPRIM_400000_NS6detail17trampoline_kernelINS0_14default_configENS1_25partition_config_selectorILNS1_17partition_subalgoE8EiNS0_10empty_typeEbEEZZNS1_14partition_implILS5_8ELb0ES3_jN6thrust23THRUST_200600_302600_NS6detail15normal_iteratorINSA_10device_ptrIiEEEEPS6_PKS6_NS0_5tupleIJNSA_16discard_iteratorINSA_11use_defaultEEES6_EEENSJ_IJSG_SG_EEENS0_18inequality_wrapperINSA_8equal_toIiEEEEPmJS6_EEE10hipError_tPvRmT3_T4_T5_T6_T7_T9_mT8_P12ihipStream_tbDpT10_ENKUlT_T0_E_clISt17integral_constantIbLb0EES1C_IbLb1EEEEDaS18_S19_EUlS18_E_NS1_11comp_targetILNS1_3genE0ELNS1_11target_archE4294967295ELNS1_3gpuE0ELNS1_3repE0EEENS1_30default_config_static_selectorELNS0_4arch9wavefront6targetE1EEEvT1_.num_vgpr, 0
	.set _ZN7rocprim17ROCPRIM_400000_NS6detail17trampoline_kernelINS0_14default_configENS1_25partition_config_selectorILNS1_17partition_subalgoE8EiNS0_10empty_typeEbEEZZNS1_14partition_implILS5_8ELb0ES3_jN6thrust23THRUST_200600_302600_NS6detail15normal_iteratorINSA_10device_ptrIiEEEEPS6_PKS6_NS0_5tupleIJNSA_16discard_iteratorINSA_11use_defaultEEES6_EEENSJ_IJSG_SG_EEENS0_18inequality_wrapperINSA_8equal_toIiEEEEPmJS6_EEE10hipError_tPvRmT3_T4_T5_T6_T7_T9_mT8_P12ihipStream_tbDpT10_ENKUlT_T0_E_clISt17integral_constantIbLb0EES1C_IbLb1EEEEDaS18_S19_EUlS18_E_NS1_11comp_targetILNS1_3genE0ELNS1_11target_archE4294967295ELNS1_3gpuE0ELNS1_3repE0EEENS1_30default_config_static_selectorELNS0_4arch9wavefront6targetE1EEEvT1_.num_agpr, 0
	.set _ZN7rocprim17ROCPRIM_400000_NS6detail17trampoline_kernelINS0_14default_configENS1_25partition_config_selectorILNS1_17partition_subalgoE8EiNS0_10empty_typeEbEEZZNS1_14partition_implILS5_8ELb0ES3_jN6thrust23THRUST_200600_302600_NS6detail15normal_iteratorINSA_10device_ptrIiEEEEPS6_PKS6_NS0_5tupleIJNSA_16discard_iteratorINSA_11use_defaultEEES6_EEENSJ_IJSG_SG_EEENS0_18inequality_wrapperINSA_8equal_toIiEEEEPmJS6_EEE10hipError_tPvRmT3_T4_T5_T6_T7_T9_mT8_P12ihipStream_tbDpT10_ENKUlT_T0_E_clISt17integral_constantIbLb0EES1C_IbLb1EEEEDaS18_S19_EUlS18_E_NS1_11comp_targetILNS1_3genE0ELNS1_11target_archE4294967295ELNS1_3gpuE0ELNS1_3repE0EEENS1_30default_config_static_selectorELNS0_4arch9wavefront6targetE1EEEvT1_.numbered_sgpr, 0
	.set _ZN7rocprim17ROCPRIM_400000_NS6detail17trampoline_kernelINS0_14default_configENS1_25partition_config_selectorILNS1_17partition_subalgoE8EiNS0_10empty_typeEbEEZZNS1_14partition_implILS5_8ELb0ES3_jN6thrust23THRUST_200600_302600_NS6detail15normal_iteratorINSA_10device_ptrIiEEEEPS6_PKS6_NS0_5tupleIJNSA_16discard_iteratorINSA_11use_defaultEEES6_EEENSJ_IJSG_SG_EEENS0_18inequality_wrapperINSA_8equal_toIiEEEEPmJS6_EEE10hipError_tPvRmT3_T4_T5_T6_T7_T9_mT8_P12ihipStream_tbDpT10_ENKUlT_T0_E_clISt17integral_constantIbLb0EES1C_IbLb1EEEEDaS18_S19_EUlS18_E_NS1_11comp_targetILNS1_3genE0ELNS1_11target_archE4294967295ELNS1_3gpuE0ELNS1_3repE0EEENS1_30default_config_static_selectorELNS0_4arch9wavefront6targetE1EEEvT1_.num_named_barrier, 0
	.set _ZN7rocprim17ROCPRIM_400000_NS6detail17trampoline_kernelINS0_14default_configENS1_25partition_config_selectorILNS1_17partition_subalgoE8EiNS0_10empty_typeEbEEZZNS1_14partition_implILS5_8ELb0ES3_jN6thrust23THRUST_200600_302600_NS6detail15normal_iteratorINSA_10device_ptrIiEEEEPS6_PKS6_NS0_5tupleIJNSA_16discard_iteratorINSA_11use_defaultEEES6_EEENSJ_IJSG_SG_EEENS0_18inequality_wrapperINSA_8equal_toIiEEEEPmJS6_EEE10hipError_tPvRmT3_T4_T5_T6_T7_T9_mT8_P12ihipStream_tbDpT10_ENKUlT_T0_E_clISt17integral_constantIbLb0EES1C_IbLb1EEEEDaS18_S19_EUlS18_E_NS1_11comp_targetILNS1_3genE0ELNS1_11target_archE4294967295ELNS1_3gpuE0ELNS1_3repE0EEENS1_30default_config_static_selectorELNS0_4arch9wavefront6targetE1EEEvT1_.private_seg_size, 0
	.set _ZN7rocprim17ROCPRIM_400000_NS6detail17trampoline_kernelINS0_14default_configENS1_25partition_config_selectorILNS1_17partition_subalgoE8EiNS0_10empty_typeEbEEZZNS1_14partition_implILS5_8ELb0ES3_jN6thrust23THRUST_200600_302600_NS6detail15normal_iteratorINSA_10device_ptrIiEEEEPS6_PKS6_NS0_5tupleIJNSA_16discard_iteratorINSA_11use_defaultEEES6_EEENSJ_IJSG_SG_EEENS0_18inequality_wrapperINSA_8equal_toIiEEEEPmJS6_EEE10hipError_tPvRmT3_T4_T5_T6_T7_T9_mT8_P12ihipStream_tbDpT10_ENKUlT_T0_E_clISt17integral_constantIbLb0EES1C_IbLb1EEEEDaS18_S19_EUlS18_E_NS1_11comp_targetILNS1_3genE0ELNS1_11target_archE4294967295ELNS1_3gpuE0ELNS1_3repE0EEENS1_30default_config_static_selectorELNS0_4arch9wavefront6targetE1EEEvT1_.uses_vcc, 0
	.set _ZN7rocprim17ROCPRIM_400000_NS6detail17trampoline_kernelINS0_14default_configENS1_25partition_config_selectorILNS1_17partition_subalgoE8EiNS0_10empty_typeEbEEZZNS1_14partition_implILS5_8ELb0ES3_jN6thrust23THRUST_200600_302600_NS6detail15normal_iteratorINSA_10device_ptrIiEEEEPS6_PKS6_NS0_5tupleIJNSA_16discard_iteratorINSA_11use_defaultEEES6_EEENSJ_IJSG_SG_EEENS0_18inequality_wrapperINSA_8equal_toIiEEEEPmJS6_EEE10hipError_tPvRmT3_T4_T5_T6_T7_T9_mT8_P12ihipStream_tbDpT10_ENKUlT_T0_E_clISt17integral_constantIbLb0EES1C_IbLb1EEEEDaS18_S19_EUlS18_E_NS1_11comp_targetILNS1_3genE0ELNS1_11target_archE4294967295ELNS1_3gpuE0ELNS1_3repE0EEENS1_30default_config_static_selectorELNS0_4arch9wavefront6targetE1EEEvT1_.uses_flat_scratch, 0
	.set _ZN7rocprim17ROCPRIM_400000_NS6detail17trampoline_kernelINS0_14default_configENS1_25partition_config_selectorILNS1_17partition_subalgoE8EiNS0_10empty_typeEbEEZZNS1_14partition_implILS5_8ELb0ES3_jN6thrust23THRUST_200600_302600_NS6detail15normal_iteratorINSA_10device_ptrIiEEEEPS6_PKS6_NS0_5tupleIJNSA_16discard_iteratorINSA_11use_defaultEEES6_EEENSJ_IJSG_SG_EEENS0_18inequality_wrapperINSA_8equal_toIiEEEEPmJS6_EEE10hipError_tPvRmT3_T4_T5_T6_T7_T9_mT8_P12ihipStream_tbDpT10_ENKUlT_T0_E_clISt17integral_constantIbLb0EES1C_IbLb1EEEEDaS18_S19_EUlS18_E_NS1_11comp_targetILNS1_3genE0ELNS1_11target_archE4294967295ELNS1_3gpuE0ELNS1_3repE0EEENS1_30default_config_static_selectorELNS0_4arch9wavefront6targetE1EEEvT1_.has_dyn_sized_stack, 0
	.set _ZN7rocprim17ROCPRIM_400000_NS6detail17trampoline_kernelINS0_14default_configENS1_25partition_config_selectorILNS1_17partition_subalgoE8EiNS0_10empty_typeEbEEZZNS1_14partition_implILS5_8ELb0ES3_jN6thrust23THRUST_200600_302600_NS6detail15normal_iteratorINSA_10device_ptrIiEEEEPS6_PKS6_NS0_5tupleIJNSA_16discard_iteratorINSA_11use_defaultEEES6_EEENSJ_IJSG_SG_EEENS0_18inequality_wrapperINSA_8equal_toIiEEEEPmJS6_EEE10hipError_tPvRmT3_T4_T5_T6_T7_T9_mT8_P12ihipStream_tbDpT10_ENKUlT_T0_E_clISt17integral_constantIbLb0EES1C_IbLb1EEEEDaS18_S19_EUlS18_E_NS1_11comp_targetILNS1_3genE0ELNS1_11target_archE4294967295ELNS1_3gpuE0ELNS1_3repE0EEENS1_30default_config_static_selectorELNS0_4arch9wavefront6targetE1EEEvT1_.has_recursion, 0
	.set _ZN7rocprim17ROCPRIM_400000_NS6detail17trampoline_kernelINS0_14default_configENS1_25partition_config_selectorILNS1_17partition_subalgoE8EiNS0_10empty_typeEbEEZZNS1_14partition_implILS5_8ELb0ES3_jN6thrust23THRUST_200600_302600_NS6detail15normal_iteratorINSA_10device_ptrIiEEEEPS6_PKS6_NS0_5tupleIJNSA_16discard_iteratorINSA_11use_defaultEEES6_EEENSJ_IJSG_SG_EEENS0_18inequality_wrapperINSA_8equal_toIiEEEEPmJS6_EEE10hipError_tPvRmT3_T4_T5_T6_T7_T9_mT8_P12ihipStream_tbDpT10_ENKUlT_T0_E_clISt17integral_constantIbLb0EES1C_IbLb1EEEEDaS18_S19_EUlS18_E_NS1_11comp_targetILNS1_3genE0ELNS1_11target_archE4294967295ELNS1_3gpuE0ELNS1_3repE0EEENS1_30default_config_static_selectorELNS0_4arch9wavefront6targetE1EEEvT1_.has_indirect_call, 0
	.section	.AMDGPU.csdata,"",@progbits
; Kernel info:
; codeLenInByte = 0
; TotalNumSgprs: 4
; NumVgprs: 0
; ScratchSize: 0
; MemoryBound: 0
; FloatMode: 240
; IeeeMode: 1
; LDSByteSize: 0 bytes/workgroup (compile time only)
; SGPRBlocks: 0
; VGPRBlocks: 0
; NumSGPRsForWavesPerEU: 4
; NumVGPRsForWavesPerEU: 1
; Occupancy: 10
; WaveLimiterHint : 0
; COMPUTE_PGM_RSRC2:SCRATCH_EN: 0
; COMPUTE_PGM_RSRC2:USER_SGPR: 6
; COMPUTE_PGM_RSRC2:TRAP_HANDLER: 0
; COMPUTE_PGM_RSRC2:TGID_X_EN: 1
; COMPUTE_PGM_RSRC2:TGID_Y_EN: 0
; COMPUTE_PGM_RSRC2:TGID_Z_EN: 0
; COMPUTE_PGM_RSRC2:TIDIG_COMP_CNT: 0
	.section	.text._ZN7rocprim17ROCPRIM_400000_NS6detail17trampoline_kernelINS0_14default_configENS1_25partition_config_selectorILNS1_17partition_subalgoE8EiNS0_10empty_typeEbEEZZNS1_14partition_implILS5_8ELb0ES3_jN6thrust23THRUST_200600_302600_NS6detail15normal_iteratorINSA_10device_ptrIiEEEEPS6_PKS6_NS0_5tupleIJNSA_16discard_iteratorINSA_11use_defaultEEES6_EEENSJ_IJSG_SG_EEENS0_18inequality_wrapperINSA_8equal_toIiEEEEPmJS6_EEE10hipError_tPvRmT3_T4_T5_T6_T7_T9_mT8_P12ihipStream_tbDpT10_ENKUlT_T0_E_clISt17integral_constantIbLb0EES1C_IbLb1EEEEDaS18_S19_EUlS18_E_NS1_11comp_targetILNS1_3genE5ELNS1_11target_archE942ELNS1_3gpuE9ELNS1_3repE0EEENS1_30default_config_static_selectorELNS0_4arch9wavefront6targetE1EEEvT1_,"axG",@progbits,_ZN7rocprim17ROCPRIM_400000_NS6detail17trampoline_kernelINS0_14default_configENS1_25partition_config_selectorILNS1_17partition_subalgoE8EiNS0_10empty_typeEbEEZZNS1_14partition_implILS5_8ELb0ES3_jN6thrust23THRUST_200600_302600_NS6detail15normal_iteratorINSA_10device_ptrIiEEEEPS6_PKS6_NS0_5tupleIJNSA_16discard_iteratorINSA_11use_defaultEEES6_EEENSJ_IJSG_SG_EEENS0_18inequality_wrapperINSA_8equal_toIiEEEEPmJS6_EEE10hipError_tPvRmT3_T4_T5_T6_T7_T9_mT8_P12ihipStream_tbDpT10_ENKUlT_T0_E_clISt17integral_constantIbLb0EES1C_IbLb1EEEEDaS18_S19_EUlS18_E_NS1_11comp_targetILNS1_3genE5ELNS1_11target_archE942ELNS1_3gpuE9ELNS1_3repE0EEENS1_30default_config_static_selectorELNS0_4arch9wavefront6targetE1EEEvT1_,comdat
	.protected	_ZN7rocprim17ROCPRIM_400000_NS6detail17trampoline_kernelINS0_14default_configENS1_25partition_config_selectorILNS1_17partition_subalgoE8EiNS0_10empty_typeEbEEZZNS1_14partition_implILS5_8ELb0ES3_jN6thrust23THRUST_200600_302600_NS6detail15normal_iteratorINSA_10device_ptrIiEEEEPS6_PKS6_NS0_5tupleIJNSA_16discard_iteratorINSA_11use_defaultEEES6_EEENSJ_IJSG_SG_EEENS0_18inequality_wrapperINSA_8equal_toIiEEEEPmJS6_EEE10hipError_tPvRmT3_T4_T5_T6_T7_T9_mT8_P12ihipStream_tbDpT10_ENKUlT_T0_E_clISt17integral_constantIbLb0EES1C_IbLb1EEEEDaS18_S19_EUlS18_E_NS1_11comp_targetILNS1_3genE5ELNS1_11target_archE942ELNS1_3gpuE9ELNS1_3repE0EEENS1_30default_config_static_selectorELNS0_4arch9wavefront6targetE1EEEvT1_ ; -- Begin function _ZN7rocprim17ROCPRIM_400000_NS6detail17trampoline_kernelINS0_14default_configENS1_25partition_config_selectorILNS1_17partition_subalgoE8EiNS0_10empty_typeEbEEZZNS1_14partition_implILS5_8ELb0ES3_jN6thrust23THRUST_200600_302600_NS6detail15normal_iteratorINSA_10device_ptrIiEEEEPS6_PKS6_NS0_5tupleIJNSA_16discard_iteratorINSA_11use_defaultEEES6_EEENSJ_IJSG_SG_EEENS0_18inequality_wrapperINSA_8equal_toIiEEEEPmJS6_EEE10hipError_tPvRmT3_T4_T5_T6_T7_T9_mT8_P12ihipStream_tbDpT10_ENKUlT_T0_E_clISt17integral_constantIbLb0EES1C_IbLb1EEEEDaS18_S19_EUlS18_E_NS1_11comp_targetILNS1_3genE5ELNS1_11target_archE942ELNS1_3gpuE9ELNS1_3repE0EEENS1_30default_config_static_selectorELNS0_4arch9wavefront6targetE1EEEvT1_
	.globl	_ZN7rocprim17ROCPRIM_400000_NS6detail17trampoline_kernelINS0_14default_configENS1_25partition_config_selectorILNS1_17partition_subalgoE8EiNS0_10empty_typeEbEEZZNS1_14partition_implILS5_8ELb0ES3_jN6thrust23THRUST_200600_302600_NS6detail15normal_iteratorINSA_10device_ptrIiEEEEPS6_PKS6_NS0_5tupleIJNSA_16discard_iteratorINSA_11use_defaultEEES6_EEENSJ_IJSG_SG_EEENS0_18inequality_wrapperINSA_8equal_toIiEEEEPmJS6_EEE10hipError_tPvRmT3_T4_T5_T6_T7_T9_mT8_P12ihipStream_tbDpT10_ENKUlT_T0_E_clISt17integral_constantIbLb0EES1C_IbLb1EEEEDaS18_S19_EUlS18_E_NS1_11comp_targetILNS1_3genE5ELNS1_11target_archE942ELNS1_3gpuE9ELNS1_3repE0EEENS1_30default_config_static_selectorELNS0_4arch9wavefront6targetE1EEEvT1_
	.p2align	8
	.type	_ZN7rocprim17ROCPRIM_400000_NS6detail17trampoline_kernelINS0_14default_configENS1_25partition_config_selectorILNS1_17partition_subalgoE8EiNS0_10empty_typeEbEEZZNS1_14partition_implILS5_8ELb0ES3_jN6thrust23THRUST_200600_302600_NS6detail15normal_iteratorINSA_10device_ptrIiEEEEPS6_PKS6_NS0_5tupleIJNSA_16discard_iteratorINSA_11use_defaultEEES6_EEENSJ_IJSG_SG_EEENS0_18inequality_wrapperINSA_8equal_toIiEEEEPmJS6_EEE10hipError_tPvRmT3_T4_T5_T6_T7_T9_mT8_P12ihipStream_tbDpT10_ENKUlT_T0_E_clISt17integral_constantIbLb0EES1C_IbLb1EEEEDaS18_S19_EUlS18_E_NS1_11comp_targetILNS1_3genE5ELNS1_11target_archE942ELNS1_3gpuE9ELNS1_3repE0EEENS1_30default_config_static_selectorELNS0_4arch9wavefront6targetE1EEEvT1_,@function
_ZN7rocprim17ROCPRIM_400000_NS6detail17trampoline_kernelINS0_14default_configENS1_25partition_config_selectorILNS1_17partition_subalgoE8EiNS0_10empty_typeEbEEZZNS1_14partition_implILS5_8ELb0ES3_jN6thrust23THRUST_200600_302600_NS6detail15normal_iteratorINSA_10device_ptrIiEEEEPS6_PKS6_NS0_5tupleIJNSA_16discard_iteratorINSA_11use_defaultEEES6_EEENSJ_IJSG_SG_EEENS0_18inequality_wrapperINSA_8equal_toIiEEEEPmJS6_EEE10hipError_tPvRmT3_T4_T5_T6_T7_T9_mT8_P12ihipStream_tbDpT10_ENKUlT_T0_E_clISt17integral_constantIbLb0EES1C_IbLb1EEEEDaS18_S19_EUlS18_E_NS1_11comp_targetILNS1_3genE5ELNS1_11target_archE942ELNS1_3gpuE9ELNS1_3repE0EEENS1_30default_config_static_selectorELNS0_4arch9wavefront6targetE1EEEvT1_: ; @_ZN7rocprim17ROCPRIM_400000_NS6detail17trampoline_kernelINS0_14default_configENS1_25partition_config_selectorILNS1_17partition_subalgoE8EiNS0_10empty_typeEbEEZZNS1_14partition_implILS5_8ELb0ES3_jN6thrust23THRUST_200600_302600_NS6detail15normal_iteratorINSA_10device_ptrIiEEEEPS6_PKS6_NS0_5tupleIJNSA_16discard_iteratorINSA_11use_defaultEEES6_EEENSJ_IJSG_SG_EEENS0_18inequality_wrapperINSA_8equal_toIiEEEEPmJS6_EEE10hipError_tPvRmT3_T4_T5_T6_T7_T9_mT8_P12ihipStream_tbDpT10_ENKUlT_T0_E_clISt17integral_constantIbLb0EES1C_IbLb1EEEEDaS18_S19_EUlS18_E_NS1_11comp_targetILNS1_3genE5ELNS1_11target_archE942ELNS1_3gpuE9ELNS1_3repE0EEENS1_30default_config_static_selectorELNS0_4arch9wavefront6targetE1EEEvT1_
; %bb.0:
	.section	.rodata,"a",@progbits
	.p2align	6, 0x0
	.amdhsa_kernel _ZN7rocprim17ROCPRIM_400000_NS6detail17trampoline_kernelINS0_14default_configENS1_25partition_config_selectorILNS1_17partition_subalgoE8EiNS0_10empty_typeEbEEZZNS1_14partition_implILS5_8ELb0ES3_jN6thrust23THRUST_200600_302600_NS6detail15normal_iteratorINSA_10device_ptrIiEEEEPS6_PKS6_NS0_5tupleIJNSA_16discard_iteratorINSA_11use_defaultEEES6_EEENSJ_IJSG_SG_EEENS0_18inequality_wrapperINSA_8equal_toIiEEEEPmJS6_EEE10hipError_tPvRmT3_T4_T5_T6_T7_T9_mT8_P12ihipStream_tbDpT10_ENKUlT_T0_E_clISt17integral_constantIbLb0EES1C_IbLb1EEEEDaS18_S19_EUlS18_E_NS1_11comp_targetILNS1_3genE5ELNS1_11target_archE942ELNS1_3gpuE9ELNS1_3repE0EEENS1_30default_config_static_selectorELNS0_4arch9wavefront6targetE1EEEvT1_
		.amdhsa_group_segment_fixed_size 0
		.amdhsa_private_segment_fixed_size 0
		.amdhsa_kernarg_size 136
		.amdhsa_user_sgpr_count 6
		.amdhsa_user_sgpr_private_segment_buffer 1
		.amdhsa_user_sgpr_dispatch_ptr 0
		.amdhsa_user_sgpr_queue_ptr 0
		.amdhsa_user_sgpr_kernarg_segment_ptr 1
		.amdhsa_user_sgpr_dispatch_id 0
		.amdhsa_user_sgpr_flat_scratch_init 0
		.amdhsa_user_sgpr_private_segment_size 0
		.amdhsa_uses_dynamic_stack 0
		.amdhsa_system_sgpr_private_segment_wavefront_offset 0
		.amdhsa_system_sgpr_workgroup_id_x 1
		.amdhsa_system_sgpr_workgroup_id_y 0
		.amdhsa_system_sgpr_workgroup_id_z 0
		.amdhsa_system_sgpr_workgroup_info 0
		.amdhsa_system_vgpr_workitem_id 0
		.amdhsa_next_free_vgpr 1
		.amdhsa_next_free_sgpr 0
		.amdhsa_reserve_vcc 0
		.amdhsa_reserve_flat_scratch 0
		.amdhsa_float_round_mode_32 0
		.amdhsa_float_round_mode_16_64 0
		.amdhsa_float_denorm_mode_32 3
		.amdhsa_float_denorm_mode_16_64 3
		.amdhsa_dx10_clamp 1
		.amdhsa_ieee_mode 1
		.amdhsa_fp16_overflow 0
		.amdhsa_exception_fp_ieee_invalid_op 0
		.amdhsa_exception_fp_denorm_src 0
		.amdhsa_exception_fp_ieee_div_zero 0
		.amdhsa_exception_fp_ieee_overflow 0
		.amdhsa_exception_fp_ieee_underflow 0
		.amdhsa_exception_fp_ieee_inexact 0
		.amdhsa_exception_int_div_zero 0
	.end_amdhsa_kernel
	.section	.text._ZN7rocprim17ROCPRIM_400000_NS6detail17trampoline_kernelINS0_14default_configENS1_25partition_config_selectorILNS1_17partition_subalgoE8EiNS0_10empty_typeEbEEZZNS1_14partition_implILS5_8ELb0ES3_jN6thrust23THRUST_200600_302600_NS6detail15normal_iteratorINSA_10device_ptrIiEEEEPS6_PKS6_NS0_5tupleIJNSA_16discard_iteratorINSA_11use_defaultEEES6_EEENSJ_IJSG_SG_EEENS0_18inequality_wrapperINSA_8equal_toIiEEEEPmJS6_EEE10hipError_tPvRmT3_T4_T5_T6_T7_T9_mT8_P12ihipStream_tbDpT10_ENKUlT_T0_E_clISt17integral_constantIbLb0EES1C_IbLb1EEEEDaS18_S19_EUlS18_E_NS1_11comp_targetILNS1_3genE5ELNS1_11target_archE942ELNS1_3gpuE9ELNS1_3repE0EEENS1_30default_config_static_selectorELNS0_4arch9wavefront6targetE1EEEvT1_,"axG",@progbits,_ZN7rocprim17ROCPRIM_400000_NS6detail17trampoline_kernelINS0_14default_configENS1_25partition_config_selectorILNS1_17partition_subalgoE8EiNS0_10empty_typeEbEEZZNS1_14partition_implILS5_8ELb0ES3_jN6thrust23THRUST_200600_302600_NS6detail15normal_iteratorINSA_10device_ptrIiEEEEPS6_PKS6_NS0_5tupleIJNSA_16discard_iteratorINSA_11use_defaultEEES6_EEENSJ_IJSG_SG_EEENS0_18inequality_wrapperINSA_8equal_toIiEEEEPmJS6_EEE10hipError_tPvRmT3_T4_T5_T6_T7_T9_mT8_P12ihipStream_tbDpT10_ENKUlT_T0_E_clISt17integral_constantIbLb0EES1C_IbLb1EEEEDaS18_S19_EUlS18_E_NS1_11comp_targetILNS1_3genE5ELNS1_11target_archE942ELNS1_3gpuE9ELNS1_3repE0EEENS1_30default_config_static_selectorELNS0_4arch9wavefront6targetE1EEEvT1_,comdat
.Lfunc_end686:
	.size	_ZN7rocprim17ROCPRIM_400000_NS6detail17trampoline_kernelINS0_14default_configENS1_25partition_config_selectorILNS1_17partition_subalgoE8EiNS0_10empty_typeEbEEZZNS1_14partition_implILS5_8ELb0ES3_jN6thrust23THRUST_200600_302600_NS6detail15normal_iteratorINSA_10device_ptrIiEEEEPS6_PKS6_NS0_5tupleIJNSA_16discard_iteratorINSA_11use_defaultEEES6_EEENSJ_IJSG_SG_EEENS0_18inequality_wrapperINSA_8equal_toIiEEEEPmJS6_EEE10hipError_tPvRmT3_T4_T5_T6_T7_T9_mT8_P12ihipStream_tbDpT10_ENKUlT_T0_E_clISt17integral_constantIbLb0EES1C_IbLb1EEEEDaS18_S19_EUlS18_E_NS1_11comp_targetILNS1_3genE5ELNS1_11target_archE942ELNS1_3gpuE9ELNS1_3repE0EEENS1_30default_config_static_selectorELNS0_4arch9wavefront6targetE1EEEvT1_, .Lfunc_end686-_ZN7rocprim17ROCPRIM_400000_NS6detail17trampoline_kernelINS0_14default_configENS1_25partition_config_selectorILNS1_17partition_subalgoE8EiNS0_10empty_typeEbEEZZNS1_14partition_implILS5_8ELb0ES3_jN6thrust23THRUST_200600_302600_NS6detail15normal_iteratorINSA_10device_ptrIiEEEEPS6_PKS6_NS0_5tupleIJNSA_16discard_iteratorINSA_11use_defaultEEES6_EEENSJ_IJSG_SG_EEENS0_18inequality_wrapperINSA_8equal_toIiEEEEPmJS6_EEE10hipError_tPvRmT3_T4_T5_T6_T7_T9_mT8_P12ihipStream_tbDpT10_ENKUlT_T0_E_clISt17integral_constantIbLb0EES1C_IbLb1EEEEDaS18_S19_EUlS18_E_NS1_11comp_targetILNS1_3genE5ELNS1_11target_archE942ELNS1_3gpuE9ELNS1_3repE0EEENS1_30default_config_static_selectorELNS0_4arch9wavefront6targetE1EEEvT1_
                                        ; -- End function
	.set _ZN7rocprim17ROCPRIM_400000_NS6detail17trampoline_kernelINS0_14default_configENS1_25partition_config_selectorILNS1_17partition_subalgoE8EiNS0_10empty_typeEbEEZZNS1_14partition_implILS5_8ELb0ES3_jN6thrust23THRUST_200600_302600_NS6detail15normal_iteratorINSA_10device_ptrIiEEEEPS6_PKS6_NS0_5tupleIJNSA_16discard_iteratorINSA_11use_defaultEEES6_EEENSJ_IJSG_SG_EEENS0_18inequality_wrapperINSA_8equal_toIiEEEEPmJS6_EEE10hipError_tPvRmT3_T4_T5_T6_T7_T9_mT8_P12ihipStream_tbDpT10_ENKUlT_T0_E_clISt17integral_constantIbLb0EES1C_IbLb1EEEEDaS18_S19_EUlS18_E_NS1_11comp_targetILNS1_3genE5ELNS1_11target_archE942ELNS1_3gpuE9ELNS1_3repE0EEENS1_30default_config_static_selectorELNS0_4arch9wavefront6targetE1EEEvT1_.num_vgpr, 0
	.set _ZN7rocprim17ROCPRIM_400000_NS6detail17trampoline_kernelINS0_14default_configENS1_25partition_config_selectorILNS1_17partition_subalgoE8EiNS0_10empty_typeEbEEZZNS1_14partition_implILS5_8ELb0ES3_jN6thrust23THRUST_200600_302600_NS6detail15normal_iteratorINSA_10device_ptrIiEEEEPS6_PKS6_NS0_5tupleIJNSA_16discard_iteratorINSA_11use_defaultEEES6_EEENSJ_IJSG_SG_EEENS0_18inequality_wrapperINSA_8equal_toIiEEEEPmJS6_EEE10hipError_tPvRmT3_T4_T5_T6_T7_T9_mT8_P12ihipStream_tbDpT10_ENKUlT_T0_E_clISt17integral_constantIbLb0EES1C_IbLb1EEEEDaS18_S19_EUlS18_E_NS1_11comp_targetILNS1_3genE5ELNS1_11target_archE942ELNS1_3gpuE9ELNS1_3repE0EEENS1_30default_config_static_selectorELNS0_4arch9wavefront6targetE1EEEvT1_.num_agpr, 0
	.set _ZN7rocprim17ROCPRIM_400000_NS6detail17trampoline_kernelINS0_14default_configENS1_25partition_config_selectorILNS1_17partition_subalgoE8EiNS0_10empty_typeEbEEZZNS1_14partition_implILS5_8ELb0ES3_jN6thrust23THRUST_200600_302600_NS6detail15normal_iteratorINSA_10device_ptrIiEEEEPS6_PKS6_NS0_5tupleIJNSA_16discard_iteratorINSA_11use_defaultEEES6_EEENSJ_IJSG_SG_EEENS0_18inequality_wrapperINSA_8equal_toIiEEEEPmJS6_EEE10hipError_tPvRmT3_T4_T5_T6_T7_T9_mT8_P12ihipStream_tbDpT10_ENKUlT_T0_E_clISt17integral_constantIbLb0EES1C_IbLb1EEEEDaS18_S19_EUlS18_E_NS1_11comp_targetILNS1_3genE5ELNS1_11target_archE942ELNS1_3gpuE9ELNS1_3repE0EEENS1_30default_config_static_selectorELNS0_4arch9wavefront6targetE1EEEvT1_.numbered_sgpr, 0
	.set _ZN7rocprim17ROCPRIM_400000_NS6detail17trampoline_kernelINS0_14default_configENS1_25partition_config_selectorILNS1_17partition_subalgoE8EiNS0_10empty_typeEbEEZZNS1_14partition_implILS5_8ELb0ES3_jN6thrust23THRUST_200600_302600_NS6detail15normal_iteratorINSA_10device_ptrIiEEEEPS6_PKS6_NS0_5tupleIJNSA_16discard_iteratorINSA_11use_defaultEEES6_EEENSJ_IJSG_SG_EEENS0_18inequality_wrapperINSA_8equal_toIiEEEEPmJS6_EEE10hipError_tPvRmT3_T4_T5_T6_T7_T9_mT8_P12ihipStream_tbDpT10_ENKUlT_T0_E_clISt17integral_constantIbLb0EES1C_IbLb1EEEEDaS18_S19_EUlS18_E_NS1_11comp_targetILNS1_3genE5ELNS1_11target_archE942ELNS1_3gpuE9ELNS1_3repE0EEENS1_30default_config_static_selectorELNS0_4arch9wavefront6targetE1EEEvT1_.num_named_barrier, 0
	.set _ZN7rocprim17ROCPRIM_400000_NS6detail17trampoline_kernelINS0_14default_configENS1_25partition_config_selectorILNS1_17partition_subalgoE8EiNS0_10empty_typeEbEEZZNS1_14partition_implILS5_8ELb0ES3_jN6thrust23THRUST_200600_302600_NS6detail15normal_iteratorINSA_10device_ptrIiEEEEPS6_PKS6_NS0_5tupleIJNSA_16discard_iteratorINSA_11use_defaultEEES6_EEENSJ_IJSG_SG_EEENS0_18inequality_wrapperINSA_8equal_toIiEEEEPmJS6_EEE10hipError_tPvRmT3_T4_T5_T6_T7_T9_mT8_P12ihipStream_tbDpT10_ENKUlT_T0_E_clISt17integral_constantIbLb0EES1C_IbLb1EEEEDaS18_S19_EUlS18_E_NS1_11comp_targetILNS1_3genE5ELNS1_11target_archE942ELNS1_3gpuE9ELNS1_3repE0EEENS1_30default_config_static_selectorELNS0_4arch9wavefront6targetE1EEEvT1_.private_seg_size, 0
	.set _ZN7rocprim17ROCPRIM_400000_NS6detail17trampoline_kernelINS0_14default_configENS1_25partition_config_selectorILNS1_17partition_subalgoE8EiNS0_10empty_typeEbEEZZNS1_14partition_implILS5_8ELb0ES3_jN6thrust23THRUST_200600_302600_NS6detail15normal_iteratorINSA_10device_ptrIiEEEEPS6_PKS6_NS0_5tupleIJNSA_16discard_iteratorINSA_11use_defaultEEES6_EEENSJ_IJSG_SG_EEENS0_18inequality_wrapperINSA_8equal_toIiEEEEPmJS6_EEE10hipError_tPvRmT3_T4_T5_T6_T7_T9_mT8_P12ihipStream_tbDpT10_ENKUlT_T0_E_clISt17integral_constantIbLb0EES1C_IbLb1EEEEDaS18_S19_EUlS18_E_NS1_11comp_targetILNS1_3genE5ELNS1_11target_archE942ELNS1_3gpuE9ELNS1_3repE0EEENS1_30default_config_static_selectorELNS0_4arch9wavefront6targetE1EEEvT1_.uses_vcc, 0
	.set _ZN7rocprim17ROCPRIM_400000_NS6detail17trampoline_kernelINS0_14default_configENS1_25partition_config_selectorILNS1_17partition_subalgoE8EiNS0_10empty_typeEbEEZZNS1_14partition_implILS5_8ELb0ES3_jN6thrust23THRUST_200600_302600_NS6detail15normal_iteratorINSA_10device_ptrIiEEEEPS6_PKS6_NS0_5tupleIJNSA_16discard_iteratorINSA_11use_defaultEEES6_EEENSJ_IJSG_SG_EEENS0_18inequality_wrapperINSA_8equal_toIiEEEEPmJS6_EEE10hipError_tPvRmT3_T4_T5_T6_T7_T9_mT8_P12ihipStream_tbDpT10_ENKUlT_T0_E_clISt17integral_constantIbLb0EES1C_IbLb1EEEEDaS18_S19_EUlS18_E_NS1_11comp_targetILNS1_3genE5ELNS1_11target_archE942ELNS1_3gpuE9ELNS1_3repE0EEENS1_30default_config_static_selectorELNS0_4arch9wavefront6targetE1EEEvT1_.uses_flat_scratch, 0
	.set _ZN7rocprim17ROCPRIM_400000_NS6detail17trampoline_kernelINS0_14default_configENS1_25partition_config_selectorILNS1_17partition_subalgoE8EiNS0_10empty_typeEbEEZZNS1_14partition_implILS5_8ELb0ES3_jN6thrust23THRUST_200600_302600_NS6detail15normal_iteratorINSA_10device_ptrIiEEEEPS6_PKS6_NS0_5tupleIJNSA_16discard_iteratorINSA_11use_defaultEEES6_EEENSJ_IJSG_SG_EEENS0_18inequality_wrapperINSA_8equal_toIiEEEEPmJS6_EEE10hipError_tPvRmT3_T4_T5_T6_T7_T9_mT8_P12ihipStream_tbDpT10_ENKUlT_T0_E_clISt17integral_constantIbLb0EES1C_IbLb1EEEEDaS18_S19_EUlS18_E_NS1_11comp_targetILNS1_3genE5ELNS1_11target_archE942ELNS1_3gpuE9ELNS1_3repE0EEENS1_30default_config_static_selectorELNS0_4arch9wavefront6targetE1EEEvT1_.has_dyn_sized_stack, 0
	.set _ZN7rocprim17ROCPRIM_400000_NS6detail17trampoline_kernelINS0_14default_configENS1_25partition_config_selectorILNS1_17partition_subalgoE8EiNS0_10empty_typeEbEEZZNS1_14partition_implILS5_8ELb0ES3_jN6thrust23THRUST_200600_302600_NS6detail15normal_iteratorINSA_10device_ptrIiEEEEPS6_PKS6_NS0_5tupleIJNSA_16discard_iteratorINSA_11use_defaultEEES6_EEENSJ_IJSG_SG_EEENS0_18inequality_wrapperINSA_8equal_toIiEEEEPmJS6_EEE10hipError_tPvRmT3_T4_T5_T6_T7_T9_mT8_P12ihipStream_tbDpT10_ENKUlT_T0_E_clISt17integral_constantIbLb0EES1C_IbLb1EEEEDaS18_S19_EUlS18_E_NS1_11comp_targetILNS1_3genE5ELNS1_11target_archE942ELNS1_3gpuE9ELNS1_3repE0EEENS1_30default_config_static_selectorELNS0_4arch9wavefront6targetE1EEEvT1_.has_recursion, 0
	.set _ZN7rocprim17ROCPRIM_400000_NS6detail17trampoline_kernelINS0_14default_configENS1_25partition_config_selectorILNS1_17partition_subalgoE8EiNS0_10empty_typeEbEEZZNS1_14partition_implILS5_8ELb0ES3_jN6thrust23THRUST_200600_302600_NS6detail15normal_iteratorINSA_10device_ptrIiEEEEPS6_PKS6_NS0_5tupleIJNSA_16discard_iteratorINSA_11use_defaultEEES6_EEENSJ_IJSG_SG_EEENS0_18inequality_wrapperINSA_8equal_toIiEEEEPmJS6_EEE10hipError_tPvRmT3_T4_T5_T6_T7_T9_mT8_P12ihipStream_tbDpT10_ENKUlT_T0_E_clISt17integral_constantIbLb0EES1C_IbLb1EEEEDaS18_S19_EUlS18_E_NS1_11comp_targetILNS1_3genE5ELNS1_11target_archE942ELNS1_3gpuE9ELNS1_3repE0EEENS1_30default_config_static_selectorELNS0_4arch9wavefront6targetE1EEEvT1_.has_indirect_call, 0
	.section	.AMDGPU.csdata,"",@progbits
; Kernel info:
; codeLenInByte = 0
; TotalNumSgprs: 4
; NumVgprs: 0
; ScratchSize: 0
; MemoryBound: 0
; FloatMode: 240
; IeeeMode: 1
; LDSByteSize: 0 bytes/workgroup (compile time only)
; SGPRBlocks: 0
; VGPRBlocks: 0
; NumSGPRsForWavesPerEU: 4
; NumVGPRsForWavesPerEU: 1
; Occupancy: 10
; WaveLimiterHint : 0
; COMPUTE_PGM_RSRC2:SCRATCH_EN: 0
; COMPUTE_PGM_RSRC2:USER_SGPR: 6
; COMPUTE_PGM_RSRC2:TRAP_HANDLER: 0
; COMPUTE_PGM_RSRC2:TGID_X_EN: 1
; COMPUTE_PGM_RSRC2:TGID_Y_EN: 0
; COMPUTE_PGM_RSRC2:TGID_Z_EN: 0
; COMPUTE_PGM_RSRC2:TIDIG_COMP_CNT: 0
	.section	.text._ZN7rocprim17ROCPRIM_400000_NS6detail17trampoline_kernelINS0_14default_configENS1_25partition_config_selectorILNS1_17partition_subalgoE8EiNS0_10empty_typeEbEEZZNS1_14partition_implILS5_8ELb0ES3_jN6thrust23THRUST_200600_302600_NS6detail15normal_iteratorINSA_10device_ptrIiEEEEPS6_PKS6_NS0_5tupleIJNSA_16discard_iteratorINSA_11use_defaultEEES6_EEENSJ_IJSG_SG_EEENS0_18inequality_wrapperINSA_8equal_toIiEEEEPmJS6_EEE10hipError_tPvRmT3_T4_T5_T6_T7_T9_mT8_P12ihipStream_tbDpT10_ENKUlT_T0_E_clISt17integral_constantIbLb0EES1C_IbLb1EEEEDaS18_S19_EUlS18_E_NS1_11comp_targetILNS1_3genE4ELNS1_11target_archE910ELNS1_3gpuE8ELNS1_3repE0EEENS1_30default_config_static_selectorELNS0_4arch9wavefront6targetE1EEEvT1_,"axG",@progbits,_ZN7rocprim17ROCPRIM_400000_NS6detail17trampoline_kernelINS0_14default_configENS1_25partition_config_selectorILNS1_17partition_subalgoE8EiNS0_10empty_typeEbEEZZNS1_14partition_implILS5_8ELb0ES3_jN6thrust23THRUST_200600_302600_NS6detail15normal_iteratorINSA_10device_ptrIiEEEEPS6_PKS6_NS0_5tupleIJNSA_16discard_iteratorINSA_11use_defaultEEES6_EEENSJ_IJSG_SG_EEENS0_18inequality_wrapperINSA_8equal_toIiEEEEPmJS6_EEE10hipError_tPvRmT3_T4_T5_T6_T7_T9_mT8_P12ihipStream_tbDpT10_ENKUlT_T0_E_clISt17integral_constantIbLb0EES1C_IbLb1EEEEDaS18_S19_EUlS18_E_NS1_11comp_targetILNS1_3genE4ELNS1_11target_archE910ELNS1_3gpuE8ELNS1_3repE0EEENS1_30default_config_static_selectorELNS0_4arch9wavefront6targetE1EEEvT1_,comdat
	.protected	_ZN7rocprim17ROCPRIM_400000_NS6detail17trampoline_kernelINS0_14default_configENS1_25partition_config_selectorILNS1_17partition_subalgoE8EiNS0_10empty_typeEbEEZZNS1_14partition_implILS5_8ELb0ES3_jN6thrust23THRUST_200600_302600_NS6detail15normal_iteratorINSA_10device_ptrIiEEEEPS6_PKS6_NS0_5tupleIJNSA_16discard_iteratorINSA_11use_defaultEEES6_EEENSJ_IJSG_SG_EEENS0_18inequality_wrapperINSA_8equal_toIiEEEEPmJS6_EEE10hipError_tPvRmT3_T4_T5_T6_T7_T9_mT8_P12ihipStream_tbDpT10_ENKUlT_T0_E_clISt17integral_constantIbLb0EES1C_IbLb1EEEEDaS18_S19_EUlS18_E_NS1_11comp_targetILNS1_3genE4ELNS1_11target_archE910ELNS1_3gpuE8ELNS1_3repE0EEENS1_30default_config_static_selectorELNS0_4arch9wavefront6targetE1EEEvT1_ ; -- Begin function _ZN7rocprim17ROCPRIM_400000_NS6detail17trampoline_kernelINS0_14default_configENS1_25partition_config_selectorILNS1_17partition_subalgoE8EiNS0_10empty_typeEbEEZZNS1_14partition_implILS5_8ELb0ES3_jN6thrust23THRUST_200600_302600_NS6detail15normal_iteratorINSA_10device_ptrIiEEEEPS6_PKS6_NS0_5tupleIJNSA_16discard_iteratorINSA_11use_defaultEEES6_EEENSJ_IJSG_SG_EEENS0_18inequality_wrapperINSA_8equal_toIiEEEEPmJS6_EEE10hipError_tPvRmT3_T4_T5_T6_T7_T9_mT8_P12ihipStream_tbDpT10_ENKUlT_T0_E_clISt17integral_constantIbLb0EES1C_IbLb1EEEEDaS18_S19_EUlS18_E_NS1_11comp_targetILNS1_3genE4ELNS1_11target_archE910ELNS1_3gpuE8ELNS1_3repE0EEENS1_30default_config_static_selectorELNS0_4arch9wavefront6targetE1EEEvT1_
	.globl	_ZN7rocprim17ROCPRIM_400000_NS6detail17trampoline_kernelINS0_14default_configENS1_25partition_config_selectorILNS1_17partition_subalgoE8EiNS0_10empty_typeEbEEZZNS1_14partition_implILS5_8ELb0ES3_jN6thrust23THRUST_200600_302600_NS6detail15normal_iteratorINSA_10device_ptrIiEEEEPS6_PKS6_NS0_5tupleIJNSA_16discard_iteratorINSA_11use_defaultEEES6_EEENSJ_IJSG_SG_EEENS0_18inequality_wrapperINSA_8equal_toIiEEEEPmJS6_EEE10hipError_tPvRmT3_T4_T5_T6_T7_T9_mT8_P12ihipStream_tbDpT10_ENKUlT_T0_E_clISt17integral_constantIbLb0EES1C_IbLb1EEEEDaS18_S19_EUlS18_E_NS1_11comp_targetILNS1_3genE4ELNS1_11target_archE910ELNS1_3gpuE8ELNS1_3repE0EEENS1_30default_config_static_selectorELNS0_4arch9wavefront6targetE1EEEvT1_
	.p2align	8
	.type	_ZN7rocprim17ROCPRIM_400000_NS6detail17trampoline_kernelINS0_14default_configENS1_25partition_config_selectorILNS1_17partition_subalgoE8EiNS0_10empty_typeEbEEZZNS1_14partition_implILS5_8ELb0ES3_jN6thrust23THRUST_200600_302600_NS6detail15normal_iteratorINSA_10device_ptrIiEEEEPS6_PKS6_NS0_5tupleIJNSA_16discard_iteratorINSA_11use_defaultEEES6_EEENSJ_IJSG_SG_EEENS0_18inequality_wrapperINSA_8equal_toIiEEEEPmJS6_EEE10hipError_tPvRmT3_T4_T5_T6_T7_T9_mT8_P12ihipStream_tbDpT10_ENKUlT_T0_E_clISt17integral_constantIbLb0EES1C_IbLb1EEEEDaS18_S19_EUlS18_E_NS1_11comp_targetILNS1_3genE4ELNS1_11target_archE910ELNS1_3gpuE8ELNS1_3repE0EEENS1_30default_config_static_selectorELNS0_4arch9wavefront6targetE1EEEvT1_,@function
_ZN7rocprim17ROCPRIM_400000_NS6detail17trampoline_kernelINS0_14default_configENS1_25partition_config_selectorILNS1_17partition_subalgoE8EiNS0_10empty_typeEbEEZZNS1_14partition_implILS5_8ELb0ES3_jN6thrust23THRUST_200600_302600_NS6detail15normal_iteratorINSA_10device_ptrIiEEEEPS6_PKS6_NS0_5tupleIJNSA_16discard_iteratorINSA_11use_defaultEEES6_EEENSJ_IJSG_SG_EEENS0_18inequality_wrapperINSA_8equal_toIiEEEEPmJS6_EEE10hipError_tPvRmT3_T4_T5_T6_T7_T9_mT8_P12ihipStream_tbDpT10_ENKUlT_T0_E_clISt17integral_constantIbLb0EES1C_IbLb1EEEEDaS18_S19_EUlS18_E_NS1_11comp_targetILNS1_3genE4ELNS1_11target_archE910ELNS1_3gpuE8ELNS1_3repE0EEENS1_30default_config_static_selectorELNS0_4arch9wavefront6targetE1EEEvT1_: ; @_ZN7rocprim17ROCPRIM_400000_NS6detail17trampoline_kernelINS0_14default_configENS1_25partition_config_selectorILNS1_17partition_subalgoE8EiNS0_10empty_typeEbEEZZNS1_14partition_implILS5_8ELb0ES3_jN6thrust23THRUST_200600_302600_NS6detail15normal_iteratorINSA_10device_ptrIiEEEEPS6_PKS6_NS0_5tupleIJNSA_16discard_iteratorINSA_11use_defaultEEES6_EEENSJ_IJSG_SG_EEENS0_18inequality_wrapperINSA_8equal_toIiEEEEPmJS6_EEE10hipError_tPvRmT3_T4_T5_T6_T7_T9_mT8_P12ihipStream_tbDpT10_ENKUlT_T0_E_clISt17integral_constantIbLb0EES1C_IbLb1EEEEDaS18_S19_EUlS18_E_NS1_11comp_targetILNS1_3genE4ELNS1_11target_archE910ELNS1_3gpuE8ELNS1_3repE0EEENS1_30default_config_static_selectorELNS0_4arch9wavefront6targetE1EEEvT1_
; %bb.0:
	.section	.rodata,"a",@progbits
	.p2align	6, 0x0
	.amdhsa_kernel _ZN7rocprim17ROCPRIM_400000_NS6detail17trampoline_kernelINS0_14default_configENS1_25partition_config_selectorILNS1_17partition_subalgoE8EiNS0_10empty_typeEbEEZZNS1_14partition_implILS5_8ELb0ES3_jN6thrust23THRUST_200600_302600_NS6detail15normal_iteratorINSA_10device_ptrIiEEEEPS6_PKS6_NS0_5tupleIJNSA_16discard_iteratorINSA_11use_defaultEEES6_EEENSJ_IJSG_SG_EEENS0_18inequality_wrapperINSA_8equal_toIiEEEEPmJS6_EEE10hipError_tPvRmT3_T4_T5_T6_T7_T9_mT8_P12ihipStream_tbDpT10_ENKUlT_T0_E_clISt17integral_constantIbLb0EES1C_IbLb1EEEEDaS18_S19_EUlS18_E_NS1_11comp_targetILNS1_3genE4ELNS1_11target_archE910ELNS1_3gpuE8ELNS1_3repE0EEENS1_30default_config_static_selectorELNS0_4arch9wavefront6targetE1EEEvT1_
		.amdhsa_group_segment_fixed_size 0
		.amdhsa_private_segment_fixed_size 0
		.amdhsa_kernarg_size 136
		.amdhsa_user_sgpr_count 6
		.amdhsa_user_sgpr_private_segment_buffer 1
		.amdhsa_user_sgpr_dispatch_ptr 0
		.amdhsa_user_sgpr_queue_ptr 0
		.amdhsa_user_sgpr_kernarg_segment_ptr 1
		.amdhsa_user_sgpr_dispatch_id 0
		.amdhsa_user_sgpr_flat_scratch_init 0
		.amdhsa_user_sgpr_private_segment_size 0
		.amdhsa_uses_dynamic_stack 0
		.amdhsa_system_sgpr_private_segment_wavefront_offset 0
		.amdhsa_system_sgpr_workgroup_id_x 1
		.amdhsa_system_sgpr_workgroup_id_y 0
		.amdhsa_system_sgpr_workgroup_id_z 0
		.amdhsa_system_sgpr_workgroup_info 0
		.amdhsa_system_vgpr_workitem_id 0
		.amdhsa_next_free_vgpr 1
		.amdhsa_next_free_sgpr 0
		.amdhsa_reserve_vcc 0
		.amdhsa_reserve_flat_scratch 0
		.amdhsa_float_round_mode_32 0
		.amdhsa_float_round_mode_16_64 0
		.amdhsa_float_denorm_mode_32 3
		.amdhsa_float_denorm_mode_16_64 3
		.amdhsa_dx10_clamp 1
		.amdhsa_ieee_mode 1
		.amdhsa_fp16_overflow 0
		.amdhsa_exception_fp_ieee_invalid_op 0
		.amdhsa_exception_fp_denorm_src 0
		.amdhsa_exception_fp_ieee_div_zero 0
		.amdhsa_exception_fp_ieee_overflow 0
		.amdhsa_exception_fp_ieee_underflow 0
		.amdhsa_exception_fp_ieee_inexact 0
		.amdhsa_exception_int_div_zero 0
	.end_amdhsa_kernel
	.section	.text._ZN7rocprim17ROCPRIM_400000_NS6detail17trampoline_kernelINS0_14default_configENS1_25partition_config_selectorILNS1_17partition_subalgoE8EiNS0_10empty_typeEbEEZZNS1_14partition_implILS5_8ELb0ES3_jN6thrust23THRUST_200600_302600_NS6detail15normal_iteratorINSA_10device_ptrIiEEEEPS6_PKS6_NS0_5tupleIJNSA_16discard_iteratorINSA_11use_defaultEEES6_EEENSJ_IJSG_SG_EEENS0_18inequality_wrapperINSA_8equal_toIiEEEEPmJS6_EEE10hipError_tPvRmT3_T4_T5_T6_T7_T9_mT8_P12ihipStream_tbDpT10_ENKUlT_T0_E_clISt17integral_constantIbLb0EES1C_IbLb1EEEEDaS18_S19_EUlS18_E_NS1_11comp_targetILNS1_3genE4ELNS1_11target_archE910ELNS1_3gpuE8ELNS1_3repE0EEENS1_30default_config_static_selectorELNS0_4arch9wavefront6targetE1EEEvT1_,"axG",@progbits,_ZN7rocprim17ROCPRIM_400000_NS6detail17trampoline_kernelINS0_14default_configENS1_25partition_config_selectorILNS1_17partition_subalgoE8EiNS0_10empty_typeEbEEZZNS1_14partition_implILS5_8ELb0ES3_jN6thrust23THRUST_200600_302600_NS6detail15normal_iteratorINSA_10device_ptrIiEEEEPS6_PKS6_NS0_5tupleIJNSA_16discard_iteratorINSA_11use_defaultEEES6_EEENSJ_IJSG_SG_EEENS0_18inequality_wrapperINSA_8equal_toIiEEEEPmJS6_EEE10hipError_tPvRmT3_T4_T5_T6_T7_T9_mT8_P12ihipStream_tbDpT10_ENKUlT_T0_E_clISt17integral_constantIbLb0EES1C_IbLb1EEEEDaS18_S19_EUlS18_E_NS1_11comp_targetILNS1_3genE4ELNS1_11target_archE910ELNS1_3gpuE8ELNS1_3repE0EEENS1_30default_config_static_selectorELNS0_4arch9wavefront6targetE1EEEvT1_,comdat
.Lfunc_end687:
	.size	_ZN7rocprim17ROCPRIM_400000_NS6detail17trampoline_kernelINS0_14default_configENS1_25partition_config_selectorILNS1_17partition_subalgoE8EiNS0_10empty_typeEbEEZZNS1_14partition_implILS5_8ELb0ES3_jN6thrust23THRUST_200600_302600_NS6detail15normal_iteratorINSA_10device_ptrIiEEEEPS6_PKS6_NS0_5tupleIJNSA_16discard_iteratorINSA_11use_defaultEEES6_EEENSJ_IJSG_SG_EEENS0_18inequality_wrapperINSA_8equal_toIiEEEEPmJS6_EEE10hipError_tPvRmT3_T4_T5_T6_T7_T9_mT8_P12ihipStream_tbDpT10_ENKUlT_T0_E_clISt17integral_constantIbLb0EES1C_IbLb1EEEEDaS18_S19_EUlS18_E_NS1_11comp_targetILNS1_3genE4ELNS1_11target_archE910ELNS1_3gpuE8ELNS1_3repE0EEENS1_30default_config_static_selectorELNS0_4arch9wavefront6targetE1EEEvT1_, .Lfunc_end687-_ZN7rocprim17ROCPRIM_400000_NS6detail17trampoline_kernelINS0_14default_configENS1_25partition_config_selectorILNS1_17partition_subalgoE8EiNS0_10empty_typeEbEEZZNS1_14partition_implILS5_8ELb0ES3_jN6thrust23THRUST_200600_302600_NS6detail15normal_iteratorINSA_10device_ptrIiEEEEPS6_PKS6_NS0_5tupleIJNSA_16discard_iteratorINSA_11use_defaultEEES6_EEENSJ_IJSG_SG_EEENS0_18inequality_wrapperINSA_8equal_toIiEEEEPmJS6_EEE10hipError_tPvRmT3_T4_T5_T6_T7_T9_mT8_P12ihipStream_tbDpT10_ENKUlT_T0_E_clISt17integral_constantIbLb0EES1C_IbLb1EEEEDaS18_S19_EUlS18_E_NS1_11comp_targetILNS1_3genE4ELNS1_11target_archE910ELNS1_3gpuE8ELNS1_3repE0EEENS1_30default_config_static_selectorELNS0_4arch9wavefront6targetE1EEEvT1_
                                        ; -- End function
	.set _ZN7rocprim17ROCPRIM_400000_NS6detail17trampoline_kernelINS0_14default_configENS1_25partition_config_selectorILNS1_17partition_subalgoE8EiNS0_10empty_typeEbEEZZNS1_14partition_implILS5_8ELb0ES3_jN6thrust23THRUST_200600_302600_NS6detail15normal_iteratorINSA_10device_ptrIiEEEEPS6_PKS6_NS0_5tupleIJNSA_16discard_iteratorINSA_11use_defaultEEES6_EEENSJ_IJSG_SG_EEENS0_18inequality_wrapperINSA_8equal_toIiEEEEPmJS6_EEE10hipError_tPvRmT3_T4_T5_T6_T7_T9_mT8_P12ihipStream_tbDpT10_ENKUlT_T0_E_clISt17integral_constantIbLb0EES1C_IbLb1EEEEDaS18_S19_EUlS18_E_NS1_11comp_targetILNS1_3genE4ELNS1_11target_archE910ELNS1_3gpuE8ELNS1_3repE0EEENS1_30default_config_static_selectorELNS0_4arch9wavefront6targetE1EEEvT1_.num_vgpr, 0
	.set _ZN7rocprim17ROCPRIM_400000_NS6detail17trampoline_kernelINS0_14default_configENS1_25partition_config_selectorILNS1_17partition_subalgoE8EiNS0_10empty_typeEbEEZZNS1_14partition_implILS5_8ELb0ES3_jN6thrust23THRUST_200600_302600_NS6detail15normal_iteratorINSA_10device_ptrIiEEEEPS6_PKS6_NS0_5tupleIJNSA_16discard_iteratorINSA_11use_defaultEEES6_EEENSJ_IJSG_SG_EEENS0_18inequality_wrapperINSA_8equal_toIiEEEEPmJS6_EEE10hipError_tPvRmT3_T4_T5_T6_T7_T9_mT8_P12ihipStream_tbDpT10_ENKUlT_T0_E_clISt17integral_constantIbLb0EES1C_IbLb1EEEEDaS18_S19_EUlS18_E_NS1_11comp_targetILNS1_3genE4ELNS1_11target_archE910ELNS1_3gpuE8ELNS1_3repE0EEENS1_30default_config_static_selectorELNS0_4arch9wavefront6targetE1EEEvT1_.num_agpr, 0
	.set _ZN7rocprim17ROCPRIM_400000_NS6detail17trampoline_kernelINS0_14default_configENS1_25partition_config_selectorILNS1_17partition_subalgoE8EiNS0_10empty_typeEbEEZZNS1_14partition_implILS5_8ELb0ES3_jN6thrust23THRUST_200600_302600_NS6detail15normal_iteratorINSA_10device_ptrIiEEEEPS6_PKS6_NS0_5tupleIJNSA_16discard_iteratorINSA_11use_defaultEEES6_EEENSJ_IJSG_SG_EEENS0_18inequality_wrapperINSA_8equal_toIiEEEEPmJS6_EEE10hipError_tPvRmT3_T4_T5_T6_T7_T9_mT8_P12ihipStream_tbDpT10_ENKUlT_T0_E_clISt17integral_constantIbLb0EES1C_IbLb1EEEEDaS18_S19_EUlS18_E_NS1_11comp_targetILNS1_3genE4ELNS1_11target_archE910ELNS1_3gpuE8ELNS1_3repE0EEENS1_30default_config_static_selectorELNS0_4arch9wavefront6targetE1EEEvT1_.numbered_sgpr, 0
	.set _ZN7rocprim17ROCPRIM_400000_NS6detail17trampoline_kernelINS0_14default_configENS1_25partition_config_selectorILNS1_17partition_subalgoE8EiNS0_10empty_typeEbEEZZNS1_14partition_implILS5_8ELb0ES3_jN6thrust23THRUST_200600_302600_NS6detail15normal_iteratorINSA_10device_ptrIiEEEEPS6_PKS6_NS0_5tupleIJNSA_16discard_iteratorINSA_11use_defaultEEES6_EEENSJ_IJSG_SG_EEENS0_18inequality_wrapperINSA_8equal_toIiEEEEPmJS6_EEE10hipError_tPvRmT3_T4_T5_T6_T7_T9_mT8_P12ihipStream_tbDpT10_ENKUlT_T0_E_clISt17integral_constantIbLb0EES1C_IbLb1EEEEDaS18_S19_EUlS18_E_NS1_11comp_targetILNS1_3genE4ELNS1_11target_archE910ELNS1_3gpuE8ELNS1_3repE0EEENS1_30default_config_static_selectorELNS0_4arch9wavefront6targetE1EEEvT1_.num_named_barrier, 0
	.set _ZN7rocprim17ROCPRIM_400000_NS6detail17trampoline_kernelINS0_14default_configENS1_25partition_config_selectorILNS1_17partition_subalgoE8EiNS0_10empty_typeEbEEZZNS1_14partition_implILS5_8ELb0ES3_jN6thrust23THRUST_200600_302600_NS6detail15normal_iteratorINSA_10device_ptrIiEEEEPS6_PKS6_NS0_5tupleIJNSA_16discard_iteratorINSA_11use_defaultEEES6_EEENSJ_IJSG_SG_EEENS0_18inequality_wrapperINSA_8equal_toIiEEEEPmJS6_EEE10hipError_tPvRmT3_T4_T5_T6_T7_T9_mT8_P12ihipStream_tbDpT10_ENKUlT_T0_E_clISt17integral_constantIbLb0EES1C_IbLb1EEEEDaS18_S19_EUlS18_E_NS1_11comp_targetILNS1_3genE4ELNS1_11target_archE910ELNS1_3gpuE8ELNS1_3repE0EEENS1_30default_config_static_selectorELNS0_4arch9wavefront6targetE1EEEvT1_.private_seg_size, 0
	.set _ZN7rocprim17ROCPRIM_400000_NS6detail17trampoline_kernelINS0_14default_configENS1_25partition_config_selectorILNS1_17partition_subalgoE8EiNS0_10empty_typeEbEEZZNS1_14partition_implILS5_8ELb0ES3_jN6thrust23THRUST_200600_302600_NS6detail15normal_iteratorINSA_10device_ptrIiEEEEPS6_PKS6_NS0_5tupleIJNSA_16discard_iteratorINSA_11use_defaultEEES6_EEENSJ_IJSG_SG_EEENS0_18inequality_wrapperINSA_8equal_toIiEEEEPmJS6_EEE10hipError_tPvRmT3_T4_T5_T6_T7_T9_mT8_P12ihipStream_tbDpT10_ENKUlT_T0_E_clISt17integral_constantIbLb0EES1C_IbLb1EEEEDaS18_S19_EUlS18_E_NS1_11comp_targetILNS1_3genE4ELNS1_11target_archE910ELNS1_3gpuE8ELNS1_3repE0EEENS1_30default_config_static_selectorELNS0_4arch9wavefront6targetE1EEEvT1_.uses_vcc, 0
	.set _ZN7rocprim17ROCPRIM_400000_NS6detail17trampoline_kernelINS0_14default_configENS1_25partition_config_selectorILNS1_17partition_subalgoE8EiNS0_10empty_typeEbEEZZNS1_14partition_implILS5_8ELb0ES3_jN6thrust23THRUST_200600_302600_NS6detail15normal_iteratorINSA_10device_ptrIiEEEEPS6_PKS6_NS0_5tupleIJNSA_16discard_iteratorINSA_11use_defaultEEES6_EEENSJ_IJSG_SG_EEENS0_18inequality_wrapperINSA_8equal_toIiEEEEPmJS6_EEE10hipError_tPvRmT3_T4_T5_T6_T7_T9_mT8_P12ihipStream_tbDpT10_ENKUlT_T0_E_clISt17integral_constantIbLb0EES1C_IbLb1EEEEDaS18_S19_EUlS18_E_NS1_11comp_targetILNS1_3genE4ELNS1_11target_archE910ELNS1_3gpuE8ELNS1_3repE0EEENS1_30default_config_static_selectorELNS0_4arch9wavefront6targetE1EEEvT1_.uses_flat_scratch, 0
	.set _ZN7rocprim17ROCPRIM_400000_NS6detail17trampoline_kernelINS0_14default_configENS1_25partition_config_selectorILNS1_17partition_subalgoE8EiNS0_10empty_typeEbEEZZNS1_14partition_implILS5_8ELb0ES3_jN6thrust23THRUST_200600_302600_NS6detail15normal_iteratorINSA_10device_ptrIiEEEEPS6_PKS6_NS0_5tupleIJNSA_16discard_iteratorINSA_11use_defaultEEES6_EEENSJ_IJSG_SG_EEENS0_18inequality_wrapperINSA_8equal_toIiEEEEPmJS6_EEE10hipError_tPvRmT3_T4_T5_T6_T7_T9_mT8_P12ihipStream_tbDpT10_ENKUlT_T0_E_clISt17integral_constantIbLb0EES1C_IbLb1EEEEDaS18_S19_EUlS18_E_NS1_11comp_targetILNS1_3genE4ELNS1_11target_archE910ELNS1_3gpuE8ELNS1_3repE0EEENS1_30default_config_static_selectorELNS0_4arch9wavefront6targetE1EEEvT1_.has_dyn_sized_stack, 0
	.set _ZN7rocprim17ROCPRIM_400000_NS6detail17trampoline_kernelINS0_14default_configENS1_25partition_config_selectorILNS1_17partition_subalgoE8EiNS0_10empty_typeEbEEZZNS1_14partition_implILS5_8ELb0ES3_jN6thrust23THRUST_200600_302600_NS6detail15normal_iteratorINSA_10device_ptrIiEEEEPS6_PKS6_NS0_5tupleIJNSA_16discard_iteratorINSA_11use_defaultEEES6_EEENSJ_IJSG_SG_EEENS0_18inequality_wrapperINSA_8equal_toIiEEEEPmJS6_EEE10hipError_tPvRmT3_T4_T5_T6_T7_T9_mT8_P12ihipStream_tbDpT10_ENKUlT_T0_E_clISt17integral_constantIbLb0EES1C_IbLb1EEEEDaS18_S19_EUlS18_E_NS1_11comp_targetILNS1_3genE4ELNS1_11target_archE910ELNS1_3gpuE8ELNS1_3repE0EEENS1_30default_config_static_selectorELNS0_4arch9wavefront6targetE1EEEvT1_.has_recursion, 0
	.set _ZN7rocprim17ROCPRIM_400000_NS6detail17trampoline_kernelINS0_14default_configENS1_25partition_config_selectorILNS1_17partition_subalgoE8EiNS0_10empty_typeEbEEZZNS1_14partition_implILS5_8ELb0ES3_jN6thrust23THRUST_200600_302600_NS6detail15normal_iteratorINSA_10device_ptrIiEEEEPS6_PKS6_NS0_5tupleIJNSA_16discard_iteratorINSA_11use_defaultEEES6_EEENSJ_IJSG_SG_EEENS0_18inequality_wrapperINSA_8equal_toIiEEEEPmJS6_EEE10hipError_tPvRmT3_T4_T5_T6_T7_T9_mT8_P12ihipStream_tbDpT10_ENKUlT_T0_E_clISt17integral_constantIbLb0EES1C_IbLb1EEEEDaS18_S19_EUlS18_E_NS1_11comp_targetILNS1_3genE4ELNS1_11target_archE910ELNS1_3gpuE8ELNS1_3repE0EEENS1_30default_config_static_selectorELNS0_4arch9wavefront6targetE1EEEvT1_.has_indirect_call, 0
	.section	.AMDGPU.csdata,"",@progbits
; Kernel info:
; codeLenInByte = 0
; TotalNumSgprs: 4
; NumVgprs: 0
; ScratchSize: 0
; MemoryBound: 0
; FloatMode: 240
; IeeeMode: 1
; LDSByteSize: 0 bytes/workgroup (compile time only)
; SGPRBlocks: 0
; VGPRBlocks: 0
; NumSGPRsForWavesPerEU: 4
; NumVGPRsForWavesPerEU: 1
; Occupancy: 10
; WaveLimiterHint : 0
; COMPUTE_PGM_RSRC2:SCRATCH_EN: 0
; COMPUTE_PGM_RSRC2:USER_SGPR: 6
; COMPUTE_PGM_RSRC2:TRAP_HANDLER: 0
; COMPUTE_PGM_RSRC2:TGID_X_EN: 1
; COMPUTE_PGM_RSRC2:TGID_Y_EN: 0
; COMPUTE_PGM_RSRC2:TGID_Z_EN: 0
; COMPUTE_PGM_RSRC2:TIDIG_COMP_CNT: 0
	.section	.text._ZN7rocprim17ROCPRIM_400000_NS6detail17trampoline_kernelINS0_14default_configENS1_25partition_config_selectorILNS1_17partition_subalgoE8EiNS0_10empty_typeEbEEZZNS1_14partition_implILS5_8ELb0ES3_jN6thrust23THRUST_200600_302600_NS6detail15normal_iteratorINSA_10device_ptrIiEEEEPS6_PKS6_NS0_5tupleIJNSA_16discard_iteratorINSA_11use_defaultEEES6_EEENSJ_IJSG_SG_EEENS0_18inequality_wrapperINSA_8equal_toIiEEEEPmJS6_EEE10hipError_tPvRmT3_T4_T5_T6_T7_T9_mT8_P12ihipStream_tbDpT10_ENKUlT_T0_E_clISt17integral_constantIbLb0EES1C_IbLb1EEEEDaS18_S19_EUlS18_E_NS1_11comp_targetILNS1_3genE3ELNS1_11target_archE908ELNS1_3gpuE7ELNS1_3repE0EEENS1_30default_config_static_selectorELNS0_4arch9wavefront6targetE1EEEvT1_,"axG",@progbits,_ZN7rocprim17ROCPRIM_400000_NS6detail17trampoline_kernelINS0_14default_configENS1_25partition_config_selectorILNS1_17partition_subalgoE8EiNS0_10empty_typeEbEEZZNS1_14partition_implILS5_8ELb0ES3_jN6thrust23THRUST_200600_302600_NS6detail15normal_iteratorINSA_10device_ptrIiEEEEPS6_PKS6_NS0_5tupleIJNSA_16discard_iteratorINSA_11use_defaultEEES6_EEENSJ_IJSG_SG_EEENS0_18inequality_wrapperINSA_8equal_toIiEEEEPmJS6_EEE10hipError_tPvRmT3_T4_T5_T6_T7_T9_mT8_P12ihipStream_tbDpT10_ENKUlT_T0_E_clISt17integral_constantIbLb0EES1C_IbLb1EEEEDaS18_S19_EUlS18_E_NS1_11comp_targetILNS1_3genE3ELNS1_11target_archE908ELNS1_3gpuE7ELNS1_3repE0EEENS1_30default_config_static_selectorELNS0_4arch9wavefront6targetE1EEEvT1_,comdat
	.protected	_ZN7rocprim17ROCPRIM_400000_NS6detail17trampoline_kernelINS0_14default_configENS1_25partition_config_selectorILNS1_17partition_subalgoE8EiNS0_10empty_typeEbEEZZNS1_14partition_implILS5_8ELb0ES3_jN6thrust23THRUST_200600_302600_NS6detail15normal_iteratorINSA_10device_ptrIiEEEEPS6_PKS6_NS0_5tupleIJNSA_16discard_iteratorINSA_11use_defaultEEES6_EEENSJ_IJSG_SG_EEENS0_18inequality_wrapperINSA_8equal_toIiEEEEPmJS6_EEE10hipError_tPvRmT3_T4_T5_T6_T7_T9_mT8_P12ihipStream_tbDpT10_ENKUlT_T0_E_clISt17integral_constantIbLb0EES1C_IbLb1EEEEDaS18_S19_EUlS18_E_NS1_11comp_targetILNS1_3genE3ELNS1_11target_archE908ELNS1_3gpuE7ELNS1_3repE0EEENS1_30default_config_static_selectorELNS0_4arch9wavefront6targetE1EEEvT1_ ; -- Begin function _ZN7rocprim17ROCPRIM_400000_NS6detail17trampoline_kernelINS0_14default_configENS1_25partition_config_selectorILNS1_17partition_subalgoE8EiNS0_10empty_typeEbEEZZNS1_14partition_implILS5_8ELb0ES3_jN6thrust23THRUST_200600_302600_NS6detail15normal_iteratorINSA_10device_ptrIiEEEEPS6_PKS6_NS0_5tupleIJNSA_16discard_iteratorINSA_11use_defaultEEES6_EEENSJ_IJSG_SG_EEENS0_18inequality_wrapperINSA_8equal_toIiEEEEPmJS6_EEE10hipError_tPvRmT3_T4_T5_T6_T7_T9_mT8_P12ihipStream_tbDpT10_ENKUlT_T0_E_clISt17integral_constantIbLb0EES1C_IbLb1EEEEDaS18_S19_EUlS18_E_NS1_11comp_targetILNS1_3genE3ELNS1_11target_archE908ELNS1_3gpuE7ELNS1_3repE0EEENS1_30default_config_static_selectorELNS0_4arch9wavefront6targetE1EEEvT1_
	.globl	_ZN7rocprim17ROCPRIM_400000_NS6detail17trampoline_kernelINS0_14default_configENS1_25partition_config_selectorILNS1_17partition_subalgoE8EiNS0_10empty_typeEbEEZZNS1_14partition_implILS5_8ELb0ES3_jN6thrust23THRUST_200600_302600_NS6detail15normal_iteratorINSA_10device_ptrIiEEEEPS6_PKS6_NS0_5tupleIJNSA_16discard_iteratorINSA_11use_defaultEEES6_EEENSJ_IJSG_SG_EEENS0_18inequality_wrapperINSA_8equal_toIiEEEEPmJS6_EEE10hipError_tPvRmT3_T4_T5_T6_T7_T9_mT8_P12ihipStream_tbDpT10_ENKUlT_T0_E_clISt17integral_constantIbLb0EES1C_IbLb1EEEEDaS18_S19_EUlS18_E_NS1_11comp_targetILNS1_3genE3ELNS1_11target_archE908ELNS1_3gpuE7ELNS1_3repE0EEENS1_30default_config_static_selectorELNS0_4arch9wavefront6targetE1EEEvT1_
	.p2align	8
	.type	_ZN7rocprim17ROCPRIM_400000_NS6detail17trampoline_kernelINS0_14default_configENS1_25partition_config_selectorILNS1_17partition_subalgoE8EiNS0_10empty_typeEbEEZZNS1_14partition_implILS5_8ELb0ES3_jN6thrust23THRUST_200600_302600_NS6detail15normal_iteratorINSA_10device_ptrIiEEEEPS6_PKS6_NS0_5tupleIJNSA_16discard_iteratorINSA_11use_defaultEEES6_EEENSJ_IJSG_SG_EEENS0_18inequality_wrapperINSA_8equal_toIiEEEEPmJS6_EEE10hipError_tPvRmT3_T4_T5_T6_T7_T9_mT8_P12ihipStream_tbDpT10_ENKUlT_T0_E_clISt17integral_constantIbLb0EES1C_IbLb1EEEEDaS18_S19_EUlS18_E_NS1_11comp_targetILNS1_3genE3ELNS1_11target_archE908ELNS1_3gpuE7ELNS1_3repE0EEENS1_30default_config_static_selectorELNS0_4arch9wavefront6targetE1EEEvT1_,@function
_ZN7rocprim17ROCPRIM_400000_NS6detail17trampoline_kernelINS0_14default_configENS1_25partition_config_selectorILNS1_17partition_subalgoE8EiNS0_10empty_typeEbEEZZNS1_14partition_implILS5_8ELb0ES3_jN6thrust23THRUST_200600_302600_NS6detail15normal_iteratorINSA_10device_ptrIiEEEEPS6_PKS6_NS0_5tupleIJNSA_16discard_iteratorINSA_11use_defaultEEES6_EEENSJ_IJSG_SG_EEENS0_18inequality_wrapperINSA_8equal_toIiEEEEPmJS6_EEE10hipError_tPvRmT3_T4_T5_T6_T7_T9_mT8_P12ihipStream_tbDpT10_ENKUlT_T0_E_clISt17integral_constantIbLb0EES1C_IbLb1EEEEDaS18_S19_EUlS18_E_NS1_11comp_targetILNS1_3genE3ELNS1_11target_archE908ELNS1_3gpuE7ELNS1_3repE0EEENS1_30default_config_static_selectorELNS0_4arch9wavefront6targetE1EEEvT1_: ; @_ZN7rocprim17ROCPRIM_400000_NS6detail17trampoline_kernelINS0_14default_configENS1_25partition_config_selectorILNS1_17partition_subalgoE8EiNS0_10empty_typeEbEEZZNS1_14partition_implILS5_8ELb0ES3_jN6thrust23THRUST_200600_302600_NS6detail15normal_iteratorINSA_10device_ptrIiEEEEPS6_PKS6_NS0_5tupleIJNSA_16discard_iteratorINSA_11use_defaultEEES6_EEENSJ_IJSG_SG_EEENS0_18inequality_wrapperINSA_8equal_toIiEEEEPmJS6_EEE10hipError_tPvRmT3_T4_T5_T6_T7_T9_mT8_P12ihipStream_tbDpT10_ENKUlT_T0_E_clISt17integral_constantIbLb0EES1C_IbLb1EEEEDaS18_S19_EUlS18_E_NS1_11comp_targetILNS1_3genE3ELNS1_11target_archE908ELNS1_3gpuE7ELNS1_3repE0EEENS1_30default_config_static_selectorELNS0_4arch9wavefront6targetE1EEEvT1_
; %bb.0:
	.section	.rodata,"a",@progbits
	.p2align	6, 0x0
	.amdhsa_kernel _ZN7rocprim17ROCPRIM_400000_NS6detail17trampoline_kernelINS0_14default_configENS1_25partition_config_selectorILNS1_17partition_subalgoE8EiNS0_10empty_typeEbEEZZNS1_14partition_implILS5_8ELb0ES3_jN6thrust23THRUST_200600_302600_NS6detail15normal_iteratorINSA_10device_ptrIiEEEEPS6_PKS6_NS0_5tupleIJNSA_16discard_iteratorINSA_11use_defaultEEES6_EEENSJ_IJSG_SG_EEENS0_18inequality_wrapperINSA_8equal_toIiEEEEPmJS6_EEE10hipError_tPvRmT3_T4_T5_T6_T7_T9_mT8_P12ihipStream_tbDpT10_ENKUlT_T0_E_clISt17integral_constantIbLb0EES1C_IbLb1EEEEDaS18_S19_EUlS18_E_NS1_11comp_targetILNS1_3genE3ELNS1_11target_archE908ELNS1_3gpuE7ELNS1_3repE0EEENS1_30default_config_static_selectorELNS0_4arch9wavefront6targetE1EEEvT1_
		.amdhsa_group_segment_fixed_size 0
		.amdhsa_private_segment_fixed_size 0
		.amdhsa_kernarg_size 136
		.amdhsa_user_sgpr_count 6
		.amdhsa_user_sgpr_private_segment_buffer 1
		.amdhsa_user_sgpr_dispatch_ptr 0
		.amdhsa_user_sgpr_queue_ptr 0
		.amdhsa_user_sgpr_kernarg_segment_ptr 1
		.amdhsa_user_sgpr_dispatch_id 0
		.amdhsa_user_sgpr_flat_scratch_init 0
		.amdhsa_user_sgpr_private_segment_size 0
		.amdhsa_uses_dynamic_stack 0
		.amdhsa_system_sgpr_private_segment_wavefront_offset 0
		.amdhsa_system_sgpr_workgroup_id_x 1
		.amdhsa_system_sgpr_workgroup_id_y 0
		.amdhsa_system_sgpr_workgroup_id_z 0
		.amdhsa_system_sgpr_workgroup_info 0
		.amdhsa_system_vgpr_workitem_id 0
		.amdhsa_next_free_vgpr 1
		.amdhsa_next_free_sgpr 0
		.amdhsa_reserve_vcc 0
		.amdhsa_reserve_flat_scratch 0
		.amdhsa_float_round_mode_32 0
		.amdhsa_float_round_mode_16_64 0
		.amdhsa_float_denorm_mode_32 3
		.amdhsa_float_denorm_mode_16_64 3
		.amdhsa_dx10_clamp 1
		.amdhsa_ieee_mode 1
		.amdhsa_fp16_overflow 0
		.amdhsa_exception_fp_ieee_invalid_op 0
		.amdhsa_exception_fp_denorm_src 0
		.amdhsa_exception_fp_ieee_div_zero 0
		.amdhsa_exception_fp_ieee_overflow 0
		.amdhsa_exception_fp_ieee_underflow 0
		.amdhsa_exception_fp_ieee_inexact 0
		.amdhsa_exception_int_div_zero 0
	.end_amdhsa_kernel
	.section	.text._ZN7rocprim17ROCPRIM_400000_NS6detail17trampoline_kernelINS0_14default_configENS1_25partition_config_selectorILNS1_17partition_subalgoE8EiNS0_10empty_typeEbEEZZNS1_14partition_implILS5_8ELb0ES3_jN6thrust23THRUST_200600_302600_NS6detail15normal_iteratorINSA_10device_ptrIiEEEEPS6_PKS6_NS0_5tupleIJNSA_16discard_iteratorINSA_11use_defaultEEES6_EEENSJ_IJSG_SG_EEENS0_18inequality_wrapperINSA_8equal_toIiEEEEPmJS6_EEE10hipError_tPvRmT3_T4_T5_T6_T7_T9_mT8_P12ihipStream_tbDpT10_ENKUlT_T0_E_clISt17integral_constantIbLb0EES1C_IbLb1EEEEDaS18_S19_EUlS18_E_NS1_11comp_targetILNS1_3genE3ELNS1_11target_archE908ELNS1_3gpuE7ELNS1_3repE0EEENS1_30default_config_static_selectorELNS0_4arch9wavefront6targetE1EEEvT1_,"axG",@progbits,_ZN7rocprim17ROCPRIM_400000_NS6detail17trampoline_kernelINS0_14default_configENS1_25partition_config_selectorILNS1_17partition_subalgoE8EiNS0_10empty_typeEbEEZZNS1_14partition_implILS5_8ELb0ES3_jN6thrust23THRUST_200600_302600_NS6detail15normal_iteratorINSA_10device_ptrIiEEEEPS6_PKS6_NS0_5tupleIJNSA_16discard_iteratorINSA_11use_defaultEEES6_EEENSJ_IJSG_SG_EEENS0_18inequality_wrapperINSA_8equal_toIiEEEEPmJS6_EEE10hipError_tPvRmT3_T4_T5_T6_T7_T9_mT8_P12ihipStream_tbDpT10_ENKUlT_T0_E_clISt17integral_constantIbLb0EES1C_IbLb1EEEEDaS18_S19_EUlS18_E_NS1_11comp_targetILNS1_3genE3ELNS1_11target_archE908ELNS1_3gpuE7ELNS1_3repE0EEENS1_30default_config_static_selectorELNS0_4arch9wavefront6targetE1EEEvT1_,comdat
.Lfunc_end688:
	.size	_ZN7rocprim17ROCPRIM_400000_NS6detail17trampoline_kernelINS0_14default_configENS1_25partition_config_selectorILNS1_17partition_subalgoE8EiNS0_10empty_typeEbEEZZNS1_14partition_implILS5_8ELb0ES3_jN6thrust23THRUST_200600_302600_NS6detail15normal_iteratorINSA_10device_ptrIiEEEEPS6_PKS6_NS0_5tupleIJNSA_16discard_iteratorINSA_11use_defaultEEES6_EEENSJ_IJSG_SG_EEENS0_18inequality_wrapperINSA_8equal_toIiEEEEPmJS6_EEE10hipError_tPvRmT3_T4_T5_T6_T7_T9_mT8_P12ihipStream_tbDpT10_ENKUlT_T0_E_clISt17integral_constantIbLb0EES1C_IbLb1EEEEDaS18_S19_EUlS18_E_NS1_11comp_targetILNS1_3genE3ELNS1_11target_archE908ELNS1_3gpuE7ELNS1_3repE0EEENS1_30default_config_static_selectorELNS0_4arch9wavefront6targetE1EEEvT1_, .Lfunc_end688-_ZN7rocprim17ROCPRIM_400000_NS6detail17trampoline_kernelINS0_14default_configENS1_25partition_config_selectorILNS1_17partition_subalgoE8EiNS0_10empty_typeEbEEZZNS1_14partition_implILS5_8ELb0ES3_jN6thrust23THRUST_200600_302600_NS6detail15normal_iteratorINSA_10device_ptrIiEEEEPS6_PKS6_NS0_5tupleIJNSA_16discard_iteratorINSA_11use_defaultEEES6_EEENSJ_IJSG_SG_EEENS0_18inequality_wrapperINSA_8equal_toIiEEEEPmJS6_EEE10hipError_tPvRmT3_T4_T5_T6_T7_T9_mT8_P12ihipStream_tbDpT10_ENKUlT_T0_E_clISt17integral_constantIbLb0EES1C_IbLb1EEEEDaS18_S19_EUlS18_E_NS1_11comp_targetILNS1_3genE3ELNS1_11target_archE908ELNS1_3gpuE7ELNS1_3repE0EEENS1_30default_config_static_selectorELNS0_4arch9wavefront6targetE1EEEvT1_
                                        ; -- End function
	.set _ZN7rocprim17ROCPRIM_400000_NS6detail17trampoline_kernelINS0_14default_configENS1_25partition_config_selectorILNS1_17partition_subalgoE8EiNS0_10empty_typeEbEEZZNS1_14partition_implILS5_8ELb0ES3_jN6thrust23THRUST_200600_302600_NS6detail15normal_iteratorINSA_10device_ptrIiEEEEPS6_PKS6_NS0_5tupleIJNSA_16discard_iteratorINSA_11use_defaultEEES6_EEENSJ_IJSG_SG_EEENS0_18inequality_wrapperINSA_8equal_toIiEEEEPmJS6_EEE10hipError_tPvRmT3_T4_T5_T6_T7_T9_mT8_P12ihipStream_tbDpT10_ENKUlT_T0_E_clISt17integral_constantIbLb0EES1C_IbLb1EEEEDaS18_S19_EUlS18_E_NS1_11comp_targetILNS1_3genE3ELNS1_11target_archE908ELNS1_3gpuE7ELNS1_3repE0EEENS1_30default_config_static_selectorELNS0_4arch9wavefront6targetE1EEEvT1_.num_vgpr, 0
	.set _ZN7rocprim17ROCPRIM_400000_NS6detail17trampoline_kernelINS0_14default_configENS1_25partition_config_selectorILNS1_17partition_subalgoE8EiNS0_10empty_typeEbEEZZNS1_14partition_implILS5_8ELb0ES3_jN6thrust23THRUST_200600_302600_NS6detail15normal_iteratorINSA_10device_ptrIiEEEEPS6_PKS6_NS0_5tupleIJNSA_16discard_iteratorINSA_11use_defaultEEES6_EEENSJ_IJSG_SG_EEENS0_18inequality_wrapperINSA_8equal_toIiEEEEPmJS6_EEE10hipError_tPvRmT3_T4_T5_T6_T7_T9_mT8_P12ihipStream_tbDpT10_ENKUlT_T0_E_clISt17integral_constantIbLb0EES1C_IbLb1EEEEDaS18_S19_EUlS18_E_NS1_11comp_targetILNS1_3genE3ELNS1_11target_archE908ELNS1_3gpuE7ELNS1_3repE0EEENS1_30default_config_static_selectorELNS0_4arch9wavefront6targetE1EEEvT1_.num_agpr, 0
	.set _ZN7rocprim17ROCPRIM_400000_NS6detail17trampoline_kernelINS0_14default_configENS1_25partition_config_selectorILNS1_17partition_subalgoE8EiNS0_10empty_typeEbEEZZNS1_14partition_implILS5_8ELb0ES3_jN6thrust23THRUST_200600_302600_NS6detail15normal_iteratorINSA_10device_ptrIiEEEEPS6_PKS6_NS0_5tupleIJNSA_16discard_iteratorINSA_11use_defaultEEES6_EEENSJ_IJSG_SG_EEENS0_18inequality_wrapperINSA_8equal_toIiEEEEPmJS6_EEE10hipError_tPvRmT3_T4_T5_T6_T7_T9_mT8_P12ihipStream_tbDpT10_ENKUlT_T0_E_clISt17integral_constantIbLb0EES1C_IbLb1EEEEDaS18_S19_EUlS18_E_NS1_11comp_targetILNS1_3genE3ELNS1_11target_archE908ELNS1_3gpuE7ELNS1_3repE0EEENS1_30default_config_static_selectorELNS0_4arch9wavefront6targetE1EEEvT1_.numbered_sgpr, 0
	.set _ZN7rocprim17ROCPRIM_400000_NS6detail17trampoline_kernelINS0_14default_configENS1_25partition_config_selectorILNS1_17partition_subalgoE8EiNS0_10empty_typeEbEEZZNS1_14partition_implILS5_8ELb0ES3_jN6thrust23THRUST_200600_302600_NS6detail15normal_iteratorINSA_10device_ptrIiEEEEPS6_PKS6_NS0_5tupleIJNSA_16discard_iteratorINSA_11use_defaultEEES6_EEENSJ_IJSG_SG_EEENS0_18inequality_wrapperINSA_8equal_toIiEEEEPmJS6_EEE10hipError_tPvRmT3_T4_T5_T6_T7_T9_mT8_P12ihipStream_tbDpT10_ENKUlT_T0_E_clISt17integral_constantIbLb0EES1C_IbLb1EEEEDaS18_S19_EUlS18_E_NS1_11comp_targetILNS1_3genE3ELNS1_11target_archE908ELNS1_3gpuE7ELNS1_3repE0EEENS1_30default_config_static_selectorELNS0_4arch9wavefront6targetE1EEEvT1_.num_named_barrier, 0
	.set _ZN7rocprim17ROCPRIM_400000_NS6detail17trampoline_kernelINS0_14default_configENS1_25partition_config_selectorILNS1_17partition_subalgoE8EiNS0_10empty_typeEbEEZZNS1_14partition_implILS5_8ELb0ES3_jN6thrust23THRUST_200600_302600_NS6detail15normal_iteratorINSA_10device_ptrIiEEEEPS6_PKS6_NS0_5tupleIJNSA_16discard_iteratorINSA_11use_defaultEEES6_EEENSJ_IJSG_SG_EEENS0_18inequality_wrapperINSA_8equal_toIiEEEEPmJS6_EEE10hipError_tPvRmT3_T4_T5_T6_T7_T9_mT8_P12ihipStream_tbDpT10_ENKUlT_T0_E_clISt17integral_constantIbLb0EES1C_IbLb1EEEEDaS18_S19_EUlS18_E_NS1_11comp_targetILNS1_3genE3ELNS1_11target_archE908ELNS1_3gpuE7ELNS1_3repE0EEENS1_30default_config_static_selectorELNS0_4arch9wavefront6targetE1EEEvT1_.private_seg_size, 0
	.set _ZN7rocprim17ROCPRIM_400000_NS6detail17trampoline_kernelINS0_14default_configENS1_25partition_config_selectorILNS1_17partition_subalgoE8EiNS0_10empty_typeEbEEZZNS1_14partition_implILS5_8ELb0ES3_jN6thrust23THRUST_200600_302600_NS6detail15normal_iteratorINSA_10device_ptrIiEEEEPS6_PKS6_NS0_5tupleIJNSA_16discard_iteratorINSA_11use_defaultEEES6_EEENSJ_IJSG_SG_EEENS0_18inequality_wrapperINSA_8equal_toIiEEEEPmJS6_EEE10hipError_tPvRmT3_T4_T5_T6_T7_T9_mT8_P12ihipStream_tbDpT10_ENKUlT_T0_E_clISt17integral_constantIbLb0EES1C_IbLb1EEEEDaS18_S19_EUlS18_E_NS1_11comp_targetILNS1_3genE3ELNS1_11target_archE908ELNS1_3gpuE7ELNS1_3repE0EEENS1_30default_config_static_selectorELNS0_4arch9wavefront6targetE1EEEvT1_.uses_vcc, 0
	.set _ZN7rocprim17ROCPRIM_400000_NS6detail17trampoline_kernelINS0_14default_configENS1_25partition_config_selectorILNS1_17partition_subalgoE8EiNS0_10empty_typeEbEEZZNS1_14partition_implILS5_8ELb0ES3_jN6thrust23THRUST_200600_302600_NS6detail15normal_iteratorINSA_10device_ptrIiEEEEPS6_PKS6_NS0_5tupleIJNSA_16discard_iteratorINSA_11use_defaultEEES6_EEENSJ_IJSG_SG_EEENS0_18inequality_wrapperINSA_8equal_toIiEEEEPmJS6_EEE10hipError_tPvRmT3_T4_T5_T6_T7_T9_mT8_P12ihipStream_tbDpT10_ENKUlT_T0_E_clISt17integral_constantIbLb0EES1C_IbLb1EEEEDaS18_S19_EUlS18_E_NS1_11comp_targetILNS1_3genE3ELNS1_11target_archE908ELNS1_3gpuE7ELNS1_3repE0EEENS1_30default_config_static_selectorELNS0_4arch9wavefront6targetE1EEEvT1_.uses_flat_scratch, 0
	.set _ZN7rocprim17ROCPRIM_400000_NS6detail17trampoline_kernelINS0_14default_configENS1_25partition_config_selectorILNS1_17partition_subalgoE8EiNS0_10empty_typeEbEEZZNS1_14partition_implILS5_8ELb0ES3_jN6thrust23THRUST_200600_302600_NS6detail15normal_iteratorINSA_10device_ptrIiEEEEPS6_PKS6_NS0_5tupleIJNSA_16discard_iteratorINSA_11use_defaultEEES6_EEENSJ_IJSG_SG_EEENS0_18inequality_wrapperINSA_8equal_toIiEEEEPmJS6_EEE10hipError_tPvRmT3_T4_T5_T6_T7_T9_mT8_P12ihipStream_tbDpT10_ENKUlT_T0_E_clISt17integral_constantIbLb0EES1C_IbLb1EEEEDaS18_S19_EUlS18_E_NS1_11comp_targetILNS1_3genE3ELNS1_11target_archE908ELNS1_3gpuE7ELNS1_3repE0EEENS1_30default_config_static_selectorELNS0_4arch9wavefront6targetE1EEEvT1_.has_dyn_sized_stack, 0
	.set _ZN7rocprim17ROCPRIM_400000_NS6detail17trampoline_kernelINS0_14default_configENS1_25partition_config_selectorILNS1_17partition_subalgoE8EiNS0_10empty_typeEbEEZZNS1_14partition_implILS5_8ELb0ES3_jN6thrust23THRUST_200600_302600_NS6detail15normal_iteratorINSA_10device_ptrIiEEEEPS6_PKS6_NS0_5tupleIJNSA_16discard_iteratorINSA_11use_defaultEEES6_EEENSJ_IJSG_SG_EEENS0_18inequality_wrapperINSA_8equal_toIiEEEEPmJS6_EEE10hipError_tPvRmT3_T4_T5_T6_T7_T9_mT8_P12ihipStream_tbDpT10_ENKUlT_T0_E_clISt17integral_constantIbLb0EES1C_IbLb1EEEEDaS18_S19_EUlS18_E_NS1_11comp_targetILNS1_3genE3ELNS1_11target_archE908ELNS1_3gpuE7ELNS1_3repE0EEENS1_30default_config_static_selectorELNS0_4arch9wavefront6targetE1EEEvT1_.has_recursion, 0
	.set _ZN7rocprim17ROCPRIM_400000_NS6detail17trampoline_kernelINS0_14default_configENS1_25partition_config_selectorILNS1_17partition_subalgoE8EiNS0_10empty_typeEbEEZZNS1_14partition_implILS5_8ELb0ES3_jN6thrust23THRUST_200600_302600_NS6detail15normal_iteratorINSA_10device_ptrIiEEEEPS6_PKS6_NS0_5tupleIJNSA_16discard_iteratorINSA_11use_defaultEEES6_EEENSJ_IJSG_SG_EEENS0_18inequality_wrapperINSA_8equal_toIiEEEEPmJS6_EEE10hipError_tPvRmT3_T4_T5_T6_T7_T9_mT8_P12ihipStream_tbDpT10_ENKUlT_T0_E_clISt17integral_constantIbLb0EES1C_IbLb1EEEEDaS18_S19_EUlS18_E_NS1_11comp_targetILNS1_3genE3ELNS1_11target_archE908ELNS1_3gpuE7ELNS1_3repE0EEENS1_30default_config_static_selectorELNS0_4arch9wavefront6targetE1EEEvT1_.has_indirect_call, 0
	.section	.AMDGPU.csdata,"",@progbits
; Kernel info:
; codeLenInByte = 0
; TotalNumSgprs: 4
; NumVgprs: 0
; ScratchSize: 0
; MemoryBound: 0
; FloatMode: 240
; IeeeMode: 1
; LDSByteSize: 0 bytes/workgroup (compile time only)
; SGPRBlocks: 0
; VGPRBlocks: 0
; NumSGPRsForWavesPerEU: 4
; NumVGPRsForWavesPerEU: 1
; Occupancy: 10
; WaveLimiterHint : 0
; COMPUTE_PGM_RSRC2:SCRATCH_EN: 0
; COMPUTE_PGM_RSRC2:USER_SGPR: 6
; COMPUTE_PGM_RSRC2:TRAP_HANDLER: 0
; COMPUTE_PGM_RSRC2:TGID_X_EN: 1
; COMPUTE_PGM_RSRC2:TGID_Y_EN: 0
; COMPUTE_PGM_RSRC2:TGID_Z_EN: 0
; COMPUTE_PGM_RSRC2:TIDIG_COMP_CNT: 0
	.section	.text._ZN7rocprim17ROCPRIM_400000_NS6detail17trampoline_kernelINS0_14default_configENS1_25partition_config_selectorILNS1_17partition_subalgoE8EiNS0_10empty_typeEbEEZZNS1_14partition_implILS5_8ELb0ES3_jN6thrust23THRUST_200600_302600_NS6detail15normal_iteratorINSA_10device_ptrIiEEEEPS6_PKS6_NS0_5tupleIJNSA_16discard_iteratorINSA_11use_defaultEEES6_EEENSJ_IJSG_SG_EEENS0_18inequality_wrapperINSA_8equal_toIiEEEEPmJS6_EEE10hipError_tPvRmT3_T4_T5_T6_T7_T9_mT8_P12ihipStream_tbDpT10_ENKUlT_T0_E_clISt17integral_constantIbLb0EES1C_IbLb1EEEEDaS18_S19_EUlS18_E_NS1_11comp_targetILNS1_3genE2ELNS1_11target_archE906ELNS1_3gpuE6ELNS1_3repE0EEENS1_30default_config_static_selectorELNS0_4arch9wavefront6targetE1EEEvT1_,"axG",@progbits,_ZN7rocprim17ROCPRIM_400000_NS6detail17trampoline_kernelINS0_14default_configENS1_25partition_config_selectorILNS1_17partition_subalgoE8EiNS0_10empty_typeEbEEZZNS1_14partition_implILS5_8ELb0ES3_jN6thrust23THRUST_200600_302600_NS6detail15normal_iteratorINSA_10device_ptrIiEEEEPS6_PKS6_NS0_5tupleIJNSA_16discard_iteratorINSA_11use_defaultEEES6_EEENSJ_IJSG_SG_EEENS0_18inequality_wrapperINSA_8equal_toIiEEEEPmJS6_EEE10hipError_tPvRmT3_T4_T5_T6_T7_T9_mT8_P12ihipStream_tbDpT10_ENKUlT_T0_E_clISt17integral_constantIbLb0EES1C_IbLb1EEEEDaS18_S19_EUlS18_E_NS1_11comp_targetILNS1_3genE2ELNS1_11target_archE906ELNS1_3gpuE6ELNS1_3repE0EEENS1_30default_config_static_selectorELNS0_4arch9wavefront6targetE1EEEvT1_,comdat
	.protected	_ZN7rocprim17ROCPRIM_400000_NS6detail17trampoline_kernelINS0_14default_configENS1_25partition_config_selectorILNS1_17partition_subalgoE8EiNS0_10empty_typeEbEEZZNS1_14partition_implILS5_8ELb0ES3_jN6thrust23THRUST_200600_302600_NS6detail15normal_iteratorINSA_10device_ptrIiEEEEPS6_PKS6_NS0_5tupleIJNSA_16discard_iteratorINSA_11use_defaultEEES6_EEENSJ_IJSG_SG_EEENS0_18inequality_wrapperINSA_8equal_toIiEEEEPmJS6_EEE10hipError_tPvRmT3_T4_T5_T6_T7_T9_mT8_P12ihipStream_tbDpT10_ENKUlT_T0_E_clISt17integral_constantIbLb0EES1C_IbLb1EEEEDaS18_S19_EUlS18_E_NS1_11comp_targetILNS1_3genE2ELNS1_11target_archE906ELNS1_3gpuE6ELNS1_3repE0EEENS1_30default_config_static_selectorELNS0_4arch9wavefront6targetE1EEEvT1_ ; -- Begin function _ZN7rocprim17ROCPRIM_400000_NS6detail17trampoline_kernelINS0_14default_configENS1_25partition_config_selectorILNS1_17partition_subalgoE8EiNS0_10empty_typeEbEEZZNS1_14partition_implILS5_8ELb0ES3_jN6thrust23THRUST_200600_302600_NS6detail15normal_iteratorINSA_10device_ptrIiEEEEPS6_PKS6_NS0_5tupleIJNSA_16discard_iteratorINSA_11use_defaultEEES6_EEENSJ_IJSG_SG_EEENS0_18inequality_wrapperINSA_8equal_toIiEEEEPmJS6_EEE10hipError_tPvRmT3_T4_T5_T6_T7_T9_mT8_P12ihipStream_tbDpT10_ENKUlT_T0_E_clISt17integral_constantIbLb0EES1C_IbLb1EEEEDaS18_S19_EUlS18_E_NS1_11comp_targetILNS1_3genE2ELNS1_11target_archE906ELNS1_3gpuE6ELNS1_3repE0EEENS1_30default_config_static_selectorELNS0_4arch9wavefront6targetE1EEEvT1_
	.globl	_ZN7rocprim17ROCPRIM_400000_NS6detail17trampoline_kernelINS0_14default_configENS1_25partition_config_selectorILNS1_17partition_subalgoE8EiNS0_10empty_typeEbEEZZNS1_14partition_implILS5_8ELb0ES3_jN6thrust23THRUST_200600_302600_NS6detail15normal_iteratorINSA_10device_ptrIiEEEEPS6_PKS6_NS0_5tupleIJNSA_16discard_iteratorINSA_11use_defaultEEES6_EEENSJ_IJSG_SG_EEENS0_18inequality_wrapperINSA_8equal_toIiEEEEPmJS6_EEE10hipError_tPvRmT3_T4_T5_T6_T7_T9_mT8_P12ihipStream_tbDpT10_ENKUlT_T0_E_clISt17integral_constantIbLb0EES1C_IbLb1EEEEDaS18_S19_EUlS18_E_NS1_11comp_targetILNS1_3genE2ELNS1_11target_archE906ELNS1_3gpuE6ELNS1_3repE0EEENS1_30default_config_static_selectorELNS0_4arch9wavefront6targetE1EEEvT1_
	.p2align	8
	.type	_ZN7rocprim17ROCPRIM_400000_NS6detail17trampoline_kernelINS0_14default_configENS1_25partition_config_selectorILNS1_17partition_subalgoE8EiNS0_10empty_typeEbEEZZNS1_14partition_implILS5_8ELb0ES3_jN6thrust23THRUST_200600_302600_NS6detail15normal_iteratorINSA_10device_ptrIiEEEEPS6_PKS6_NS0_5tupleIJNSA_16discard_iteratorINSA_11use_defaultEEES6_EEENSJ_IJSG_SG_EEENS0_18inequality_wrapperINSA_8equal_toIiEEEEPmJS6_EEE10hipError_tPvRmT3_T4_T5_T6_T7_T9_mT8_P12ihipStream_tbDpT10_ENKUlT_T0_E_clISt17integral_constantIbLb0EES1C_IbLb1EEEEDaS18_S19_EUlS18_E_NS1_11comp_targetILNS1_3genE2ELNS1_11target_archE906ELNS1_3gpuE6ELNS1_3repE0EEENS1_30default_config_static_selectorELNS0_4arch9wavefront6targetE1EEEvT1_,@function
_ZN7rocprim17ROCPRIM_400000_NS6detail17trampoline_kernelINS0_14default_configENS1_25partition_config_selectorILNS1_17partition_subalgoE8EiNS0_10empty_typeEbEEZZNS1_14partition_implILS5_8ELb0ES3_jN6thrust23THRUST_200600_302600_NS6detail15normal_iteratorINSA_10device_ptrIiEEEEPS6_PKS6_NS0_5tupleIJNSA_16discard_iteratorINSA_11use_defaultEEES6_EEENSJ_IJSG_SG_EEENS0_18inequality_wrapperINSA_8equal_toIiEEEEPmJS6_EEE10hipError_tPvRmT3_T4_T5_T6_T7_T9_mT8_P12ihipStream_tbDpT10_ENKUlT_T0_E_clISt17integral_constantIbLb0EES1C_IbLb1EEEEDaS18_S19_EUlS18_E_NS1_11comp_targetILNS1_3genE2ELNS1_11target_archE906ELNS1_3gpuE6ELNS1_3repE0EEENS1_30default_config_static_selectorELNS0_4arch9wavefront6targetE1EEEvT1_: ; @_ZN7rocprim17ROCPRIM_400000_NS6detail17trampoline_kernelINS0_14default_configENS1_25partition_config_selectorILNS1_17partition_subalgoE8EiNS0_10empty_typeEbEEZZNS1_14partition_implILS5_8ELb0ES3_jN6thrust23THRUST_200600_302600_NS6detail15normal_iteratorINSA_10device_ptrIiEEEEPS6_PKS6_NS0_5tupleIJNSA_16discard_iteratorINSA_11use_defaultEEES6_EEENSJ_IJSG_SG_EEENS0_18inequality_wrapperINSA_8equal_toIiEEEEPmJS6_EEE10hipError_tPvRmT3_T4_T5_T6_T7_T9_mT8_P12ihipStream_tbDpT10_ENKUlT_T0_E_clISt17integral_constantIbLb0EES1C_IbLb1EEEEDaS18_S19_EUlS18_E_NS1_11comp_targetILNS1_3genE2ELNS1_11target_archE906ELNS1_3gpuE6ELNS1_3repE0EEENS1_30default_config_static_selectorELNS0_4arch9wavefront6targetE1EEEvT1_
; %bb.0:
	s_load_dwordx2 s[12:13], s[4:5], 0x58
	s_load_dwordx4 s[36:39], s[4:5], 0x48
	s_load_dwordx2 s[40:41], s[4:5], 0x68
	v_cmp_ne_u32_e64 s[2:3], 0, v0
	v_cmp_eq_u32_e64 s[0:1], 0, v0
	s_and_saveexec_b64 s[6:7], s[0:1]
	s_cbranch_execz .LBB689_4
; %bb.1:
	s_mov_b64 s[10:11], exec
	v_mbcnt_lo_u32_b32 v1, s10, 0
	v_mbcnt_hi_u32_b32 v1, s11, v1
	v_cmp_eq_u32_e32 vcc, 0, v1
                                        ; implicit-def: $vgpr2
	s_and_saveexec_b64 s[8:9], vcc
	s_cbranch_execz .LBB689_3
; %bb.2:
	s_load_dwordx2 s[14:15], s[4:5], 0x78
	s_bcnt1_i32_b64 s10, s[10:11]
	v_mov_b32_e32 v2, 0
	v_mov_b32_e32 v3, s10
	s_waitcnt lgkmcnt(0)
	global_atomic_add v2, v2, v3, s[14:15] glc
.LBB689_3:
	s_or_b64 exec, exec, s[8:9]
	s_waitcnt vmcnt(0)
	v_readfirstlane_b32 s8, v2
	v_add_u32_e32 v1, s8, v1
	v_mov_b32_e32 v2, 0
	ds_write_b32 v2, v1
.LBB689_4:
	s_or_b64 exec, exec, s[6:7]
	v_mov_b32_e32 v2, 0
	s_load_dwordx4 s[8:11], s[4:5], 0x8
	s_load_dword s6, s[4:5], 0x70
	s_waitcnt lgkmcnt(0)
	s_barrier
	ds_read_b32 v1, v2
	s_waitcnt lgkmcnt(0)
	s_barrier
	global_load_dwordx2 v[18:19], v2, s[38:39]
	s_lshl_b64 s[4:5], s[10:11], 2
	s_add_u32 s14, s8, s4
	s_addc_u32 s9, s9, s5
	s_add_i32 s7, s6, -1
	s_lshl_b32 s4, s7, 12
	s_add_i32 s8, s10, s4
	s_lshl_b32 s4, s6, 12
	s_add_u32 s4, s10, s4
	s_addc_u32 s5, s11, 0
	v_mov_b32_e32 v3, s4
	v_readfirstlane_b32 s33, v1
	v_lshlrev_b32_e32 v1, 12, v1
	v_mov_b32_e32 v4, s5
	v_cmp_le_u64_e32 vcc, s[12:13], v[3:4]
	s_cmp_eq_u32 s33, s7
	v_lshlrev_b64 v[1:2], 2, v[1:2]
	s_cselect_b64 s[38:39], -1, 0
	s_and_b64 s[42:43], vcc, s[38:39]
	v_mov_b32_e32 v3, s9
	v_add_co_u32_e32 v21, vcc, s14, v1
	s_xor_b64 s[6:7], s[42:43], -1
	v_addc_co_u32_e32 v22, vcc, v3, v2, vcc
	s_mov_b64 s[4:5], -1
	s_and_b64 vcc, exec, s[6:7]
	v_lshrrev_b32_e32 v20, 3, v0
	s_cbranch_vccz .LBB689_6
; %bb.5:
	v_lshlrev_b32_e32 v5, 2, v0
	v_add_co_u32_e32 v1, vcc, v21, v5
	v_addc_co_u32_e32 v2, vcc, 0, v22, vcc
	v_add_co_u32_e32 v3, vcc, 0x1000, v1
	v_addc_co_u32_e32 v4, vcc, 0, v2, vcc
	flat_load_dword v6, v[1:2]
	flat_load_dword v7, v[1:2] offset:1024
	flat_load_dword v8, v[1:2] offset:2048
	;; [unrolled: 1-line block ×3, first 2 shown]
	flat_load_dword v10, v[3:4]
	flat_load_dword v11, v[3:4] offset:1024
	flat_load_dword v12, v[3:4] offset:2048
	;; [unrolled: 1-line block ×3, first 2 shown]
	v_add_co_u32_e32 v3, vcc, 0x2000, v1
	v_addc_co_u32_e32 v4, vcc, 0, v2, vcc
	flat_load_dword v14, v[3:4]
	flat_load_dword v15, v[3:4] offset:1024
	flat_load_dword v16, v[3:4] offset:2048
	;; [unrolled: 1-line block ×3, first 2 shown]
	v_add_co_u32_e32 v1, vcc, 0x3000, v1
	v_addc_co_u32_e32 v2, vcc, 0, v2, vcc
	flat_load_dword v3, v[1:2]
	flat_load_dword v4, v[1:2] offset:1024
	flat_load_dword v23, v[1:2] offset:2048
	;; [unrolled: 1-line block ×3, first 2 shown]
	v_or_b32_e32 v2, 0x100, v0
	v_or_b32_e32 v25, 0x200, v0
	;; [unrolled: 1-line block ×9, first 2 shown]
	v_and_b32_e32 v1, 28, v20
	v_or_b32_e32 v33, 0xa00, v0
	v_lshrrev_b32_e32 v2, 3, v2
	v_lshrrev_b32_e32 v25, 3, v25
	;; [unrolled: 1-line block ×9, first 2 shown]
	v_add_u32_e32 v1, v1, v5
	v_lshrrev_b32_e32 v33, 3, v33
	v_and_b32_e32 v2, 60, v2
	v_and_b32_e32 v25, 0x5c, v25
	;; [unrolled: 1-line block ×9, first 2 shown]
	v_add_u32_e32 v2, v2, v5
	v_add_u32_e32 v25, v25, v5
	;; [unrolled: 1-line block ×9, first 2 shown]
	s_mov_b64 s[4:5], 0
	s_waitcnt vmcnt(0) lgkmcnt(0)
	ds_write_b32 v1, v6
	ds_write_b32 v2, v7 offset:1024
	ds_write_b32 v25, v8 offset:2048
	;; [unrolled: 1-line block ×9, first 2 shown]
	v_and_b32_e32 v1, 0x15c, v33
	v_add_u32_e32 v1, v1, v5
	ds_write_b32 v1, v16 offset:10240
	v_or_b32_e32 v1, 0xb00, v0
	v_lshrrev_b32_e32 v1, 3, v1
	v_and_b32_e32 v1, 0x17c, v1
	v_add_u32_e32 v1, v1, v5
	ds_write_b32 v1, v17 offset:11264
	v_or_b32_e32 v1, 0xc00, v0
	v_lshrrev_b32_e32 v1, 3, v1
	;; [unrolled: 5-line block ×5, first 2 shown]
	v_and_b32_e32 v1, 0x1fc, v1
	v_add_u32_e32 v1, v1, v5
	ds_write_b32 v1, v24 offset:15360
	s_waitcnt lgkmcnt(0)
	s_barrier
.LBB689_6:
	s_andn2_b64 vcc, exec, s[4:5]
	s_sub_i32 s52, s12, s8
	s_cbranch_vccnz .LBB689_40
; %bb.7:
	v_mov_b32_e32 v1, 0
	v_cmp_gt_u32_e32 vcc, s52, v0
	v_mov_b32_e32 v2, v1
	v_mov_b32_e32 v3, v1
	v_mov_b32_e32 v4, v1
	v_mov_b32_e32 v5, v1
	v_mov_b32_e32 v6, v1
	v_mov_b32_e32 v7, v1
	v_mov_b32_e32 v8, v1
	v_mov_b32_e32 v9, v1
	v_mov_b32_e32 v10, v1
	v_mov_b32_e32 v11, v1
	v_mov_b32_e32 v12, v1
	v_mov_b32_e32 v13, v1
	v_mov_b32_e32 v14, v1
	v_mov_b32_e32 v15, v1
	v_mov_b32_e32 v16, v1
	s_and_saveexec_b64 s[4:5], vcc
	s_cbranch_execz .LBB689_9
; %bb.8:
	v_lshlrev_b32_e32 v2, 2, v0
	v_add_co_u32_e32 v2, vcc, v21, v2
	v_addc_co_u32_e32 v3, vcc, 0, v22, vcc
	flat_load_dword v2, v[2:3]
	v_mov_b32_e32 v3, v1
	v_mov_b32_e32 v4, v1
	;; [unrolled: 1-line block ×15, first 2 shown]
	s_waitcnt vmcnt(0) lgkmcnt(0)
	v_mov_b32_e32 v1, v2
	v_mov_b32_e32 v2, v3
	v_mov_b32_e32 v3, v4
	v_mov_b32_e32 v4, v5
	v_mov_b32_e32 v5, v6
	v_mov_b32_e32 v6, v7
	v_mov_b32_e32 v7, v8
	v_mov_b32_e32 v8, v9
	v_mov_b32_e32 v9, v10
	v_mov_b32_e32 v10, v11
	v_mov_b32_e32 v11, v12
	v_mov_b32_e32 v12, v13
	v_mov_b32_e32 v13, v14
	v_mov_b32_e32 v14, v15
	v_mov_b32_e32 v15, v16
	v_mov_b32_e32 v16, v17
.LBB689_9:
	s_or_b64 exec, exec, s[4:5]
	v_or_b32_e32 v17, 0x100, v0
	v_cmp_gt_u32_e32 vcc, s52, v17
	s_and_saveexec_b64 s[4:5], vcc
	s_cbranch_execz .LBB689_11
; %bb.10:
	v_lshlrev_b32_e32 v2, 2, v0
	v_add_co_u32_e32 v23, vcc, v21, v2
	v_addc_co_u32_e32 v24, vcc, 0, v22, vcc
	flat_load_dword v2, v[23:24] offset:1024
.LBB689_11:
	s_or_b64 exec, exec, s[4:5]
	v_or_b32_e32 v23, 0x200, v0
	v_cmp_gt_u32_e32 vcc, s52, v23
	s_and_saveexec_b64 s[4:5], vcc
	s_cbranch_execz .LBB689_13
; %bb.12:
	v_lshlrev_b32_e32 v3, 2, v0
	v_add_co_u32_e32 v24, vcc, v21, v3
	v_addc_co_u32_e32 v25, vcc, 0, v22, vcc
	flat_load_dword v3, v[24:25] offset:2048
.LBB689_13:
	s_or_b64 exec, exec, s[4:5]
	v_or_b32_e32 v24, 0x300, v0
	v_cmp_gt_u32_e32 vcc, s52, v24
	s_and_saveexec_b64 s[4:5], vcc
	s_cbranch_execz .LBB689_15
; %bb.14:
	v_lshlrev_b32_e32 v4, 2, v0
	v_add_co_u32_e32 v25, vcc, v21, v4
	v_addc_co_u32_e32 v26, vcc, 0, v22, vcc
	flat_load_dword v4, v[25:26] offset:3072
.LBB689_15:
	s_or_b64 exec, exec, s[4:5]
	v_or_b32_e32 v25, 0x400, v0
	v_cmp_gt_u32_e32 vcc, s52, v25
	s_and_saveexec_b64 s[4:5], vcc
	s_cbranch_execz .LBB689_17
; %bb.16:
	v_lshlrev_b32_e32 v5, 2, v25
	v_add_co_u32_e32 v26, vcc, v21, v5
	v_addc_co_u32_e32 v27, vcc, 0, v22, vcc
	flat_load_dword v5, v[26:27]
.LBB689_17:
	s_or_b64 exec, exec, s[4:5]
	v_or_b32_e32 v26, 0x500, v0
	v_cmp_gt_u32_e32 vcc, s52, v26
	s_and_saveexec_b64 s[4:5], vcc
	s_cbranch_execz .LBB689_19
; %bb.18:
	v_lshlrev_b32_e32 v6, 2, v26
	v_add_co_u32_e32 v27, vcc, v21, v6
	v_addc_co_u32_e32 v28, vcc, 0, v22, vcc
	flat_load_dword v6, v[27:28]
.LBB689_19:
	;; [unrolled: 11-line block ×12, first 2 shown]
	s_or_b64 exec, exec, s[4:5]
	v_and_b32_e32 v20, 28, v20
	v_lshlrev_b32_e32 v37, 2, v0
	v_add_u32_e32 v20, v20, v37
	ds_write_b32 v20, v1
	v_lshrrev_b32_e32 v1, 3, v17
	v_and_b32_e32 v1, 60, v1
	v_add_u32_e32 v1, v1, v37
	s_waitcnt vmcnt(0) lgkmcnt(0)
	ds_write_b32 v1, v2 offset:1024
	v_lshrrev_b32_e32 v1, 3, v23
	v_and_b32_e32 v1, 0x7c, v1
	v_add_u32_e32 v1, v1, v37
	ds_write_b32 v1, v3 offset:2048
	v_lshrrev_b32_e32 v1, 3, v24
	v_and_b32_e32 v1, 0x7c, v1
	v_add_u32_e32 v1, v1, v37
	;; [unrolled: 4-line block ×14, first 2 shown]
	ds_write_b32 v1, v16 offset:15360
	s_waitcnt lgkmcnt(0)
	s_barrier
.LBB689_40:
	v_lshlrev_b32_e32 v1, 1, v0
	v_and_b32_e32 v1, 0x1fc, v1
	v_lshl_add_u32 v1, v0, 6, v1
	ds_read2_b32 v[15:16], v1 offset1:1
	ds_read2_b32 v[13:14], v1 offset0:2 offset1:3
	ds_read2_b32 v[11:12], v1 offset0:4 offset1:5
	ds_read2_b32 v[9:10], v1 offset0:6 offset1:7
	ds_read2_b32 v[7:8], v1 offset0:8 offset1:9
	ds_read2_b32 v[5:6], v1 offset0:10 offset1:11
	ds_read2_b32 v[3:4], v1 offset0:12 offset1:13
	ds_read2_b32 v[1:2], v1 offset0:14 offset1:15
	s_cmp_lg_u32 s33, 0
	s_cselect_b64 s[44:45], -1, 0
	s_cmp_lg_u64 s[10:11], 0
	s_cselect_b64 s[4:5], -1, 0
	s_or_b64 s[4:5], s[4:5], s[44:45]
	v_lshlrev_b32_e32 v20, 4, v0
	s_mov_b64 s[48:49], 0
	s_and_b64 vcc, exec, s[4:5]
	s_waitcnt vmcnt(0) lgkmcnt(0)
	s_barrier
	s_cbranch_vccz .LBB689_45
; %bb.41:
	v_add_co_u32_e32 v21, vcc, -4, v21
	v_addc_co_u32_e32 v22, vcc, -1, v22, vcc
	flat_load_dword v21, v[21:22]
	v_lshlrev_b32_e32 v22, 2, v0
	s_and_b64 vcc, exec, s[6:7]
	ds_write_b32 v22, v2
	s_cbranch_vccz .LBB689_46
; %bb.42:
	s_waitcnt vmcnt(0) lgkmcnt(0)
	v_mov_b32_e32 v23, v21
	s_barrier
	s_and_saveexec_b64 s[4:5], s[2:3]
; %bb.43:
	v_add_u32_e32 v17, -4, v22
	ds_read_b32 v23, v17
; %bb.44:
	s_or_b64 exec, exec, s[4:5]
	v_cmp_ne_u32_e32 vcc, v1, v2
	v_cndmask_b32_e64 v17, 0, 1, vcc
	v_cmp_ne_u32_e32 vcc, v4, v1
	v_cndmask_b32_e64 v30, 0, 1, vcc
	;; [unrolled: 2-line block ×15, first 2 shown]
	s_waitcnt lgkmcnt(0)
	v_cmp_ne_u32_e64 s[46:47], v23, v15
	s_branch .LBB689_50
.LBB689_45:
                                        ; implicit-def: $sgpr46_sgpr47
                                        ; implicit-def: $vgpr17
                                        ; implicit-def: $vgpr30
                                        ; implicit-def: $vgpr31
                                        ; implicit-def: $vgpr32
                                        ; implicit-def: $vgpr33
                                        ; implicit-def: $vgpr34
                                        ; implicit-def: $vgpr35
                                        ; implicit-def: $vgpr36
                                        ; implicit-def: $vgpr37
                                        ; implicit-def: $vgpr43
                                        ; implicit-def: $vgpr42
                                        ; implicit-def: $vgpr41
                                        ; implicit-def: $vgpr40
                                        ; implicit-def: $vgpr39
                                        ; implicit-def: $vgpr38
	s_branch .LBB689_51
.LBB689_46:
                                        ; implicit-def: $sgpr46_sgpr47
                                        ; implicit-def: $vgpr17
                                        ; implicit-def: $vgpr30
                                        ; implicit-def: $vgpr31
                                        ; implicit-def: $vgpr32
                                        ; implicit-def: $vgpr33
                                        ; implicit-def: $vgpr34
                                        ; implicit-def: $vgpr35
                                        ; implicit-def: $vgpr36
                                        ; implicit-def: $vgpr37
                                        ; implicit-def: $vgpr43
                                        ; implicit-def: $vgpr42
                                        ; implicit-def: $vgpr41
                                        ; implicit-def: $vgpr40
                                        ; implicit-def: $vgpr39
                                        ; implicit-def: $vgpr38
	s_cbranch_execz .LBB689_50
; %bb.47:
	s_waitcnt vmcnt(0) lgkmcnt(0)
	s_barrier
	s_and_saveexec_b64 s[4:5], s[2:3]
; %bb.48:
	v_add_u32_e32 v17, -4, v22
	ds_read_b32 v21, v17
; %bb.49:
	s_or_b64 exec, exec, s[4:5]
	v_or_b32_e32 v17, 15, v20
	v_cmp_gt_u32_e32 vcc, s52, v17
	v_cmp_ne_u32_e64 s[4:5], v1, v2
	s_and_b64 s[4:5], vcc, s[4:5]
	v_or_b32_e32 v22, 14, v20
	v_cndmask_b32_e64 v17, 0, 1, s[4:5]
	v_cmp_gt_u32_e32 vcc, s52, v22
	v_cmp_ne_u32_e64 s[4:5], v4, v1
	s_and_b64 s[4:5], vcc, s[4:5]
	v_or_b32_e32 v22, 13, v20
	v_cndmask_b32_e64 v30, 0, 1, s[4:5]
	;; [unrolled: 5-line block ×14, first 2 shown]
	v_cmp_gt_u32_e32 vcc, s52, v22
	v_cmp_ne_u32_e64 s[4:5], v15, v16
	s_and_b64 s[4:5], vcc, s[4:5]
	v_cndmask_b32_e64 v43, 0, 1, s[4:5]
	v_cmp_gt_u32_e32 vcc, s52, v20
	s_waitcnt lgkmcnt(0)
	v_cmp_ne_u32_e64 s[4:5], v21, v15
	s_and_b64 s[46:47], vcc, s[4:5]
.LBB689_50:
	s_mov_b64 s[48:49], -1
	s_cbranch_execnz .LBB689_59
.LBB689_51:
	s_waitcnt vmcnt(0) lgkmcnt(0)
	v_lshlrev_b32_e32 v21, 2, v0
	s_and_b64 vcc, exec, s[6:7]
	v_cmp_ne_u32_e64 s[4:5], v1, v2
	v_cmp_ne_u32_e64 s[6:7], v4, v1
	;; [unrolled: 1-line block ×15, first 2 shown]
	ds_write_b32 v21, v2
	s_cbranch_vccz .LBB689_55
; %bb.52:
	s_waitcnt lgkmcnt(0)
	s_barrier
                                        ; implicit-def: $sgpr46_sgpr47
	s_and_saveexec_b64 s[50:51], s[2:3]
	s_xor_b64 s[50:51], exec, s[50:51]
	s_cbranch_execz .LBB689_54
; %bb.53:
	v_add_u32_e32 v17, -4, v21
	ds_read_b32 v17, v17
	s_or_b64 s[48:49], s[48:49], exec
	s_waitcnt lgkmcnt(0)
	v_cmp_ne_u32_e64 s[46:47], v17, v15
.LBB689_54:
	s_or_b64 exec, exec, s[50:51]
	v_cndmask_b32_e64 v17, 0, 1, s[4:5]
	v_cndmask_b32_e64 v30, 0, 1, s[6:7]
	;; [unrolled: 1-line block ×15, first 2 shown]
	s_branch .LBB689_59
.LBB689_55:
                                        ; implicit-def: $sgpr46_sgpr47
                                        ; implicit-def: $vgpr17
                                        ; implicit-def: $vgpr30
                                        ; implicit-def: $vgpr31
                                        ; implicit-def: $vgpr32
                                        ; implicit-def: $vgpr33
                                        ; implicit-def: $vgpr34
                                        ; implicit-def: $vgpr35
                                        ; implicit-def: $vgpr36
                                        ; implicit-def: $vgpr37
                                        ; implicit-def: $vgpr43
                                        ; implicit-def: $vgpr42
                                        ; implicit-def: $vgpr41
                                        ; implicit-def: $vgpr40
                                        ; implicit-def: $vgpr39
                                        ; implicit-def: $vgpr38
	s_cbranch_execz .LBB689_59
; %bb.56:
	v_or_b32_e32 v17, 15, v20
	v_cmp_gt_u32_e32 vcc, s52, v17
	v_cmp_ne_u32_e64 s[4:5], v1, v2
	v_or_b32_e32 v17, 14, v20
	s_and_b64 s[6:7], vcc, s[4:5]
	v_cmp_gt_u32_e32 vcc, s52, v17
	v_cmp_ne_u32_e64 s[4:5], v4, v1
	v_or_b32_e32 v17, 13, v20
	s_and_b64 s[8:9], vcc, s[4:5]
	;; [unrolled: 4-line block ×14, first 2 shown]
	v_cmp_gt_u32_e32 vcc, s52, v17
	v_cmp_ne_u32_e64 s[4:5], v15, v16
	s_and_b64 s[4:5], vcc, s[4:5]
	s_waitcnt lgkmcnt(0)
	s_barrier
                                        ; implicit-def: $sgpr46_sgpr47
	s_and_saveexec_b64 s[50:51], s[2:3]
	s_cbranch_execz .LBB689_58
; %bb.57:
	v_add_u32_e32 v17, -4, v21
	ds_read_b32 v17, v17
	v_cmp_gt_u32_e32 vcc, s52, v20
	s_or_b64 s[48:49], s[48:49], exec
	s_waitcnt lgkmcnt(0)
	v_cmp_ne_u32_e64 s[2:3], v17, v15
	s_and_b64 s[46:47], vcc, s[2:3]
.LBB689_58:
	s_or_b64 exec, exec, s[50:51]
	v_cndmask_b32_e64 v17, 0, 1, s[6:7]
	v_cndmask_b32_e64 v30, 0, 1, s[8:9]
	;; [unrolled: 1-line block ×15, first 2 shown]
.LBB689_59:
	v_mov_b32_e32 v47, 1
	s_and_saveexec_b64 s[2:3], s[48:49]
; %bb.60:
	v_cndmask_b32_e64 v47, 0, 1, s[46:47]
; %bb.61:
	s_or_b64 exec, exec, s[2:3]
	s_andn2_b64 vcc, exec, s[42:43]
	s_cbranch_vccnz .LBB689_63
; %bb.62:
	v_cmp_gt_u32_e32 vcc, s52, v20
	s_waitcnt vmcnt(0) lgkmcnt(0)
	v_or_b32_e32 v21, 1, v20
	v_cndmask_b32_e32 v47, 0, v47, vcc
	v_cmp_gt_u32_e32 vcc, s52, v21
	v_or_b32_e32 v21, 2, v20
	v_cndmask_b32_e32 v43, 0, v43, vcc
	v_cmp_gt_u32_e32 vcc, s52, v21
	;; [unrolled: 3-line block ×15, first 2 shown]
	v_cndmask_b32_e32 v17, 0, v17, vcc
.LBB689_63:
	v_and_b32_e32 v54, 0xff, v41
	v_and_b32_e32 v53, 0xff, v40
	s_waitcnt vmcnt(0) lgkmcnt(0)
	v_add_u32_sdwa v21, v39, v38 dst_sel:DWORD dst_unused:UNUSED_PAD src0_sel:BYTE_0 src1_sel:BYTE_0
	v_and_b32_e32 v56, 0xff, v43
	v_and_b32_e32 v55, 0xff, v42
	v_add3_u32 v21, v21, v53, v54
	v_and_b32_e32 v57, 0xffff, v47
	v_and_b32_e32 v52, 0xff, v37
	v_add3_u32 v21, v21, v55, v56
	;; [unrolled: 3-line block ×6, first 2 shown]
	v_add3_u32 v60, v21, v44, v20
	v_mbcnt_lo_u32_b32 v20, -1, 0
	v_mbcnt_hi_u32_b32 v58, -1, v20
	v_and_b32_e32 v20, 15, v58
	v_cmp_eq_u32_e64 s[14:15], 0, v20
	v_cmp_lt_u32_e64 s[12:13], 1, v20
	v_cmp_lt_u32_e64 s[10:11], 3, v20
	;; [unrolled: 1-line block ×3, first 2 shown]
	v_and_b32_e32 v20, 16, v58
	v_cmp_eq_u32_e64 s[6:7], 0, v20
	v_or_b32_e32 v20, 63, v0
	v_cmp_lt_u32_e64 s[2:3], 31, v58
	v_lshrrev_b32_e32 v59, 6, v0
	v_cmp_eq_u32_e64 s[4:5], v0, v20
	s_and_b64 vcc, exec, s[44:45]
	s_barrier
	s_cbranch_vccz .LBB689_85
; %bb.64:
	v_mov_b32_dpp v20, v60 row_shr:1 row_mask:0xf bank_mask:0xf
	v_cndmask_b32_e64 v20, v20, 0, s[14:15]
	v_add_u32_e32 v20, v20, v60
	s_nop 1
	v_mov_b32_dpp v21, v20 row_shr:2 row_mask:0xf bank_mask:0xf
	v_cndmask_b32_e64 v21, 0, v21, s[12:13]
	v_add_u32_e32 v20, v20, v21
	s_nop 1
	;; [unrolled: 4-line block ×4, first 2 shown]
	v_mov_b32_dpp v21, v20 row_bcast:15 row_mask:0xf bank_mask:0xf
	v_cndmask_b32_e64 v21, v21, 0, s[6:7]
	v_add_u32_e32 v20, v20, v21
	s_nop 1
	v_mov_b32_dpp v21, v20 row_bcast:31 row_mask:0xf bank_mask:0xf
	v_cndmask_b32_e64 v21, 0, v21, s[2:3]
	v_add_u32_e32 v20, v20, v21
	s_and_saveexec_b64 s[16:17], s[4:5]
; %bb.65:
	v_lshlrev_b32_e32 v21, 2, v59
	ds_write_b32 v21, v20
; %bb.66:
	s_or_b64 exec, exec, s[16:17]
	v_cmp_gt_u32_e32 vcc, 4, v0
	s_waitcnt lgkmcnt(0)
	s_barrier
	s_and_saveexec_b64 s[16:17], vcc
	s_cbranch_execz .LBB689_68
; %bb.67:
	v_lshlrev_b32_e32 v21, 2, v0
	ds_read_b32 v22, v21
	v_and_b32_e32 v23, 3, v58
	v_cmp_ne_u32_e32 vcc, 0, v23
	s_waitcnt lgkmcnt(0)
	v_mov_b32_dpp v24, v22 row_shr:1 row_mask:0xf bank_mask:0xf
	v_cndmask_b32_e32 v24, 0, v24, vcc
	v_add_u32_e32 v22, v24, v22
	v_cmp_lt_u32_e32 vcc, 1, v23
	s_nop 0
	v_mov_b32_dpp v24, v22 row_shr:2 row_mask:0xf bank_mask:0xf
	v_cndmask_b32_e32 v23, 0, v24, vcc
	v_add_u32_e32 v22, v22, v23
	ds_write_b32 v21, v22
.LBB689_68:
	s_or_b64 exec, exec, s[16:17]
	v_cmp_gt_u32_e32 vcc, 64, v0
	v_cmp_lt_u32_e64 s[16:17], 63, v0
	s_waitcnt lgkmcnt(0)
	s_barrier
                                        ; implicit-def: $vgpr61
	s_and_saveexec_b64 s[18:19], s[16:17]
	s_cbranch_execz .LBB689_70
; %bb.69:
	v_lshl_add_u32 v21, v59, 2, -4
	ds_read_b32 v61, v21
	s_waitcnt lgkmcnt(0)
	v_add_u32_e32 v20, v61, v20
.LBB689_70:
	s_or_b64 exec, exec, s[18:19]
	v_subrev_co_u32_e64 v21, s[16:17], 1, v58
	v_and_b32_e32 v22, 64, v58
	v_cmp_lt_i32_e64 s[18:19], v21, v22
	v_cndmask_b32_e64 v21, v21, v58, s[18:19]
	v_lshlrev_b32_e32 v21, 2, v21
	ds_bpermute_b32 v62, v21, v20
	s_and_saveexec_b64 s[18:19], vcc
	s_cbranch_execz .LBB689_90
; %bb.71:
	v_mov_b32_e32 v26, 0
	ds_read_b32 v20, v26 offset:12
	s_and_saveexec_b64 s[20:21], s[16:17]
	s_cbranch_execz .LBB689_73
; %bb.72:
	s_add_i32 s22, s33, 64
	s_mov_b32 s23, 0
	s_lshl_b64 s[22:23], s[22:23], 3
	s_add_u32 s22, s40, s22
	v_mov_b32_e32 v21, 1
	s_addc_u32 s23, s41, s23
	s_waitcnt lgkmcnt(0)
	global_store_dwordx2 v26, v[20:21], s[22:23]
.LBB689_73:
	s_or_b64 exec, exec, s[20:21]
	v_xad_u32 v22, v58, -1, s33
	v_add_u32_e32 v25, 64, v22
	v_lshlrev_b64 v[23:24], 3, v[25:26]
	v_mov_b32_e32 v21, s41
	v_add_co_u32_e32 v27, vcc, s40, v23
	v_addc_co_u32_e32 v28, vcc, v21, v24, vcc
	global_load_dwordx2 v[24:25], v[27:28], off glc
	s_waitcnt vmcnt(0)
	v_cmp_eq_u16_sdwa s[22:23], v25, v26 src0_sel:BYTE_0 src1_sel:DWORD
	s_and_saveexec_b64 s[20:21], s[22:23]
	s_cbranch_execz .LBB689_77
; %bb.74:
	s_mov_b64 s[22:23], 0
	v_mov_b32_e32 v21, 0
.LBB689_75:                             ; =>This Inner Loop Header: Depth=1
	global_load_dwordx2 v[24:25], v[27:28], off glc
	s_waitcnt vmcnt(0)
	v_cmp_ne_u16_sdwa s[24:25], v25, v21 src0_sel:BYTE_0 src1_sel:DWORD
	s_or_b64 s[22:23], s[24:25], s[22:23]
	s_andn2_b64 exec, exec, s[22:23]
	s_cbranch_execnz .LBB689_75
; %bb.76:
	s_or_b64 exec, exec, s[22:23]
.LBB689_77:
	s_or_b64 exec, exec, s[20:21]
	v_and_b32_e32 v64, 63, v58
	v_mov_b32_e32 v63, 2
	v_lshlrev_b64 v[26:27], v58, -1
	v_cmp_ne_u32_e32 vcc, 63, v64
	v_cmp_eq_u16_sdwa s[20:21], v25, v63 src0_sel:BYTE_0 src1_sel:DWORD
	v_addc_co_u32_e32 v28, vcc, 0, v58, vcc
	v_and_b32_e32 v21, s21, v27
	v_lshlrev_b32_e32 v65, 2, v28
	v_or_b32_e32 v21, 0x80000000, v21
	ds_bpermute_b32 v28, v65, v24
	v_and_b32_e32 v23, s20, v26
	v_ffbl_b32_e32 v21, v21
	v_add_u32_e32 v21, 32, v21
	v_ffbl_b32_e32 v23, v23
	v_min_u32_e32 v21, v23, v21
	v_cmp_lt_u32_e32 vcc, v64, v21
	s_waitcnt lgkmcnt(0)
	v_cndmask_b32_e32 v23, 0, v28, vcc
	v_cmp_gt_u32_e32 vcc, 62, v64
	v_add_u32_e32 v23, v23, v24
	v_cndmask_b32_e64 v24, 0, 2, vcc
	v_add_lshl_u32 v66, v24, v58, 2
	ds_bpermute_b32 v24, v66, v23
	v_add_u32_e32 v67, 2, v64
	v_cmp_le_u32_e32 vcc, v67, v21
	v_add_u32_e32 v69, 4, v64
	v_add_u32_e32 v71, 8, v64
	s_waitcnt lgkmcnt(0)
	v_cndmask_b32_e32 v24, 0, v24, vcc
	v_cmp_gt_u32_e32 vcc, 60, v64
	v_add_u32_e32 v23, v23, v24
	v_cndmask_b32_e64 v24, 0, 4, vcc
	v_add_lshl_u32 v68, v24, v58, 2
	ds_bpermute_b32 v24, v68, v23
	v_cmp_le_u32_e32 vcc, v69, v21
	v_add_u32_e32 v73, 16, v64
	v_add_u32_e32 v75, 32, v64
	s_waitcnt lgkmcnt(0)
	v_cndmask_b32_e32 v24, 0, v24, vcc
	v_cmp_gt_u32_e32 vcc, 56, v64
	v_add_u32_e32 v23, v23, v24
	v_cndmask_b32_e64 v24, 0, 8, vcc
	v_add_lshl_u32 v70, v24, v58, 2
	ds_bpermute_b32 v24, v70, v23
	v_cmp_le_u32_e32 vcc, v71, v21
	s_waitcnt lgkmcnt(0)
	v_cndmask_b32_e32 v24, 0, v24, vcc
	v_cmp_gt_u32_e32 vcc, 48, v64
	v_add_u32_e32 v23, v23, v24
	v_cndmask_b32_e64 v24, 0, 16, vcc
	v_add_lshl_u32 v72, v24, v58, 2
	ds_bpermute_b32 v24, v72, v23
	v_cmp_le_u32_e32 vcc, v73, v21
	s_waitcnt lgkmcnt(0)
	v_cndmask_b32_e32 v24, 0, v24, vcc
	v_add_u32_e32 v23, v23, v24
	v_mov_b32_e32 v24, 0x80
	v_lshl_or_b32 v74, v58, 2, v24
	ds_bpermute_b32 v24, v74, v23
	v_cmp_le_u32_e32 vcc, v75, v21
	s_waitcnt lgkmcnt(0)
	v_cndmask_b32_e32 v21, 0, v24, vcc
	v_add_u32_e32 v24, v23, v21
	v_mov_b32_e32 v23, 0
	s_branch .LBB689_80
.LBB689_78:                             ;   in Loop: Header=BB689_80 Depth=1
	s_or_b64 exec, exec, s[20:21]
	v_cmp_eq_u16_sdwa s[20:21], v25, v63 src0_sel:BYTE_0 src1_sel:DWORD
	v_and_b32_e32 v28, s21, v27
	v_or_b32_e32 v28, 0x80000000, v28
	ds_bpermute_b32 v76, v65, v24
	v_and_b32_e32 v29, s20, v26
	v_ffbl_b32_e32 v28, v28
	v_add_u32_e32 v28, 32, v28
	v_ffbl_b32_e32 v29, v29
	v_min_u32_e32 v28, v29, v28
	v_cmp_lt_u32_e32 vcc, v64, v28
	s_waitcnt lgkmcnt(0)
	v_cndmask_b32_e32 v29, 0, v76, vcc
	v_add_u32_e32 v24, v29, v24
	ds_bpermute_b32 v29, v66, v24
	v_cmp_le_u32_e32 vcc, v67, v28
	v_subrev_u32_e32 v22, 64, v22
	s_mov_b64 s[20:21], 0
	s_waitcnt lgkmcnt(0)
	v_cndmask_b32_e32 v29, 0, v29, vcc
	v_add_u32_e32 v24, v24, v29
	ds_bpermute_b32 v29, v68, v24
	v_cmp_le_u32_e32 vcc, v69, v28
	s_waitcnt lgkmcnt(0)
	v_cndmask_b32_e32 v29, 0, v29, vcc
	v_add_u32_e32 v24, v24, v29
	ds_bpermute_b32 v29, v70, v24
	v_cmp_le_u32_e32 vcc, v71, v28
	;; [unrolled: 5-line block ×4, first 2 shown]
	s_waitcnt lgkmcnt(0)
	v_cndmask_b32_e32 v28, 0, v29, vcc
	v_add3_u32 v24, v28, v21, v24
.LBB689_79:                             ;   in Loop: Header=BB689_80 Depth=1
	s_and_b64 vcc, exec, s[20:21]
	s_cbranch_vccnz .LBB689_86
.LBB689_80:                             ; =>This Loop Header: Depth=1
                                        ;     Child Loop BB689_83 Depth 2
	v_cmp_ne_u16_sdwa s[20:21], v25, v63 src0_sel:BYTE_0 src1_sel:DWORD
	v_mov_b32_e32 v21, v24
	s_cmp_lg_u64 s[20:21], exec
	s_mov_b64 s[20:21], -1
                                        ; implicit-def: $vgpr24
                                        ; implicit-def: $vgpr25
	s_cbranch_scc1 .LBB689_79
; %bb.81:                               ;   in Loop: Header=BB689_80 Depth=1
	v_lshlrev_b64 v[24:25], 3, v[22:23]
	v_mov_b32_e32 v29, s41
	v_add_co_u32_e32 v28, vcc, s40, v24
	v_addc_co_u32_e32 v29, vcc, v29, v25, vcc
	global_load_dwordx2 v[24:25], v[28:29], off glc
	s_waitcnt vmcnt(0)
	v_cmp_eq_u16_sdwa s[22:23], v25, v23 src0_sel:BYTE_0 src1_sel:DWORD
	s_and_saveexec_b64 s[20:21], s[22:23]
	s_cbranch_execz .LBB689_78
; %bb.82:                               ;   in Loop: Header=BB689_80 Depth=1
	s_mov_b64 s[22:23], 0
.LBB689_83:                             ;   Parent Loop BB689_80 Depth=1
                                        ; =>  This Inner Loop Header: Depth=2
	global_load_dwordx2 v[24:25], v[28:29], off glc
	s_waitcnt vmcnt(0)
	v_cmp_ne_u16_sdwa s[24:25], v25, v23 src0_sel:BYTE_0 src1_sel:DWORD
	s_or_b64 s[22:23], s[24:25], s[22:23]
	s_andn2_b64 exec, exec, s[22:23]
	s_cbranch_execnz .LBB689_83
; %bb.84:                               ;   in Loop: Header=BB689_80 Depth=1
	s_or_b64 exec, exec, s[22:23]
	s_branch .LBB689_78
.LBB689_85:
                                        ; implicit-def: $vgpr21
                                        ; implicit-def: $vgpr22
	s_cbranch_execnz .LBB689_91
	s_branch .LBB689_100
.LBB689_86:
	s_and_saveexec_b64 s[20:21], s[16:17]
	s_cbranch_execz .LBB689_88
; %bb.87:
	s_add_i32 s22, s33, 64
	s_mov_b32 s23, 0
	s_lshl_b64 s[22:23], s[22:23], 3
	s_add_u32 s22, s40, s22
	v_add_u32_e32 v22, v21, v20
	v_mov_b32_e32 v23, 2
	s_addc_u32 s23, s41, s23
	v_mov_b32_e32 v24, 0
	global_store_dwordx2 v24, v[22:23], s[22:23]
	ds_write_b64 v24, v[20:21] offset:16896
.LBB689_88:
	s_or_b64 exec, exec, s[20:21]
	s_and_b64 exec, exec, s[0:1]
; %bb.89:
	v_mov_b32_e32 v20, 0
	ds_write_b32 v20, v21 offset:12
.LBB689_90:
	s_or_b64 exec, exec, s[18:19]
	v_mov_b32_e32 v20, 0
	s_waitcnt vmcnt(0) lgkmcnt(0)
	s_barrier
	ds_read_b32 v22, v20 offset:12
	s_waitcnt lgkmcnt(0)
	s_barrier
	ds_read_b64 v[20:21], v20 offset:16896
	v_cndmask_b32_e64 v23, v62, v61, s[16:17]
	v_cndmask_b32_e64 v23, v23, 0, s[0:1]
	v_add_u32_e32 v22, v22, v23
	s_branch .LBB689_100
.LBB689_91:
	s_waitcnt lgkmcnt(0)
	v_mov_b32_dpp v20, v60 row_shr:1 row_mask:0xf bank_mask:0xf
	v_cndmask_b32_e64 v20, v20, 0, s[14:15]
	v_add_u32_e32 v20, v20, v60
	s_nop 1
	v_mov_b32_dpp v21, v20 row_shr:2 row_mask:0xf bank_mask:0xf
	v_cndmask_b32_e64 v21, 0, v21, s[12:13]
	v_add_u32_e32 v20, v20, v21
	s_nop 1
	v_mov_b32_dpp v21, v20 row_shr:4 row_mask:0xf bank_mask:0xf
	v_cndmask_b32_e64 v21, 0, v21, s[10:11]
	v_add_u32_e32 v20, v20, v21
	s_nop 1
	v_mov_b32_dpp v21, v20 row_shr:8 row_mask:0xf bank_mask:0xf
	v_cndmask_b32_e64 v21, 0, v21, s[8:9]
	v_add_u32_e32 v20, v20, v21
	s_nop 1
	v_mov_b32_dpp v21, v20 row_bcast:15 row_mask:0xf bank_mask:0xf
	v_cndmask_b32_e64 v21, v21, 0, s[6:7]
	v_add_u32_e32 v20, v20, v21
	s_nop 1
	v_mov_b32_dpp v21, v20 row_bcast:31 row_mask:0xf bank_mask:0xf
	v_cndmask_b32_e64 v21, 0, v21, s[2:3]
	v_add_u32_e32 v20, v20, v21
	s_and_saveexec_b64 s[2:3], s[4:5]
; %bb.92:
	v_lshlrev_b32_e32 v21, 2, v59
	ds_write_b32 v21, v20
; %bb.93:
	s_or_b64 exec, exec, s[2:3]
	v_cmp_gt_u32_e32 vcc, 4, v0
	s_waitcnt lgkmcnt(0)
	s_barrier
	s_and_saveexec_b64 s[2:3], vcc
	s_cbranch_execz .LBB689_95
; %bb.94:
	v_lshlrev_b32_e32 v21, 2, v0
	ds_read_b32 v22, v21
	v_and_b32_e32 v23, 3, v58
	v_cmp_ne_u32_e32 vcc, 0, v23
	s_waitcnt lgkmcnt(0)
	v_mov_b32_dpp v24, v22 row_shr:1 row_mask:0xf bank_mask:0xf
	v_cndmask_b32_e32 v24, 0, v24, vcc
	v_add_u32_e32 v22, v24, v22
	v_cmp_lt_u32_e32 vcc, 1, v23
	s_nop 0
	v_mov_b32_dpp v24, v22 row_shr:2 row_mask:0xf bank_mask:0xf
	v_cndmask_b32_e32 v23, 0, v24, vcc
	v_add_u32_e32 v22, v22, v23
	ds_write_b32 v21, v22
.LBB689_95:
	s_or_b64 exec, exec, s[2:3]
	v_cmp_lt_u32_e32 vcc, 63, v0
	v_mov_b32_e32 v21, 0
	v_mov_b32_e32 v0, 0
	s_waitcnt lgkmcnt(0)
	s_barrier
	s_and_saveexec_b64 s[2:3], vcc
; %bb.96:
	v_lshl_add_u32 v0, v59, 2, -4
	ds_read_b32 v0, v0
; %bb.97:
	s_or_b64 exec, exec, s[2:3]
	v_subrev_co_u32_e32 v22, vcc, 1, v58
	v_and_b32_e32 v23, 64, v58
	v_cmp_lt_i32_e64 s[2:3], v22, v23
	v_cndmask_b32_e64 v22, v22, v58, s[2:3]
	s_waitcnt lgkmcnt(0)
	v_add_u32_e32 v20, v0, v20
	v_lshlrev_b32_e32 v22, 2, v22
	ds_bpermute_b32 v22, v22, v20
	ds_read_b32 v20, v21 offset:12
	s_and_saveexec_b64 s[2:3], s[0:1]
	s_cbranch_execz .LBB689_99
; %bb.98:
	v_mov_b32_e32 v23, 0
	v_mov_b32_e32 v21, 2
	s_waitcnt lgkmcnt(0)
	global_store_dwordx2 v23, v[20:21], s[40:41] offset:512
.LBB689_99:
	s_or_b64 exec, exec, s[2:3]
	s_waitcnt lgkmcnt(1)
	v_cndmask_b32_e32 v0, v22, v0, vcc
	v_cndmask_b32_e64 v22, v0, 0, s[0:1]
	s_waitcnt vmcnt(0) lgkmcnt(0)
	s_barrier
	v_mov_b32_e32 v21, 0
.LBB689_100:
	s_movk_i32 s2, 0x101
	s_waitcnt lgkmcnt(0)
	v_cmp_gt_u32_e32 vcc, s2, v20
	s_cbranch_vccz .LBB689_103
; %bb.101:
	s_and_b64 s[0:1], s[0:1], s[38:39]
	s_and_saveexec_b64 s[2:3], s[0:1]
	s_cbranch_execnz .LBB689_136
.LBB689_102:
	s_endpgm
.LBB689_103:
	v_and_b32_e32 v0, 1, v47
	v_cmp_eq_u32_e32 vcc, 1, v0
	s_and_saveexec_b64 s[2:3], vcc
; %bb.104:
	v_sub_u32_e32 v0, v22, v21
	v_lshlrev_b32_e32 v0, 2, v0
	ds_write_b32 v0, v15
; %bb.105:
	s_or_b64 exec, exec, s[2:3]
	v_and_b32_e32 v15, 1, v43
	v_add_u32_e32 v0, v22, v57
	v_cmp_eq_u32_e32 vcc, 1, v15
	s_and_saveexec_b64 s[2:3], vcc
; %bb.106:
	v_sub_u32_e32 v15, v0, v21
	v_lshlrev_b32_e32 v15, 2, v15
	ds_write_b32 v15, v16
; %bb.107:
	s_or_b64 exec, exec, s[2:3]
	v_and_b32_e32 v15, 1, v42
	v_add_u32_e32 v0, v0, v56
	;; [unrolled: 10-line block ×5, first 2 shown]
	v_cmp_eq_u32_e32 vcc, 1, v11
	s_and_saveexec_b64 s[2:3], vcc
; %bb.114:
	v_sub_u32_e32 v11, v0, v21
	v_lshlrev_b32_e32 v11, 2, v11
	ds_write_b32 v11, v12
; %bb.115:
	s_or_b64 exec, exec, s[2:3]
	v_and_b32_e32 v11, 1, v38
	v_add_u32_sdwa v0, v0, v39 dst_sel:DWORD dst_unused:UNUSED_PAD src0_sel:DWORD src1_sel:BYTE_0
	v_cmp_eq_u32_e32 vcc, 1, v11
	s_and_saveexec_b64 s[2:3], vcc
; %bb.116:
	v_sub_u32_e32 v11, v0, v21
	v_lshlrev_b32_e32 v11, 2, v11
	ds_write_b32 v11, v9
; %bb.117:
	s_or_b64 exec, exec, s[2:3]
	v_and_b32_e32 v9, 1, v37
	v_add_u32_sdwa v0, v0, v38 dst_sel:DWORD dst_unused:UNUSED_PAD src0_sel:DWORD src1_sel:BYTE_0
	v_cmp_eq_u32_e32 vcc, 1, v9
	s_and_saveexec_b64 s[2:3], vcc
; %bb.118:
	v_sub_u32_e32 v9, v0, v21
	v_lshlrev_b32_e32 v9, 2, v9
	ds_write_b32 v9, v10
; %bb.119:
	s_or_b64 exec, exec, s[2:3]
	v_and_b32_e32 v9, 1, v36
	v_add_u32_e32 v0, v0, v52
	v_cmp_eq_u32_e32 vcc, 1, v9
	s_and_saveexec_b64 s[2:3], vcc
; %bb.120:
	v_sub_u32_e32 v9, v0, v21
	v_lshlrev_b32_e32 v9, 2, v9
	ds_write_b32 v9, v7
; %bb.121:
	s_or_b64 exec, exec, s[2:3]
	v_and_b32_e32 v7, 1, v35
	v_add_u32_e32 v0, v0, v51
	;; [unrolled: 10-line block ×7, first 2 shown]
	v_cmp_eq_u32_e32 vcc, 1, v3
	s_and_saveexec_b64 s[2:3], vcc
; %bb.132:
	v_sub_u32_e32 v3, v0, v21
	v_lshlrev_b32_e32 v3, 2, v3
	ds_write_b32 v3, v1
; %bb.133:
	s_or_b64 exec, exec, s[2:3]
	v_and_b32_e32 v1, 1, v17
	v_cmp_eq_u32_e32 vcc, 1, v1
	s_and_saveexec_b64 s[2:3], vcc
; %bb.134:
	v_sub_u32_e32 v1, v44, v21
	v_lshlrev_b32_e32 v0, 2, v0
	v_lshl_add_u32 v0, v1, 2, v0
	ds_write_b32 v0, v2
; %bb.135:
	s_or_b64 exec, exec, s[2:3]
	s_waitcnt lgkmcnt(0)
	s_barrier
	s_and_b64 s[0:1], s[0:1], s[38:39]
	s_and_saveexec_b64 s[2:3], s[0:1]
	s_cbranch_execz .LBB689_102
.LBB689_136:
	v_add_co_u32_e32 v0, vcc, v18, v20
	v_addc_co_u32_e32 v1, vcc, 0, v19, vcc
	v_add_co_u32_e32 v0, vcc, v0, v21
	v_mov_b32_e32 v2, 0
	v_addc_co_u32_e32 v1, vcc, 0, v1, vcc
	global_store_dwordx2 v2, v[0:1], s[36:37]
	s_endpgm
	.section	.rodata,"a",@progbits
	.p2align	6, 0x0
	.amdhsa_kernel _ZN7rocprim17ROCPRIM_400000_NS6detail17trampoline_kernelINS0_14default_configENS1_25partition_config_selectorILNS1_17partition_subalgoE8EiNS0_10empty_typeEbEEZZNS1_14partition_implILS5_8ELb0ES3_jN6thrust23THRUST_200600_302600_NS6detail15normal_iteratorINSA_10device_ptrIiEEEEPS6_PKS6_NS0_5tupleIJNSA_16discard_iteratorINSA_11use_defaultEEES6_EEENSJ_IJSG_SG_EEENS0_18inequality_wrapperINSA_8equal_toIiEEEEPmJS6_EEE10hipError_tPvRmT3_T4_T5_T6_T7_T9_mT8_P12ihipStream_tbDpT10_ENKUlT_T0_E_clISt17integral_constantIbLb0EES1C_IbLb1EEEEDaS18_S19_EUlS18_E_NS1_11comp_targetILNS1_3genE2ELNS1_11target_archE906ELNS1_3gpuE6ELNS1_3repE0EEENS1_30default_config_static_selectorELNS0_4arch9wavefront6targetE1EEEvT1_
		.amdhsa_group_segment_fixed_size 16904
		.amdhsa_private_segment_fixed_size 0
		.amdhsa_kernarg_size 136
		.amdhsa_user_sgpr_count 6
		.amdhsa_user_sgpr_private_segment_buffer 1
		.amdhsa_user_sgpr_dispatch_ptr 0
		.amdhsa_user_sgpr_queue_ptr 0
		.amdhsa_user_sgpr_kernarg_segment_ptr 1
		.amdhsa_user_sgpr_dispatch_id 0
		.amdhsa_user_sgpr_flat_scratch_init 0
		.amdhsa_user_sgpr_private_segment_size 0
		.amdhsa_uses_dynamic_stack 0
		.amdhsa_system_sgpr_private_segment_wavefront_offset 0
		.amdhsa_system_sgpr_workgroup_id_x 1
		.amdhsa_system_sgpr_workgroup_id_y 0
		.amdhsa_system_sgpr_workgroup_id_z 0
		.amdhsa_system_sgpr_workgroup_info 0
		.amdhsa_system_vgpr_workitem_id 0
		.amdhsa_next_free_vgpr 77
		.amdhsa_next_free_sgpr 98
		.amdhsa_reserve_vcc 1
		.amdhsa_reserve_flat_scratch 0
		.amdhsa_float_round_mode_32 0
		.amdhsa_float_round_mode_16_64 0
		.amdhsa_float_denorm_mode_32 3
		.amdhsa_float_denorm_mode_16_64 3
		.amdhsa_dx10_clamp 1
		.amdhsa_ieee_mode 1
		.amdhsa_fp16_overflow 0
		.amdhsa_exception_fp_ieee_invalid_op 0
		.amdhsa_exception_fp_denorm_src 0
		.amdhsa_exception_fp_ieee_div_zero 0
		.amdhsa_exception_fp_ieee_overflow 0
		.amdhsa_exception_fp_ieee_underflow 0
		.amdhsa_exception_fp_ieee_inexact 0
		.amdhsa_exception_int_div_zero 0
	.end_amdhsa_kernel
	.section	.text._ZN7rocprim17ROCPRIM_400000_NS6detail17trampoline_kernelINS0_14default_configENS1_25partition_config_selectorILNS1_17partition_subalgoE8EiNS0_10empty_typeEbEEZZNS1_14partition_implILS5_8ELb0ES3_jN6thrust23THRUST_200600_302600_NS6detail15normal_iteratorINSA_10device_ptrIiEEEEPS6_PKS6_NS0_5tupleIJNSA_16discard_iteratorINSA_11use_defaultEEES6_EEENSJ_IJSG_SG_EEENS0_18inequality_wrapperINSA_8equal_toIiEEEEPmJS6_EEE10hipError_tPvRmT3_T4_T5_T6_T7_T9_mT8_P12ihipStream_tbDpT10_ENKUlT_T0_E_clISt17integral_constantIbLb0EES1C_IbLb1EEEEDaS18_S19_EUlS18_E_NS1_11comp_targetILNS1_3genE2ELNS1_11target_archE906ELNS1_3gpuE6ELNS1_3repE0EEENS1_30default_config_static_selectorELNS0_4arch9wavefront6targetE1EEEvT1_,"axG",@progbits,_ZN7rocprim17ROCPRIM_400000_NS6detail17trampoline_kernelINS0_14default_configENS1_25partition_config_selectorILNS1_17partition_subalgoE8EiNS0_10empty_typeEbEEZZNS1_14partition_implILS5_8ELb0ES3_jN6thrust23THRUST_200600_302600_NS6detail15normal_iteratorINSA_10device_ptrIiEEEEPS6_PKS6_NS0_5tupleIJNSA_16discard_iteratorINSA_11use_defaultEEES6_EEENSJ_IJSG_SG_EEENS0_18inequality_wrapperINSA_8equal_toIiEEEEPmJS6_EEE10hipError_tPvRmT3_T4_T5_T6_T7_T9_mT8_P12ihipStream_tbDpT10_ENKUlT_T0_E_clISt17integral_constantIbLb0EES1C_IbLb1EEEEDaS18_S19_EUlS18_E_NS1_11comp_targetILNS1_3genE2ELNS1_11target_archE906ELNS1_3gpuE6ELNS1_3repE0EEENS1_30default_config_static_selectorELNS0_4arch9wavefront6targetE1EEEvT1_,comdat
.Lfunc_end689:
	.size	_ZN7rocprim17ROCPRIM_400000_NS6detail17trampoline_kernelINS0_14default_configENS1_25partition_config_selectorILNS1_17partition_subalgoE8EiNS0_10empty_typeEbEEZZNS1_14partition_implILS5_8ELb0ES3_jN6thrust23THRUST_200600_302600_NS6detail15normal_iteratorINSA_10device_ptrIiEEEEPS6_PKS6_NS0_5tupleIJNSA_16discard_iteratorINSA_11use_defaultEEES6_EEENSJ_IJSG_SG_EEENS0_18inequality_wrapperINSA_8equal_toIiEEEEPmJS6_EEE10hipError_tPvRmT3_T4_T5_T6_T7_T9_mT8_P12ihipStream_tbDpT10_ENKUlT_T0_E_clISt17integral_constantIbLb0EES1C_IbLb1EEEEDaS18_S19_EUlS18_E_NS1_11comp_targetILNS1_3genE2ELNS1_11target_archE906ELNS1_3gpuE6ELNS1_3repE0EEENS1_30default_config_static_selectorELNS0_4arch9wavefront6targetE1EEEvT1_, .Lfunc_end689-_ZN7rocprim17ROCPRIM_400000_NS6detail17trampoline_kernelINS0_14default_configENS1_25partition_config_selectorILNS1_17partition_subalgoE8EiNS0_10empty_typeEbEEZZNS1_14partition_implILS5_8ELb0ES3_jN6thrust23THRUST_200600_302600_NS6detail15normal_iteratorINSA_10device_ptrIiEEEEPS6_PKS6_NS0_5tupleIJNSA_16discard_iteratorINSA_11use_defaultEEES6_EEENSJ_IJSG_SG_EEENS0_18inequality_wrapperINSA_8equal_toIiEEEEPmJS6_EEE10hipError_tPvRmT3_T4_T5_T6_T7_T9_mT8_P12ihipStream_tbDpT10_ENKUlT_T0_E_clISt17integral_constantIbLb0EES1C_IbLb1EEEEDaS18_S19_EUlS18_E_NS1_11comp_targetILNS1_3genE2ELNS1_11target_archE906ELNS1_3gpuE6ELNS1_3repE0EEENS1_30default_config_static_selectorELNS0_4arch9wavefront6targetE1EEEvT1_
                                        ; -- End function
	.set _ZN7rocprim17ROCPRIM_400000_NS6detail17trampoline_kernelINS0_14default_configENS1_25partition_config_selectorILNS1_17partition_subalgoE8EiNS0_10empty_typeEbEEZZNS1_14partition_implILS5_8ELb0ES3_jN6thrust23THRUST_200600_302600_NS6detail15normal_iteratorINSA_10device_ptrIiEEEEPS6_PKS6_NS0_5tupleIJNSA_16discard_iteratorINSA_11use_defaultEEES6_EEENSJ_IJSG_SG_EEENS0_18inequality_wrapperINSA_8equal_toIiEEEEPmJS6_EEE10hipError_tPvRmT3_T4_T5_T6_T7_T9_mT8_P12ihipStream_tbDpT10_ENKUlT_T0_E_clISt17integral_constantIbLb0EES1C_IbLb1EEEEDaS18_S19_EUlS18_E_NS1_11comp_targetILNS1_3genE2ELNS1_11target_archE906ELNS1_3gpuE6ELNS1_3repE0EEENS1_30default_config_static_selectorELNS0_4arch9wavefront6targetE1EEEvT1_.num_vgpr, 77
	.set _ZN7rocprim17ROCPRIM_400000_NS6detail17trampoline_kernelINS0_14default_configENS1_25partition_config_selectorILNS1_17partition_subalgoE8EiNS0_10empty_typeEbEEZZNS1_14partition_implILS5_8ELb0ES3_jN6thrust23THRUST_200600_302600_NS6detail15normal_iteratorINSA_10device_ptrIiEEEEPS6_PKS6_NS0_5tupleIJNSA_16discard_iteratorINSA_11use_defaultEEES6_EEENSJ_IJSG_SG_EEENS0_18inequality_wrapperINSA_8equal_toIiEEEEPmJS6_EEE10hipError_tPvRmT3_T4_T5_T6_T7_T9_mT8_P12ihipStream_tbDpT10_ENKUlT_T0_E_clISt17integral_constantIbLb0EES1C_IbLb1EEEEDaS18_S19_EUlS18_E_NS1_11comp_targetILNS1_3genE2ELNS1_11target_archE906ELNS1_3gpuE6ELNS1_3repE0EEENS1_30default_config_static_selectorELNS0_4arch9wavefront6targetE1EEEvT1_.num_agpr, 0
	.set _ZN7rocprim17ROCPRIM_400000_NS6detail17trampoline_kernelINS0_14default_configENS1_25partition_config_selectorILNS1_17partition_subalgoE8EiNS0_10empty_typeEbEEZZNS1_14partition_implILS5_8ELb0ES3_jN6thrust23THRUST_200600_302600_NS6detail15normal_iteratorINSA_10device_ptrIiEEEEPS6_PKS6_NS0_5tupleIJNSA_16discard_iteratorINSA_11use_defaultEEES6_EEENSJ_IJSG_SG_EEENS0_18inequality_wrapperINSA_8equal_toIiEEEEPmJS6_EEE10hipError_tPvRmT3_T4_T5_T6_T7_T9_mT8_P12ihipStream_tbDpT10_ENKUlT_T0_E_clISt17integral_constantIbLb0EES1C_IbLb1EEEEDaS18_S19_EUlS18_E_NS1_11comp_targetILNS1_3genE2ELNS1_11target_archE906ELNS1_3gpuE6ELNS1_3repE0EEENS1_30default_config_static_selectorELNS0_4arch9wavefront6targetE1EEEvT1_.numbered_sgpr, 53
	.set _ZN7rocprim17ROCPRIM_400000_NS6detail17trampoline_kernelINS0_14default_configENS1_25partition_config_selectorILNS1_17partition_subalgoE8EiNS0_10empty_typeEbEEZZNS1_14partition_implILS5_8ELb0ES3_jN6thrust23THRUST_200600_302600_NS6detail15normal_iteratorINSA_10device_ptrIiEEEEPS6_PKS6_NS0_5tupleIJNSA_16discard_iteratorINSA_11use_defaultEEES6_EEENSJ_IJSG_SG_EEENS0_18inequality_wrapperINSA_8equal_toIiEEEEPmJS6_EEE10hipError_tPvRmT3_T4_T5_T6_T7_T9_mT8_P12ihipStream_tbDpT10_ENKUlT_T0_E_clISt17integral_constantIbLb0EES1C_IbLb1EEEEDaS18_S19_EUlS18_E_NS1_11comp_targetILNS1_3genE2ELNS1_11target_archE906ELNS1_3gpuE6ELNS1_3repE0EEENS1_30default_config_static_selectorELNS0_4arch9wavefront6targetE1EEEvT1_.num_named_barrier, 0
	.set _ZN7rocprim17ROCPRIM_400000_NS6detail17trampoline_kernelINS0_14default_configENS1_25partition_config_selectorILNS1_17partition_subalgoE8EiNS0_10empty_typeEbEEZZNS1_14partition_implILS5_8ELb0ES3_jN6thrust23THRUST_200600_302600_NS6detail15normal_iteratorINSA_10device_ptrIiEEEEPS6_PKS6_NS0_5tupleIJNSA_16discard_iteratorINSA_11use_defaultEEES6_EEENSJ_IJSG_SG_EEENS0_18inequality_wrapperINSA_8equal_toIiEEEEPmJS6_EEE10hipError_tPvRmT3_T4_T5_T6_T7_T9_mT8_P12ihipStream_tbDpT10_ENKUlT_T0_E_clISt17integral_constantIbLb0EES1C_IbLb1EEEEDaS18_S19_EUlS18_E_NS1_11comp_targetILNS1_3genE2ELNS1_11target_archE906ELNS1_3gpuE6ELNS1_3repE0EEENS1_30default_config_static_selectorELNS0_4arch9wavefront6targetE1EEEvT1_.private_seg_size, 0
	.set _ZN7rocprim17ROCPRIM_400000_NS6detail17trampoline_kernelINS0_14default_configENS1_25partition_config_selectorILNS1_17partition_subalgoE8EiNS0_10empty_typeEbEEZZNS1_14partition_implILS5_8ELb0ES3_jN6thrust23THRUST_200600_302600_NS6detail15normal_iteratorINSA_10device_ptrIiEEEEPS6_PKS6_NS0_5tupleIJNSA_16discard_iteratorINSA_11use_defaultEEES6_EEENSJ_IJSG_SG_EEENS0_18inequality_wrapperINSA_8equal_toIiEEEEPmJS6_EEE10hipError_tPvRmT3_T4_T5_T6_T7_T9_mT8_P12ihipStream_tbDpT10_ENKUlT_T0_E_clISt17integral_constantIbLb0EES1C_IbLb1EEEEDaS18_S19_EUlS18_E_NS1_11comp_targetILNS1_3genE2ELNS1_11target_archE906ELNS1_3gpuE6ELNS1_3repE0EEENS1_30default_config_static_selectorELNS0_4arch9wavefront6targetE1EEEvT1_.uses_vcc, 1
	.set _ZN7rocprim17ROCPRIM_400000_NS6detail17trampoline_kernelINS0_14default_configENS1_25partition_config_selectorILNS1_17partition_subalgoE8EiNS0_10empty_typeEbEEZZNS1_14partition_implILS5_8ELb0ES3_jN6thrust23THRUST_200600_302600_NS6detail15normal_iteratorINSA_10device_ptrIiEEEEPS6_PKS6_NS0_5tupleIJNSA_16discard_iteratorINSA_11use_defaultEEES6_EEENSJ_IJSG_SG_EEENS0_18inequality_wrapperINSA_8equal_toIiEEEEPmJS6_EEE10hipError_tPvRmT3_T4_T5_T6_T7_T9_mT8_P12ihipStream_tbDpT10_ENKUlT_T0_E_clISt17integral_constantIbLb0EES1C_IbLb1EEEEDaS18_S19_EUlS18_E_NS1_11comp_targetILNS1_3genE2ELNS1_11target_archE906ELNS1_3gpuE6ELNS1_3repE0EEENS1_30default_config_static_selectorELNS0_4arch9wavefront6targetE1EEEvT1_.uses_flat_scratch, 0
	.set _ZN7rocprim17ROCPRIM_400000_NS6detail17trampoline_kernelINS0_14default_configENS1_25partition_config_selectorILNS1_17partition_subalgoE8EiNS0_10empty_typeEbEEZZNS1_14partition_implILS5_8ELb0ES3_jN6thrust23THRUST_200600_302600_NS6detail15normal_iteratorINSA_10device_ptrIiEEEEPS6_PKS6_NS0_5tupleIJNSA_16discard_iteratorINSA_11use_defaultEEES6_EEENSJ_IJSG_SG_EEENS0_18inequality_wrapperINSA_8equal_toIiEEEEPmJS6_EEE10hipError_tPvRmT3_T4_T5_T6_T7_T9_mT8_P12ihipStream_tbDpT10_ENKUlT_T0_E_clISt17integral_constantIbLb0EES1C_IbLb1EEEEDaS18_S19_EUlS18_E_NS1_11comp_targetILNS1_3genE2ELNS1_11target_archE906ELNS1_3gpuE6ELNS1_3repE0EEENS1_30default_config_static_selectorELNS0_4arch9wavefront6targetE1EEEvT1_.has_dyn_sized_stack, 0
	.set _ZN7rocprim17ROCPRIM_400000_NS6detail17trampoline_kernelINS0_14default_configENS1_25partition_config_selectorILNS1_17partition_subalgoE8EiNS0_10empty_typeEbEEZZNS1_14partition_implILS5_8ELb0ES3_jN6thrust23THRUST_200600_302600_NS6detail15normal_iteratorINSA_10device_ptrIiEEEEPS6_PKS6_NS0_5tupleIJNSA_16discard_iteratorINSA_11use_defaultEEES6_EEENSJ_IJSG_SG_EEENS0_18inequality_wrapperINSA_8equal_toIiEEEEPmJS6_EEE10hipError_tPvRmT3_T4_T5_T6_T7_T9_mT8_P12ihipStream_tbDpT10_ENKUlT_T0_E_clISt17integral_constantIbLb0EES1C_IbLb1EEEEDaS18_S19_EUlS18_E_NS1_11comp_targetILNS1_3genE2ELNS1_11target_archE906ELNS1_3gpuE6ELNS1_3repE0EEENS1_30default_config_static_selectorELNS0_4arch9wavefront6targetE1EEEvT1_.has_recursion, 0
	.set _ZN7rocprim17ROCPRIM_400000_NS6detail17trampoline_kernelINS0_14default_configENS1_25partition_config_selectorILNS1_17partition_subalgoE8EiNS0_10empty_typeEbEEZZNS1_14partition_implILS5_8ELb0ES3_jN6thrust23THRUST_200600_302600_NS6detail15normal_iteratorINSA_10device_ptrIiEEEEPS6_PKS6_NS0_5tupleIJNSA_16discard_iteratorINSA_11use_defaultEEES6_EEENSJ_IJSG_SG_EEENS0_18inequality_wrapperINSA_8equal_toIiEEEEPmJS6_EEE10hipError_tPvRmT3_T4_T5_T6_T7_T9_mT8_P12ihipStream_tbDpT10_ENKUlT_T0_E_clISt17integral_constantIbLb0EES1C_IbLb1EEEEDaS18_S19_EUlS18_E_NS1_11comp_targetILNS1_3genE2ELNS1_11target_archE906ELNS1_3gpuE6ELNS1_3repE0EEENS1_30default_config_static_selectorELNS0_4arch9wavefront6targetE1EEEvT1_.has_indirect_call, 0
	.section	.AMDGPU.csdata,"",@progbits
; Kernel info:
; codeLenInByte = 6872
; TotalNumSgprs: 57
; NumVgprs: 77
; ScratchSize: 0
; MemoryBound: 0
; FloatMode: 240
; IeeeMode: 1
; LDSByteSize: 16904 bytes/workgroup (compile time only)
; SGPRBlocks: 12
; VGPRBlocks: 19
; NumSGPRsForWavesPerEU: 102
; NumVGPRsForWavesPerEU: 77
; Occupancy: 3
; WaveLimiterHint : 1
; COMPUTE_PGM_RSRC2:SCRATCH_EN: 0
; COMPUTE_PGM_RSRC2:USER_SGPR: 6
; COMPUTE_PGM_RSRC2:TRAP_HANDLER: 0
; COMPUTE_PGM_RSRC2:TGID_X_EN: 1
; COMPUTE_PGM_RSRC2:TGID_Y_EN: 0
; COMPUTE_PGM_RSRC2:TGID_Z_EN: 0
; COMPUTE_PGM_RSRC2:TIDIG_COMP_CNT: 0
	.section	.text._ZN7rocprim17ROCPRIM_400000_NS6detail17trampoline_kernelINS0_14default_configENS1_25partition_config_selectorILNS1_17partition_subalgoE8EiNS0_10empty_typeEbEEZZNS1_14partition_implILS5_8ELb0ES3_jN6thrust23THRUST_200600_302600_NS6detail15normal_iteratorINSA_10device_ptrIiEEEEPS6_PKS6_NS0_5tupleIJNSA_16discard_iteratorINSA_11use_defaultEEES6_EEENSJ_IJSG_SG_EEENS0_18inequality_wrapperINSA_8equal_toIiEEEEPmJS6_EEE10hipError_tPvRmT3_T4_T5_T6_T7_T9_mT8_P12ihipStream_tbDpT10_ENKUlT_T0_E_clISt17integral_constantIbLb0EES1C_IbLb1EEEEDaS18_S19_EUlS18_E_NS1_11comp_targetILNS1_3genE10ELNS1_11target_archE1200ELNS1_3gpuE4ELNS1_3repE0EEENS1_30default_config_static_selectorELNS0_4arch9wavefront6targetE1EEEvT1_,"axG",@progbits,_ZN7rocprim17ROCPRIM_400000_NS6detail17trampoline_kernelINS0_14default_configENS1_25partition_config_selectorILNS1_17partition_subalgoE8EiNS0_10empty_typeEbEEZZNS1_14partition_implILS5_8ELb0ES3_jN6thrust23THRUST_200600_302600_NS6detail15normal_iteratorINSA_10device_ptrIiEEEEPS6_PKS6_NS0_5tupleIJNSA_16discard_iteratorINSA_11use_defaultEEES6_EEENSJ_IJSG_SG_EEENS0_18inequality_wrapperINSA_8equal_toIiEEEEPmJS6_EEE10hipError_tPvRmT3_T4_T5_T6_T7_T9_mT8_P12ihipStream_tbDpT10_ENKUlT_T0_E_clISt17integral_constantIbLb0EES1C_IbLb1EEEEDaS18_S19_EUlS18_E_NS1_11comp_targetILNS1_3genE10ELNS1_11target_archE1200ELNS1_3gpuE4ELNS1_3repE0EEENS1_30default_config_static_selectorELNS0_4arch9wavefront6targetE1EEEvT1_,comdat
	.protected	_ZN7rocprim17ROCPRIM_400000_NS6detail17trampoline_kernelINS0_14default_configENS1_25partition_config_selectorILNS1_17partition_subalgoE8EiNS0_10empty_typeEbEEZZNS1_14partition_implILS5_8ELb0ES3_jN6thrust23THRUST_200600_302600_NS6detail15normal_iteratorINSA_10device_ptrIiEEEEPS6_PKS6_NS0_5tupleIJNSA_16discard_iteratorINSA_11use_defaultEEES6_EEENSJ_IJSG_SG_EEENS0_18inequality_wrapperINSA_8equal_toIiEEEEPmJS6_EEE10hipError_tPvRmT3_T4_T5_T6_T7_T9_mT8_P12ihipStream_tbDpT10_ENKUlT_T0_E_clISt17integral_constantIbLb0EES1C_IbLb1EEEEDaS18_S19_EUlS18_E_NS1_11comp_targetILNS1_3genE10ELNS1_11target_archE1200ELNS1_3gpuE4ELNS1_3repE0EEENS1_30default_config_static_selectorELNS0_4arch9wavefront6targetE1EEEvT1_ ; -- Begin function _ZN7rocprim17ROCPRIM_400000_NS6detail17trampoline_kernelINS0_14default_configENS1_25partition_config_selectorILNS1_17partition_subalgoE8EiNS0_10empty_typeEbEEZZNS1_14partition_implILS5_8ELb0ES3_jN6thrust23THRUST_200600_302600_NS6detail15normal_iteratorINSA_10device_ptrIiEEEEPS6_PKS6_NS0_5tupleIJNSA_16discard_iteratorINSA_11use_defaultEEES6_EEENSJ_IJSG_SG_EEENS0_18inequality_wrapperINSA_8equal_toIiEEEEPmJS6_EEE10hipError_tPvRmT3_T4_T5_T6_T7_T9_mT8_P12ihipStream_tbDpT10_ENKUlT_T0_E_clISt17integral_constantIbLb0EES1C_IbLb1EEEEDaS18_S19_EUlS18_E_NS1_11comp_targetILNS1_3genE10ELNS1_11target_archE1200ELNS1_3gpuE4ELNS1_3repE0EEENS1_30default_config_static_selectorELNS0_4arch9wavefront6targetE1EEEvT1_
	.globl	_ZN7rocprim17ROCPRIM_400000_NS6detail17trampoline_kernelINS0_14default_configENS1_25partition_config_selectorILNS1_17partition_subalgoE8EiNS0_10empty_typeEbEEZZNS1_14partition_implILS5_8ELb0ES3_jN6thrust23THRUST_200600_302600_NS6detail15normal_iteratorINSA_10device_ptrIiEEEEPS6_PKS6_NS0_5tupleIJNSA_16discard_iteratorINSA_11use_defaultEEES6_EEENSJ_IJSG_SG_EEENS0_18inequality_wrapperINSA_8equal_toIiEEEEPmJS6_EEE10hipError_tPvRmT3_T4_T5_T6_T7_T9_mT8_P12ihipStream_tbDpT10_ENKUlT_T0_E_clISt17integral_constantIbLb0EES1C_IbLb1EEEEDaS18_S19_EUlS18_E_NS1_11comp_targetILNS1_3genE10ELNS1_11target_archE1200ELNS1_3gpuE4ELNS1_3repE0EEENS1_30default_config_static_selectorELNS0_4arch9wavefront6targetE1EEEvT1_
	.p2align	8
	.type	_ZN7rocprim17ROCPRIM_400000_NS6detail17trampoline_kernelINS0_14default_configENS1_25partition_config_selectorILNS1_17partition_subalgoE8EiNS0_10empty_typeEbEEZZNS1_14partition_implILS5_8ELb0ES3_jN6thrust23THRUST_200600_302600_NS6detail15normal_iteratorINSA_10device_ptrIiEEEEPS6_PKS6_NS0_5tupleIJNSA_16discard_iteratorINSA_11use_defaultEEES6_EEENSJ_IJSG_SG_EEENS0_18inequality_wrapperINSA_8equal_toIiEEEEPmJS6_EEE10hipError_tPvRmT3_T4_T5_T6_T7_T9_mT8_P12ihipStream_tbDpT10_ENKUlT_T0_E_clISt17integral_constantIbLb0EES1C_IbLb1EEEEDaS18_S19_EUlS18_E_NS1_11comp_targetILNS1_3genE10ELNS1_11target_archE1200ELNS1_3gpuE4ELNS1_3repE0EEENS1_30default_config_static_selectorELNS0_4arch9wavefront6targetE1EEEvT1_,@function
_ZN7rocprim17ROCPRIM_400000_NS6detail17trampoline_kernelINS0_14default_configENS1_25partition_config_selectorILNS1_17partition_subalgoE8EiNS0_10empty_typeEbEEZZNS1_14partition_implILS5_8ELb0ES3_jN6thrust23THRUST_200600_302600_NS6detail15normal_iteratorINSA_10device_ptrIiEEEEPS6_PKS6_NS0_5tupleIJNSA_16discard_iteratorINSA_11use_defaultEEES6_EEENSJ_IJSG_SG_EEENS0_18inequality_wrapperINSA_8equal_toIiEEEEPmJS6_EEE10hipError_tPvRmT3_T4_T5_T6_T7_T9_mT8_P12ihipStream_tbDpT10_ENKUlT_T0_E_clISt17integral_constantIbLb0EES1C_IbLb1EEEEDaS18_S19_EUlS18_E_NS1_11comp_targetILNS1_3genE10ELNS1_11target_archE1200ELNS1_3gpuE4ELNS1_3repE0EEENS1_30default_config_static_selectorELNS0_4arch9wavefront6targetE1EEEvT1_: ; @_ZN7rocprim17ROCPRIM_400000_NS6detail17trampoline_kernelINS0_14default_configENS1_25partition_config_selectorILNS1_17partition_subalgoE8EiNS0_10empty_typeEbEEZZNS1_14partition_implILS5_8ELb0ES3_jN6thrust23THRUST_200600_302600_NS6detail15normal_iteratorINSA_10device_ptrIiEEEEPS6_PKS6_NS0_5tupleIJNSA_16discard_iteratorINSA_11use_defaultEEES6_EEENSJ_IJSG_SG_EEENS0_18inequality_wrapperINSA_8equal_toIiEEEEPmJS6_EEE10hipError_tPvRmT3_T4_T5_T6_T7_T9_mT8_P12ihipStream_tbDpT10_ENKUlT_T0_E_clISt17integral_constantIbLb0EES1C_IbLb1EEEEDaS18_S19_EUlS18_E_NS1_11comp_targetILNS1_3genE10ELNS1_11target_archE1200ELNS1_3gpuE4ELNS1_3repE0EEENS1_30default_config_static_selectorELNS0_4arch9wavefront6targetE1EEEvT1_
; %bb.0:
	.section	.rodata,"a",@progbits
	.p2align	6, 0x0
	.amdhsa_kernel _ZN7rocprim17ROCPRIM_400000_NS6detail17trampoline_kernelINS0_14default_configENS1_25partition_config_selectorILNS1_17partition_subalgoE8EiNS0_10empty_typeEbEEZZNS1_14partition_implILS5_8ELb0ES3_jN6thrust23THRUST_200600_302600_NS6detail15normal_iteratorINSA_10device_ptrIiEEEEPS6_PKS6_NS0_5tupleIJNSA_16discard_iteratorINSA_11use_defaultEEES6_EEENSJ_IJSG_SG_EEENS0_18inequality_wrapperINSA_8equal_toIiEEEEPmJS6_EEE10hipError_tPvRmT3_T4_T5_T6_T7_T9_mT8_P12ihipStream_tbDpT10_ENKUlT_T0_E_clISt17integral_constantIbLb0EES1C_IbLb1EEEEDaS18_S19_EUlS18_E_NS1_11comp_targetILNS1_3genE10ELNS1_11target_archE1200ELNS1_3gpuE4ELNS1_3repE0EEENS1_30default_config_static_selectorELNS0_4arch9wavefront6targetE1EEEvT1_
		.amdhsa_group_segment_fixed_size 0
		.amdhsa_private_segment_fixed_size 0
		.amdhsa_kernarg_size 136
		.amdhsa_user_sgpr_count 6
		.amdhsa_user_sgpr_private_segment_buffer 1
		.amdhsa_user_sgpr_dispatch_ptr 0
		.amdhsa_user_sgpr_queue_ptr 0
		.amdhsa_user_sgpr_kernarg_segment_ptr 1
		.amdhsa_user_sgpr_dispatch_id 0
		.amdhsa_user_sgpr_flat_scratch_init 0
		.amdhsa_user_sgpr_private_segment_size 0
		.amdhsa_uses_dynamic_stack 0
		.amdhsa_system_sgpr_private_segment_wavefront_offset 0
		.amdhsa_system_sgpr_workgroup_id_x 1
		.amdhsa_system_sgpr_workgroup_id_y 0
		.amdhsa_system_sgpr_workgroup_id_z 0
		.amdhsa_system_sgpr_workgroup_info 0
		.amdhsa_system_vgpr_workitem_id 0
		.amdhsa_next_free_vgpr 1
		.amdhsa_next_free_sgpr 0
		.amdhsa_reserve_vcc 0
		.amdhsa_reserve_flat_scratch 0
		.amdhsa_float_round_mode_32 0
		.amdhsa_float_round_mode_16_64 0
		.amdhsa_float_denorm_mode_32 3
		.amdhsa_float_denorm_mode_16_64 3
		.amdhsa_dx10_clamp 1
		.amdhsa_ieee_mode 1
		.amdhsa_fp16_overflow 0
		.amdhsa_exception_fp_ieee_invalid_op 0
		.amdhsa_exception_fp_denorm_src 0
		.amdhsa_exception_fp_ieee_div_zero 0
		.amdhsa_exception_fp_ieee_overflow 0
		.amdhsa_exception_fp_ieee_underflow 0
		.amdhsa_exception_fp_ieee_inexact 0
		.amdhsa_exception_int_div_zero 0
	.end_amdhsa_kernel
	.section	.text._ZN7rocprim17ROCPRIM_400000_NS6detail17trampoline_kernelINS0_14default_configENS1_25partition_config_selectorILNS1_17partition_subalgoE8EiNS0_10empty_typeEbEEZZNS1_14partition_implILS5_8ELb0ES3_jN6thrust23THRUST_200600_302600_NS6detail15normal_iteratorINSA_10device_ptrIiEEEEPS6_PKS6_NS0_5tupleIJNSA_16discard_iteratorINSA_11use_defaultEEES6_EEENSJ_IJSG_SG_EEENS0_18inequality_wrapperINSA_8equal_toIiEEEEPmJS6_EEE10hipError_tPvRmT3_T4_T5_T6_T7_T9_mT8_P12ihipStream_tbDpT10_ENKUlT_T0_E_clISt17integral_constantIbLb0EES1C_IbLb1EEEEDaS18_S19_EUlS18_E_NS1_11comp_targetILNS1_3genE10ELNS1_11target_archE1200ELNS1_3gpuE4ELNS1_3repE0EEENS1_30default_config_static_selectorELNS0_4arch9wavefront6targetE1EEEvT1_,"axG",@progbits,_ZN7rocprim17ROCPRIM_400000_NS6detail17trampoline_kernelINS0_14default_configENS1_25partition_config_selectorILNS1_17partition_subalgoE8EiNS0_10empty_typeEbEEZZNS1_14partition_implILS5_8ELb0ES3_jN6thrust23THRUST_200600_302600_NS6detail15normal_iteratorINSA_10device_ptrIiEEEEPS6_PKS6_NS0_5tupleIJNSA_16discard_iteratorINSA_11use_defaultEEES6_EEENSJ_IJSG_SG_EEENS0_18inequality_wrapperINSA_8equal_toIiEEEEPmJS6_EEE10hipError_tPvRmT3_T4_T5_T6_T7_T9_mT8_P12ihipStream_tbDpT10_ENKUlT_T0_E_clISt17integral_constantIbLb0EES1C_IbLb1EEEEDaS18_S19_EUlS18_E_NS1_11comp_targetILNS1_3genE10ELNS1_11target_archE1200ELNS1_3gpuE4ELNS1_3repE0EEENS1_30default_config_static_selectorELNS0_4arch9wavefront6targetE1EEEvT1_,comdat
.Lfunc_end690:
	.size	_ZN7rocprim17ROCPRIM_400000_NS6detail17trampoline_kernelINS0_14default_configENS1_25partition_config_selectorILNS1_17partition_subalgoE8EiNS0_10empty_typeEbEEZZNS1_14partition_implILS5_8ELb0ES3_jN6thrust23THRUST_200600_302600_NS6detail15normal_iteratorINSA_10device_ptrIiEEEEPS6_PKS6_NS0_5tupleIJNSA_16discard_iteratorINSA_11use_defaultEEES6_EEENSJ_IJSG_SG_EEENS0_18inequality_wrapperINSA_8equal_toIiEEEEPmJS6_EEE10hipError_tPvRmT3_T4_T5_T6_T7_T9_mT8_P12ihipStream_tbDpT10_ENKUlT_T0_E_clISt17integral_constantIbLb0EES1C_IbLb1EEEEDaS18_S19_EUlS18_E_NS1_11comp_targetILNS1_3genE10ELNS1_11target_archE1200ELNS1_3gpuE4ELNS1_3repE0EEENS1_30default_config_static_selectorELNS0_4arch9wavefront6targetE1EEEvT1_, .Lfunc_end690-_ZN7rocprim17ROCPRIM_400000_NS6detail17trampoline_kernelINS0_14default_configENS1_25partition_config_selectorILNS1_17partition_subalgoE8EiNS0_10empty_typeEbEEZZNS1_14partition_implILS5_8ELb0ES3_jN6thrust23THRUST_200600_302600_NS6detail15normal_iteratorINSA_10device_ptrIiEEEEPS6_PKS6_NS0_5tupleIJNSA_16discard_iteratorINSA_11use_defaultEEES6_EEENSJ_IJSG_SG_EEENS0_18inequality_wrapperINSA_8equal_toIiEEEEPmJS6_EEE10hipError_tPvRmT3_T4_T5_T6_T7_T9_mT8_P12ihipStream_tbDpT10_ENKUlT_T0_E_clISt17integral_constantIbLb0EES1C_IbLb1EEEEDaS18_S19_EUlS18_E_NS1_11comp_targetILNS1_3genE10ELNS1_11target_archE1200ELNS1_3gpuE4ELNS1_3repE0EEENS1_30default_config_static_selectorELNS0_4arch9wavefront6targetE1EEEvT1_
                                        ; -- End function
	.set _ZN7rocprim17ROCPRIM_400000_NS6detail17trampoline_kernelINS0_14default_configENS1_25partition_config_selectorILNS1_17partition_subalgoE8EiNS0_10empty_typeEbEEZZNS1_14partition_implILS5_8ELb0ES3_jN6thrust23THRUST_200600_302600_NS6detail15normal_iteratorINSA_10device_ptrIiEEEEPS6_PKS6_NS0_5tupleIJNSA_16discard_iteratorINSA_11use_defaultEEES6_EEENSJ_IJSG_SG_EEENS0_18inequality_wrapperINSA_8equal_toIiEEEEPmJS6_EEE10hipError_tPvRmT3_T4_T5_T6_T7_T9_mT8_P12ihipStream_tbDpT10_ENKUlT_T0_E_clISt17integral_constantIbLb0EES1C_IbLb1EEEEDaS18_S19_EUlS18_E_NS1_11comp_targetILNS1_3genE10ELNS1_11target_archE1200ELNS1_3gpuE4ELNS1_3repE0EEENS1_30default_config_static_selectorELNS0_4arch9wavefront6targetE1EEEvT1_.num_vgpr, 0
	.set _ZN7rocprim17ROCPRIM_400000_NS6detail17trampoline_kernelINS0_14default_configENS1_25partition_config_selectorILNS1_17partition_subalgoE8EiNS0_10empty_typeEbEEZZNS1_14partition_implILS5_8ELb0ES3_jN6thrust23THRUST_200600_302600_NS6detail15normal_iteratorINSA_10device_ptrIiEEEEPS6_PKS6_NS0_5tupleIJNSA_16discard_iteratorINSA_11use_defaultEEES6_EEENSJ_IJSG_SG_EEENS0_18inequality_wrapperINSA_8equal_toIiEEEEPmJS6_EEE10hipError_tPvRmT3_T4_T5_T6_T7_T9_mT8_P12ihipStream_tbDpT10_ENKUlT_T0_E_clISt17integral_constantIbLb0EES1C_IbLb1EEEEDaS18_S19_EUlS18_E_NS1_11comp_targetILNS1_3genE10ELNS1_11target_archE1200ELNS1_3gpuE4ELNS1_3repE0EEENS1_30default_config_static_selectorELNS0_4arch9wavefront6targetE1EEEvT1_.num_agpr, 0
	.set _ZN7rocprim17ROCPRIM_400000_NS6detail17trampoline_kernelINS0_14default_configENS1_25partition_config_selectorILNS1_17partition_subalgoE8EiNS0_10empty_typeEbEEZZNS1_14partition_implILS5_8ELb0ES3_jN6thrust23THRUST_200600_302600_NS6detail15normal_iteratorINSA_10device_ptrIiEEEEPS6_PKS6_NS0_5tupleIJNSA_16discard_iteratorINSA_11use_defaultEEES6_EEENSJ_IJSG_SG_EEENS0_18inequality_wrapperINSA_8equal_toIiEEEEPmJS6_EEE10hipError_tPvRmT3_T4_T5_T6_T7_T9_mT8_P12ihipStream_tbDpT10_ENKUlT_T0_E_clISt17integral_constantIbLb0EES1C_IbLb1EEEEDaS18_S19_EUlS18_E_NS1_11comp_targetILNS1_3genE10ELNS1_11target_archE1200ELNS1_3gpuE4ELNS1_3repE0EEENS1_30default_config_static_selectorELNS0_4arch9wavefront6targetE1EEEvT1_.numbered_sgpr, 0
	.set _ZN7rocprim17ROCPRIM_400000_NS6detail17trampoline_kernelINS0_14default_configENS1_25partition_config_selectorILNS1_17partition_subalgoE8EiNS0_10empty_typeEbEEZZNS1_14partition_implILS5_8ELb0ES3_jN6thrust23THRUST_200600_302600_NS6detail15normal_iteratorINSA_10device_ptrIiEEEEPS6_PKS6_NS0_5tupleIJNSA_16discard_iteratorINSA_11use_defaultEEES6_EEENSJ_IJSG_SG_EEENS0_18inequality_wrapperINSA_8equal_toIiEEEEPmJS6_EEE10hipError_tPvRmT3_T4_T5_T6_T7_T9_mT8_P12ihipStream_tbDpT10_ENKUlT_T0_E_clISt17integral_constantIbLb0EES1C_IbLb1EEEEDaS18_S19_EUlS18_E_NS1_11comp_targetILNS1_3genE10ELNS1_11target_archE1200ELNS1_3gpuE4ELNS1_3repE0EEENS1_30default_config_static_selectorELNS0_4arch9wavefront6targetE1EEEvT1_.num_named_barrier, 0
	.set _ZN7rocprim17ROCPRIM_400000_NS6detail17trampoline_kernelINS0_14default_configENS1_25partition_config_selectorILNS1_17partition_subalgoE8EiNS0_10empty_typeEbEEZZNS1_14partition_implILS5_8ELb0ES3_jN6thrust23THRUST_200600_302600_NS6detail15normal_iteratorINSA_10device_ptrIiEEEEPS6_PKS6_NS0_5tupleIJNSA_16discard_iteratorINSA_11use_defaultEEES6_EEENSJ_IJSG_SG_EEENS0_18inequality_wrapperINSA_8equal_toIiEEEEPmJS6_EEE10hipError_tPvRmT3_T4_T5_T6_T7_T9_mT8_P12ihipStream_tbDpT10_ENKUlT_T0_E_clISt17integral_constantIbLb0EES1C_IbLb1EEEEDaS18_S19_EUlS18_E_NS1_11comp_targetILNS1_3genE10ELNS1_11target_archE1200ELNS1_3gpuE4ELNS1_3repE0EEENS1_30default_config_static_selectorELNS0_4arch9wavefront6targetE1EEEvT1_.private_seg_size, 0
	.set _ZN7rocprim17ROCPRIM_400000_NS6detail17trampoline_kernelINS0_14default_configENS1_25partition_config_selectorILNS1_17partition_subalgoE8EiNS0_10empty_typeEbEEZZNS1_14partition_implILS5_8ELb0ES3_jN6thrust23THRUST_200600_302600_NS6detail15normal_iteratorINSA_10device_ptrIiEEEEPS6_PKS6_NS0_5tupleIJNSA_16discard_iteratorINSA_11use_defaultEEES6_EEENSJ_IJSG_SG_EEENS0_18inequality_wrapperINSA_8equal_toIiEEEEPmJS6_EEE10hipError_tPvRmT3_T4_T5_T6_T7_T9_mT8_P12ihipStream_tbDpT10_ENKUlT_T0_E_clISt17integral_constantIbLb0EES1C_IbLb1EEEEDaS18_S19_EUlS18_E_NS1_11comp_targetILNS1_3genE10ELNS1_11target_archE1200ELNS1_3gpuE4ELNS1_3repE0EEENS1_30default_config_static_selectorELNS0_4arch9wavefront6targetE1EEEvT1_.uses_vcc, 0
	.set _ZN7rocprim17ROCPRIM_400000_NS6detail17trampoline_kernelINS0_14default_configENS1_25partition_config_selectorILNS1_17partition_subalgoE8EiNS0_10empty_typeEbEEZZNS1_14partition_implILS5_8ELb0ES3_jN6thrust23THRUST_200600_302600_NS6detail15normal_iteratorINSA_10device_ptrIiEEEEPS6_PKS6_NS0_5tupleIJNSA_16discard_iteratorINSA_11use_defaultEEES6_EEENSJ_IJSG_SG_EEENS0_18inequality_wrapperINSA_8equal_toIiEEEEPmJS6_EEE10hipError_tPvRmT3_T4_T5_T6_T7_T9_mT8_P12ihipStream_tbDpT10_ENKUlT_T0_E_clISt17integral_constantIbLb0EES1C_IbLb1EEEEDaS18_S19_EUlS18_E_NS1_11comp_targetILNS1_3genE10ELNS1_11target_archE1200ELNS1_3gpuE4ELNS1_3repE0EEENS1_30default_config_static_selectorELNS0_4arch9wavefront6targetE1EEEvT1_.uses_flat_scratch, 0
	.set _ZN7rocprim17ROCPRIM_400000_NS6detail17trampoline_kernelINS0_14default_configENS1_25partition_config_selectorILNS1_17partition_subalgoE8EiNS0_10empty_typeEbEEZZNS1_14partition_implILS5_8ELb0ES3_jN6thrust23THRUST_200600_302600_NS6detail15normal_iteratorINSA_10device_ptrIiEEEEPS6_PKS6_NS0_5tupleIJNSA_16discard_iteratorINSA_11use_defaultEEES6_EEENSJ_IJSG_SG_EEENS0_18inequality_wrapperINSA_8equal_toIiEEEEPmJS6_EEE10hipError_tPvRmT3_T4_T5_T6_T7_T9_mT8_P12ihipStream_tbDpT10_ENKUlT_T0_E_clISt17integral_constantIbLb0EES1C_IbLb1EEEEDaS18_S19_EUlS18_E_NS1_11comp_targetILNS1_3genE10ELNS1_11target_archE1200ELNS1_3gpuE4ELNS1_3repE0EEENS1_30default_config_static_selectorELNS0_4arch9wavefront6targetE1EEEvT1_.has_dyn_sized_stack, 0
	.set _ZN7rocprim17ROCPRIM_400000_NS6detail17trampoline_kernelINS0_14default_configENS1_25partition_config_selectorILNS1_17partition_subalgoE8EiNS0_10empty_typeEbEEZZNS1_14partition_implILS5_8ELb0ES3_jN6thrust23THRUST_200600_302600_NS6detail15normal_iteratorINSA_10device_ptrIiEEEEPS6_PKS6_NS0_5tupleIJNSA_16discard_iteratorINSA_11use_defaultEEES6_EEENSJ_IJSG_SG_EEENS0_18inequality_wrapperINSA_8equal_toIiEEEEPmJS6_EEE10hipError_tPvRmT3_T4_T5_T6_T7_T9_mT8_P12ihipStream_tbDpT10_ENKUlT_T0_E_clISt17integral_constantIbLb0EES1C_IbLb1EEEEDaS18_S19_EUlS18_E_NS1_11comp_targetILNS1_3genE10ELNS1_11target_archE1200ELNS1_3gpuE4ELNS1_3repE0EEENS1_30default_config_static_selectorELNS0_4arch9wavefront6targetE1EEEvT1_.has_recursion, 0
	.set _ZN7rocprim17ROCPRIM_400000_NS6detail17trampoline_kernelINS0_14default_configENS1_25partition_config_selectorILNS1_17partition_subalgoE8EiNS0_10empty_typeEbEEZZNS1_14partition_implILS5_8ELb0ES3_jN6thrust23THRUST_200600_302600_NS6detail15normal_iteratorINSA_10device_ptrIiEEEEPS6_PKS6_NS0_5tupleIJNSA_16discard_iteratorINSA_11use_defaultEEES6_EEENSJ_IJSG_SG_EEENS0_18inequality_wrapperINSA_8equal_toIiEEEEPmJS6_EEE10hipError_tPvRmT3_T4_T5_T6_T7_T9_mT8_P12ihipStream_tbDpT10_ENKUlT_T0_E_clISt17integral_constantIbLb0EES1C_IbLb1EEEEDaS18_S19_EUlS18_E_NS1_11comp_targetILNS1_3genE10ELNS1_11target_archE1200ELNS1_3gpuE4ELNS1_3repE0EEENS1_30default_config_static_selectorELNS0_4arch9wavefront6targetE1EEEvT1_.has_indirect_call, 0
	.section	.AMDGPU.csdata,"",@progbits
; Kernel info:
; codeLenInByte = 0
; TotalNumSgprs: 4
; NumVgprs: 0
; ScratchSize: 0
; MemoryBound: 0
; FloatMode: 240
; IeeeMode: 1
; LDSByteSize: 0 bytes/workgroup (compile time only)
; SGPRBlocks: 0
; VGPRBlocks: 0
; NumSGPRsForWavesPerEU: 4
; NumVGPRsForWavesPerEU: 1
; Occupancy: 10
; WaveLimiterHint : 0
; COMPUTE_PGM_RSRC2:SCRATCH_EN: 0
; COMPUTE_PGM_RSRC2:USER_SGPR: 6
; COMPUTE_PGM_RSRC2:TRAP_HANDLER: 0
; COMPUTE_PGM_RSRC2:TGID_X_EN: 1
; COMPUTE_PGM_RSRC2:TGID_Y_EN: 0
; COMPUTE_PGM_RSRC2:TGID_Z_EN: 0
; COMPUTE_PGM_RSRC2:TIDIG_COMP_CNT: 0
	.section	.text._ZN7rocprim17ROCPRIM_400000_NS6detail17trampoline_kernelINS0_14default_configENS1_25partition_config_selectorILNS1_17partition_subalgoE8EiNS0_10empty_typeEbEEZZNS1_14partition_implILS5_8ELb0ES3_jN6thrust23THRUST_200600_302600_NS6detail15normal_iteratorINSA_10device_ptrIiEEEEPS6_PKS6_NS0_5tupleIJNSA_16discard_iteratorINSA_11use_defaultEEES6_EEENSJ_IJSG_SG_EEENS0_18inequality_wrapperINSA_8equal_toIiEEEEPmJS6_EEE10hipError_tPvRmT3_T4_T5_T6_T7_T9_mT8_P12ihipStream_tbDpT10_ENKUlT_T0_E_clISt17integral_constantIbLb0EES1C_IbLb1EEEEDaS18_S19_EUlS18_E_NS1_11comp_targetILNS1_3genE9ELNS1_11target_archE1100ELNS1_3gpuE3ELNS1_3repE0EEENS1_30default_config_static_selectorELNS0_4arch9wavefront6targetE1EEEvT1_,"axG",@progbits,_ZN7rocprim17ROCPRIM_400000_NS6detail17trampoline_kernelINS0_14default_configENS1_25partition_config_selectorILNS1_17partition_subalgoE8EiNS0_10empty_typeEbEEZZNS1_14partition_implILS5_8ELb0ES3_jN6thrust23THRUST_200600_302600_NS6detail15normal_iteratorINSA_10device_ptrIiEEEEPS6_PKS6_NS0_5tupleIJNSA_16discard_iteratorINSA_11use_defaultEEES6_EEENSJ_IJSG_SG_EEENS0_18inequality_wrapperINSA_8equal_toIiEEEEPmJS6_EEE10hipError_tPvRmT3_T4_T5_T6_T7_T9_mT8_P12ihipStream_tbDpT10_ENKUlT_T0_E_clISt17integral_constantIbLb0EES1C_IbLb1EEEEDaS18_S19_EUlS18_E_NS1_11comp_targetILNS1_3genE9ELNS1_11target_archE1100ELNS1_3gpuE3ELNS1_3repE0EEENS1_30default_config_static_selectorELNS0_4arch9wavefront6targetE1EEEvT1_,comdat
	.protected	_ZN7rocprim17ROCPRIM_400000_NS6detail17trampoline_kernelINS0_14default_configENS1_25partition_config_selectorILNS1_17partition_subalgoE8EiNS0_10empty_typeEbEEZZNS1_14partition_implILS5_8ELb0ES3_jN6thrust23THRUST_200600_302600_NS6detail15normal_iteratorINSA_10device_ptrIiEEEEPS6_PKS6_NS0_5tupleIJNSA_16discard_iteratorINSA_11use_defaultEEES6_EEENSJ_IJSG_SG_EEENS0_18inequality_wrapperINSA_8equal_toIiEEEEPmJS6_EEE10hipError_tPvRmT3_T4_T5_T6_T7_T9_mT8_P12ihipStream_tbDpT10_ENKUlT_T0_E_clISt17integral_constantIbLb0EES1C_IbLb1EEEEDaS18_S19_EUlS18_E_NS1_11comp_targetILNS1_3genE9ELNS1_11target_archE1100ELNS1_3gpuE3ELNS1_3repE0EEENS1_30default_config_static_selectorELNS0_4arch9wavefront6targetE1EEEvT1_ ; -- Begin function _ZN7rocprim17ROCPRIM_400000_NS6detail17trampoline_kernelINS0_14default_configENS1_25partition_config_selectorILNS1_17partition_subalgoE8EiNS0_10empty_typeEbEEZZNS1_14partition_implILS5_8ELb0ES3_jN6thrust23THRUST_200600_302600_NS6detail15normal_iteratorINSA_10device_ptrIiEEEEPS6_PKS6_NS0_5tupleIJNSA_16discard_iteratorINSA_11use_defaultEEES6_EEENSJ_IJSG_SG_EEENS0_18inequality_wrapperINSA_8equal_toIiEEEEPmJS6_EEE10hipError_tPvRmT3_T4_T5_T6_T7_T9_mT8_P12ihipStream_tbDpT10_ENKUlT_T0_E_clISt17integral_constantIbLb0EES1C_IbLb1EEEEDaS18_S19_EUlS18_E_NS1_11comp_targetILNS1_3genE9ELNS1_11target_archE1100ELNS1_3gpuE3ELNS1_3repE0EEENS1_30default_config_static_selectorELNS0_4arch9wavefront6targetE1EEEvT1_
	.globl	_ZN7rocprim17ROCPRIM_400000_NS6detail17trampoline_kernelINS0_14default_configENS1_25partition_config_selectorILNS1_17partition_subalgoE8EiNS0_10empty_typeEbEEZZNS1_14partition_implILS5_8ELb0ES3_jN6thrust23THRUST_200600_302600_NS6detail15normal_iteratorINSA_10device_ptrIiEEEEPS6_PKS6_NS0_5tupleIJNSA_16discard_iteratorINSA_11use_defaultEEES6_EEENSJ_IJSG_SG_EEENS0_18inequality_wrapperINSA_8equal_toIiEEEEPmJS6_EEE10hipError_tPvRmT3_T4_T5_T6_T7_T9_mT8_P12ihipStream_tbDpT10_ENKUlT_T0_E_clISt17integral_constantIbLb0EES1C_IbLb1EEEEDaS18_S19_EUlS18_E_NS1_11comp_targetILNS1_3genE9ELNS1_11target_archE1100ELNS1_3gpuE3ELNS1_3repE0EEENS1_30default_config_static_selectorELNS0_4arch9wavefront6targetE1EEEvT1_
	.p2align	8
	.type	_ZN7rocprim17ROCPRIM_400000_NS6detail17trampoline_kernelINS0_14default_configENS1_25partition_config_selectorILNS1_17partition_subalgoE8EiNS0_10empty_typeEbEEZZNS1_14partition_implILS5_8ELb0ES3_jN6thrust23THRUST_200600_302600_NS6detail15normal_iteratorINSA_10device_ptrIiEEEEPS6_PKS6_NS0_5tupleIJNSA_16discard_iteratorINSA_11use_defaultEEES6_EEENSJ_IJSG_SG_EEENS0_18inequality_wrapperINSA_8equal_toIiEEEEPmJS6_EEE10hipError_tPvRmT3_T4_T5_T6_T7_T9_mT8_P12ihipStream_tbDpT10_ENKUlT_T0_E_clISt17integral_constantIbLb0EES1C_IbLb1EEEEDaS18_S19_EUlS18_E_NS1_11comp_targetILNS1_3genE9ELNS1_11target_archE1100ELNS1_3gpuE3ELNS1_3repE0EEENS1_30default_config_static_selectorELNS0_4arch9wavefront6targetE1EEEvT1_,@function
_ZN7rocprim17ROCPRIM_400000_NS6detail17trampoline_kernelINS0_14default_configENS1_25partition_config_selectorILNS1_17partition_subalgoE8EiNS0_10empty_typeEbEEZZNS1_14partition_implILS5_8ELb0ES3_jN6thrust23THRUST_200600_302600_NS6detail15normal_iteratorINSA_10device_ptrIiEEEEPS6_PKS6_NS0_5tupleIJNSA_16discard_iteratorINSA_11use_defaultEEES6_EEENSJ_IJSG_SG_EEENS0_18inequality_wrapperINSA_8equal_toIiEEEEPmJS6_EEE10hipError_tPvRmT3_T4_T5_T6_T7_T9_mT8_P12ihipStream_tbDpT10_ENKUlT_T0_E_clISt17integral_constantIbLb0EES1C_IbLb1EEEEDaS18_S19_EUlS18_E_NS1_11comp_targetILNS1_3genE9ELNS1_11target_archE1100ELNS1_3gpuE3ELNS1_3repE0EEENS1_30default_config_static_selectorELNS0_4arch9wavefront6targetE1EEEvT1_: ; @_ZN7rocprim17ROCPRIM_400000_NS6detail17trampoline_kernelINS0_14default_configENS1_25partition_config_selectorILNS1_17partition_subalgoE8EiNS0_10empty_typeEbEEZZNS1_14partition_implILS5_8ELb0ES3_jN6thrust23THRUST_200600_302600_NS6detail15normal_iteratorINSA_10device_ptrIiEEEEPS6_PKS6_NS0_5tupleIJNSA_16discard_iteratorINSA_11use_defaultEEES6_EEENSJ_IJSG_SG_EEENS0_18inequality_wrapperINSA_8equal_toIiEEEEPmJS6_EEE10hipError_tPvRmT3_T4_T5_T6_T7_T9_mT8_P12ihipStream_tbDpT10_ENKUlT_T0_E_clISt17integral_constantIbLb0EES1C_IbLb1EEEEDaS18_S19_EUlS18_E_NS1_11comp_targetILNS1_3genE9ELNS1_11target_archE1100ELNS1_3gpuE3ELNS1_3repE0EEENS1_30default_config_static_selectorELNS0_4arch9wavefront6targetE1EEEvT1_
; %bb.0:
	.section	.rodata,"a",@progbits
	.p2align	6, 0x0
	.amdhsa_kernel _ZN7rocprim17ROCPRIM_400000_NS6detail17trampoline_kernelINS0_14default_configENS1_25partition_config_selectorILNS1_17partition_subalgoE8EiNS0_10empty_typeEbEEZZNS1_14partition_implILS5_8ELb0ES3_jN6thrust23THRUST_200600_302600_NS6detail15normal_iteratorINSA_10device_ptrIiEEEEPS6_PKS6_NS0_5tupleIJNSA_16discard_iteratorINSA_11use_defaultEEES6_EEENSJ_IJSG_SG_EEENS0_18inequality_wrapperINSA_8equal_toIiEEEEPmJS6_EEE10hipError_tPvRmT3_T4_T5_T6_T7_T9_mT8_P12ihipStream_tbDpT10_ENKUlT_T0_E_clISt17integral_constantIbLb0EES1C_IbLb1EEEEDaS18_S19_EUlS18_E_NS1_11comp_targetILNS1_3genE9ELNS1_11target_archE1100ELNS1_3gpuE3ELNS1_3repE0EEENS1_30default_config_static_selectorELNS0_4arch9wavefront6targetE1EEEvT1_
		.amdhsa_group_segment_fixed_size 0
		.amdhsa_private_segment_fixed_size 0
		.amdhsa_kernarg_size 136
		.amdhsa_user_sgpr_count 6
		.amdhsa_user_sgpr_private_segment_buffer 1
		.amdhsa_user_sgpr_dispatch_ptr 0
		.amdhsa_user_sgpr_queue_ptr 0
		.amdhsa_user_sgpr_kernarg_segment_ptr 1
		.amdhsa_user_sgpr_dispatch_id 0
		.amdhsa_user_sgpr_flat_scratch_init 0
		.amdhsa_user_sgpr_private_segment_size 0
		.amdhsa_uses_dynamic_stack 0
		.amdhsa_system_sgpr_private_segment_wavefront_offset 0
		.amdhsa_system_sgpr_workgroup_id_x 1
		.amdhsa_system_sgpr_workgroup_id_y 0
		.amdhsa_system_sgpr_workgroup_id_z 0
		.amdhsa_system_sgpr_workgroup_info 0
		.amdhsa_system_vgpr_workitem_id 0
		.amdhsa_next_free_vgpr 1
		.amdhsa_next_free_sgpr 0
		.amdhsa_reserve_vcc 0
		.amdhsa_reserve_flat_scratch 0
		.amdhsa_float_round_mode_32 0
		.amdhsa_float_round_mode_16_64 0
		.amdhsa_float_denorm_mode_32 3
		.amdhsa_float_denorm_mode_16_64 3
		.amdhsa_dx10_clamp 1
		.amdhsa_ieee_mode 1
		.amdhsa_fp16_overflow 0
		.amdhsa_exception_fp_ieee_invalid_op 0
		.amdhsa_exception_fp_denorm_src 0
		.amdhsa_exception_fp_ieee_div_zero 0
		.amdhsa_exception_fp_ieee_overflow 0
		.amdhsa_exception_fp_ieee_underflow 0
		.amdhsa_exception_fp_ieee_inexact 0
		.amdhsa_exception_int_div_zero 0
	.end_amdhsa_kernel
	.section	.text._ZN7rocprim17ROCPRIM_400000_NS6detail17trampoline_kernelINS0_14default_configENS1_25partition_config_selectorILNS1_17partition_subalgoE8EiNS0_10empty_typeEbEEZZNS1_14partition_implILS5_8ELb0ES3_jN6thrust23THRUST_200600_302600_NS6detail15normal_iteratorINSA_10device_ptrIiEEEEPS6_PKS6_NS0_5tupleIJNSA_16discard_iteratorINSA_11use_defaultEEES6_EEENSJ_IJSG_SG_EEENS0_18inequality_wrapperINSA_8equal_toIiEEEEPmJS6_EEE10hipError_tPvRmT3_T4_T5_T6_T7_T9_mT8_P12ihipStream_tbDpT10_ENKUlT_T0_E_clISt17integral_constantIbLb0EES1C_IbLb1EEEEDaS18_S19_EUlS18_E_NS1_11comp_targetILNS1_3genE9ELNS1_11target_archE1100ELNS1_3gpuE3ELNS1_3repE0EEENS1_30default_config_static_selectorELNS0_4arch9wavefront6targetE1EEEvT1_,"axG",@progbits,_ZN7rocprim17ROCPRIM_400000_NS6detail17trampoline_kernelINS0_14default_configENS1_25partition_config_selectorILNS1_17partition_subalgoE8EiNS0_10empty_typeEbEEZZNS1_14partition_implILS5_8ELb0ES3_jN6thrust23THRUST_200600_302600_NS6detail15normal_iteratorINSA_10device_ptrIiEEEEPS6_PKS6_NS0_5tupleIJNSA_16discard_iteratorINSA_11use_defaultEEES6_EEENSJ_IJSG_SG_EEENS0_18inequality_wrapperINSA_8equal_toIiEEEEPmJS6_EEE10hipError_tPvRmT3_T4_T5_T6_T7_T9_mT8_P12ihipStream_tbDpT10_ENKUlT_T0_E_clISt17integral_constantIbLb0EES1C_IbLb1EEEEDaS18_S19_EUlS18_E_NS1_11comp_targetILNS1_3genE9ELNS1_11target_archE1100ELNS1_3gpuE3ELNS1_3repE0EEENS1_30default_config_static_selectorELNS0_4arch9wavefront6targetE1EEEvT1_,comdat
.Lfunc_end691:
	.size	_ZN7rocprim17ROCPRIM_400000_NS6detail17trampoline_kernelINS0_14default_configENS1_25partition_config_selectorILNS1_17partition_subalgoE8EiNS0_10empty_typeEbEEZZNS1_14partition_implILS5_8ELb0ES3_jN6thrust23THRUST_200600_302600_NS6detail15normal_iteratorINSA_10device_ptrIiEEEEPS6_PKS6_NS0_5tupleIJNSA_16discard_iteratorINSA_11use_defaultEEES6_EEENSJ_IJSG_SG_EEENS0_18inequality_wrapperINSA_8equal_toIiEEEEPmJS6_EEE10hipError_tPvRmT3_T4_T5_T6_T7_T9_mT8_P12ihipStream_tbDpT10_ENKUlT_T0_E_clISt17integral_constantIbLb0EES1C_IbLb1EEEEDaS18_S19_EUlS18_E_NS1_11comp_targetILNS1_3genE9ELNS1_11target_archE1100ELNS1_3gpuE3ELNS1_3repE0EEENS1_30default_config_static_selectorELNS0_4arch9wavefront6targetE1EEEvT1_, .Lfunc_end691-_ZN7rocprim17ROCPRIM_400000_NS6detail17trampoline_kernelINS0_14default_configENS1_25partition_config_selectorILNS1_17partition_subalgoE8EiNS0_10empty_typeEbEEZZNS1_14partition_implILS5_8ELb0ES3_jN6thrust23THRUST_200600_302600_NS6detail15normal_iteratorINSA_10device_ptrIiEEEEPS6_PKS6_NS0_5tupleIJNSA_16discard_iteratorINSA_11use_defaultEEES6_EEENSJ_IJSG_SG_EEENS0_18inequality_wrapperINSA_8equal_toIiEEEEPmJS6_EEE10hipError_tPvRmT3_T4_T5_T6_T7_T9_mT8_P12ihipStream_tbDpT10_ENKUlT_T0_E_clISt17integral_constantIbLb0EES1C_IbLb1EEEEDaS18_S19_EUlS18_E_NS1_11comp_targetILNS1_3genE9ELNS1_11target_archE1100ELNS1_3gpuE3ELNS1_3repE0EEENS1_30default_config_static_selectorELNS0_4arch9wavefront6targetE1EEEvT1_
                                        ; -- End function
	.set _ZN7rocprim17ROCPRIM_400000_NS6detail17trampoline_kernelINS0_14default_configENS1_25partition_config_selectorILNS1_17partition_subalgoE8EiNS0_10empty_typeEbEEZZNS1_14partition_implILS5_8ELb0ES3_jN6thrust23THRUST_200600_302600_NS6detail15normal_iteratorINSA_10device_ptrIiEEEEPS6_PKS6_NS0_5tupleIJNSA_16discard_iteratorINSA_11use_defaultEEES6_EEENSJ_IJSG_SG_EEENS0_18inequality_wrapperINSA_8equal_toIiEEEEPmJS6_EEE10hipError_tPvRmT3_T4_T5_T6_T7_T9_mT8_P12ihipStream_tbDpT10_ENKUlT_T0_E_clISt17integral_constantIbLb0EES1C_IbLb1EEEEDaS18_S19_EUlS18_E_NS1_11comp_targetILNS1_3genE9ELNS1_11target_archE1100ELNS1_3gpuE3ELNS1_3repE0EEENS1_30default_config_static_selectorELNS0_4arch9wavefront6targetE1EEEvT1_.num_vgpr, 0
	.set _ZN7rocprim17ROCPRIM_400000_NS6detail17trampoline_kernelINS0_14default_configENS1_25partition_config_selectorILNS1_17partition_subalgoE8EiNS0_10empty_typeEbEEZZNS1_14partition_implILS5_8ELb0ES3_jN6thrust23THRUST_200600_302600_NS6detail15normal_iteratorINSA_10device_ptrIiEEEEPS6_PKS6_NS0_5tupleIJNSA_16discard_iteratorINSA_11use_defaultEEES6_EEENSJ_IJSG_SG_EEENS0_18inequality_wrapperINSA_8equal_toIiEEEEPmJS6_EEE10hipError_tPvRmT3_T4_T5_T6_T7_T9_mT8_P12ihipStream_tbDpT10_ENKUlT_T0_E_clISt17integral_constantIbLb0EES1C_IbLb1EEEEDaS18_S19_EUlS18_E_NS1_11comp_targetILNS1_3genE9ELNS1_11target_archE1100ELNS1_3gpuE3ELNS1_3repE0EEENS1_30default_config_static_selectorELNS0_4arch9wavefront6targetE1EEEvT1_.num_agpr, 0
	.set _ZN7rocprim17ROCPRIM_400000_NS6detail17trampoline_kernelINS0_14default_configENS1_25partition_config_selectorILNS1_17partition_subalgoE8EiNS0_10empty_typeEbEEZZNS1_14partition_implILS5_8ELb0ES3_jN6thrust23THRUST_200600_302600_NS6detail15normal_iteratorINSA_10device_ptrIiEEEEPS6_PKS6_NS0_5tupleIJNSA_16discard_iteratorINSA_11use_defaultEEES6_EEENSJ_IJSG_SG_EEENS0_18inequality_wrapperINSA_8equal_toIiEEEEPmJS6_EEE10hipError_tPvRmT3_T4_T5_T6_T7_T9_mT8_P12ihipStream_tbDpT10_ENKUlT_T0_E_clISt17integral_constantIbLb0EES1C_IbLb1EEEEDaS18_S19_EUlS18_E_NS1_11comp_targetILNS1_3genE9ELNS1_11target_archE1100ELNS1_3gpuE3ELNS1_3repE0EEENS1_30default_config_static_selectorELNS0_4arch9wavefront6targetE1EEEvT1_.numbered_sgpr, 0
	.set _ZN7rocprim17ROCPRIM_400000_NS6detail17trampoline_kernelINS0_14default_configENS1_25partition_config_selectorILNS1_17partition_subalgoE8EiNS0_10empty_typeEbEEZZNS1_14partition_implILS5_8ELb0ES3_jN6thrust23THRUST_200600_302600_NS6detail15normal_iteratorINSA_10device_ptrIiEEEEPS6_PKS6_NS0_5tupleIJNSA_16discard_iteratorINSA_11use_defaultEEES6_EEENSJ_IJSG_SG_EEENS0_18inequality_wrapperINSA_8equal_toIiEEEEPmJS6_EEE10hipError_tPvRmT3_T4_T5_T6_T7_T9_mT8_P12ihipStream_tbDpT10_ENKUlT_T0_E_clISt17integral_constantIbLb0EES1C_IbLb1EEEEDaS18_S19_EUlS18_E_NS1_11comp_targetILNS1_3genE9ELNS1_11target_archE1100ELNS1_3gpuE3ELNS1_3repE0EEENS1_30default_config_static_selectorELNS0_4arch9wavefront6targetE1EEEvT1_.num_named_barrier, 0
	.set _ZN7rocprim17ROCPRIM_400000_NS6detail17trampoline_kernelINS0_14default_configENS1_25partition_config_selectorILNS1_17partition_subalgoE8EiNS0_10empty_typeEbEEZZNS1_14partition_implILS5_8ELb0ES3_jN6thrust23THRUST_200600_302600_NS6detail15normal_iteratorINSA_10device_ptrIiEEEEPS6_PKS6_NS0_5tupleIJNSA_16discard_iteratorINSA_11use_defaultEEES6_EEENSJ_IJSG_SG_EEENS0_18inequality_wrapperINSA_8equal_toIiEEEEPmJS6_EEE10hipError_tPvRmT3_T4_T5_T6_T7_T9_mT8_P12ihipStream_tbDpT10_ENKUlT_T0_E_clISt17integral_constantIbLb0EES1C_IbLb1EEEEDaS18_S19_EUlS18_E_NS1_11comp_targetILNS1_3genE9ELNS1_11target_archE1100ELNS1_3gpuE3ELNS1_3repE0EEENS1_30default_config_static_selectorELNS0_4arch9wavefront6targetE1EEEvT1_.private_seg_size, 0
	.set _ZN7rocprim17ROCPRIM_400000_NS6detail17trampoline_kernelINS0_14default_configENS1_25partition_config_selectorILNS1_17partition_subalgoE8EiNS0_10empty_typeEbEEZZNS1_14partition_implILS5_8ELb0ES3_jN6thrust23THRUST_200600_302600_NS6detail15normal_iteratorINSA_10device_ptrIiEEEEPS6_PKS6_NS0_5tupleIJNSA_16discard_iteratorINSA_11use_defaultEEES6_EEENSJ_IJSG_SG_EEENS0_18inequality_wrapperINSA_8equal_toIiEEEEPmJS6_EEE10hipError_tPvRmT3_T4_T5_T6_T7_T9_mT8_P12ihipStream_tbDpT10_ENKUlT_T0_E_clISt17integral_constantIbLb0EES1C_IbLb1EEEEDaS18_S19_EUlS18_E_NS1_11comp_targetILNS1_3genE9ELNS1_11target_archE1100ELNS1_3gpuE3ELNS1_3repE0EEENS1_30default_config_static_selectorELNS0_4arch9wavefront6targetE1EEEvT1_.uses_vcc, 0
	.set _ZN7rocprim17ROCPRIM_400000_NS6detail17trampoline_kernelINS0_14default_configENS1_25partition_config_selectorILNS1_17partition_subalgoE8EiNS0_10empty_typeEbEEZZNS1_14partition_implILS5_8ELb0ES3_jN6thrust23THRUST_200600_302600_NS6detail15normal_iteratorINSA_10device_ptrIiEEEEPS6_PKS6_NS0_5tupleIJNSA_16discard_iteratorINSA_11use_defaultEEES6_EEENSJ_IJSG_SG_EEENS0_18inequality_wrapperINSA_8equal_toIiEEEEPmJS6_EEE10hipError_tPvRmT3_T4_T5_T6_T7_T9_mT8_P12ihipStream_tbDpT10_ENKUlT_T0_E_clISt17integral_constantIbLb0EES1C_IbLb1EEEEDaS18_S19_EUlS18_E_NS1_11comp_targetILNS1_3genE9ELNS1_11target_archE1100ELNS1_3gpuE3ELNS1_3repE0EEENS1_30default_config_static_selectorELNS0_4arch9wavefront6targetE1EEEvT1_.uses_flat_scratch, 0
	.set _ZN7rocprim17ROCPRIM_400000_NS6detail17trampoline_kernelINS0_14default_configENS1_25partition_config_selectorILNS1_17partition_subalgoE8EiNS0_10empty_typeEbEEZZNS1_14partition_implILS5_8ELb0ES3_jN6thrust23THRUST_200600_302600_NS6detail15normal_iteratorINSA_10device_ptrIiEEEEPS6_PKS6_NS0_5tupleIJNSA_16discard_iteratorINSA_11use_defaultEEES6_EEENSJ_IJSG_SG_EEENS0_18inequality_wrapperINSA_8equal_toIiEEEEPmJS6_EEE10hipError_tPvRmT3_T4_T5_T6_T7_T9_mT8_P12ihipStream_tbDpT10_ENKUlT_T0_E_clISt17integral_constantIbLb0EES1C_IbLb1EEEEDaS18_S19_EUlS18_E_NS1_11comp_targetILNS1_3genE9ELNS1_11target_archE1100ELNS1_3gpuE3ELNS1_3repE0EEENS1_30default_config_static_selectorELNS0_4arch9wavefront6targetE1EEEvT1_.has_dyn_sized_stack, 0
	.set _ZN7rocprim17ROCPRIM_400000_NS6detail17trampoline_kernelINS0_14default_configENS1_25partition_config_selectorILNS1_17partition_subalgoE8EiNS0_10empty_typeEbEEZZNS1_14partition_implILS5_8ELb0ES3_jN6thrust23THRUST_200600_302600_NS6detail15normal_iteratorINSA_10device_ptrIiEEEEPS6_PKS6_NS0_5tupleIJNSA_16discard_iteratorINSA_11use_defaultEEES6_EEENSJ_IJSG_SG_EEENS0_18inequality_wrapperINSA_8equal_toIiEEEEPmJS6_EEE10hipError_tPvRmT3_T4_T5_T6_T7_T9_mT8_P12ihipStream_tbDpT10_ENKUlT_T0_E_clISt17integral_constantIbLb0EES1C_IbLb1EEEEDaS18_S19_EUlS18_E_NS1_11comp_targetILNS1_3genE9ELNS1_11target_archE1100ELNS1_3gpuE3ELNS1_3repE0EEENS1_30default_config_static_selectorELNS0_4arch9wavefront6targetE1EEEvT1_.has_recursion, 0
	.set _ZN7rocprim17ROCPRIM_400000_NS6detail17trampoline_kernelINS0_14default_configENS1_25partition_config_selectorILNS1_17partition_subalgoE8EiNS0_10empty_typeEbEEZZNS1_14partition_implILS5_8ELb0ES3_jN6thrust23THRUST_200600_302600_NS6detail15normal_iteratorINSA_10device_ptrIiEEEEPS6_PKS6_NS0_5tupleIJNSA_16discard_iteratorINSA_11use_defaultEEES6_EEENSJ_IJSG_SG_EEENS0_18inequality_wrapperINSA_8equal_toIiEEEEPmJS6_EEE10hipError_tPvRmT3_T4_T5_T6_T7_T9_mT8_P12ihipStream_tbDpT10_ENKUlT_T0_E_clISt17integral_constantIbLb0EES1C_IbLb1EEEEDaS18_S19_EUlS18_E_NS1_11comp_targetILNS1_3genE9ELNS1_11target_archE1100ELNS1_3gpuE3ELNS1_3repE0EEENS1_30default_config_static_selectorELNS0_4arch9wavefront6targetE1EEEvT1_.has_indirect_call, 0
	.section	.AMDGPU.csdata,"",@progbits
; Kernel info:
; codeLenInByte = 0
; TotalNumSgprs: 4
; NumVgprs: 0
; ScratchSize: 0
; MemoryBound: 0
; FloatMode: 240
; IeeeMode: 1
; LDSByteSize: 0 bytes/workgroup (compile time only)
; SGPRBlocks: 0
; VGPRBlocks: 0
; NumSGPRsForWavesPerEU: 4
; NumVGPRsForWavesPerEU: 1
; Occupancy: 10
; WaveLimiterHint : 0
; COMPUTE_PGM_RSRC2:SCRATCH_EN: 0
; COMPUTE_PGM_RSRC2:USER_SGPR: 6
; COMPUTE_PGM_RSRC2:TRAP_HANDLER: 0
; COMPUTE_PGM_RSRC2:TGID_X_EN: 1
; COMPUTE_PGM_RSRC2:TGID_Y_EN: 0
; COMPUTE_PGM_RSRC2:TGID_Z_EN: 0
; COMPUTE_PGM_RSRC2:TIDIG_COMP_CNT: 0
	.section	.text._ZN7rocprim17ROCPRIM_400000_NS6detail17trampoline_kernelINS0_14default_configENS1_25partition_config_selectorILNS1_17partition_subalgoE8EiNS0_10empty_typeEbEEZZNS1_14partition_implILS5_8ELb0ES3_jN6thrust23THRUST_200600_302600_NS6detail15normal_iteratorINSA_10device_ptrIiEEEEPS6_PKS6_NS0_5tupleIJNSA_16discard_iteratorINSA_11use_defaultEEES6_EEENSJ_IJSG_SG_EEENS0_18inequality_wrapperINSA_8equal_toIiEEEEPmJS6_EEE10hipError_tPvRmT3_T4_T5_T6_T7_T9_mT8_P12ihipStream_tbDpT10_ENKUlT_T0_E_clISt17integral_constantIbLb0EES1C_IbLb1EEEEDaS18_S19_EUlS18_E_NS1_11comp_targetILNS1_3genE8ELNS1_11target_archE1030ELNS1_3gpuE2ELNS1_3repE0EEENS1_30default_config_static_selectorELNS0_4arch9wavefront6targetE1EEEvT1_,"axG",@progbits,_ZN7rocprim17ROCPRIM_400000_NS6detail17trampoline_kernelINS0_14default_configENS1_25partition_config_selectorILNS1_17partition_subalgoE8EiNS0_10empty_typeEbEEZZNS1_14partition_implILS5_8ELb0ES3_jN6thrust23THRUST_200600_302600_NS6detail15normal_iteratorINSA_10device_ptrIiEEEEPS6_PKS6_NS0_5tupleIJNSA_16discard_iteratorINSA_11use_defaultEEES6_EEENSJ_IJSG_SG_EEENS0_18inequality_wrapperINSA_8equal_toIiEEEEPmJS6_EEE10hipError_tPvRmT3_T4_T5_T6_T7_T9_mT8_P12ihipStream_tbDpT10_ENKUlT_T0_E_clISt17integral_constantIbLb0EES1C_IbLb1EEEEDaS18_S19_EUlS18_E_NS1_11comp_targetILNS1_3genE8ELNS1_11target_archE1030ELNS1_3gpuE2ELNS1_3repE0EEENS1_30default_config_static_selectorELNS0_4arch9wavefront6targetE1EEEvT1_,comdat
	.protected	_ZN7rocprim17ROCPRIM_400000_NS6detail17trampoline_kernelINS0_14default_configENS1_25partition_config_selectorILNS1_17partition_subalgoE8EiNS0_10empty_typeEbEEZZNS1_14partition_implILS5_8ELb0ES3_jN6thrust23THRUST_200600_302600_NS6detail15normal_iteratorINSA_10device_ptrIiEEEEPS6_PKS6_NS0_5tupleIJNSA_16discard_iteratorINSA_11use_defaultEEES6_EEENSJ_IJSG_SG_EEENS0_18inequality_wrapperINSA_8equal_toIiEEEEPmJS6_EEE10hipError_tPvRmT3_T4_T5_T6_T7_T9_mT8_P12ihipStream_tbDpT10_ENKUlT_T0_E_clISt17integral_constantIbLb0EES1C_IbLb1EEEEDaS18_S19_EUlS18_E_NS1_11comp_targetILNS1_3genE8ELNS1_11target_archE1030ELNS1_3gpuE2ELNS1_3repE0EEENS1_30default_config_static_selectorELNS0_4arch9wavefront6targetE1EEEvT1_ ; -- Begin function _ZN7rocprim17ROCPRIM_400000_NS6detail17trampoline_kernelINS0_14default_configENS1_25partition_config_selectorILNS1_17partition_subalgoE8EiNS0_10empty_typeEbEEZZNS1_14partition_implILS5_8ELb0ES3_jN6thrust23THRUST_200600_302600_NS6detail15normal_iteratorINSA_10device_ptrIiEEEEPS6_PKS6_NS0_5tupleIJNSA_16discard_iteratorINSA_11use_defaultEEES6_EEENSJ_IJSG_SG_EEENS0_18inequality_wrapperINSA_8equal_toIiEEEEPmJS6_EEE10hipError_tPvRmT3_T4_T5_T6_T7_T9_mT8_P12ihipStream_tbDpT10_ENKUlT_T0_E_clISt17integral_constantIbLb0EES1C_IbLb1EEEEDaS18_S19_EUlS18_E_NS1_11comp_targetILNS1_3genE8ELNS1_11target_archE1030ELNS1_3gpuE2ELNS1_3repE0EEENS1_30default_config_static_selectorELNS0_4arch9wavefront6targetE1EEEvT1_
	.globl	_ZN7rocprim17ROCPRIM_400000_NS6detail17trampoline_kernelINS0_14default_configENS1_25partition_config_selectorILNS1_17partition_subalgoE8EiNS0_10empty_typeEbEEZZNS1_14partition_implILS5_8ELb0ES3_jN6thrust23THRUST_200600_302600_NS6detail15normal_iteratorINSA_10device_ptrIiEEEEPS6_PKS6_NS0_5tupleIJNSA_16discard_iteratorINSA_11use_defaultEEES6_EEENSJ_IJSG_SG_EEENS0_18inequality_wrapperINSA_8equal_toIiEEEEPmJS6_EEE10hipError_tPvRmT3_T4_T5_T6_T7_T9_mT8_P12ihipStream_tbDpT10_ENKUlT_T0_E_clISt17integral_constantIbLb0EES1C_IbLb1EEEEDaS18_S19_EUlS18_E_NS1_11comp_targetILNS1_3genE8ELNS1_11target_archE1030ELNS1_3gpuE2ELNS1_3repE0EEENS1_30default_config_static_selectorELNS0_4arch9wavefront6targetE1EEEvT1_
	.p2align	8
	.type	_ZN7rocprim17ROCPRIM_400000_NS6detail17trampoline_kernelINS0_14default_configENS1_25partition_config_selectorILNS1_17partition_subalgoE8EiNS0_10empty_typeEbEEZZNS1_14partition_implILS5_8ELb0ES3_jN6thrust23THRUST_200600_302600_NS6detail15normal_iteratorINSA_10device_ptrIiEEEEPS6_PKS6_NS0_5tupleIJNSA_16discard_iteratorINSA_11use_defaultEEES6_EEENSJ_IJSG_SG_EEENS0_18inequality_wrapperINSA_8equal_toIiEEEEPmJS6_EEE10hipError_tPvRmT3_T4_T5_T6_T7_T9_mT8_P12ihipStream_tbDpT10_ENKUlT_T0_E_clISt17integral_constantIbLb0EES1C_IbLb1EEEEDaS18_S19_EUlS18_E_NS1_11comp_targetILNS1_3genE8ELNS1_11target_archE1030ELNS1_3gpuE2ELNS1_3repE0EEENS1_30default_config_static_selectorELNS0_4arch9wavefront6targetE1EEEvT1_,@function
_ZN7rocprim17ROCPRIM_400000_NS6detail17trampoline_kernelINS0_14default_configENS1_25partition_config_selectorILNS1_17partition_subalgoE8EiNS0_10empty_typeEbEEZZNS1_14partition_implILS5_8ELb0ES3_jN6thrust23THRUST_200600_302600_NS6detail15normal_iteratorINSA_10device_ptrIiEEEEPS6_PKS6_NS0_5tupleIJNSA_16discard_iteratorINSA_11use_defaultEEES6_EEENSJ_IJSG_SG_EEENS0_18inequality_wrapperINSA_8equal_toIiEEEEPmJS6_EEE10hipError_tPvRmT3_T4_T5_T6_T7_T9_mT8_P12ihipStream_tbDpT10_ENKUlT_T0_E_clISt17integral_constantIbLb0EES1C_IbLb1EEEEDaS18_S19_EUlS18_E_NS1_11comp_targetILNS1_3genE8ELNS1_11target_archE1030ELNS1_3gpuE2ELNS1_3repE0EEENS1_30default_config_static_selectorELNS0_4arch9wavefront6targetE1EEEvT1_: ; @_ZN7rocprim17ROCPRIM_400000_NS6detail17trampoline_kernelINS0_14default_configENS1_25partition_config_selectorILNS1_17partition_subalgoE8EiNS0_10empty_typeEbEEZZNS1_14partition_implILS5_8ELb0ES3_jN6thrust23THRUST_200600_302600_NS6detail15normal_iteratorINSA_10device_ptrIiEEEEPS6_PKS6_NS0_5tupleIJNSA_16discard_iteratorINSA_11use_defaultEEES6_EEENSJ_IJSG_SG_EEENS0_18inequality_wrapperINSA_8equal_toIiEEEEPmJS6_EEE10hipError_tPvRmT3_T4_T5_T6_T7_T9_mT8_P12ihipStream_tbDpT10_ENKUlT_T0_E_clISt17integral_constantIbLb0EES1C_IbLb1EEEEDaS18_S19_EUlS18_E_NS1_11comp_targetILNS1_3genE8ELNS1_11target_archE1030ELNS1_3gpuE2ELNS1_3repE0EEENS1_30default_config_static_selectorELNS0_4arch9wavefront6targetE1EEEvT1_
; %bb.0:
	.section	.rodata,"a",@progbits
	.p2align	6, 0x0
	.amdhsa_kernel _ZN7rocprim17ROCPRIM_400000_NS6detail17trampoline_kernelINS0_14default_configENS1_25partition_config_selectorILNS1_17partition_subalgoE8EiNS0_10empty_typeEbEEZZNS1_14partition_implILS5_8ELb0ES3_jN6thrust23THRUST_200600_302600_NS6detail15normal_iteratorINSA_10device_ptrIiEEEEPS6_PKS6_NS0_5tupleIJNSA_16discard_iteratorINSA_11use_defaultEEES6_EEENSJ_IJSG_SG_EEENS0_18inequality_wrapperINSA_8equal_toIiEEEEPmJS6_EEE10hipError_tPvRmT3_T4_T5_T6_T7_T9_mT8_P12ihipStream_tbDpT10_ENKUlT_T0_E_clISt17integral_constantIbLb0EES1C_IbLb1EEEEDaS18_S19_EUlS18_E_NS1_11comp_targetILNS1_3genE8ELNS1_11target_archE1030ELNS1_3gpuE2ELNS1_3repE0EEENS1_30default_config_static_selectorELNS0_4arch9wavefront6targetE1EEEvT1_
		.amdhsa_group_segment_fixed_size 0
		.amdhsa_private_segment_fixed_size 0
		.amdhsa_kernarg_size 136
		.amdhsa_user_sgpr_count 6
		.amdhsa_user_sgpr_private_segment_buffer 1
		.amdhsa_user_sgpr_dispatch_ptr 0
		.amdhsa_user_sgpr_queue_ptr 0
		.amdhsa_user_sgpr_kernarg_segment_ptr 1
		.amdhsa_user_sgpr_dispatch_id 0
		.amdhsa_user_sgpr_flat_scratch_init 0
		.amdhsa_user_sgpr_private_segment_size 0
		.amdhsa_uses_dynamic_stack 0
		.amdhsa_system_sgpr_private_segment_wavefront_offset 0
		.amdhsa_system_sgpr_workgroup_id_x 1
		.amdhsa_system_sgpr_workgroup_id_y 0
		.amdhsa_system_sgpr_workgroup_id_z 0
		.amdhsa_system_sgpr_workgroup_info 0
		.amdhsa_system_vgpr_workitem_id 0
		.amdhsa_next_free_vgpr 1
		.amdhsa_next_free_sgpr 0
		.amdhsa_reserve_vcc 0
		.amdhsa_reserve_flat_scratch 0
		.amdhsa_float_round_mode_32 0
		.amdhsa_float_round_mode_16_64 0
		.amdhsa_float_denorm_mode_32 3
		.amdhsa_float_denorm_mode_16_64 3
		.amdhsa_dx10_clamp 1
		.amdhsa_ieee_mode 1
		.amdhsa_fp16_overflow 0
		.amdhsa_exception_fp_ieee_invalid_op 0
		.amdhsa_exception_fp_denorm_src 0
		.amdhsa_exception_fp_ieee_div_zero 0
		.amdhsa_exception_fp_ieee_overflow 0
		.amdhsa_exception_fp_ieee_underflow 0
		.amdhsa_exception_fp_ieee_inexact 0
		.amdhsa_exception_int_div_zero 0
	.end_amdhsa_kernel
	.section	.text._ZN7rocprim17ROCPRIM_400000_NS6detail17trampoline_kernelINS0_14default_configENS1_25partition_config_selectorILNS1_17partition_subalgoE8EiNS0_10empty_typeEbEEZZNS1_14partition_implILS5_8ELb0ES3_jN6thrust23THRUST_200600_302600_NS6detail15normal_iteratorINSA_10device_ptrIiEEEEPS6_PKS6_NS0_5tupleIJNSA_16discard_iteratorINSA_11use_defaultEEES6_EEENSJ_IJSG_SG_EEENS0_18inequality_wrapperINSA_8equal_toIiEEEEPmJS6_EEE10hipError_tPvRmT3_T4_T5_T6_T7_T9_mT8_P12ihipStream_tbDpT10_ENKUlT_T0_E_clISt17integral_constantIbLb0EES1C_IbLb1EEEEDaS18_S19_EUlS18_E_NS1_11comp_targetILNS1_3genE8ELNS1_11target_archE1030ELNS1_3gpuE2ELNS1_3repE0EEENS1_30default_config_static_selectorELNS0_4arch9wavefront6targetE1EEEvT1_,"axG",@progbits,_ZN7rocprim17ROCPRIM_400000_NS6detail17trampoline_kernelINS0_14default_configENS1_25partition_config_selectorILNS1_17partition_subalgoE8EiNS0_10empty_typeEbEEZZNS1_14partition_implILS5_8ELb0ES3_jN6thrust23THRUST_200600_302600_NS6detail15normal_iteratorINSA_10device_ptrIiEEEEPS6_PKS6_NS0_5tupleIJNSA_16discard_iteratorINSA_11use_defaultEEES6_EEENSJ_IJSG_SG_EEENS0_18inequality_wrapperINSA_8equal_toIiEEEEPmJS6_EEE10hipError_tPvRmT3_T4_T5_T6_T7_T9_mT8_P12ihipStream_tbDpT10_ENKUlT_T0_E_clISt17integral_constantIbLb0EES1C_IbLb1EEEEDaS18_S19_EUlS18_E_NS1_11comp_targetILNS1_3genE8ELNS1_11target_archE1030ELNS1_3gpuE2ELNS1_3repE0EEENS1_30default_config_static_selectorELNS0_4arch9wavefront6targetE1EEEvT1_,comdat
.Lfunc_end692:
	.size	_ZN7rocprim17ROCPRIM_400000_NS6detail17trampoline_kernelINS0_14default_configENS1_25partition_config_selectorILNS1_17partition_subalgoE8EiNS0_10empty_typeEbEEZZNS1_14partition_implILS5_8ELb0ES3_jN6thrust23THRUST_200600_302600_NS6detail15normal_iteratorINSA_10device_ptrIiEEEEPS6_PKS6_NS0_5tupleIJNSA_16discard_iteratorINSA_11use_defaultEEES6_EEENSJ_IJSG_SG_EEENS0_18inequality_wrapperINSA_8equal_toIiEEEEPmJS6_EEE10hipError_tPvRmT3_T4_T5_T6_T7_T9_mT8_P12ihipStream_tbDpT10_ENKUlT_T0_E_clISt17integral_constantIbLb0EES1C_IbLb1EEEEDaS18_S19_EUlS18_E_NS1_11comp_targetILNS1_3genE8ELNS1_11target_archE1030ELNS1_3gpuE2ELNS1_3repE0EEENS1_30default_config_static_selectorELNS0_4arch9wavefront6targetE1EEEvT1_, .Lfunc_end692-_ZN7rocprim17ROCPRIM_400000_NS6detail17trampoline_kernelINS0_14default_configENS1_25partition_config_selectorILNS1_17partition_subalgoE8EiNS0_10empty_typeEbEEZZNS1_14partition_implILS5_8ELb0ES3_jN6thrust23THRUST_200600_302600_NS6detail15normal_iteratorINSA_10device_ptrIiEEEEPS6_PKS6_NS0_5tupleIJNSA_16discard_iteratorINSA_11use_defaultEEES6_EEENSJ_IJSG_SG_EEENS0_18inequality_wrapperINSA_8equal_toIiEEEEPmJS6_EEE10hipError_tPvRmT3_T4_T5_T6_T7_T9_mT8_P12ihipStream_tbDpT10_ENKUlT_T0_E_clISt17integral_constantIbLb0EES1C_IbLb1EEEEDaS18_S19_EUlS18_E_NS1_11comp_targetILNS1_3genE8ELNS1_11target_archE1030ELNS1_3gpuE2ELNS1_3repE0EEENS1_30default_config_static_selectorELNS0_4arch9wavefront6targetE1EEEvT1_
                                        ; -- End function
	.set _ZN7rocprim17ROCPRIM_400000_NS6detail17trampoline_kernelINS0_14default_configENS1_25partition_config_selectorILNS1_17partition_subalgoE8EiNS0_10empty_typeEbEEZZNS1_14partition_implILS5_8ELb0ES3_jN6thrust23THRUST_200600_302600_NS6detail15normal_iteratorINSA_10device_ptrIiEEEEPS6_PKS6_NS0_5tupleIJNSA_16discard_iteratorINSA_11use_defaultEEES6_EEENSJ_IJSG_SG_EEENS0_18inequality_wrapperINSA_8equal_toIiEEEEPmJS6_EEE10hipError_tPvRmT3_T4_T5_T6_T7_T9_mT8_P12ihipStream_tbDpT10_ENKUlT_T0_E_clISt17integral_constantIbLb0EES1C_IbLb1EEEEDaS18_S19_EUlS18_E_NS1_11comp_targetILNS1_3genE8ELNS1_11target_archE1030ELNS1_3gpuE2ELNS1_3repE0EEENS1_30default_config_static_selectorELNS0_4arch9wavefront6targetE1EEEvT1_.num_vgpr, 0
	.set _ZN7rocprim17ROCPRIM_400000_NS6detail17trampoline_kernelINS0_14default_configENS1_25partition_config_selectorILNS1_17partition_subalgoE8EiNS0_10empty_typeEbEEZZNS1_14partition_implILS5_8ELb0ES3_jN6thrust23THRUST_200600_302600_NS6detail15normal_iteratorINSA_10device_ptrIiEEEEPS6_PKS6_NS0_5tupleIJNSA_16discard_iteratorINSA_11use_defaultEEES6_EEENSJ_IJSG_SG_EEENS0_18inequality_wrapperINSA_8equal_toIiEEEEPmJS6_EEE10hipError_tPvRmT3_T4_T5_T6_T7_T9_mT8_P12ihipStream_tbDpT10_ENKUlT_T0_E_clISt17integral_constantIbLb0EES1C_IbLb1EEEEDaS18_S19_EUlS18_E_NS1_11comp_targetILNS1_3genE8ELNS1_11target_archE1030ELNS1_3gpuE2ELNS1_3repE0EEENS1_30default_config_static_selectorELNS0_4arch9wavefront6targetE1EEEvT1_.num_agpr, 0
	.set _ZN7rocprim17ROCPRIM_400000_NS6detail17trampoline_kernelINS0_14default_configENS1_25partition_config_selectorILNS1_17partition_subalgoE8EiNS0_10empty_typeEbEEZZNS1_14partition_implILS5_8ELb0ES3_jN6thrust23THRUST_200600_302600_NS6detail15normal_iteratorINSA_10device_ptrIiEEEEPS6_PKS6_NS0_5tupleIJNSA_16discard_iteratorINSA_11use_defaultEEES6_EEENSJ_IJSG_SG_EEENS0_18inequality_wrapperINSA_8equal_toIiEEEEPmJS6_EEE10hipError_tPvRmT3_T4_T5_T6_T7_T9_mT8_P12ihipStream_tbDpT10_ENKUlT_T0_E_clISt17integral_constantIbLb0EES1C_IbLb1EEEEDaS18_S19_EUlS18_E_NS1_11comp_targetILNS1_3genE8ELNS1_11target_archE1030ELNS1_3gpuE2ELNS1_3repE0EEENS1_30default_config_static_selectorELNS0_4arch9wavefront6targetE1EEEvT1_.numbered_sgpr, 0
	.set _ZN7rocprim17ROCPRIM_400000_NS6detail17trampoline_kernelINS0_14default_configENS1_25partition_config_selectorILNS1_17partition_subalgoE8EiNS0_10empty_typeEbEEZZNS1_14partition_implILS5_8ELb0ES3_jN6thrust23THRUST_200600_302600_NS6detail15normal_iteratorINSA_10device_ptrIiEEEEPS6_PKS6_NS0_5tupleIJNSA_16discard_iteratorINSA_11use_defaultEEES6_EEENSJ_IJSG_SG_EEENS0_18inequality_wrapperINSA_8equal_toIiEEEEPmJS6_EEE10hipError_tPvRmT3_T4_T5_T6_T7_T9_mT8_P12ihipStream_tbDpT10_ENKUlT_T0_E_clISt17integral_constantIbLb0EES1C_IbLb1EEEEDaS18_S19_EUlS18_E_NS1_11comp_targetILNS1_3genE8ELNS1_11target_archE1030ELNS1_3gpuE2ELNS1_3repE0EEENS1_30default_config_static_selectorELNS0_4arch9wavefront6targetE1EEEvT1_.num_named_barrier, 0
	.set _ZN7rocprim17ROCPRIM_400000_NS6detail17trampoline_kernelINS0_14default_configENS1_25partition_config_selectorILNS1_17partition_subalgoE8EiNS0_10empty_typeEbEEZZNS1_14partition_implILS5_8ELb0ES3_jN6thrust23THRUST_200600_302600_NS6detail15normal_iteratorINSA_10device_ptrIiEEEEPS6_PKS6_NS0_5tupleIJNSA_16discard_iteratorINSA_11use_defaultEEES6_EEENSJ_IJSG_SG_EEENS0_18inequality_wrapperINSA_8equal_toIiEEEEPmJS6_EEE10hipError_tPvRmT3_T4_T5_T6_T7_T9_mT8_P12ihipStream_tbDpT10_ENKUlT_T0_E_clISt17integral_constantIbLb0EES1C_IbLb1EEEEDaS18_S19_EUlS18_E_NS1_11comp_targetILNS1_3genE8ELNS1_11target_archE1030ELNS1_3gpuE2ELNS1_3repE0EEENS1_30default_config_static_selectorELNS0_4arch9wavefront6targetE1EEEvT1_.private_seg_size, 0
	.set _ZN7rocprim17ROCPRIM_400000_NS6detail17trampoline_kernelINS0_14default_configENS1_25partition_config_selectorILNS1_17partition_subalgoE8EiNS0_10empty_typeEbEEZZNS1_14partition_implILS5_8ELb0ES3_jN6thrust23THRUST_200600_302600_NS6detail15normal_iteratorINSA_10device_ptrIiEEEEPS6_PKS6_NS0_5tupleIJNSA_16discard_iteratorINSA_11use_defaultEEES6_EEENSJ_IJSG_SG_EEENS0_18inequality_wrapperINSA_8equal_toIiEEEEPmJS6_EEE10hipError_tPvRmT3_T4_T5_T6_T7_T9_mT8_P12ihipStream_tbDpT10_ENKUlT_T0_E_clISt17integral_constantIbLb0EES1C_IbLb1EEEEDaS18_S19_EUlS18_E_NS1_11comp_targetILNS1_3genE8ELNS1_11target_archE1030ELNS1_3gpuE2ELNS1_3repE0EEENS1_30default_config_static_selectorELNS0_4arch9wavefront6targetE1EEEvT1_.uses_vcc, 0
	.set _ZN7rocprim17ROCPRIM_400000_NS6detail17trampoline_kernelINS0_14default_configENS1_25partition_config_selectorILNS1_17partition_subalgoE8EiNS0_10empty_typeEbEEZZNS1_14partition_implILS5_8ELb0ES3_jN6thrust23THRUST_200600_302600_NS6detail15normal_iteratorINSA_10device_ptrIiEEEEPS6_PKS6_NS0_5tupleIJNSA_16discard_iteratorINSA_11use_defaultEEES6_EEENSJ_IJSG_SG_EEENS0_18inequality_wrapperINSA_8equal_toIiEEEEPmJS6_EEE10hipError_tPvRmT3_T4_T5_T6_T7_T9_mT8_P12ihipStream_tbDpT10_ENKUlT_T0_E_clISt17integral_constantIbLb0EES1C_IbLb1EEEEDaS18_S19_EUlS18_E_NS1_11comp_targetILNS1_3genE8ELNS1_11target_archE1030ELNS1_3gpuE2ELNS1_3repE0EEENS1_30default_config_static_selectorELNS0_4arch9wavefront6targetE1EEEvT1_.uses_flat_scratch, 0
	.set _ZN7rocprim17ROCPRIM_400000_NS6detail17trampoline_kernelINS0_14default_configENS1_25partition_config_selectorILNS1_17partition_subalgoE8EiNS0_10empty_typeEbEEZZNS1_14partition_implILS5_8ELb0ES3_jN6thrust23THRUST_200600_302600_NS6detail15normal_iteratorINSA_10device_ptrIiEEEEPS6_PKS6_NS0_5tupleIJNSA_16discard_iteratorINSA_11use_defaultEEES6_EEENSJ_IJSG_SG_EEENS0_18inequality_wrapperINSA_8equal_toIiEEEEPmJS6_EEE10hipError_tPvRmT3_T4_T5_T6_T7_T9_mT8_P12ihipStream_tbDpT10_ENKUlT_T0_E_clISt17integral_constantIbLb0EES1C_IbLb1EEEEDaS18_S19_EUlS18_E_NS1_11comp_targetILNS1_3genE8ELNS1_11target_archE1030ELNS1_3gpuE2ELNS1_3repE0EEENS1_30default_config_static_selectorELNS0_4arch9wavefront6targetE1EEEvT1_.has_dyn_sized_stack, 0
	.set _ZN7rocprim17ROCPRIM_400000_NS6detail17trampoline_kernelINS0_14default_configENS1_25partition_config_selectorILNS1_17partition_subalgoE8EiNS0_10empty_typeEbEEZZNS1_14partition_implILS5_8ELb0ES3_jN6thrust23THRUST_200600_302600_NS6detail15normal_iteratorINSA_10device_ptrIiEEEEPS6_PKS6_NS0_5tupleIJNSA_16discard_iteratorINSA_11use_defaultEEES6_EEENSJ_IJSG_SG_EEENS0_18inequality_wrapperINSA_8equal_toIiEEEEPmJS6_EEE10hipError_tPvRmT3_T4_T5_T6_T7_T9_mT8_P12ihipStream_tbDpT10_ENKUlT_T0_E_clISt17integral_constantIbLb0EES1C_IbLb1EEEEDaS18_S19_EUlS18_E_NS1_11comp_targetILNS1_3genE8ELNS1_11target_archE1030ELNS1_3gpuE2ELNS1_3repE0EEENS1_30default_config_static_selectorELNS0_4arch9wavefront6targetE1EEEvT1_.has_recursion, 0
	.set _ZN7rocprim17ROCPRIM_400000_NS6detail17trampoline_kernelINS0_14default_configENS1_25partition_config_selectorILNS1_17partition_subalgoE8EiNS0_10empty_typeEbEEZZNS1_14partition_implILS5_8ELb0ES3_jN6thrust23THRUST_200600_302600_NS6detail15normal_iteratorINSA_10device_ptrIiEEEEPS6_PKS6_NS0_5tupleIJNSA_16discard_iteratorINSA_11use_defaultEEES6_EEENSJ_IJSG_SG_EEENS0_18inequality_wrapperINSA_8equal_toIiEEEEPmJS6_EEE10hipError_tPvRmT3_T4_T5_T6_T7_T9_mT8_P12ihipStream_tbDpT10_ENKUlT_T0_E_clISt17integral_constantIbLb0EES1C_IbLb1EEEEDaS18_S19_EUlS18_E_NS1_11comp_targetILNS1_3genE8ELNS1_11target_archE1030ELNS1_3gpuE2ELNS1_3repE0EEENS1_30default_config_static_selectorELNS0_4arch9wavefront6targetE1EEEvT1_.has_indirect_call, 0
	.section	.AMDGPU.csdata,"",@progbits
; Kernel info:
; codeLenInByte = 0
; TotalNumSgprs: 4
; NumVgprs: 0
; ScratchSize: 0
; MemoryBound: 0
; FloatMode: 240
; IeeeMode: 1
; LDSByteSize: 0 bytes/workgroup (compile time only)
; SGPRBlocks: 0
; VGPRBlocks: 0
; NumSGPRsForWavesPerEU: 4
; NumVGPRsForWavesPerEU: 1
; Occupancy: 10
; WaveLimiterHint : 0
; COMPUTE_PGM_RSRC2:SCRATCH_EN: 0
; COMPUTE_PGM_RSRC2:USER_SGPR: 6
; COMPUTE_PGM_RSRC2:TRAP_HANDLER: 0
; COMPUTE_PGM_RSRC2:TGID_X_EN: 1
; COMPUTE_PGM_RSRC2:TGID_Y_EN: 0
; COMPUTE_PGM_RSRC2:TGID_Z_EN: 0
; COMPUTE_PGM_RSRC2:TIDIG_COMP_CNT: 0
	.section	.text._ZN7rocprim17ROCPRIM_400000_NS6detail17trampoline_kernelINS0_14default_configENS1_25partition_config_selectorILNS1_17partition_subalgoE8EsNS0_10empty_typeEbEEZZNS1_14partition_implILS5_8ELb0ES3_jN6thrust23THRUST_200600_302600_NS6detail15normal_iteratorINSA_10device_ptrIsEEEEPS6_PKS6_NS0_5tupleIJNSA_16discard_iteratorINSA_11use_defaultEEES6_EEENSJ_IJSG_SG_EEENS0_18inequality_wrapperINSA_8equal_toIsEEEEPmJS6_EEE10hipError_tPvRmT3_T4_T5_T6_T7_T9_mT8_P12ihipStream_tbDpT10_ENKUlT_T0_E_clISt17integral_constantIbLb0EES1D_EEDaS18_S19_EUlS18_E_NS1_11comp_targetILNS1_3genE0ELNS1_11target_archE4294967295ELNS1_3gpuE0ELNS1_3repE0EEENS1_30default_config_static_selectorELNS0_4arch9wavefront6targetE1EEEvT1_,"axG",@progbits,_ZN7rocprim17ROCPRIM_400000_NS6detail17trampoline_kernelINS0_14default_configENS1_25partition_config_selectorILNS1_17partition_subalgoE8EsNS0_10empty_typeEbEEZZNS1_14partition_implILS5_8ELb0ES3_jN6thrust23THRUST_200600_302600_NS6detail15normal_iteratorINSA_10device_ptrIsEEEEPS6_PKS6_NS0_5tupleIJNSA_16discard_iteratorINSA_11use_defaultEEES6_EEENSJ_IJSG_SG_EEENS0_18inequality_wrapperINSA_8equal_toIsEEEEPmJS6_EEE10hipError_tPvRmT3_T4_T5_T6_T7_T9_mT8_P12ihipStream_tbDpT10_ENKUlT_T0_E_clISt17integral_constantIbLb0EES1D_EEDaS18_S19_EUlS18_E_NS1_11comp_targetILNS1_3genE0ELNS1_11target_archE4294967295ELNS1_3gpuE0ELNS1_3repE0EEENS1_30default_config_static_selectorELNS0_4arch9wavefront6targetE1EEEvT1_,comdat
	.protected	_ZN7rocprim17ROCPRIM_400000_NS6detail17trampoline_kernelINS0_14default_configENS1_25partition_config_selectorILNS1_17partition_subalgoE8EsNS0_10empty_typeEbEEZZNS1_14partition_implILS5_8ELb0ES3_jN6thrust23THRUST_200600_302600_NS6detail15normal_iteratorINSA_10device_ptrIsEEEEPS6_PKS6_NS0_5tupleIJNSA_16discard_iteratorINSA_11use_defaultEEES6_EEENSJ_IJSG_SG_EEENS0_18inequality_wrapperINSA_8equal_toIsEEEEPmJS6_EEE10hipError_tPvRmT3_T4_T5_T6_T7_T9_mT8_P12ihipStream_tbDpT10_ENKUlT_T0_E_clISt17integral_constantIbLb0EES1D_EEDaS18_S19_EUlS18_E_NS1_11comp_targetILNS1_3genE0ELNS1_11target_archE4294967295ELNS1_3gpuE0ELNS1_3repE0EEENS1_30default_config_static_selectorELNS0_4arch9wavefront6targetE1EEEvT1_ ; -- Begin function _ZN7rocprim17ROCPRIM_400000_NS6detail17trampoline_kernelINS0_14default_configENS1_25partition_config_selectorILNS1_17partition_subalgoE8EsNS0_10empty_typeEbEEZZNS1_14partition_implILS5_8ELb0ES3_jN6thrust23THRUST_200600_302600_NS6detail15normal_iteratorINSA_10device_ptrIsEEEEPS6_PKS6_NS0_5tupleIJNSA_16discard_iteratorINSA_11use_defaultEEES6_EEENSJ_IJSG_SG_EEENS0_18inequality_wrapperINSA_8equal_toIsEEEEPmJS6_EEE10hipError_tPvRmT3_T4_T5_T6_T7_T9_mT8_P12ihipStream_tbDpT10_ENKUlT_T0_E_clISt17integral_constantIbLb0EES1D_EEDaS18_S19_EUlS18_E_NS1_11comp_targetILNS1_3genE0ELNS1_11target_archE4294967295ELNS1_3gpuE0ELNS1_3repE0EEENS1_30default_config_static_selectorELNS0_4arch9wavefront6targetE1EEEvT1_
	.globl	_ZN7rocprim17ROCPRIM_400000_NS6detail17trampoline_kernelINS0_14default_configENS1_25partition_config_selectorILNS1_17partition_subalgoE8EsNS0_10empty_typeEbEEZZNS1_14partition_implILS5_8ELb0ES3_jN6thrust23THRUST_200600_302600_NS6detail15normal_iteratorINSA_10device_ptrIsEEEEPS6_PKS6_NS0_5tupleIJNSA_16discard_iteratorINSA_11use_defaultEEES6_EEENSJ_IJSG_SG_EEENS0_18inequality_wrapperINSA_8equal_toIsEEEEPmJS6_EEE10hipError_tPvRmT3_T4_T5_T6_T7_T9_mT8_P12ihipStream_tbDpT10_ENKUlT_T0_E_clISt17integral_constantIbLb0EES1D_EEDaS18_S19_EUlS18_E_NS1_11comp_targetILNS1_3genE0ELNS1_11target_archE4294967295ELNS1_3gpuE0ELNS1_3repE0EEENS1_30default_config_static_selectorELNS0_4arch9wavefront6targetE1EEEvT1_
	.p2align	8
	.type	_ZN7rocprim17ROCPRIM_400000_NS6detail17trampoline_kernelINS0_14default_configENS1_25partition_config_selectorILNS1_17partition_subalgoE8EsNS0_10empty_typeEbEEZZNS1_14partition_implILS5_8ELb0ES3_jN6thrust23THRUST_200600_302600_NS6detail15normal_iteratorINSA_10device_ptrIsEEEEPS6_PKS6_NS0_5tupleIJNSA_16discard_iteratorINSA_11use_defaultEEES6_EEENSJ_IJSG_SG_EEENS0_18inequality_wrapperINSA_8equal_toIsEEEEPmJS6_EEE10hipError_tPvRmT3_T4_T5_T6_T7_T9_mT8_P12ihipStream_tbDpT10_ENKUlT_T0_E_clISt17integral_constantIbLb0EES1D_EEDaS18_S19_EUlS18_E_NS1_11comp_targetILNS1_3genE0ELNS1_11target_archE4294967295ELNS1_3gpuE0ELNS1_3repE0EEENS1_30default_config_static_selectorELNS0_4arch9wavefront6targetE1EEEvT1_,@function
_ZN7rocprim17ROCPRIM_400000_NS6detail17trampoline_kernelINS0_14default_configENS1_25partition_config_selectorILNS1_17partition_subalgoE8EsNS0_10empty_typeEbEEZZNS1_14partition_implILS5_8ELb0ES3_jN6thrust23THRUST_200600_302600_NS6detail15normal_iteratorINSA_10device_ptrIsEEEEPS6_PKS6_NS0_5tupleIJNSA_16discard_iteratorINSA_11use_defaultEEES6_EEENSJ_IJSG_SG_EEENS0_18inequality_wrapperINSA_8equal_toIsEEEEPmJS6_EEE10hipError_tPvRmT3_T4_T5_T6_T7_T9_mT8_P12ihipStream_tbDpT10_ENKUlT_T0_E_clISt17integral_constantIbLb0EES1D_EEDaS18_S19_EUlS18_E_NS1_11comp_targetILNS1_3genE0ELNS1_11target_archE4294967295ELNS1_3gpuE0ELNS1_3repE0EEENS1_30default_config_static_selectorELNS0_4arch9wavefront6targetE1EEEvT1_: ; @_ZN7rocprim17ROCPRIM_400000_NS6detail17trampoline_kernelINS0_14default_configENS1_25partition_config_selectorILNS1_17partition_subalgoE8EsNS0_10empty_typeEbEEZZNS1_14partition_implILS5_8ELb0ES3_jN6thrust23THRUST_200600_302600_NS6detail15normal_iteratorINSA_10device_ptrIsEEEEPS6_PKS6_NS0_5tupleIJNSA_16discard_iteratorINSA_11use_defaultEEES6_EEENSJ_IJSG_SG_EEENS0_18inequality_wrapperINSA_8equal_toIsEEEEPmJS6_EEE10hipError_tPvRmT3_T4_T5_T6_T7_T9_mT8_P12ihipStream_tbDpT10_ENKUlT_T0_E_clISt17integral_constantIbLb0EES1D_EEDaS18_S19_EUlS18_E_NS1_11comp_targetILNS1_3genE0ELNS1_11target_archE4294967295ELNS1_3gpuE0ELNS1_3repE0EEENS1_30default_config_static_selectorELNS0_4arch9wavefront6targetE1EEEvT1_
; %bb.0:
	.section	.rodata,"a",@progbits
	.p2align	6, 0x0
	.amdhsa_kernel _ZN7rocprim17ROCPRIM_400000_NS6detail17trampoline_kernelINS0_14default_configENS1_25partition_config_selectorILNS1_17partition_subalgoE8EsNS0_10empty_typeEbEEZZNS1_14partition_implILS5_8ELb0ES3_jN6thrust23THRUST_200600_302600_NS6detail15normal_iteratorINSA_10device_ptrIsEEEEPS6_PKS6_NS0_5tupleIJNSA_16discard_iteratorINSA_11use_defaultEEES6_EEENSJ_IJSG_SG_EEENS0_18inequality_wrapperINSA_8equal_toIsEEEEPmJS6_EEE10hipError_tPvRmT3_T4_T5_T6_T7_T9_mT8_P12ihipStream_tbDpT10_ENKUlT_T0_E_clISt17integral_constantIbLb0EES1D_EEDaS18_S19_EUlS18_E_NS1_11comp_targetILNS1_3genE0ELNS1_11target_archE4294967295ELNS1_3gpuE0ELNS1_3repE0EEENS1_30default_config_static_selectorELNS0_4arch9wavefront6targetE1EEEvT1_
		.amdhsa_group_segment_fixed_size 0
		.amdhsa_private_segment_fixed_size 0
		.amdhsa_kernarg_size 120
		.amdhsa_user_sgpr_count 6
		.amdhsa_user_sgpr_private_segment_buffer 1
		.amdhsa_user_sgpr_dispatch_ptr 0
		.amdhsa_user_sgpr_queue_ptr 0
		.amdhsa_user_sgpr_kernarg_segment_ptr 1
		.amdhsa_user_sgpr_dispatch_id 0
		.amdhsa_user_sgpr_flat_scratch_init 0
		.amdhsa_user_sgpr_private_segment_size 0
		.amdhsa_uses_dynamic_stack 0
		.amdhsa_system_sgpr_private_segment_wavefront_offset 0
		.amdhsa_system_sgpr_workgroup_id_x 1
		.amdhsa_system_sgpr_workgroup_id_y 0
		.amdhsa_system_sgpr_workgroup_id_z 0
		.amdhsa_system_sgpr_workgroup_info 0
		.amdhsa_system_vgpr_workitem_id 0
		.amdhsa_next_free_vgpr 1
		.amdhsa_next_free_sgpr 0
		.amdhsa_reserve_vcc 0
		.amdhsa_reserve_flat_scratch 0
		.amdhsa_float_round_mode_32 0
		.amdhsa_float_round_mode_16_64 0
		.amdhsa_float_denorm_mode_32 3
		.amdhsa_float_denorm_mode_16_64 3
		.amdhsa_dx10_clamp 1
		.amdhsa_ieee_mode 1
		.amdhsa_fp16_overflow 0
		.amdhsa_exception_fp_ieee_invalid_op 0
		.amdhsa_exception_fp_denorm_src 0
		.amdhsa_exception_fp_ieee_div_zero 0
		.amdhsa_exception_fp_ieee_overflow 0
		.amdhsa_exception_fp_ieee_underflow 0
		.amdhsa_exception_fp_ieee_inexact 0
		.amdhsa_exception_int_div_zero 0
	.end_amdhsa_kernel
	.section	.text._ZN7rocprim17ROCPRIM_400000_NS6detail17trampoline_kernelINS0_14default_configENS1_25partition_config_selectorILNS1_17partition_subalgoE8EsNS0_10empty_typeEbEEZZNS1_14partition_implILS5_8ELb0ES3_jN6thrust23THRUST_200600_302600_NS6detail15normal_iteratorINSA_10device_ptrIsEEEEPS6_PKS6_NS0_5tupleIJNSA_16discard_iteratorINSA_11use_defaultEEES6_EEENSJ_IJSG_SG_EEENS0_18inequality_wrapperINSA_8equal_toIsEEEEPmJS6_EEE10hipError_tPvRmT3_T4_T5_T6_T7_T9_mT8_P12ihipStream_tbDpT10_ENKUlT_T0_E_clISt17integral_constantIbLb0EES1D_EEDaS18_S19_EUlS18_E_NS1_11comp_targetILNS1_3genE0ELNS1_11target_archE4294967295ELNS1_3gpuE0ELNS1_3repE0EEENS1_30default_config_static_selectorELNS0_4arch9wavefront6targetE1EEEvT1_,"axG",@progbits,_ZN7rocprim17ROCPRIM_400000_NS6detail17trampoline_kernelINS0_14default_configENS1_25partition_config_selectorILNS1_17partition_subalgoE8EsNS0_10empty_typeEbEEZZNS1_14partition_implILS5_8ELb0ES3_jN6thrust23THRUST_200600_302600_NS6detail15normal_iteratorINSA_10device_ptrIsEEEEPS6_PKS6_NS0_5tupleIJNSA_16discard_iteratorINSA_11use_defaultEEES6_EEENSJ_IJSG_SG_EEENS0_18inequality_wrapperINSA_8equal_toIsEEEEPmJS6_EEE10hipError_tPvRmT3_T4_T5_T6_T7_T9_mT8_P12ihipStream_tbDpT10_ENKUlT_T0_E_clISt17integral_constantIbLb0EES1D_EEDaS18_S19_EUlS18_E_NS1_11comp_targetILNS1_3genE0ELNS1_11target_archE4294967295ELNS1_3gpuE0ELNS1_3repE0EEENS1_30default_config_static_selectorELNS0_4arch9wavefront6targetE1EEEvT1_,comdat
.Lfunc_end693:
	.size	_ZN7rocprim17ROCPRIM_400000_NS6detail17trampoline_kernelINS0_14default_configENS1_25partition_config_selectorILNS1_17partition_subalgoE8EsNS0_10empty_typeEbEEZZNS1_14partition_implILS5_8ELb0ES3_jN6thrust23THRUST_200600_302600_NS6detail15normal_iteratorINSA_10device_ptrIsEEEEPS6_PKS6_NS0_5tupleIJNSA_16discard_iteratorINSA_11use_defaultEEES6_EEENSJ_IJSG_SG_EEENS0_18inequality_wrapperINSA_8equal_toIsEEEEPmJS6_EEE10hipError_tPvRmT3_T4_T5_T6_T7_T9_mT8_P12ihipStream_tbDpT10_ENKUlT_T0_E_clISt17integral_constantIbLb0EES1D_EEDaS18_S19_EUlS18_E_NS1_11comp_targetILNS1_3genE0ELNS1_11target_archE4294967295ELNS1_3gpuE0ELNS1_3repE0EEENS1_30default_config_static_selectorELNS0_4arch9wavefront6targetE1EEEvT1_, .Lfunc_end693-_ZN7rocprim17ROCPRIM_400000_NS6detail17trampoline_kernelINS0_14default_configENS1_25partition_config_selectorILNS1_17partition_subalgoE8EsNS0_10empty_typeEbEEZZNS1_14partition_implILS5_8ELb0ES3_jN6thrust23THRUST_200600_302600_NS6detail15normal_iteratorINSA_10device_ptrIsEEEEPS6_PKS6_NS0_5tupleIJNSA_16discard_iteratorINSA_11use_defaultEEES6_EEENSJ_IJSG_SG_EEENS0_18inequality_wrapperINSA_8equal_toIsEEEEPmJS6_EEE10hipError_tPvRmT3_T4_T5_T6_T7_T9_mT8_P12ihipStream_tbDpT10_ENKUlT_T0_E_clISt17integral_constantIbLb0EES1D_EEDaS18_S19_EUlS18_E_NS1_11comp_targetILNS1_3genE0ELNS1_11target_archE4294967295ELNS1_3gpuE0ELNS1_3repE0EEENS1_30default_config_static_selectorELNS0_4arch9wavefront6targetE1EEEvT1_
                                        ; -- End function
	.set _ZN7rocprim17ROCPRIM_400000_NS6detail17trampoline_kernelINS0_14default_configENS1_25partition_config_selectorILNS1_17partition_subalgoE8EsNS0_10empty_typeEbEEZZNS1_14partition_implILS5_8ELb0ES3_jN6thrust23THRUST_200600_302600_NS6detail15normal_iteratorINSA_10device_ptrIsEEEEPS6_PKS6_NS0_5tupleIJNSA_16discard_iteratorINSA_11use_defaultEEES6_EEENSJ_IJSG_SG_EEENS0_18inequality_wrapperINSA_8equal_toIsEEEEPmJS6_EEE10hipError_tPvRmT3_T4_T5_T6_T7_T9_mT8_P12ihipStream_tbDpT10_ENKUlT_T0_E_clISt17integral_constantIbLb0EES1D_EEDaS18_S19_EUlS18_E_NS1_11comp_targetILNS1_3genE0ELNS1_11target_archE4294967295ELNS1_3gpuE0ELNS1_3repE0EEENS1_30default_config_static_selectorELNS0_4arch9wavefront6targetE1EEEvT1_.num_vgpr, 0
	.set _ZN7rocprim17ROCPRIM_400000_NS6detail17trampoline_kernelINS0_14default_configENS1_25partition_config_selectorILNS1_17partition_subalgoE8EsNS0_10empty_typeEbEEZZNS1_14partition_implILS5_8ELb0ES3_jN6thrust23THRUST_200600_302600_NS6detail15normal_iteratorINSA_10device_ptrIsEEEEPS6_PKS6_NS0_5tupleIJNSA_16discard_iteratorINSA_11use_defaultEEES6_EEENSJ_IJSG_SG_EEENS0_18inequality_wrapperINSA_8equal_toIsEEEEPmJS6_EEE10hipError_tPvRmT3_T4_T5_T6_T7_T9_mT8_P12ihipStream_tbDpT10_ENKUlT_T0_E_clISt17integral_constantIbLb0EES1D_EEDaS18_S19_EUlS18_E_NS1_11comp_targetILNS1_3genE0ELNS1_11target_archE4294967295ELNS1_3gpuE0ELNS1_3repE0EEENS1_30default_config_static_selectorELNS0_4arch9wavefront6targetE1EEEvT1_.num_agpr, 0
	.set _ZN7rocprim17ROCPRIM_400000_NS6detail17trampoline_kernelINS0_14default_configENS1_25partition_config_selectorILNS1_17partition_subalgoE8EsNS0_10empty_typeEbEEZZNS1_14partition_implILS5_8ELb0ES3_jN6thrust23THRUST_200600_302600_NS6detail15normal_iteratorINSA_10device_ptrIsEEEEPS6_PKS6_NS0_5tupleIJNSA_16discard_iteratorINSA_11use_defaultEEES6_EEENSJ_IJSG_SG_EEENS0_18inequality_wrapperINSA_8equal_toIsEEEEPmJS6_EEE10hipError_tPvRmT3_T4_T5_T6_T7_T9_mT8_P12ihipStream_tbDpT10_ENKUlT_T0_E_clISt17integral_constantIbLb0EES1D_EEDaS18_S19_EUlS18_E_NS1_11comp_targetILNS1_3genE0ELNS1_11target_archE4294967295ELNS1_3gpuE0ELNS1_3repE0EEENS1_30default_config_static_selectorELNS0_4arch9wavefront6targetE1EEEvT1_.numbered_sgpr, 0
	.set _ZN7rocprim17ROCPRIM_400000_NS6detail17trampoline_kernelINS0_14default_configENS1_25partition_config_selectorILNS1_17partition_subalgoE8EsNS0_10empty_typeEbEEZZNS1_14partition_implILS5_8ELb0ES3_jN6thrust23THRUST_200600_302600_NS6detail15normal_iteratorINSA_10device_ptrIsEEEEPS6_PKS6_NS0_5tupleIJNSA_16discard_iteratorINSA_11use_defaultEEES6_EEENSJ_IJSG_SG_EEENS0_18inequality_wrapperINSA_8equal_toIsEEEEPmJS6_EEE10hipError_tPvRmT3_T4_T5_T6_T7_T9_mT8_P12ihipStream_tbDpT10_ENKUlT_T0_E_clISt17integral_constantIbLb0EES1D_EEDaS18_S19_EUlS18_E_NS1_11comp_targetILNS1_3genE0ELNS1_11target_archE4294967295ELNS1_3gpuE0ELNS1_3repE0EEENS1_30default_config_static_selectorELNS0_4arch9wavefront6targetE1EEEvT1_.num_named_barrier, 0
	.set _ZN7rocprim17ROCPRIM_400000_NS6detail17trampoline_kernelINS0_14default_configENS1_25partition_config_selectorILNS1_17partition_subalgoE8EsNS0_10empty_typeEbEEZZNS1_14partition_implILS5_8ELb0ES3_jN6thrust23THRUST_200600_302600_NS6detail15normal_iteratorINSA_10device_ptrIsEEEEPS6_PKS6_NS0_5tupleIJNSA_16discard_iteratorINSA_11use_defaultEEES6_EEENSJ_IJSG_SG_EEENS0_18inequality_wrapperINSA_8equal_toIsEEEEPmJS6_EEE10hipError_tPvRmT3_T4_T5_T6_T7_T9_mT8_P12ihipStream_tbDpT10_ENKUlT_T0_E_clISt17integral_constantIbLb0EES1D_EEDaS18_S19_EUlS18_E_NS1_11comp_targetILNS1_3genE0ELNS1_11target_archE4294967295ELNS1_3gpuE0ELNS1_3repE0EEENS1_30default_config_static_selectorELNS0_4arch9wavefront6targetE1EEEvT1_.private_seg_size, 0
	.set _ZN7rocprim17ROCPRIM_400000_NS6detail17trampoline_kernelINS0_14default_configENS1_25partition_config_selectorILNS1_17partition_subalgoE8EsNS0_10empty_typeEbEEZZNS1_14partition_implILS5_8ELb0ES3_jN6thrust23THRUST_200600_302600_NS6detail15normal_iteratorINSA_10device_ptrIsEEEEPS6_PKS6_NS0_5tupleIJNSA_16discard_iteratorINSA_11use_defaultEEES6_EEENSJ_IJSG_SG_EEENS0_18inequality_wrapperINSA_8equal_toIsEEEEPmJS6_EEE10hipError_tPvRmT3_T4_T5_T6_T7_T9_mT8_P12ihipStream_tbDpT10_ENKUlT_T0_E_clISt17integral_constantIbLb0EES1D_EEDaS18_S19_EUlS18_E_NS1_11comp_targetILNS1_3genE0ELNS1_11target_archE4294967295ELNS1_3gpuE0ELNS1_3repE0EEENS1_30default_config_static_selectorELNS0_4arch9wavefront6targetE1EEEvT1_.uses_vcc, 0
	.set _ZN7rocprim17ROCPRIM_400000_NS6detail17trampoline_kernelINS0_14default_configENS1_25partition_config_selectorILNS1_17partition_subalgoE8EsNS0_10empty_typeEbEEZZNS1_14partition_implILS5_8ELb0ES3_jN6thrust23THRUST_200600_302600_NS6detail15normal_iteratorINSA_10device_ptrIsEEEEPS6_PKS6_NS0_5tupleIJNSA_16discard_iteratorINSA_11use_defaultEEES6_EEENSJ_IJSG_SG_EEENS0_18inequality_wrapperINSA_8equal_toIsEEEEPmJS6_EEE10hipError_tPvRmT3_T4_T5_T6_T7_T9_mT8_P12ihipStream_tbDpT10_ENKUlT_T0_E_clISt17integral_constantIbLb0EES1D_EEDaS18_S19_EUlS18_E_NS1_11comp_targetILNS1_3genE0ELNS1_11target_archE4294967295ELNS1_3gpuE0ELNS1_3repE0EEENS1_30default_config_static_selectorELNS0_4arch9wavefront6targetE1EEEvT1_.uses_flat_scratch, 0
	.set _ZN7rocprim17ROCPRIM_400000_NS6detail17trampoline_kernelINS0_14default_configENS1_25partition_config_selectorILNS1_17partition_subalgoE8EsNS0_10empty_typeEbEEZZNS1_14partition_implILS5_8ELb0ES3_jN6thrust23THRUST_200600_302600_NS6detail15normal_iteratorINSA_10device_ptrIsEEEEPS6_PKS6_NS0_5tupleIJNSA_16discard_iteratorINSA_11use_defaultEEES6_EEENSJ_IJSG_SG_EEENS0_18inequality_wrapperINSA_8equal_toIsEEEEPmJS6_EEE10hipError_tPvRmT3_T4_T5_T6_T7_T9_mT8_P12ihipStream_tbDpT10_ENKUlT_T0_E_clISt17integral_constantIbLb0EES1D_EEDaS18_S19_EUlS18_E_NS1_11comp_targetILNS1_3genE0ELNS1_11target_archE4294967295ELNS1_3gpuE0ELNS1_3repE0EEENS1_30default_config_static_selectorELNS0_4arch9wavefront6targetE1EEEvT1_.has_dyn_sized_stack, 0
	.set _ZN7rocprim17ROCPRIM_400000_NS6detail17trampoline_kernelINS0_14default_configENS1_25partition_config_selectorILNS1_17partition_subalgoE8EsNS0_10empty_typeEbEEZZNS1_14partition_implILS5_8ELb0ES3_jN6thrust23THRUST_200600_302600_NS6detail15normal_iteratorINSA_10device_ptrIsEEEEPS6_PKS6_NS0_5tupleIJNSA_16discard_iteratorINSA_11use_defaultEEES6_EEENSJ_IJSG_SG_EEENS0_18inequality_wrapperINSA_8equal_toIsEEEEPmJS6_EEE10hipError_tPvRmT3_T4_T5_T6_T7_T9_mT8_P12ihipStream_tbDpT10_ENKUlT_T0_E_clISt17integral_constantIbLb0EES1D_EEDaS18_S19_EUlS18_E_NS1_11comp_targetILNS1_3genE0ELNS1_11target_archE4294967295ELNS1_3gpuE0ELNS1_3repE0EEENS1_30default_config_static_selectorELNS0_4arch9wavefront6targetE1EEEvT1_.has_recursion, 0
	.set _ZN7rocprim17ROCPRIM_400000_NS6detail17trampoline_kernelINS0_14default_configENS1_25partition_config_selectorILNS1_17partition_subalgoE8EsNS0_10empty_typeEbEEZZNS1_14partition_implILS5_8ELb0ES3_jN6thrust23THRUST_200600_302600_NS6detail15normal_iteratorINSA_10device_ptrIsEEEEPS6_PKS6_NS0_5tupleIJNSA_16discard_iteratorINSA_11use_defaultEEES6_EEENSJ_IJSG_SG_EEENS0_18inequality_wrapperINSA_8equal_toIsEEEEPmJS6_EEE10hipError_tPvRmT3_T4_T5_T6_T7_T9_mT8_P12ihipStream_tbDpT10_ENKUlT_T0_E_clISt17integral_constantIbLb0EES1D_EEDaS18_S19_EUlS18_E_NS1_11comp_targetILNS1_3genE0ELNS1_11target_archE4294967295ELNS1_3gpuE0ELNS1_3repE0EEENS1_30default_config_static_selectorELNS0_4arch9wavefront6targetE1EEEvT1_.has_indirect_call, 0
	.section	.AMDGPU.csdata,"",@progbits
; Kernel info:
; codeLenInByte = 0
; TotalNumSgprs: 4
; NumVgprs: 0
; ScratchSize: 0
; MemoryBound: 0
; FloatMode: 240
; IeeeMode: 1
; LDSByteSize: 0 bytes/workgroup (compile time only)
; SGPRBlocks: 0
; VGPRBlocks: 0
; NumSGPRsForWavesPerEU: 4
; NumVGPRsForWavesPerEU: 1
; Occupancy: 10
; WaveLimiterHint : 0
; COMPUTE_PGM_RSRC2:SCRATCH_EN: 0
; COMPUTE_PGM_RSRC2:USER_SGPR: 6
; COMPUTE_PGM_RSRC2:TRAP_HANDLER: 0
; COMPUTE_PGM_RSRC2:TGID_X_EN: 1
; COMPUTE_PGM_RSRC2:TGID_Y_EN: 0
; COMPUTE_PGM_RSRC2:TGID_Z_EN: 0
; COMPUTE_PGM_RSRC2:TIDIG_COMP_CNT: 0
	.section	.text._ZN7rocprim17ROCPRIM_400000_NS6detail17trampoline_kernelINS0_14default_configENS1_25partition_config_selectorILNS1_17partition_subalgoE8EsNS0_10empty_typeEbEEZZNS1_14partition_implILS5_8ELb0ES3_jN6thrust23THRUST_200600_302600_NS6detail15normal_iteratorINSA_10device_ptrIsEEEEPS6_PKS6_NS0_5tupleIJNSA_16discard_iteratorINSA_11use_defaultEEES6_EEENSJ_IJSG_SG_EEENS0_18inequality_wrapperINSA_8equal_toIsEEEEPmJS6_EEE10hipError_tPvRmT3_T4_T5_T6_T7_T9_mT8_P12ihipStream_tbDpT10_ENKUlT_T0_E_clISt17integral_constantIbLb0EES1D_EEDaS18_S19_EUlS18_E_NS1_11comp_targetILNS1_3genE5ELNS1_11target_archE942ELNS1_3gpuE9ELNS1_3repE0EEENS1_30default_config_static_selectorELNS0_4arch9wavefront6targetE1EEEvT1_,"axG",@progbits,_ZN7rocprim17ROCPRIM_400000_NS6detail17trampoline_kernelINS0_14default_configENS1_25partition_config_selectorILNS1_17partition_subalgoE8EsNS0_10empty_typeEbEEZZNS1_14partition_implILS5_8ELb0ES3_jN6thrust23THRUST_200600_302600_NS6detail15normal_iteratorINSA_10device_ptrIsEEEEPS6_PKS6_NS0_5tupleIJNSA_16discard_iteratorINSA_11use_defaultEEES6_EEENSJ_IJSG_SG_EEENS0_18inequality_wrapperINSA_8equal_toIsEEEEPmJS6_EEE10hipError_tPvRmT3_T4_T5_T6_T7_T9_mT8_P12ihipStream_tbDpT10_ENKUlT_T0_E_clISt17integral_constantIbLb0EES1D_EEDaS18_S19_EUlS18_E_NS1_11comp_targetILNS1_3genE5ELNS1_11target_archE942ELNS1_3gpuE9ELNS1_3repE0EEENS1_30default_config_static_selectorELNS0_4arch9wavefront6targetE1EEEvT1_,comdat
	.protected	_ZN7rocprim17ROCPRIM_400000_NS6detail17trampoline_kernelINS0_14default_configENS1_25partition_config_selectorILNS1_17partition_subalgoE8EsNS0_10empty_typeEbEEZZNS1_14partition_implILS5_8ELb0ES3_jN6thrust23THRUST_200600_302600_NS6detail15normal_iteratorINSA_10device_ptrIsEEEEPS6_PKS6_NS0_5tupleIJNSA_16discard_iteratorINSA_11use_defaultEEES6_EEENSJ_IJSG_SG_EEENS0_18inequality_wrapperINSA_8equal_toIsEEEEPmJS6_EEE10hipError_tPvRmT3_T4_T5_T6_T7_T9_mT8_P12ihipStream_tbDpT10_ENKUlT_T0_E_clISt17integral_constantIbLb0EES1D_EEDaS18_S19_EUlS18_E_NS1_11comp_targetILNS1_3genE5ELNS1_11target_archE942ELNS1_3gpuE9ELNS1_3repE0EEENS1_30default_config_static_selectorELNS0_4arch9wavefront6targetE1EEEvT1_ ; -- Begin function _ZN7rocprim17ROCPRIM_400000_NS6detail17trampoline_kernelINS0_14default_configENS1_25partition_config_selectorILNS1_17partition_subalgoE8EsNS0_10empty_typeEbEEZZNS1_14partition_implILS5_8ELb0ES3_jN6thrust23THRUST_200600_302600_NS6detail15normal_iteratorINSA_10device_ptrIsEEEEPS6_PKS6_NS0_5tupleIJNSA_16discard_iteratorINSA_11use_defaultEEES6_EEENSJ_IJSG_SG_EEENS0_18inequality_wrapperINSA_8equal_toIsEEEEPmJS6_EEE10hipError_tPvRmT3_T4_T5_T6_T7_T9_mT8_P12ihipStream_tbDpT10_ENKUlT_T0_E_clISt17integral_constantIbLb0EES1D_EEDaS18_S19_EUlS18_E_NS1_11comp_targetILNS1_3genE5ELNS1_11target_archE942ELNS1_3gpuE9ELNS1_3repE0EEENS1_30default_config_static_selectorELNS0_4arch9wavefront6targetE1EEEvT1_
	.globl	_ZN7rocprim17ROCPRIM_400000_NS6detail17trampoline_kernelINS0_14default_configENS1_25partition_config_selectorILNS1_17partition_subalgoE8EsNS0_10empty_typeEbEEZZNS1_14partition_implILS5_8ELb0ES3_jN6thrust23THRUST_200600_302600_NS6detail15normal_iteratorINSA_10device_ptrIsEEEEPS6_PKS6_NS0_5tupleIJNSA_16discard_iteratorINSA_11use_defaultEEES6_EEENSJ_IJSG_SG_EEENS0_18inequality_wrapperINSA_8equal_toIsEEEEPmJS6_EEE10hipError_tPvRmT3_T4_T5_T6_T7_T9_mT8_P12ihipStream_tbDpT10_ENKUlT_T0_E_clISt17integral_constantIbLb0EES1D_EEDaS18_S19_EUlS18_E_NS1_11comp_targetILNS1_3genE5ELNS1_11target_archE942ELNS1_3gpuE9ELNS1_3repE0EEENS1_30default_config_static_selectorELNS0_4arch9wavefront6targetE1EEEvT1_
	.p2align	8
	.type	_ZN7rocprim17ROCPRIM_400000_NS6detail17trampoline_kernelINS0_14default_configENS1_25partition_config_selectorILNS1_17partition_subalgoE8EsNS0_10empty_typeEbEEZZNS1_14partition_implILS5_8ELb0ES3_jN6thrust23THRUST_200600_302600_NS6detail15normal_iteratorINSA_10device_ptrIsEEEEPS6_PKS6_NS0_5tupleIJNSA_16discard_iteratorINSA_11use_defaultEEES6_EEENSJ_IJSG_SG_EEENS0_18inequality_wrapperINSA_8equal_toIsEEEEPmJS6_EEE10hipError_tPvRmT3_T4_T5_T6_T7_T9_mT8_P12ihipStream_tbDpT10_ENKUlT_T0_E_clISt17integral_constantIbLb0EES1D_EEDaS18_S19_EUlS18_E_NS1_11comp_targetILNS1_3genE5ELNS1_11target_archE942ELNS1_3gpuE9ELNS1_3repE0EEENS1_30default_config_static_selectorELNS0_4arch9wavefront6targetE1EEEvT1_,@function
_ZN7rocprim17ROCPRIM_400000_NS6detail17trampoline_kernelINS0_14default_configENS1_25partition_config_selectorILNS1_17partition_subalgoE8EsNS0_10empty_typeEbEEZZNS1_14partition_implILS5_8ELb0ES3_jN6thrust23THRUST_200600_302600_NS6detail15normal_iteratorINSA_10device_ptrIsEEEEPS6_PKS6_NS0_5tupleIJNSA_16discard_iteratorINSA_11use_defaultEEES6_EEENSJ_IJSG_SG_EEENS0_18inequality_wrapperINSA_8equal_toIsEEEEPmJS6_EEE10hipError_tPvRmT3_T4_T5_T6_T7_T9_mT8_P12ihipStream_tbDpT10_ENKUlT_T0_E_clISt17integral_constantIbLb0EES1D_EEDaS18_S19_EUlS18_E_NS1_11comp_targetILNS1_3genE5ELNS1_11target_archE942ELNS1_3gpuE9ELNS1_3repE0EEENS1_30default_config_static_selectorELNS0_4arch9wavefront6targetE1EEEvT1_: ; @_ZN7rocprim17ROCPRIM_400000_NS6detail17trampoline_kernelINS0_14default_configENS1_25partition_config_selectorILNS1_17partition_subalgoE8EsNS0_10empty_typeEbEEZZNS1_14partition_implILS5_8ELb0ES3_jN6thrust23THRUST_200600_302600_NS6detail15normal_iteratorINSA_10device_ptrIsEEEEPS6_PKS6_NS0_5tupleIJNSA_16discard_iteratorINSA_11use_defaultEEES6_EEENSJ_IJSG_SG_EEENS0_18inequality_wrapperINSA_8equal_toIsEEEEPmJS6_EEE10hipError_tPvRmT3_T4_T5_T6_T7_T9_mT8_P12ihipStream_tbDpT10_ENKUlT_T0_E_clISt17integral_constantIbLb0EES1D_EEDaS18_S19_EUlS18_E_NS1_11comp_targetILNS1_3genE5ELNS1_11target_archE942ELNS1_3gpuE9ELNS1_3repE0EEENS1_30default_config_static_selectorELNS0_4arch9wavefront6targetE1EEEvT1_
; %bb.0:
	.section	.rodata,"a",@progbits
	.p2align	6, 0x0
	.amdhsa_kernel _ZN7rocprim17ROCPRIM_400000_NS6detail17trampoline_kernelINS0_14default_configENS1_25partition_config_selectorILNS1_17partition_subalgoE8EsNS0_10empty_typeEbEEZZNS1_14partition_implILS5_8ELb0ES3_jN6thrust23THRUST_200600_302600_NS6detail15normal_iteratorINSA_10device_ptrIsEEEEPS6_PKS6_NS0_5tupleIJNSA_16discard_iteratorINSA_11use_defaultEEES6_EEENSJ_IJSG_SG_EEENS0_18inequality_wrapperINSA_8equal_toIsEEEEPmJS6_EEE10hipError_tPvRmT3_T4_T5_T6_T7_T9_mT8_P12ihipStream_tbDpT10_ENKUlT_T0_E_clISt17integral_constantIbLb0EES1D_EEDaS18_S19_EUlS18_E_NS1_11comp_targetILNS1_3genE5ELNS1_11target_archE942ELNS1_3gpuE9ELNS1_3repE0EEENS1_30default_config_static_selectorELNS0_4arch9wavefront6targetE1EEEvT1_
		.amdhsa_group_segment_fixed_size 0
		.amdhsa_private_segment_fixed_size 0
		.amdhsa_kernarg_size 120
		.amdhsa_user_sgpr_count 6
		.amdhsa_user_sgpr_private_segment_buffer 1
		.amdhsa_user_sgpr_dispatch_ptr 0
		.amdhsa_user_sgpr_queue_ptr 0
		.amdhsa_user_sgpr_kernarg_segment_ptr 1
		.amdhsa_user_sgpr_dispatch_id 0
		.amdhsa_user_sgpr_flat_scratch_init 0
		.amdhsa_user_sgpr_private_segment_size 0
		.amdhsa_uses_dynamic_stack 0
		.amdhsa_system_sgpr_private_segment_wavefront_offset 0
		.amdhsa_system_sgpr_workgroup_id_x 1
		.amdhsa_system_sgpr_workgroup_id_y 0
		.amdhsa_system_sgpr_workgroup_id_z 0
		.amdhsa_system_sgpr_workgroup_info 0
		.amdhsa_system_vgpr_workitem_id 0
		.amdhsa_next_free_vgpr 1
		.amdhsa_next_free_sgpr 0
		.amdhsa_reserve_vcc 0
		.amdhsa_reserve_flat_scratch 0
		.amdhsa_float_round_mode_32 0
		.amdhsa_float_round_mode_16_64 0
		.amdhsa_float_denorm_mode_32 3
		.amdhsa_float_denorm_mode_16_64 3
		.amdhsa_dx10_clamp 1
		.amdhsa_ieee_mode 1
		.amdhsa_fp16_overflow 0
		.amdhsa_exception_fp_ieee_invalid_op 0
		.amdhsa_exception_fp_denorm_src 0
		.amdhsa_exception_fp_ieee_div_zero 0
		.amdhsa_exception_fp_ieee_overflow 0
		.amdhsa_exception_fp_ieee_underflow 0
		.amdhsa_exception_fp_ieee_inexact 0
		.amdhsa_exception_int_div_zero 0
	.end_amdhsa_kernel
	.section	.text._ZN7rocprim17ROCPRIM_400000_NS6detail17trampoline_kernelINS0_14default_configENS1_25partition_config_selectorILNS1_17partition_subalgoE8EsNS0_10empty_typeEbEEZZNS1_14partition_implILS5_8ELb0ES3_jN6thrust23THRUST_200600_302600_NS6detail15normal_iteratorINSA_10device_ptrIsEEEEPS6_PKS6_NS0_5tupleIJNSA_16discard_iteratorINSA_11use_defaultEEES6_EEENSJ_IJSG_SG_EEENS0_18inequality_wrapperINSA_8equal_toIsEEEEPmJS6_EEE10hipError_tPvRmT3_T4_T5_T6_T7_T9_mT8_P12ihipStream_tbDpT10_ENKUlT_T0_E_clISt17integral_constantIbLb0EES1D_EEDaS18_S19_EUlS18_E_NS1_11comp_targetILNS1_3genE5ELNS1_11target_archE942ELNS1_3gpuE9ELNS1_3repE0EEENS1_30default_config_static_selectorELNS0_4arch9wavefront6targetE1EEEvT1_,"axG",@progbits,_ZN7rocprim17ROCPRIM_400000_NS6detail17trampoline_kernelINS0_14default_configENS1_25partition_config_selectorILNS1_17partition_subalgoE8EsNS0_10empty_typeEbEEZZNS1_14partition_implILS5_8ELb0ES3_jN6thrust23THRUST_200600_302600_NS6detail15normal_iteratorINSA_10device_ptrIsEEEEPS6_PKS6_NS0_5tupleIJNSA_16discard_iteratorINSA_11use_defaultEEES6_EEENSJ_IJSG_SG_EEENS0_18inequality_wrapperINSA_8equal_toIsEEEEPmJS6_EEE10hipError_tPvRmT3_T4_T5_T6_T7_T9_mT8_P12ihipStream_tbDpT10_ENKUlT_T0_E_clISt17integral_constantIbLb0EES1D_EEDaS18_S19_EUlS18_E_NS1_11comp_targetILNS1_3genE5ELNS1_11target_archE942ELNS1_3gpuE9ELNS1_3repE0EEENS1_30default_config_static_selectorELNS0_4arch9wavefront6targetE1EEEvT1_,comdat
.Lfunc_end694:
	.size	_ZN7rocprim17ROCPRIM_400000_NS6detail17trampoline_kernelINS0_14default_configENS1_25partition_config_selectorILNS1_17partition_subalgoE8EsNS0_10empty_typeEbEEZZNS1_14partition_implILS5_8ELb0ES3_jN6thrust23THRUST_200600_302600_NS6detail15normal_iteratorINSA_10device_ptrIsEEEEPS6_PKS6_NS0_5tupleIJNSA_16discard_iteratorINSA_11use_defaultEEES6_EEENSJ_IJSG_SG_EEENS0_18inequality_wrapperINSA_8equal_toIsEEEEPmJS6_EEE10hipError_tPvRmT3_T4_T5_T6_T7_T9_mT8_P12ihipStream_tbDpT10_ENKUlT_T0_E_clISt17integral_constantIbLb0EES1D_EEDaS18_S19_EUlS18_E_NS1_11comp_targetILNS1_3genE5ELNS1_11target_archE942ELNS1_3gpuE9ELNS1_3repE0EEENS1_30default_config_static_selectorELNS0_4arch9wavefront6targetE1EEEvT1_, .Lfunc_end694-_ZN7rocprim17ROCPRIM_400000_NS6detail17trampoline_kernelINS0_14default_configENS1_25partition_config_selectorILNS1_17partition_subalgoE8EsNS0_10empty_typeEbEEZZNS1_14partition_implILS5_8ELb0ES3_jN6thrust23THRUST_200600_302600_NS6detail15normal_iteratorINSA_10device_ptrIsEEEEPS6_PKS6_NS0_5tupleIJNSA_16discard_iteratorINSA_11use_defaultEEES6_EEENSJ_IJSG_SG_EEENS0_18inequality_wrapperINSA_8equal_toIsEEEEPmJS6_EEE10hipError_tPvRmT3_T4_T5_T6_T7_T9_mT8_P12ihipStream_tbDpT10_ENKUlT_T0_E_clISt17integral_constantIbLb0EES1D_EEDaS18_S19_EUlS18_E_NS1_11comp_targetILNS1_3genE5ELNS1_11target_archE942ELNS1_3gpuE9ELNS1_3repE0EEENS1_30default_config_static_selectorELNS0_4arch9wavefront6targetE1EEEvT1_
                                        ; -- End function
	.set _ZN7rocprim17ROCPRIM_400000_NS6detail17trampoline_kernelINS0_14default_configENS1_25partition_config_selectorILNS1_17partition_subalgoE8EsNS0_10empty_typeEbEEZZNS1_14partition_implILS5_8ELb0ES3_jN6thrust23THRUST_200600_302600_NS6detail15normal_iteratorINSA_10device_ptrIsEEEEPS6_PKS6_NS0_5tupleIJNSA_16discard_iteratorINSA_11use_defaultEEES6_EEENSJ_IJSG_SG_EEENS0_18inequality_wrapperINSA_8equal_toIsEEEEPmJS6_EEE10hipError_tPvRmT3_T4_T5_T6_T7_T9_mT8_P12ihipStream_tbDpT10_ENKUlT_T0_E_clISt17integral_constantIbLb0EES1D_EEDaS18_S19_EUlS18_E_NS1_11comp_targetILNS1_3genE5ELNS1_11target_archE942ELNS1_3gpuE9ELNS1_3repE0EEENS1_30default_config_static_selectorELNS0_4arch9wavefront6targetE1EEEvT1_.num_vgpr, 0
	.set _ZN7rocprim17ROCPRIM_400000_NS6detail17trampoline_kernelINS0_14default_configENS1_25partition_config_selectorILNS1_17partition_subalgoE8EsNS0_10empty_typeEbEEZZNS1_14partition_implILS5_8ELb0ES3_jN6thrust23THRUST_200600_302600_NS6detail15normal_iteratorINSA_10device_ptrIsEEEEPS6_PKS6_NS0_5tupleIJNSA_16discard_iteratorINSA_11use_defaultEEES6_EEENSJ_IJSG_SG_EEENS0_18inequality_wrapperINSA_8equal_toIsEEEEPmJS6_EEE10hipError_tPvRmT3_T4_T5_T6_T7_T9_mT8_P12ihipStream_tbDpT10_ENKUlT_T0_E_clISt17integral_constantIbLb0EES1D_EEDaS18_S19_EUlS18_E_NS1_11comp_targetILNS1_3genE5ELNS1_11target_archE942ELNS1_3gpuE9ELNS1_3repE0EEENS1_30default_config_static_selectorELNS0_4arch9wavefront6targetE1EEEvT1_.num_agpr, 0
	.set _ZN7rocprim17ROCPRIM_400000_NS6detail17trampoline_kernelINS0_14default_configENS1_25partition_config_selectorILNS1_17partition_subalgoE8EsNS0_10empty_typeEbEEZZNS1_14partition_implILS5_8ELb0ES3_jN6thrust23THRUST_200600_302600_NS6detail15normal_iteratorINSA_10device_ptrIsEEEEPS6_PKS6_NS0_5tupleIJNSA_16discard_iteratorINSA_11use_defaultEEES6_EEENSJ_IJSG_SG_EEENS0_18inequality_wrapperINSA_8equal_toIsEEEEPmJS6_EEE10hipError_tPvRmT3_T4_T5_T6_T7_T9_mT8_P12ihipStream_tbDpT10_ENKUlT_T0_E_clISt17integral_constantIbLb0EES1D_EEDaS18_S19_EUlS18_E_NS1_11comp_targetILNS1_3genE5ELNS1_11target_archE942ELNS1_3gpuE9ELNS1_3repE0EEENS1_30default_config_static_selectorELNS0_4arch9wavefront6targetE1EEEvT1_.numbered_sgpr, 0
	.set _ZN7rocprim17ROCPRIM_400000_NS6detail17trampoline_kernelINS0_14default_configENS1_25partition_config_selectorILNS1_17partition_subalgoE8EsNS0_10empty_typeEbEEZZNS1_14partition_implILS5_8ELb0ES3_jN6thrust23THRUST_200600_302600_NS6detail15normal_iteratorINSA_10device_ptrIsEEEEPS6_PKS6_NS0_5tupleIJNSA_16discard_iteratorINSA_11use_defaultEEES6_EEENSJ_IJSG_SG_EEENS0_18inequality_wrapperINSA_8equal_toIsEEEEPmJS6_EEE10hipError_tPvRmT3_T4_T5_T6_T7_T9_mT8_P12ihipStream_tbDpT10_ENKUlT_T0_E_clISt17integral_constantIbLb0EES1D_EEDaS18_S19_EUlS18_E_NS1_11comp_targetILNS1_3genE5ELNS1_11target_archE942ELNS1_3gpuE9ELNS1_3repE0EEENS1_30default_config_static_selectorELNS0_4arch9wavefront6targetE1EEEvT1_.num_named_barrier, 0
	.set _ZN7rocprim17ROCPRIM_400000_NS6detail17trampoline_kernelINS0_14default_configENS1_25partition_config_selectorILNS1_17partition_subalgoE8EsNS0_10empty_typeEbEEZZNS1_14partition_implILS5_8ELb0ES3_jN6thrust23THRUST_200600_302600_NS6detail15normal_iteratorINSA_10device_ptrIsEEEEPS6_PKS6_NS0_5tupleIJNSA_16discard_iteratorINSA_11use_defaultEEES6_EEENSJ_IJSG_SG_EEENS0_18inequality_wrapperINSA_8equal_toIsEEEEPmJS6_EEE10hipError_tPvRmT3_T4_T5_T6_T7_T9_mT8_P12ihipStream_tbDpT10_ENKUlT_T0_E_clISt17integral_constantIbLb0EES1D_EEDaS18_S19_EUlS18_E_NS1_11comp_targetILNS1_3genE5ELNS1_11target_archE942ELNS1_3gpuE9ELNS1_3repE0EEENS1_30default_config_static_selectorELNS0_4arch9wavefront6targetE1EEEvT1_.private_seg_size, 0
	.set _ZN7rocprim17ROCPRIM_400000_NS6detail17trampoline_kernelINS0_14default_configENS1_25partition_config_selectorILNS1_17partition_subalgoE8EsNS0_10empty_typeEbEEZZNS1_14partition_implILS5_8ELb0ES3_jN6thrust23THRUST_200600_302600_NS6detail15normal_iteratorINSA_10device_ptrIsEEEEPS6_PKS6_NS0_5tupleIJNSA_16discard_iteratorINSA_11use_defaultEEES6_EEENSJ_IJSG_SG_EEENS0_18inequality_wrapperINSA_8equal_toIsEEEEPmJS6_EEE10hipError_tPvRmT3_T4_T5_T6_T7_T9_mT8_P12ihipStream_tbDpT10_ENKUlT_T0_E_clISt17integral_constantIbLb0EES1D_EEDaS18_S19_EUlS18_E_NS1_11comp_targetILNS1_3genE5ELNS1_11target_archE942ELNS1_3gpuE9ELNS1_3repE0EEENS1_30default_config_static_selectorELNS0_4arch9wavefront6targetE1EEEvT1_.uses_vcc, 0
	.set _ZN7rocprim17ROCPRIM_400000_NS6detail17trampoline_kernelINS0_14default_configENS1_25partition_config_selectorILNS1_17partition_subalgoE8EsNS0_10empty_typeEbEEZZNS1_14partition_implILS5_8ELb0ES3_jN6thrust23THRUST_200600_302600_NS6detail15normal_iteratorINSA_10device_ptrIsEEEEPS6_PKS6_NS0_5tupleIJNSA_16discard_iteratorINSA_11use_defaultEEES6_EEENSJ_IJSG_SG_EEENS0_18inequality_wrapperINSA_8equal_toIsEEEEPmJS6_EEE10hipError_tPvRmT3_T4_T5_T6_T7_T9_mT8_P12ihipStream_tbDpT10_ENKUlT_T0_E_clISt17integral_constantIbLb0EES1D_EEDaS18_S19_EUlS18_E_NS1_11comp_targetILNS1_3genE5ELNS1_11target_archE942ELNS1_3gpuE9ELNS1_3repE0EEENS1_30default_config_static_selectorELNS0_4arch9wavefront6targetE1EEEvT1_.uses_flat_scratch, 0
	.set _ZN7rocprim17ROCPRIM_400000_NS6detail17trampoline_kernelINS0_14default_configENS1_25partition_config_selectorILNS1_17partition_subalgoE8EsNS0_10empty_typeEbEEZZNS1_14partition_implILS5_8ELb0ES3_jN6thrust23THRUST_200600_302600_NS6detail15normal_iteratorINSA_10device_ptrIsEEEEPS6_PKS6_NS0_5tupleIJNSA_16discard_iteratorINSA_11use_defaultEEES6_EEENSJ_IJSG_SG_EEENS0_18inequality_wrapperINSA_8equal_toIsEEEEPmJS6_EEE10hipError_tPvRmT3_T4_T5_T6_T7_T9_mT8_P12ihipStream_tbDpT10_ENKUlT_T0_E_clISt17integral_constantIbLb0EES1D_EEDaS18_S19_EUlS18_E_NS1_11comp_targetILNS1_3genE5ELNS1_11target_archE942ELNS1_3gpuE9ELNS1_3repE0EEENS1_30default_config_static_selectorELNS0_4arch9wavefront6targetE1EEEvT1_.has_dyn_sized_stack, 0
	.set _ZN7rocprim17ROCPRIM_400000_NS6detail17trampoline_kernelINS0_14default_configENS1_25partition_config_selectorILNS1_17partition_subalgoE8EsNS0_10empty_typeEbEEZZNS1_14partition_implILS5_8ELb0ES3_jN6thrust23THRUST_200600_302600_NS6detail15normal_iteratorINSA_10device_ptrIsEEEEPS6_PKS6_NS0_5tupleIJNSA_16discard_iteratorINSA_11use_defaultEEES6_EEENSJ_IJSG_SG_EEENS0_18inequality_wrapperINSA_8equal_toIsEEEEPmJS6_EEE10hipError_tPvRmT3_T4_T5_T6_T7_T9_mT8_P12ihipStream_tbDpT10_ENKUlT_T0_E_clISt17integral_constantIbLb0EES1D_EEDaS18_S19_EUlS18_E_NS1_11comp_targetILNS1_3genE5ELNS1_11target_archE942ELNS1_3gpuE9ELNS1_3repE0EEENS1_30default_config_static_selectorELNS0_4arch9wavefront6targetE1EEEvT1_.has_recursion, 0
	.set _ZN7rocprim17ROCPRIM_400000_NS6detail17trampoline_kernelINS0_14default_configENS1_25partition_config_selectorILNS1_17partition_subalgoE8EsNS0_10empty_typeEbEEZZNS1_14partition_implILS5_8ELb0ES3_jN6thrust23THRUST_200600_302600_NS6detail15normal_iteratorINSA_10device_ptrIsEEEEPS6_PKS6_NS0_5tupleIJNSA_16discard_iteratorINSA_11use_defaultEEES6_EEENSJ_IJSG_SG_EEENS0_18inequality_wrapperINSA_8equal_toIsEEEEPmJS6_EEE10hipError_tPvRmT3_T4_T5_T6_T7_T9_mT8_P12ihipStream_tbDpT10_ENKUlT_T0_E_clISt17integral_constantIbLb0EES1D_EEDaS18_S19_EUlS18_E_NS1_11comp_targetILNS1_3genE5ELNS1_11target_archE942ELNS1_3gpuE9ELNS1_3repE0EEENS1_30default_config_static_selectorELNS0_4arch9wavefront6targetE1EEEvT1_.has_indirect_call, 0
	.section	.AMDGPU.csdata,"",@progbits
; Kernel info:
; codeLenInByte = 0
; TotalNumSgprs: 4
; NumVgprs: 0
; ScratchSize: 0
; MemoryBound: 0
; FloatMode: 240
; IeeeMode: 1
; LDSByteSize: 0 bytes/workgroup (compile time only)
; SGPRBlocks: 0
; VGPRBlocks: 0
; NumSGPRsForWavesPerEU: 4
; NumVGPRsForWavesPerEU: 1
; Occupancy: 10
; WaveLimiterHint : 0
; COMPUTE_PGM_RSRC2:SCRATCH_EN: 0
; COMPUTE_PGM_RSRC2:USER_SGPR: 6
; COMPUTE_PGM_RSRC2:TRAP_HANDLER: 0
; COMPUTE_PGM_RSRC2:TGID_X_EN: 1
; COMPUTE_PGM_RSRC2:TGID_Y_EN: 0
; COMPUTE_PGM_RSRC2:TGID_Z_EN: 0
; COMPUTE_PGM_RSRC2:TIDIG_COMP_CNT: 0
	.section	.text._ZN7rocprim17ROCPRIM_400000_NS6detail17trampoline_kernelINS0_14default_configENS1_25partition_config_selectorILNS1_17partition_subalgoE8EsNS0_10empty_typeEbEEZZNS1_14partition_implILS5_8ELb0ES3_jN6thrust23THRUST_200600_302600_NS6detail15normal_iteratorINSA_10device_ptrIsEEEEPS6_PKS6_NS0_5tupleIJNSA_16discard_iteratorINSA_11use_defaultEEES6_EEENSJ_IJSG_SG_EEENS0_18inequality_wrapperINSA_8equal_toIsEEEEPmJS6_EEE10hipError_tPvRmT3_T4_T5_T6_T7_T9_mT8_P12ihipStream_tbDpT10_ENKUlT_T0_E_clISt17integral_constantIbLb0EES1D_EEDaS18_S19_EUlS18_E_NS1_11comp_targetILNS1_3genE4ELNS1_11target_archE910ELNS1_3gpuE8ELNS1_3repE0EEENS1_30default_config_static_selectorELNS0_4arch9wavefront6targetE1EEEvT1_,"axG",@progbits,_ZN7rocprim17ROCPRIM_400000_NS6detail17trampoline_kernelINS0_14default_configENS1_25partition_config_selectorILNS1_17partition_subalgoE8EsNS0_10empty_typeEbEEZZNS1_14partition_implILS5_8ELb0ES3_jN6thrust23THRUST_200600_302600_NS6detail15normal_iteratorINSA_10device_ptrIsEEEEPS6_PKS6_NS0_5tupleIJNSA_16discard_iteratorINSA_11use_defaultEEES6_EEENSJ_IJSG_SG_EEENS0_18inequality_wrapperINSA_8equal_toIsEEEEPmJS6_EEE10hipError_tPvRmT3_T4_T5_T6_T7_T9_mT8_P12ihipStream_tbDpT10_ENKUlT_T0_E_clISt17integral_constantIbLb0EES1D_EEDaS18_S19_EUlS18_E_NS1_11comp_targetILNS1_3genE4ELNS1_11target_archE910ELNS1_3gpuE8ELNS1_3repE0EEENS1_30default_config_static_selectorELNS0_4arch9wavefront6targetE1EEEvT1_,comdat
	.protected	_ZN7rocprim17ROCPRIM_400000_NS6detail17trampoline_kernelINS0_14default_configENS1_25partition_config_selectorILNS1_17partition_subalgoE8EsNS0_10empty_typeEbEEZZNS1_14partition_implILS5_8ELb0ES3_jN6thrust23THRUST_200600_302600_NS6detail15normal_iteratorINSA_10device_ptrIsEEEEPS6_PKS6_NS0_5tupleIJNSA_16discard_iteratorINSA_11use_defaultEEES6_EEENSJ_IJSG_SG_EEENS0_18inequality_wrapperINSA_8equal_toIsEEEEPmJS6_EEE10hipError_tPvRmT3_T4_T5_T6_T7_T9_mT8_P12ihipStream_tbDpT10_ENKUlT_T0_E_clISt17integral_constantIbLb0EES1D_EEDaS18_S19_EUlS18_E_NS1_11comp_targetILNS1_3genE4ELNS1_11target_archE910ELNS1_3gpuE8ELNS1_3repE0EEENS1_30default_config_static_selectorELNS0_4arch9wavefront6targetE1EEEvT1_ ; -- Begin function _ZN7rocprim17ROCPRIM_400000_NS6detail17trampoline_kernelINS0_14default_configENS1_25partition_config_selectorILNS1_17partition_subalgoE8EsNS0_10empty_typeEbEEZZNS1_14partition_implILS5_8ELb0ES3_jN6thrust23THRUST_200600_302600_NS6detail15normal_iteratorINSA_10device_ptrIsEEEEPS6_PKS6_NS0_5tupleIJNSA_16discard_iteratorINSA_11use_defaultEEES6_EEENSJ_IJSG_SG_EEENS0_18inequality_wrapperINSA_8equal_toIsEEEEPmJS6_EEE10hipError_tPvRmT3_T4_T5_T6_T7_T9_mT8_P12ihipStream_tbDpT10_ENKUlT_T0_E_clISt17integral_constantIbLb0EES1D_EEDaS18_S19_EUlS18_E_NS1_11comp_targetILNS1_3genE4ELNS1_11target_archE910ELNS1_3gpuE8ELNS1_3repE0EEENS1_30default_config_static_selectorELNS0_4arch9wavefront6targetE1EEEvT1_
	.globl	_ZN7rocprim17ROCPRIM_400000_NS6detail17trampoline_kernelINS0_14default_configENS1_25partition_config_selectorILNS1_17partition_subalgoE8EsNS0_10empty_typeEbEEZZNS1_14partition_implILS5_8ELb0ES3_jN6thrust23THRUST_200600_302600_NS6detail15normal_iteratorINSA_10device_ptrIsEEEEPS6_PKS6_NS0_5tupleIJNSA_16discard_iteratorINSA_11use_defaultEEES6_EEENSJ_IJSG_SG_EEENS0_18inequality_wrapperINSA_8equal_toIsEEEEPmJS6_EEE10hipError_tPvRmT3_T4_T5_T6_T7_T9_mT8_P12ihipStream_tbDpT10_ENKUlT_T0_E_clISt17integral_constantIbLb0EES1D_EEDaS18_S19_EUlS18_E_NS1_11comp_targetILNS1_3genE4ELNS1_11target_archE910ELNS1_3gpuE8ELNS1_3repE0EEENS1_30default_config_static_selectorELNS0_4arch9wavefront6targetE1EEEvT1_
	.p2align	8
	.type	_ZN7rocprim17ROCPRIM_400000_NS6detail17trampoline_kernelINS0_14default_configENS1_25partition_config_selectorILNS1_17partition_subalgoE8EsNS0_10empty_typeEbEEZZNS1_14partition_implILS5_8ELb0ES3_jN6thrust23THRUST_200600_302600_NS6detail15normal_iteratorINSA_10device_ptrIsEEEEPS6_PKS6_NS0_5tupleIJNSA_16discard_iteratorINSA_11use_defaultEEES6_EEENSJ_IJSG_SG_EEENS0_18inequality_wrapperINSA_8equal_toIsEEEEPmJS6_EEE10hipError_tPvRmT3_T4_T5_T6_T7_T9_mT8_P12ihipStream_tbDpT10_ENKUlT_T0_E_clISt17integral_constantIbLb0EES1D_EEDaS18_S19_EUlS18_E_NS1_11comp_targetILNS1_3genE4ELNS1_11target_archE910ELNS1_3gpuE8ELNS1_3repE0EEENS1_30default_config_static_selectorELNS0_4arch9wavefront6targetE1EEEvT1_,@function
_ZN7rocprim17ROCPRIM_400000_NS6detail17trampoline_kernelINS0_14default_configENS1_25partition_config_selectorILNS1_17partition_subalgoE8EsNS0_10empty_typeEbEEZZNS1_14partition_implILS5_8ELb0ES3_jN6thrust23THRUST_200600_302600_NS6detail15normal_iteratorINSA_10device_ptrIsEEEEPS6_PKS6_NS0_5tupleIJNSA_16discard_iteratorINSA_11use_defaultEEES6_EEENSJ_IJSG_SG_EEENS0_18inequality_wrapperINSA_8equal_toIsEEEEPmJS6_EEE10hipError_tPvRmT3_T4_T5_T6_T7_T9_mT8_P12ihipStream_tbDpT10_ENKUlT_T0_E_clISt17integral_constantIbLb0EES1D_EEDaS18_S19_EUlS18_E_NS1_11comp_targetILNS1_3genE4ELNS1_11target_archE910ELNS1_3gpuE8ELNS1_3repE0EEENS1_30default_config_static_selectorELNS0_4arch9wavefront6targetE1EEEvT1_: ; @_ZN7rocprim17ROCPRIM_400000_NS6detail17trampoline_kernelINS0_14default_configENS1_25partition_config_selectorILNS1_17partition_subalgoE8EsNS0_10empty_typeEbEEZZNS1_14partition_implILS5_8ELb0ES3_jN6thrust23THRUST_200600_302600_NS6detail15normal_iteratorINSA_10device_ptrIsEEEEPS6_PKS6_NS0_5tupleIJNSA_16discard_iteratorINSA_11use_defaultEEES6_EEENSJ_IJSG_SG_EEENS0_18inequality_wrapperINSA_8equal_toIsEEEEPmJS6_EEE10hipError_tPvRmT3_T4_T5_T6_T7_T9_mT8_P12ihipStream_tbDpT10_ENKUlT_T0_E_clISt17integral_constantIbLb0EES1D_EEDaS18_S19_EUlS18_E_NS1_11comp_targetILNS1_3genE4ELNS1_11target_archE910ELNS1_3gpuE8ELNS1_3repE0EEENS1_30default_config_static_selectorELNS0_4arch9wavefront6targetE1EEEvT1_
; %bb.0:
	.section	.rodata,"a",@progbits
	.p2align	6, 0x0
	.amdhsa_kernel _ZN7rocprim17ROCPRIM_400000_NS6detail17trampoline_kernelINS0_14default_configENS1_25partition_config_selectorILNS1_17partition_subalgoE8EsNS0_10empty_typeEbEEZZNS1_14partition_implILS5_8ELb0ES3_jN6thrust23THRUST_200600_302600_NS6detail15normal_iteratorINSA_10device_ptrIsEEEEPS6_PKS6_NS0_5tupleIJNSA_16discard_iteratorINSA_11use_defaultEEES6_EEENSJ_IJSG_SG_EEENS0_18inequality_wrapperINSA_8equal_toIsEEEEPmJS6_EEE10hipError_tPvRmT3_T4_T5_T6_T7_T9_mT8_P12ihipStream_tbDpT10_ENKUlT_T0_E_clISt17integral_constantIbLb0EES1D_EEDaS18_S19_EUlS18_E_NS1_11comp_targetILNS1_3genE4ELNS1_11target_archE910ELNS1_3gpuE8ELNS1_3repE0EEENS1_30default_config_static_selectorELNS0_4arch9wavefront6targetE1EEEvT1_
		.amdhsa_group_segment_fixed_size 0
		.amdhsa_private_segment_fixed_size 0
		.amdhsa_kernarg_size 120
		.amdhsa_user_sgpr_count 6
		.amdhsa_user_sgpr_private_segment_buffer 1
		.amdhsa_user_sgpr_dispatch_ptr 0
		.amdhsa_user_sgpr_queue_ptr 0
		.amdhsa_user_sgpr_kernarg_segment_ptr 1
		.amdhsa_user_sgpr_dispatch_id 0
		.amdhsa_user_sgpr_flat_scratch_init 0
		.amdhsa_user_sgpr_private_segment_size 0
		.amdhsa_uses_dynamic_stack 0
		.amdhsa_system_sgpr_private_segment_wavefront_offset 0
		.amdhsa_system_sgpr_workgroup_id_x 1
		.amdhsa_system_sgpr_workgroup_id_y 0
		.amdhsa_system_sgpr_workgroup_id_z 0
		.amdhsa_system_sgpr_workgroup_info 0
		.amdhsa_system_vgpr_workitem_id 0
		.amdhsa_next_free_vgpr 1
		.amdhsa_next_free_sgpr 0
		.amdhsa_reserve_vcc 0
		.amdhsa_reserve_flat_scratch 0
		.amdhsa_float_round_mode_32 0
		.amdhsa_float_round_mode_16_64 0
		.amdhsa_float_denorm_mode_32 3
		.amdhsa_float_denorm_mode_16_64 3
		.amdhsa_dx10_clamp 1
		.amdhsa_ieee_mode 1
		.amdhsa_fp16_overflow 0
		.amdhsa_exception_fp_ieee_invalid_op 0
		.amdhsa_exception_fp_denorm_src 0
		.amdhsa_exception_fp_ieee_div_zero 0
		.amdhsa_exception_fp_ieee_overflow 0
		.amdhsa_exception_fp_ieee_underflow 0
		.amdhsa_exception_fp_ieee_inexact 0
		.amdhsa_exception_int_div_zero 0
	.end_amdhsa_kernel
	.section	.text._ZN7rocprim17ROCPRIM_400000_NS6detail17trampoline_kernelINS0_14default_configENS1_25partition_config_selectorILNS1_17partition_subalgoE8EsNS0_10empty_typeEbEEZZNS1_14partition_implILS5_8ELb0ES3_jN6thrust23THRUST_200600_302600_NS6detail15normal_iteratorINSA_10device_ptrIsEEEEPS6_PKS6_NS0_5tupleIJNSA_16discard_iteratorINSA_11use_defaultEEES6_EEENSJ_IJSG_SG_EEENS0_18inequality_wrapperINSA_8equal_toIsEEEEPmJS6_EEE10hipError_tPvRmT3_T4_T5_T6_T7_T9_mT8_P12ihipStream_tbDpT10_ENKUlT_T0_E_clISt17integral_constantIbLb0EES1D_EEDaS18_S19_EUlS18_E_NS1_11comp_targetILNS1_3genE4ELNS1_11target_archE910ELNS1_3gpuE8ELNS1_3repE0EEENS1_30default_config_static_selectorELNS0_4arch9wavefront6targetE1EEEvT1_,"axG",@progbits,_ZN7rocprim17ROCPRIM_400000_NS6detail17trampoline_kernelINS0_14default_configENS1_25partition_config_selectorILNS1_17partition_subalgoE8EsNS0_10empty_typeEbEEZZNS1_14partition_implILS5_8ELb0ES3_jN6thrust23THRUST_200600_302600_NS6detail15normal_iteratorINSA_10device_ptrIsEEEEPS6_PKS6_NS0_5tupleIJNSA_16discard_iteratorINSA_11use_defaultEEES6_EEENSJ_IJSG_SG_EEENS0_18inequality_wrapperINSA_8equal_toIsEEEEPmJS6_EEE10hipError_tPvRmT3_T4_T5_T6_T7_T9_mT8_P12ihipStream_tbDpT10_ENKUlT_T0_E_clISt17integral_constantIbLb0EES1D_EEDaS18_S19_EUlS18_E_NS1_11comp_targetILNS1_3genE4ELNS1_11target_archE910ELNS1_3gpuE8ELNS1_3repE0EEENS1_30default_config_static_selectorELNS0_4arch9wavefront6targetE1EEEvT1_,comdat
.Lfunc_end695:
	.size	_ZN7rocprim17ROCPRIM_400000_NS6detail17trampoline_kernelINS0_14default_configENS1_25partition_config_selectorILNS1_17partition_subalgoE8EsNS0_10empty_typeEbEEZZNS1_14partition_implILS5_8ELb0ES3_jN6thrust23THRUST_200600_302600_NS6detail15normal_iteratorINSA_10device_ptrIsEEEEPS6_PKS6_NS0_5tupleIJNSA_16discard_iteratorINSA_11use_defaultEEES6_EEENSJ_IJSG_SG_EEENS0_18inequality_wrapperINSA_8equal_toIsEEEEPmJS6_EEE10hipError_tPvRmT3_T4_T5_T6_T7_T9_mT8_P12ihipStream_tbDpT10_ENKUlT_T0_E_clISt17integral_constantIbLb0EES1D_EEDaS18_S19_EUlS18_E_NS1_11comp_targetILNS1_3genE4ELNS1_11target_archE910ELNS1_3gpuE8ELNS1_3repE0EEENS1_30default_config_static_selectorELNS0_4arch9wavefront6targetE1EEEvT1_, .Lfunc_end695-_ZN7rocprim17ROCPRIM_400000_NS6detail17trampoline_kernelINS0_14default_configENS1_25partition_config_selectorILNS1_17partition_subalgoE8EsNS0_10empty_typeEbEEZZNS1_14partition_implILS5_8ELb0ES3_jN6thrust23THRUST_200600_302600_NS6detail15normal_iteratorINSA_10device_ptrIsEEEEPS6_PKS6_NS0_5tupleIJNSA_16discard_iteratorINSA_11use_defaultEEES6_EEENSJ_IJSG_SG_EEENS0_18inequality_wrapperINSA_8equal_toIsEEEEPmJS6_EEE10hipError_tPvRmT3_T4_T5_T6_T7_T9_mT8_P12ihipStream_tbDpT10_ENKUlT_T0_E_clISt17integral_constantIbLb0EES1D_EEDaS18_S19_EUlS18_E_NS1_11comp_targetILNS1_3genE4ELNS1_11target_archE910ELNS1_3gpuE8ELNS1_3repE0EEENS1_30default_config_static_selectorELNS0_4arch9wavefront6targetE1EEEvT1_
                                        ; -- End function
	.set _ZN7rocprim17ROCPRIM_400000_NS6detail17trampoline_kernelINS0_14default_configENS1_25partition_config_selectorILNS1_17partition_subalgoE8EsNS0_10empty_typeEbEEZZNS1_14partition_implILS5_8ELb0ES3_jN6thrust23THRUST_200600_302600_NS6detail15normal_iteratorINSA_10device_ptrIsEEEEPS6_PKS6_NS0_5tupleIJNSA_16discard_iteratorINSA_11use_defaultEEES6_EEENSJ_IJSG_SG_EEENS0_18inequality_wrapperINSA_8equal_toIsEEEEPmJS6_EEE10hipError_tPvRmT3_T4_T5_T6_T7_T9_mT8_P12ihipStream_tbDpT10_ENKUlT_T0_E_clISt17integral_constantIbLb0EES1D_EEDaS18_S19_EUlS18_E_NS1_11comp_targetILNS1_3genE4ELNS1_11target_archE910ELNS1_3gpuE8ELNS1_3repE0EEENS1_30default_config_static_selectorELNS0_4arch9wavefront6targetE1EEEvT1_.num_vgpr, 0
	.set _ZN7rocprim17ROCPRIM_400000_NS6detail17trampoline_kernelINS0_14default_configENS1_25partition_config_selectorILNS1_17partition_subalgoE8EsNS0_10empty_typeEbEEZZNS1_14partition_implILS5_8ELb0ES3_jN6thrust23THRUST_200600_302600_NS6detail15normal_iteratorINSA_10device_ptrIsEEEEPS6_PKS6_NS0_5tupleIJNSA_16discard_iteratorINSA_11use_defaultEEES6_EEENSJ_IJSG_SG_EEENS0_18inequality_wrapperINSA_8equal_toIsEEEEPmJS6_EEE10hipError_tPvRmT3_T4_T5_T6_T7_T9_mT8_P12ihipStream_tbDpT10_ENKUlT_T0_E_clISt17integral_constantIbLb0EES1D_EEDaS18_S19_EUlS18_E_NS1_11comp_targetILNS1_3genE4ELNS1_11target_archE910ELNS1_3gpuE8ELNS1_3repE0EEENS1_30default_config_static_selectorELNS0_4arch9wavefront6targetE1EEEvT1_.num_agpr, 0
	.set _ZN7rocprim17ROCPRIM_400000_NS6detail17trampoline_kernelINS0_14default_configENS1_25partition_config_selectorILNS1_17partition_subalgoE8EsNS0_10empty_typeEbEEZZNS1_14partition_implILS5_8ELb0ES3_jN6thrust23THRUST_200600_302600_NS6detail15normal_iteratorINSA_10device_ptrIsEEEEPS6_PKS6_NS0_5tupleIJNSA_16discard_iteratorINSA_11use_defaultEEES6_EEENSJ_IJSG_SG_EEENS0_18inequality_wrapperINSA_8equal_toIsEEEEPmJS6_EEE10hipError_tPvRmT3_T4_T5_T6_T7_T9_mT8_P12ihipStream_tbDpT10_ENKUlT_T0_E_clISt17integral_constantIbLb0EES1D_EEDaS18_S19_EUlS18_E_NS1_11comp_targetILNS1_3genE4ELNS1_11target_archE910ELNS1_3gpuE8ELNS1_3repE0EEENS1_30default_config_static_selectorELNS0_4arch9wavefront6targetE1EEEvT1_.numbered_sgpr, 0
	.set _ZN7rocprim17ROCPRIM_400000_NS6detail17trampoline_kernelINS0_14default_configENS1_25partition_config_selectorILNS1_17partition_subalgoE8EsNS0_10empty_typeEbEEZZNS1_14partition_implILS5_8ELb0ES3_jN6thrust23THRUST_200600_302600_NS6detail15normal_iteratorINSA_10device_ptrIsEEEEPS6_PKS6_NS0_5tupleIJNSA_16discard_iteratorINSA_11use_defaultEEES6_EEENSJ_IJSG_SG_EEENS0_18inequality_wrapperINSA_8equal_toIsEEEEPmJS6_EEE10hipError_tPvRmT3_T4_T5_T6_T7_T9_mT8_P12ihipStream_tbDpT10_ENKUlT_T0_E_clISt17integral_constantIbLb0EES1D_EEDaS18_S19_EUlS18_E_NS1_11comp_targetILNS1_3genE4ELNS1_11target_archE910ELNS1_3gpuE8ELNS1_3repE0EEENS1_30default_config_static_selectorELNS0_4arch9wavefront6targetE1EEEvT1_.num_named_barrier, 0
	.set _ZN7rocprim17ROCPRIM_400000_NS6detail17trampoline_kernelINS0_14default_configENS1_25partition_config_selectorILNS1_17partition_subalgoE8EsNS0_10empty_typeEbEEZZNS1_14partition_implILS5_8ELb0ES3_jN6thrust23THRUST_200600_302600_NS6detail15normal_iteratorINSA_10device_ptrIsEEEEPS6_PKS6_NS0_5tupleIJNSA_16discard_iteratorINSA_11use_defaultEEES6_EEENSJ_IJSG_SG_EEENS0_18inequality_wrapperINSA_8equal_toIsEEEEPmJS6_EEE10hipError_tPvRmT3_T4_T5_T6_T7_T9_mT8_P12ihipStream_tbDpT10_ENKUlT_T0_E_clISt17integral_constantIbLb0EES1D_EEDaS18_S19_EUlS18_E_NS1_11comp_targetILNS1_3genE4ELNS1_11target_archE910ELNS1_3gpuE8ELNS1_3repE0EEENS1_30default_config_static_selectorELNS0_4arch9wavefront6targetE1EEEvT1_.private_seg_size, 0
	.set _ZN7rocprim17ROCPRIM_400000_NS6detail17trampoline_kernelINS0_14default_configENS1_25partition_config_selectorILNS1_17partition_subalgoE8EsNS0_10empty_typeEbEEZZNS1_14partition_implILS5_8ELb0ES3_jN6thrust23THRUST_200600_302600_NS6detail15normal_iteratorINSA_10device_ptrIsEEEEPS6_PKS6_NS0_5tupleIJNSA_16discard_iteratorINSA_11use_defaultEEES6_EEENSJ_IJSG_SG_EEENS0_18inequality_wrapperINSA_8equal_toIsEEEEPmJS6_EEE10hipError_tPvRmT3_T4_T5_T6_T7_T9_mT8_P12ihipStream_tbDpT10_ENKUlT_T0_E_clISt17integral_constantIbLb0EES1D_EEDaS18_S19_EUlS18_E_NS1_11comp_targetILNS1_3genE4ELNS1_11target_archE910ELNS1_3gpuE8ELNS1_3repE0EEENS1_30default_config_static_selectorELNS0_4arch9wavefront6targetE1EEEvT1_.uses_vcc, 0
	.set _ZN7rocprim17ROCPRIM_400000_NS6detail17trampoline_kernelINS0_14default_configENS1_25partition_config_selectorILNS1_17partition_subalgoE8EsNS0_10empty_typeEbEEZZNS1_14partition_implILS5_8ELb0ES3_jN6thrust23THRUST_200600_302600_NS6detail15normal_iteratorINSA_10device_ptrIsEEEEPS6_PKS6_NS0_5tupleIJNSA_16discard_iteratorINSA_11use_defaultEEES6_EEENSJ_IJSG_SG_EEENS0_18inequality_wrapperINSA_8equal_toIsEEEEPmJS6_EEE10hipError_tPvRmT3_T4_T5_T6_T7_T9_mT8_P12ihipStream_tbDpT10_ENKUlT_T0_E_clISt17integral_constantIbLb0EES1D_EEDaS18_S19_EUlS18_E_NS1_11comp_targetILNS1_3genE4ELNS1_11target_archE910ELNS1_3gpuE8ELNS1_3repE0EEENS1_30default_config_static_selectorELNS0_4arch9wavefront6targetE1EEEvT1_.uses_flat_scratch, 0
	.set _ZN7rocprim17ROCPRIM_400000_NS6detail17trampoline_kernelINS0_14default_configENS1_25partition_config_selectorILNS1_17partition_subalgoE8EsNS0_10empty_typeEbEEZZNS1_14partition_implILS5_8ELb0ES3_jN6thrust23THRUST_200600_302600_NS6detail15normal_iteratorINSA_10device_ptrIsEEEEPS6_PKS6_NS0_5tupleIJNSA_16discard_iteratorINSA_11use_defaultEEES6_EEENSJ_IJSG_SG_EEENS0_18inequality_wrapperINSA_8equal_toIsEEEEPmJS6_EEE10hipError_tPvRmT3_T4_T5_T6_T7_T9_mT8_P12ihipStream_tbDpT10_ENKUlT_T0_E_clISt17integral_constantIbLb0EES1D_EEDaS18_S19_EUlS18_E_NS1_11comp_targetILNS1_3genE4ELNS1_11target_archE910ELNS1_3gpuE8ELNS1_3repE0EEENS1_30default_config_static_selectorELNS0_4arch9wavefront6targetE1EEEvT1_.has_dyn_sized_stack, 0
	.set _ZN7rocprim17ROCPRIM_400000_NS6detail17trampoline_kernelINS0_14default_configENS1_25partition_config_selectorILNS1_17partition_subalgoE8EsNS0_10empty_typeEbEEZZNS1_14partition_implILS5_8ELb0ES3_jN6thrust23THRUST_200600_302600_NS6detail15normal_iteratorINSA_10device_ptrIsEEEEPS6_PKS6_NS0_5tupleIJNSA_16discard_iteratorINSA_11use_defaultEEES6_EEENSJ_IJSG_SG_EEENS0_18inequality_wrapperINSA_8equal_toIsEEEEPmJS6_EEE10hipError_tPvRmT3_T4_T5_T6_T7_T9_mT8_P12ihipStream_tbDpT10_ENKUlT_T0_E_clISt17integral_constantIbLb0EES1D_EEDaS18_S19_EUlS18_E_NS1_11comp_targetILNS1_3genE4ELNS1_11target_archE910ELNS1_3gpuE8ELNS1_3repE0EEENS1_30default_config_static_selectorELNS0_4arch9wavefront6targetE1EEEvT1_.has_recursion, 0
	.set _ZN7rocprim17ROCPRIM_400000_NS6detail17trampoline_kernelINS0_14default_configENS1_25partition_config_selectorILNS1_17partition_subalgoE8EsNS0_10empty_typeEbEEZZNS1_14partition_implILS5_8ELb0ES3_jN6thrust23THRUST_200600_302600_NS6detail15normal_iteratorINSA_10device_ptrIsEEEEPS6_PKS6_NS0_5tupleIJNSA_16discard_iteratorINSA_11use_defaultEEES6_EEENSJ_IJSG_SG_EEENS0_18inequality_wrapperINSA_8equal_toIsEEEEPmJS6_EEE10hipError_tPvRmT3_T4_T5_T6_T7_T9_mT8_P12ihipStream_tbDpT10_ENKUlT_T0_E_clISt17integral_constantIbLb0EES1D_EEDaS18_S19_EUlS18_E_NS1_11comp_targetILNS1_3genE4ELNS1_11target_archE910ELNS1_3gpuE8ELNS1_3repE0EEENS1_30default_config_static_selectorELNS0_4arch9wavefront6targetE1EEEvT1_.has_indirect_call, 0
	.section	.AMDGPU.csdata,"",@progbits
; Kernel info:
; codeLenInByte = 0
; TotalNumSgprs: 4
; NumVgprs: 0
; ScratchSize: 0
; MemoryBound: 0
; FloatMode: 240
; IeeeMode: 1
; LDSByteSize: 0 bytes/workgroup (compile time only)
; SGPRBlocks: 0
; VGPRBlocks: 0
; NumSGPRsForWavesPerEU: 4
; NumVGPRsForWavesPerEU: 1
; Occupancy: 10
; WaveLimiterHint : 0
; COMPUTE_PGM_RSRC2:SCRATCH_EN: 0
; COMPUTE_PGM_RSRC2:USER_SGPR: 6
; COMPUTE_PGM_RSRC2:TRAP_HANDLER: 0
; COMPUTE_PGM_RSRC2:TGID_X_EN: 1
; COMPUTE_PGM_RSRC2:TGID_Y_EN: 0
; COMPUTE_PGM_RSRC2:TGID_Z_EN: 0
; COMPUTE_PGM_RSRC2:TIDIG_COMP_CNT: 0
	.section	.text._ZN7rocprim17ROCPRIM_400000_NS6detail17trampoline_kernelINS0_14default_configENS1_25partition_config_selectorILNS1_17partition_subalgoE8EsNS0_10empty_typeEbEEZZNS1_14partition_implILS5_8ELb0ES3_jN6thrust23THRUST_200600_302600_NS6detail15normal_iteratorINSA_10device_ptrIsEEEEPS6_PKS6_NS0_5tupleIJNSA_16discard_iteratorINSA_11use_defaultEEES6_EEENSJ_IJSG_SG_EEENS0_18inequality_wrapperINSA_8equal_toIsEEEEPmJS6_EEE10hipError_tPvRmT3_T4_T5_T6_T7_T9_mT8_P12ihipStream_tbDpT10_ENKUlT_T0_E_clISt17integral_constantIbLb0EES1D_EEDaS18_S19_EUlS18_E_NS1_11comp_targetILNS1_3genE3ELNS1_11target_archE908ELNS1_3gpuE7ELNS1_3repE0EEENS1_30default_config_static_selectorELNS0_4arch9wavefront6targetE1EEEvT1_,"axG",@progbits,_ZN7rocprim17ROCPRIM_400000_NS6detail17trampoline_kernelINS0_14default_configENS1_25partition_config_selectorILNS1_17partition_subalgoE8EsNS0_10empty_typeEbEEZZNS1_14partition_implILS5_8ELb0ES3_jN6thrust23THRUST_200600_302600_NS6detail15normal_iteratorINSA_10device_ptrIsEEEEPS6_PKS6_NS0_5tupleIJNSA_16discard_iteratorINSA_11use_defaultEEES6_EEENSJ_IJSG_SG_EEENS0_18inequality_wrapperINSA_8equal_toIsEEEEPmJS6_EEE10hipError_tPvRmT3_T4_T5_T6_T7_T9_mT8_P12ihipStream_tbDpT10_ENKUlT_T0_E_clISt17integral_constantIbLb0EES1D_EEDaS18_S19_EUlS18_E_NS1_11comp_targetILNS1_3genE3ELNS1_11target_archE908ELNS1_3gpuE7ELNS1_3repE0EEENS1_30default_config_static_selectorELNS0_4arch9wavefront6targetE1EEEvT1_,comdat
	.protected	_ZN7rocprim17ROCPRIM_400000_NS6detail17trampoline_kernelINS0_14default_configENS1_25partition_config_selectorILNS1_17partition_subalgoE8EsNS0_10empty_typeEbEEZZNS1_14partition_implILS5_8ELb0ES3_jN6thrust23THRUST_200600_302600_NS6detail15normal_iteratorINSA_10device_ptrIsEEEEPS6_PKS6_NS0_5tupleIJNSA_16discard_iteratorINSA_11use_defaultEEES6_EEENSJ_IJSG_SG_EEENS0_18inequality_wrapperINSA_8equal_toIsEEEEPmJS6_EEE10hipError_tPvRmT3_T4_T5_T6_T7_T9_mT8_P12ihipStream_tbDpT10_ENKUlT_T0_E_clISt17integral_constantIbLb0EES1D_EEDaS18_S19_EUlS18_E_NS1_11comp_targetILNS1_3genE3ELNS1_11target_archE908ELNS1_3gpuE7ELNS1_3repE0EEENS1_30default_config_static_selectorELNS0_4arch9wavefront6targetE1EEEvT1_ ; -- Begin function _ZN7rocprim17ROCPRIM_400000_NS6detail17trampoline_kernelINS0_14default_configENS1_25partition_config_selectorILNS1_17partition_subalgoE8EsNS0_10empty_typeEbEEZZNS1_14partition_implILS5_8ELb0ES3_jN6thrust23THRUST_200600_302600_NS6detail15normal_iteratorINSA_10device_ptrIsEEEEPS6_PKS6_NS0_5tupleIJNSA_16discard_iteratorINSA_11use_defaultEEES6_EEENSJ_IJSG_SG_EEENS0_18inequality_wrapperINSA_8equal_toIsEEEEPmJS6_EEE10hipError_tPvRmT3_T4_T5_T6_T7_T9_mT8_P12ihipStream_tbDpT10_ENKUlT_T0_E_clISt17integral_constantIbLb0EES1D_EEDaS18_S19_EUlS18_E_NS1_11comp_targetILNS1_3genE3ELNS1_11target_archE908ELNS1_3gpuE7ELNS1_3repE0EEENS1_30default_config_static_selectorELNS0_4arch9wavefront6targetE1EEEvT1_
	.globl	_ZN7rocprim17ROCPRIM_400000_NS6detail17trampoline_kernelINS0_14default_configENS1_25partition_config_selectorILNS1_17partition_subalgoE8EsNS0_10empty_typeEbEEZZNS1_14partition_implILS5_8ELb0ES3_jN6thrust23THRUST_200600_302600_NS6detail15normal_iteratorINSA_10device_ptrIsEEEEPS6_PKS6_NS0_5tupleIJNSA_16discard_iteratorINSA_11use_defaultEEES6_EEENSJ_IJSG_SG_EEENS0_18inequality_wrapperINSA_8equal_toIsEEEEPmJS6_EEE10hipError_tPvRmT3_T4_T5_T6_T7_T9_mT8_P12ihipStream_tbDpT10_ENKUlT_T0_E_clISt17integral_constantIbLb0EES1D_EEDaS18_S19_EUlS18_E_NS1_11comp_targetILNS1_3genE3ELNS1_11target_archE908ELNS1_3gpuE7ELNS1_3repE0EEENS1_30default_config_static_selectorELNS0_4arch9wavefront6targetE1EEEvT1_
	.p2align	8
	.type	_ZN7rocprim17ROCPRIM_400000_NS6detail17trampoline_kernelINS0_14default_configENS1_25partition_config_selectorILNS1_17partition_subalgoE8EsNS0_10empty_typeEbEEZZNS1_14partition_implILS5_8ELb0ES3_jN6thrust23THRUST_200600_302600_NS6detail15normal_iteratorINSA_10device_ptrIsEEEEPS6_PKS6_NS0_5tupleIJNSA_16discard_iteratorINSA_11use_defaultEEES6_EEENSJ_IJSG_SG_EEENS0_18inequality_wrapperINSA_8equal_toIsEEEEPmJS6_EEE10hipError_tPvRmT3_T4_T5_T6_T7_T9_mT8_P12ihipStream_tbDpT10_ENKUlT_T0_E_clISt17integral_constantIbLb0EES1D_EEDaS18_S19_EUlS18_E_NS1_11comp_targetILNS1_3genE3ELNS1_11target_archE908ELNS1_3gpuE7ELNS1_3repE0EEENS1_30default_config_static_selectorELNS0_4arch9wavefront6targetE1EEEvT1_,@function
_ZN7rocprim17ROCPRIM_400000_NS6detail17trampoline_kernelINS0_14default_configENS1_25partition_config_selectorILNS1_17partition_subalgoE8EsNS0_10empty_typeEbEEZZNS1_14partition_implILS5_8ELb0ES3_jN6thrust23THRUST_200600_302600_NS6detail15normal_iteratorINSA_10device_ptrIsEEEEPS6_PKS6_NS0_5tupleIJNSA_16discard_iteratorINSA_11use_defaultEEES6_EEENSJ_IJSG_SG_EEENS0_18inequality_wrapperINSA_8equal_toIsEEEEPmJS6_EEE10hipError_tPvRmT3_T4_T5_T6_T7_T9_mT8_P12ihipStream_tbDpT10_ENKUlT_T0_E_clISt17integral_constantIbLb0EES1D_EEDaS18_S19_EUlS18_E_NS1_11comp_targetILNS1_3genE3ELNS1_11target_archE908ELNS1_3gpuE7ELNS1_3repE0EEENS1_30default_config_static_selectorELNS0_4arch9wavefront6targetE1EEEvT1_: ; @_ZN7rocprim17ROCPRIM_400000_NS6detail17trampoline_kernelINS0_14default_configENS1_25partition_config_selectorILNS1_17partition_subalgoE8EsNS0_10empty_typeEbEEZZNS1_14partition_implILS5_8ELb0ES3_jN6thrust23THRUST_200600_302600_NS6detail15normal_iteratorINSA_10device_ptrIsEEEEPS6_PKS6_NS0_5tupleIJNSA_16discard_iteratorINSA_11use_defaultEEES6_EEENSJ_IJSG_SG_EEENS0_18inequality_wrapperINSA_8equal_toIsEEEEPmJS6_EEE10hipError_tPvRmT3_T4_T5_T6_T7_T9_mT8_P12ihipStream_tbDpT10_ENKUlT_T0_E_clISt17integral_constantIbLb0EES1D_EEDaS18_S19_EUlS18_E_NS1_11comp_targetILNS1_3genE3ELNS1_11target_archE908ELNS1_3gpuE7ELNS1_3repE0EEENS1_30default_config_static_selectorELNS0_4arch9wavefront6targetE1EEEvT1_
; %bb.0:
	.section	.rodata,"a",@progbits
	.p2align	6, 0x0
	.amdhsa_kernel _ZN7rocprim17ROCPRIM_400000_NS6detail17trampoline_kernelINS0_14default_configENS1_25partition_config_selectorILNS1_17partition_subalgoE8EsNS0_10empty_typeEbEEZZNS1_14partition_implILS5_8ELb0ES3_jN6thrust23THRUST_200600_302600_NS6detail15normal_iteratorINSA_10device_ptrIsEEEEPS6_PKS6_NS0_5tupleIJNSA_16discard_iteratorINSA_11use_defaultEEES6_EEENSJ_IJSG_SG_EEENS0_18inequality_wrapperINSA_8equal_toIsEEEEPmJS6_EEE10hipError_tPvRmT3_T4_T5_T6_T7_T9_mT8_P12ihipStream_tbDpT10_ENKUlT_T0_E_clISt17integral_constantIbLb0EES1D_EEDaS18_S19_EUlS18_E_NS1_11comp_targetILNS1_3genE3ELNS1_11target_archE908ELNS1_3gpuE7ELNS1_3repE0EEENS1_30default_config_static_selectorELNS0_4arch9wavefront6targetE1EEEvT1_
		.amdhsa_group_segment_fixed_size 0
		.amdhsa_private_segment_fixed_size 0
		.amdhsa_kernarg_size 120
		.amdhsa_user_sgpr_count 6
		.amdhsa_user_sgpr_private_segment_buffer 1
		.amdhsa_user_sgpr_dispatch_ptr 0
		.amdhsa_user_sgpr_queue_ptr 0
		.amdhsa_user_sgpr_kernarg_segment_ptr 1
		.amdhsa_user_sgpr_dispatch_id 0
		.amdhsa_user_sgpr_flat_scratch_init 0
		.amdhsa_user_sgpr_private_segment_size 0
		.amdhsa_uses_dynamic_stack 0
		.amdhsa_system_sgpr_private_segment_wavefront_offset 0
		.amdhsa_system_sgpr_workgroup_id_x 1
		.amdhsa_system_sgpr_workgroup_id_y 0
		.amdhsa_system_sgpr_workgroup_id_z 0
		.amdhsa_system_sgpr_workgroup_info 0
		.amdhsa_system_vgpr_workitem_id 0
		.amdhsa_next_free_vgpr 1
		.amdhsa_next_free_sgpr 0
		.amdhsa_reserve_vcc 0
		.amdhsa_reserve_flat_scratch 0
		.amdhsa_float_round_mode_32 0
		.amdhsa_float_round_mode_16_64 0
		.amdhsa_float_denorm_mode_32 3
		.amdhsa_float_denorm_mode_16_64 3
		.amdhsa_dx10_clamp 1
		.amdhsa_ieee_mode 1
		.amdhsa_fp16_overflow 0
		.amdhsa_exception_fp_ieee_invalid_op 0
		.amdhsa_exception_fp_denorm_src 0
		.amdhsa_exception_fp_ieee_div_zero 0
		.amdhsa_exception_fp_ieee_overflow 0
		.amdhsa_exception_fp_ieee_underflow 0
		.amdhsa_exception_fp_ieee_inexact 0
		.amdhsa_exception_int_div_zero 0
	.end_amdhsa_kernel
	.section	.text._ZN7rocprim17ROCPRIM_400000_NS6detail17trampoline_kernelINS0_14default_configENS1_25partition_config_selectorILNS1_17partition_subalgoE8EsNS0_10empty_typeEbEEZZNS1_14partition_implILS5_8ELb0ES3_jN6thrust23THRUST_200600_302600_NS6detail15normal_iteratorINSA_10device_ptrIsEEEEPS6_PKS6_NS0_5tupleIJNSA_16discard_iteratorINSA_11use_defaultEEES6_EEENSJ_IJSG_SG_EEENS0_18inequality_wrapperINSA_8equal_toIsEEEEPmJS6_EEE10hipError_tPvRmT3_T4_T5_T6_T7_T9_mT8_P12ihipStream_tbDpT10_ENKUlT_T0_E_clISt17integral_constantIbLb0EES1D_EEDaS18_S19_EUlS18_E_NS1_11comp_targetILNS1_3genE3ELNS1_11target_archE908ELNS1_3gpuE7ELNS1_3repE0EEENS1_30default_config_static_selectorELNS0_4arch9wavefront6targetE1EEEvT1_,"axG",@progbits,_ZN7rocprim17ROCPRIM_400000_NS6detail17trampoline_kernelINS0_14default_configENS1_25partition_config_selectorILNS1_17partition_subalgoE8EsNS0_10empty_typeEbEEZZNS1_14partition_implILS5_8ELb0ES3_jN6thrust23THRUST_200600_302600_NS6detail15normal_iteratorINSA_10device_ptrIsEEEEPS6_PKS6_NS0_5tupleIJNSA_16discard_iteratorINSA_11use_defaultEEES6_EEENSJ_IJSG_SG_EEENS0_18inequality_wrapperINSA_8equal_toIsEEEEPmJS6_EEE10hipError_tPvRmT3_T4_T5_T6_T7_T9_mT8_P12ihipStream_tbDpT10_ENKUlT_T0_E_clISt17integral_constantIbLb0EES1D_EEDaS18_S19_EUlS18_E_NS1_11comp_targetILNS1_3genE3ELNS1_11target_archE908ELNS1_3gpuE7ELNS1_3repE0EEENS1_30default_config_static_selectorELNS0_4arch9wavefront6targetE1EEEvT1_,comdat
.Lfunc_end696:
	.size	_ZN7rocprim17ROCPRIM_400000_NS6detail17trampoline_kernelINS0_14default_configENS1_25partition_config_selectorILNS1_17partition_subalgoE8EsNS0_10empty_typeEbEEZZNS1_14partition_implILS5_8ELb0ES3_jN6thrust23THRUST_200600_302600_NS6detail15normal_iteratorINSA_10device_ptrIsEEEEPS6_PKS6_NS0_5tupleIJNSA_16discard_iteratorINSA_11use_defaultEEES6_EEENSJ_IJSG_SG_EEENS0_18inequality_wrapperINSA_8equal_toIsEEEEPmJS6_EEE10hipError_tPvRmT3_T4_T5_T6_T7_T9_mT8_P12ihipStream_tbDpT10_ENKUlT_T0_E_clISt17integral_constantIbLb0EES1D_EEDaS18_S19_EUlS18_E_NS1_11comp_targetILNS1_3genE3ELNS1_11target_archE908ELNS1_3gpuE7ELNS1_3repE0EEENS1_30default_config_static_selectorELNS0_4arch9wavefront6targetE1EEEvT1_, .Lfunc_end696-_ZN7rocprim17ROCPRIM_400000_NS6detail17trampoline_kernelINS0_14default_configENS1_25partition_config_selectorILNS1_17partition_subalgoE8EsNS0_10empty_typeEbEEZZNS1_14partition_implILS5_8ELb0ES3_jN6thrust23THRUST_200600_302600_NS6detail15normal_iteratorINSA_10device_ptrIsEEEEPS6_PKS6_NS0_5tupleIJNSA_16discard_iteratorINSA_11use_defaultEEES6_EEENSJ_IJSG_SG_EEENS0_18inequality_wrapperINSA_8equal_toIsEEEEPmJS6_EEE10hipError_tPvRmT3_T4_T5_T6_T7_T9_mT8_P12ihipStream_tbDpT10_ENKUlT_T0_E_clISt17integral_constantIbLb0EES1D_EEDaS18_S19_EUlS18_E_NS1_11comp_targetILNS1_3genE3ELNS1_11target_archE908ELNS1_3gpuE7ELNS1_3repE0EEENS1_30default_config_static_selectorELNS0_4arch9wavefront6targetE1EEEvT1_
                                        ; -- End function
	.set _ZN7rocprim17ROCPRIM_400000_NS6detail17trampoline_kernelINS0_14default_configENS1_25partition_config_selectorILNS1_17partition_subalgoE8EsNS0_10empty_typeEbEEZZNS1_14partition_implILS5_8ELb0ES3_jN6thrust23THRUST_200600_302600_NS6detail15normal_iteratorINSA_10device_ptrIsEEEEPS6_PKS6_NS0_5tupleIJNSA_16discard_iteratorINSA_11use_defaultEEES6_EEENSJ_IJSG_SG_EEENS0_18inequality_wrapperINSA_8equal_toIsEEEEPmJS6_EEE10hipError_tPvRmT3_T4_T5_T6_T7_T9_mT8_P12ihipStream_tbDpT10_ENKUlT_T0_E_clISt17integral_constantIbLb0EES1D_EEDaS18_S19_EUlS18_E_NS1_11comp_targetILNS1_3genE3ELNS1_11target_archE908ELNS1_3gpuE7ELNS1_3repE0EEENS1_30default_config_static_selectorELNS0_4arch9wavefront6targetE1EEEvT1_.num_vgpr, 0
	.set _ZN7rocprim17ROCPRIM_400000_NS6detail17trampoline_kernelINS0_14default_configENS1_25partition_config_selectorILNS1_17partition_subalgoE8EsNS0_10empty_typeEbEEZZNS1_14partition_implILS5_8ELb0ES3_jN6thrust23THRUST_200600_302600_NS6detail15normal_iteratorINSA_10device_ptrIsEEEEPS6_PKS6_NS0_5tupleIJNSA_16discard_iteratorINSA_11use_defaultEEES6_EEENSJ_IJSG_SG_EEENS0_18inequality_wrapperINSA_8equal_toIsEEEEPmJS6_EEE10hipError_tPvRmT3_T4_T5_T6_T7_T9_mT8_P12ihipStream_tbDpT10_ENKUlT_T0_E_clISt17integral_constantIbLb0EES1D_EEDaS18_S19_EUlS18_E_NS1_11comp_targetILNS1_3genE3ELNS1_11target_archE908ELNS1_3gpuE7ELNS1_3repE0EEENS1_30default_config_static_selectorELNS0_4arch9wavefront6targetE1EEEvT1_.num_agpr, 0
	.set _ZN7rocprim17ROCPRIM_400000_NS6detail17trampoline_kernelINS0_14default_configENS1_25partition_config_selectorILNS1_17partition_subalgoE8EsNS0_10empty_typeEbEEZZNS1_14partition_implILS5_8ELb0ES3_jN6thrust23THRUST_200600_302600_NS6detail15normal_iteratorINSA_10device_ptrIsEEEEPS6_PKS6_NS0_5tupleIJNSA_16discard_iteratorINSA_11use_defaultEEES6_EEENSJ_IJSG_SG_EEENS0_18inequality_wrapperINSA_8equal_toIsEEEEPmJS6_EEE10hipError_tPvRmT3_T4_T5_T6_T7_T9_mT8_P12ihipStream_tbDpT10_ENKUlT_T0_E_clISt17integral_constantIbLb0EES1D_EEDaS18_S19_EUlS18_E_NS1_11comp_targetILNS1_3genE3ELNS1_11target_archE908ELNS1_3gpuE7ELNS1_3repE0EEENS1_30default_config_static_selectorELNS0_4arch9wavefront6targetE1EEEvT1_.numbered_sgpr, 0
	.set _ZN7rocprim17ROCPRIM_400000_NS6detail17trampoline_kernelINS0_14default_configENS1_25partition_config_selectorILNS1_17partition_subalgoE8EsNS0_10empty_typeEbEEZZNS1_14partition_implILS5_8ELb0ES3_jN6thrust23THRUST_200600_302600_NS6detail15normal_iteratorINSA_10device_ptrIsEEEEPS6_PKS6_NS0_5tupleIJNSA_16discard_iteratorINSA_11use_defaultEEES6_EEENSJ_IJSG_SG_EEENS0_18inequality_wrapperINSA_8equal_toIsEEEEPmJS6_EEE10hipError_tPvRmT3_T4_T5_T6_T7_T9_mT8_P12ihipStream_tbDpT10_ENKUlT_T0_E_clISt17integral_constantIbLb0EES1D_EEDaS18_S19_EUlS18_E_NS1_11comp_targetILNS1_3genE3ELNS1_11target_archE908ELNS1_3gpuE7ELNS1_3repE0EEENS1_30default_config_static_selectorELNS0_4arch9wavefront6targetE1EEEvT1_.num_named_barrier, 0
	.set _ZN7rocprim17ROCPRIM_400000_NS6detail17trampoline_kernelINS0_14default_configENS1_25partition_config_selectorILNS1_17partition_subalgoE8EsNS0_10empty_typeEbEEZZNS1_14partition_implILS5_8ELb0ES3_jN6thrust23THRUST_200600_302600_NS6detail15normal_iteratorINSA_10device_ptrIsEEEEPS6_PKS6_NS0_5tupleIJNSA_16discard_iteratorINSA_11use_defaultEEES6_EEENSJ_IJSG_SG_EEENS0_18inequality_wrapperINSA_8equal_toIsEEEEPmJS6_EEE10hipError_tPvRmT3_T4_T5_T6_T7_T9_mT8_P12ihipStream_tbDpT10_ENKUlT_T0_E_clISt17integral_constantIbLb0EES1D_EEDaS18_S19_EUlS18_E_NS1_11comp_targetILNS1_3genE3ELNS1_11target_archE908ELNS1_3gpuE7ELNS1_3repE0EEENS1_30default_config_static_selectorELNS0_4arch9wavefront6targetE1EEEvT1_.private_seg_size, 0
	.set _ZN7rocprim17ROCPRIM_400000_NS6detail17trampoline_kernelINS0_14default_configENS1_25partition_config_selectorILNS1_17partition_subalgoE8EsNS0_10empty_typeEbEEZZNS1_14partition_implILS5_8ELb0ES3_jN6thrust23THRUST_200600_302600_NS6detail15normal_iteratorINSA_10device_ptrIsEEEEPS6_PKS6_NS0_5tupleIJNSA_16discard_iteratorINSA_11use_defaultEEES6_EEENSJ_IJSG_SG_EEENS0_18inequality_wrapperINSA_8equal_toIsEEEEPmJS6_EEE10hipError_tPvRmT3_T4_T5_T6_T7_T9_mT8_P12ihipStream_tbDpT10_ENKUlT_T0_E_clISt17integral_constantIbLb0EES1D_EEDaS18_S19_EUlS18_E_NS1_11comp_targetILNS1_3genE3ELNS1_11target_archE908ELNS1_3gpuE7ELNS1_3repE0EEENS1_30default_config_static_selectorELNS0_4arch9wavefront6targetE1EEEvT1_.uses_vcc, 0
	.set _ZN7rocprim17ROCPRIM_400000_NS6detail17trampoline_kernelINS0_14default_configENS1_25partition_config_selectorILNS1_17partition_subalgoE8EsNS0_10empty_typeEbEEZZNS1_14partition_implILS5_8ELb0ES3_jN6thrust23THRUST_200600_302600_NS6detail15normal_iteratorINSA_10device_ptrIsEEEEPS6_PKS6_NS0_5tupleIJNSA_16discard_iteratorINSA_11use_defaultEEES6_EEENSJ_IJSG_SG_EEENS0_18inequality_wrapperINSA_8equal_toIsEEEEPmJS6_EEE10hipError_tPvRmT3_T4_T5_T6_T7_T9_mT8_P12ihipStream_tbDpT10_ENKUlT_T0_E_clISt17integral_constantIbLb0EES1D_EEDaS18_S19_EUlS18_E_NS1_11comp_targetILNS1_3genE3ELNS1_11target_archE908ELNS1_3gpuE7ELNS1_3repE0EEENS1_30default_config_static_selectorELNS0_4arch9wavefront6targetE1EEEvT1_.uses_flat_scratch, 0
	.set _ZN7rocprim17ROCPRIM_400000_NS6detail17trampoline_kernelINS0_14default_configENS1_25partition_config_selectorILNS1_17partition_subalgoE8EsNS0_10empty_typeEbEEZZNS1_14partition_implILS5_8ELb0ES3_jN6thrust23THRUST_200600_302600_NS6detail15normal_iteratorINSA_10device_ptrIsEEEEPS6_PKS6_NS0_5tupleIJNSA_16discard_iteratorINSA_11use_defaultEEES6_EEENSJ_IJSG_SG_EEENS0_18inequality_wrapperINSA_8equal_toIsEEEEPmJS6_EEE10hipError_tPvRmT3_T4_T5_T6_T7_T9_mT8_P12ihipStream_tbDpT10_ENKUlT_T0_E_clISt17integral_constantIbLb0EES1D_EEDaS18_S19_EUlS18_E_NS1_11comp_targetILNS1_3genE3ELNS1_11target_archE908ELNS1_3gpuE7ELNS1_3repE0EEENS1_30default_config_static_selectorELNS0_4arch9wavefront6targetE1EEEvT1_.has_dyn_sized_stack, 0
	.set _ZN7rocprim17ROCPRIM_400000_NS6detail17trampoline_kernelINS0_14default_configENS1_25partition_config_selectorILNS1_17partition_subalgoE8EsNS0_10empty_typeEbEEZZNS1_14partition_implILS5_8ELb0ES3_jN6thrust23THRUST_200600_302600_NS6detail15normal_iteratorINSA_10device_ptrIsEEEEPS6_PKS6_NS0_5tupleIJNSA_16discard_iteratorINSA_11use_defaultEEES6_EEENSJ_IJSG_SG_EEENS0_18inequality_wrapperINSA_8equal_toIsEEEEPmJS6_EEE10hipError_tPvRmT3_T4_T5_T6_T7_T9_mT8_P12ihipStream_tbDpT10_ENKUlT_T0_E_clISt17integral_constantIbLb0EES1D_EEDaS18_S19_EUlS18_E_NS1_11comp_targetILNS1_3genE3ELNS1_11target_archE908ELNS1_3gpuE7ELNS1_3repE0EEENS1_30default_config_static_selectorELNS0_4arch9wavefront6targetE1EEEvT1_.has_recursion, 0
	.set _ZN7rocprim17ROCPRIM_400000_NS6detail17trampoline_kernelINS0_14default_configENS1_25partition_config_selectorILNS1_17partition_subalgoE8EsNS0_10empty_typeEbEEZZNS1_14partition_implILS5_8ELb0ES3_jN6thrust23THRUST_200600_302600_NS6detail15normal_iteratorINSA_10device_ptrIsEEEEPS6_PKS6_NS0_5tupleIJNSA_16discard_iteratorINSA_11use_defaultEEES6_EEENSJ_IJSG_SG_EEENS0_18inequality_wrapperINSA_8equal_toIsEEEEPmJS6_EEE10hipError_tPvRmT3_T4_T5_T6_T7_T9_mT8_P12ihipStream_tbDpT10_ENKUlT_T0_E_clISt17integral_constantIbLb0EES1D_EEDaS18_S19_EUlS18_E_NS1_11comp_targetILNS1_3genE3ELNS1_11target_archE908ELNS1_3gpuE7ELNS1_3repE0EEENS1_30default_config_static_selectorELNS0_4arch9wavefront6targetE1EEEvT1_.has_indirect_call, 0
	.section	.AMDGPU.csdata,"",@progbits
; Kernel info:
; codeLenInByte = 0
; TotalNumSgprs: 4
; NumVgprs: 0
; ScratchSize: 0
; MemoryBound: 0
; FloatMode: 240
; IeeeMode: 1
; LDSByteSize: 0 bytes/workgroup (compile time only)
; SGPRBlocks: 0
; VGPRBlocks: 0
; NumSGPRsForWavesPerEU: 4
; NumVGPRsForWavesPerEU: 1
; Occupancy: 10
; WaveLimiterHint : 0
; COMPUTE_PGM_RSRC2:SCRATCH_EN: 0
; COMPUTE_PGM_RSRC2:USER_SGPR: 6
; COMPUTE_PGM_RSRC2:TRAP_HANDLER: 0
; COMPUTE_PGM_RSRC2:TGID_X_EN: 1
; COMPUTE_PGM_RSRC2:TGID_Y_EN: 0
; COMPUTE_PGM_RSRC2:TGID_Z_EN: 0
; COMPUTE_PGM_RSRC2:TIDIG_COMP_CNT: 0
	.section	.text._ZN7rocprim17ROCPRIM_400000_NS6detail17trampoline_kernelINS0_14default_configENS1_25partition_config_selectorILNS1_17partition_subalgoE8EsNS0_10empty_typeEbEEZZNS1_14partition_implILS5_8ELb0ES3_jN6thrust23THRUST_200600_302600_NS6detail15normal_iteratorINSA_10device_ptrIsEEEEPS6_PKS6_NS0_5tupleIJNSA_16discard_iteratorINSA_11use_defaultEEES6_EEENSJ_IJSG_SG_EEENS0_18inequality_wrapperINSA_8equal_toIsEEEEPmJS6_EEE10hipError_tPvRmT3_T4_T5_T6_T7_T9_mT8_P12ihipStream_tbDpT10_ENKUlT_T0_E_clISt17integral_constantIbLb0EES1D_EEDaS18_S19_EUlS18_E_NS1_11comp_targetILNS1_3genE2ELNS1_11target_archE906ELNS1_3gpuE6ELNS1_3repE0EEENS1_30default_config_static_selectorELNS0_4arch9wavefront6targetE1EEEvT1_,"axG",@progbits,_ZN7rocprim17ROCPRIM_400000_NS6detail17trampoline_kernelINS0_14default_configENS1_25partition_config_selectorILNS1_17partition_subalgoE8EsNS0_10empty_typeEbEEZZNS1_14partition_implILS5_8ELb0ES3_jN6thrust23THRUST_200600_302600_NS6detail15normal_iteratorINSA_10device_ptrIsEEEEPS6_PKS6_NS0_5tupleIJNSA_16discard_iteratorINSA_11use_defaultEEES6_EEENSJ_IJSG_SG_EEENS0_18inequality_wrapperINSA_8equal_toIsEEEEPmJS6_EEE10hipError_tPvRmT3_T4_T5_T6_T7_T9_mT8_P12ihipStream_tbDpT10_ENKUlT_T0_E_clISt17integral_constantIbLb0EES1D_EEDaS18_S19_EUlS18_E_NS1_11comp_targetILNS1_3genE2ELNS1_11target_archE906ELNS1_3gpuE6ELNS1_3repE0EEENS1_30default_config_static_selectorELNS0_4arch9wavefront6targetE1EEEvT1_,comdat
	.protected	_ZN7rocprim17ROCPRIM_400000_NS6detail17trampoline_kernelINS0_14default_configENS1_25partition_config_selectorILNS1_17partition_subalgoE8EsNS0_10empty_typeEbEEZZNS1_14partition_implILS5_8ELb0ES3_jN6thrust23THRUST_200600_302600_NS6detail15normal_iteratorINSA_10device_ptrIsEEEEPS6_PKS6_NS0_5tupleIJNSA_16discard_iteratorINSA_11use_defaultEEES6_EEENSJ_IJSG_SG_EEENS0_18inequality_wrapperINSA_8equal_toIsEEEEPmJS6_EEE10hipError_tPvRmT3_T4_T5_T6_T7_T9_mT8_P12ihipStream_tbDpT10_ENKUlT_T0_E_clISt17integral_constantIbLb0EES1D_EEDaS18_S19_EUlS18_E_NS1_11comp_targetILNS1_3genE2ELNS1_11target_archE906ELNS1_3gpuE6ELNS1_3repE0EEENS1_30default_config_static_selectorELNS0_4arch9wavefront6targetE1EEEvT1_ ; -- Begin function _ZN7rocprim17ROCPRIM_400000_NS6detail17trampoline_kernelINS0_14default_configENS1_25partition_config_selectorILNS1_17partition_subalgoE8EsNS0_10empty_typeEbEEZZNS1_14partition_implILS5_8ELb0ES3_jN6thrust23THRUST_200600_302600_NS6detail15normal_iteratorINSA_10device_ptrIsEEEEPS6_PKS6_NS0_5tupleIJNSA_16discard_iteratorINSA_11use_defaultEEES6_EEENSJ_IJSG_SG_EEENS0_18inequality_wrapperINSA_8equal_toIsEEEEPmJS6_EEE10hipError_tPvRmT3_T4_T5_T6_T7_T9_mT8_P12ihipStream_tbDpT10_ENKUlT_T0_E_clISt17integral_constantIbLb0EES1D_EEDaS18_S19_EUlS18_E_NS1_11comp_targetILNS1_3genE2ELNS1_11target_archE906ELNS1_3gpuE6ELNS1_3repE0EEENS1_30default_config_static_selectorELNS0_4arch9wavefront6targetE1EEEvT1_
	.globl	_ZN7rocprim17ROCPRIM_400000_NS6detail17trampoline_kernelINS0_14default_configENS1_25partition_config_selectorILNS1_17partition_subalgoE8EsNS0_10empty_typeEbEEZZNS1_14partition_implILS5_8ELb0ES3_jN6thrust23THRUST_200600_302600_NS6detail15normal_iteratorINSA_10device_ptrIsEEEEPS6_PKS6_NS0_5tupleIJNSA_16discard_iteratorINSA_11use_defaultEEES6_EEENSJ_IJSG_SG_EEENS0_18inequality_wrapperINSA_8equal_toIsEEEEPmJS6_EEE10hipError_tPvRmT3_T4_T5_T6_T7_T9_mT8_P12ihipStream_tbDpT10_ENKUlT_T0_E_clISt17integral_constantIbLb0EES1D_EEDaS18_S19_EUlS18_E_NS1_11comp_targetILNS1_3genE2ELNS1_11target_archE906ELNS1_3gpuE6ELNS1_3repE0EEENS1_30default_config_static_selectorELNS0_4arch9wavefront6targetE1EEEvT1_
	.p2align	8
	.type	_ZN7rocprim17ROCPRIM_400000_NS6detail17trampoline_kernelINS0_14default_configENS1_25partition_config_selectorILNS1_17partition_subalgoE8EsNS0_10empty_typeEbEEZZNS1_14partition_implILS5_8ELb0ES3_jN6thrust23THRUST_200600_302600_NS6detail15normal_iteratorINSA_10device_ptrIsEEEEPS6_PKS6_NS0_5tupleIJNSA_16discard_iteratorINSA_11use_defaultEEES6_EEENSJ_IJSG_SG_EEENS0_18inequality_wrapperINSA_8equal_toIsEEEEPmJS6_EEE10hipError_tPvRmT3_T4_T5_T6_T7_T9_mT8_P12ihipStream_tbDpT10_ENKUlT_T0_E_clISt17integral_constantIbLb0EES1D_EEDaS18_S19_EUlS18_E_NS1_11comp_targetILNS1_3genE2ELNS1_11target_archE906ELNS1_3gpuE6ELNS1_3repE0EEENS1_30default_config_static_selectorELNS0_4arch9wavefront6targetE1EEEvT1_,@function
_ZN7rocprim17ROCPRIM_400000_NS6detail17trampoline_kernelINS0_14default_configENS1_25partition_config_selectorILNS1_17partition_subalgoE8EsNS0_10empty_typeEbEEZZNS1_14partition_implILS5_8ELb0ES3_jN6thrust23THRUST_200600_302600_NS6detail15normal_iteratorINSA_10device_ptrIsEEEEPS6_PKS6_NS0_5tupleIJNSA_16discard_iteratorINSA_11use_defaultEEES6_EEENSJ_IJSG_SG_EEENS0_18inequality_wrapperINSA_8equal_toIsEEEEPmJS6_EEE10hipError_tPvRmT3_T4_T5_T6_T7_T9_mT8_P12ihipStream_tbDpT10_ENKUlT_T0_E_clISt17integral_constantIbLb0EES1D_EEDaS18_S19_EUlS18_E_NS1_11comp_targetILNS1_3genE2ELNS1_11target_archE906ELNS1_3gpuE6ELNS1_3repE0EEENS1_30default_config_static_selectorELNS0_4arch9wavefront6targetE1EEEvT1_: ; @_ZN7rocprim17ROCPRIM_400000_NS6detail17trampoline_kernelINS0_14default_configENS1_25partition_config_selectorILNS1_17partition_subalgoE8EsNS0_10empty_typeEbEEZZNS1_14partition_implILS5_8ELb0ES3_jN6thrust23THRUST_200600_302600_NS6detail15normal_iteratorINSA_10device_ptrIsEEEEPS6_PKS6_NS0_5tupleIJNSA_16discard_iteratorINSA_11use_defaultEEES6_EEENSJ_IJSG_SG_EEENS0_18inequality_wrapperINSA_8equal_toIsEEEEPmJS6_EEE10hipError_tPvRmT3_T4_T5_T6_T7_T9_mT8_P12ihipStream_tbDpT10_ENKUlT_T0_E_clISt17integral_constantIbLb0EES1D_EEDaS18_S19_EUlS18_E_NS1_11comp_targetILNS1_3genE2ELNS1_11target_archE906ELNS1_3gpuE6ELNS1_3repE0EEENS1_30default_config_static_selectorELNS0_4arch9wavefront6targetE1EEEvT1_
; %bb.0:
	s_load_dwordx4 s[0:3], s[4:5], 0x8
	s_load_dwordx4 s[40:43], s[4:5], 0x48
	s_load_dwordx2 s[8:9], s[4:5], 0x58
	s_load_dword s7, s[4:5], 0x70
	v_lshlrev_b32_e32 v17, 1, v0
	s_waitcnt lgkmcnt(0)
	s_lshl_b64 s[10:11], s[2:3], 1
	s_add_u32 s12, s0, s10
	s_addc_u32 s13, s1, s11
	s_mul_i32 s0, s7, 0xd80
	s_add_i32 s1, s0, s2
	s_add_i32 s14, s7, -1
	s_sub_i32 s7, s8, s1
	s_add_u32 s0, s2, s0
	s_addc_u32 s1, s3, 0
	v_mov_b32_e32 v2, s1
	v_mov_b32_e32 v1, s0
	v_cmp_le_u64_e32 vcc, s[8:9], v[1:2]
	s_cmp_eq_u32 s6, s14
	s_load_dwordx2 s[42:43], s[42:43], 0x0
	s_cselect_b64 s[44:45], -1, 0
	s_mul_i32 s10, s6, 0xd80
	s_mov_b32 s11, 0
	s_and_b64 s[46:47], s[44:45], vcc
	s_xor_b64 s[8:9], s[46:47], -1
	s_lshl_b64 s[10:11], s[10:11], 1
	s_add_u32 s10, s12, s10
	s_mov_b64 s[0:1], -1
	s_addc_u32 s11, s13, s11
	s_and_b64 vcc, exec, s[8:9]
	s_cbranch_vccz .LBB697_2
; %bb.1:
	v_mov_b32_e32 v2, s11
	v_add_co_u32_e32 v1, vcc, s10, v17
	v_addc_co_u32_e32 v2, vcc, 0, v2, vcc
	s_movk_i32 s0, 0x1000
	v_add_co_u32_e32 v3, vcc, s0, v1
	flat_load_ushort v5, v[1:2]
	flat_load_ushort v6, v[1:2] offset:384
	flat_load_ushort v7, v[1:2] offset:768
	;; [unrolled: 1-line block ×7, first 2 shown]
	v_addc_co_u32_e32 v4, vcc, 0, v2, vcc
	flat_load_ushort v13, v[1:2] offset:3072
	flat_load_ushort v14, v[1:2] offset:3456
	;; [unrolled: 1-line block ×10, first 2 shown]
	s_mov_b64 s[0:1], 0
	s_waitcnt vmcnt(0) lgkmcnt(0)
	ds_write_b16 v17, v5
	ds_write_b16 v17, v6 offset:384
	ds_write_b16 v17, v7 offset:768
	;; [unrolled: 1-line block ×17, first 2 shown]
	s_waitcnt lgkmcnt(0)
	s_barrier
.LBB697_2:
	s_andn2_b64 vcc, exec, s[0:1]
	s_addk_i32 s7, 0xd80
	s_cbranch_vccnz .LBB697_40
; %bb.3:
	v_mov_b32_e32 v1, 0
	v_cmp_gt_u32_e32 vcc, s7, v0
	v_mov_b32_e32 v2, v1
	v_mov_b32_e32 v3, v1
	;; [unrolled: 1-line block ×8, first 2 shown]
	s_and_saveexec_b64 s[0:1], vcc
	s_cbranch_execz .LBB697_5
; %bb.4:
	v_mov_b32_e32 v3, s11
	v_add_co_u32_e32 v2, vcc, s10, v17
	v_addc_co_u32_e32 v3, vcc, 0, v3, vcc
	flat_load_ushort v10, v[2:3]
	v_mov_b32_e32 v2, v1
	v_mov_b32_e32 v3, v1
	;; [unrolled: 1-line block ×8, first 2 shown]
	s_waitcnt vmcnt(0) lgkmcnt(0)
	v_and_b32_e32 v1, 0xffff, v10
.LBB697_5:
	s_or_b64 exec, exec, s[0:1]
	v_add_u32_e32 v10, 0xc0, v0
	v_cmp_gt_u32_e32 vcc, s7, v10
	s_and_saveexec_b64 s[0:1], vcc
	s_cbranch_execz .LBB697_7
; %bb.6:
	v_mov_b32_e32 v11, s11
	v_add_co_u32_e32 v10, vcc, s10, v17
	v_addc_co_u32_e32 v11, vcc, 0, v11, vcc
	flat_load_ushort v10, v[10:11] offset:384
	s_mov_b32 s12, 0x5040100
	s_waitcnt vmcnt(0) lgkmcnt(0)
	v_perm_b32 v1, v10, v1, s12
.LBB697_7:
	s_or_b64 exec, exec, s[0:1]
	v_add_u32_e32 v10, 0x180, v0
	v_cmp_gt_u32_e32 vcc, s7, v10
	s_and_saveexec_b64 s[0:1], vcc
	s_cbranch_execz .LBB697_9
; %bb.8:
	v_mov_b32_e32 v11, s11
	v_add_co_u32_e32 v10, vcc, s10, v17
	v_addc_co_u32_e32 v11, vcc, 0, v11, vcc
	flat_load_ushort v10, v[10:11] offset:768
	s_mov_b32 s12, 0xffff
	s_waitcnt vmcnt(0) lgkmcnt(0)
	v_bfi_b32 v2, s12, v10, v2
.LBB697_9:
	s_or_b64 exec, exec, s[0:1]
	v_add_u32_e32 v10, 0x240, v0
	v_cmp_gt_u32_e32 vcc, s7, v10
	s_and_saveexec_b64 s[0:1], vcc
	s_cbranch_execz .LBB697_11
; %bb.10:
	v_mov_b32_e32 v11, s11
	v_add_co_u32_e32 v10, vcc, s10, v17
	v_addc_co_u32_e32 v11, vcc, 0, v11, vcc
	flat_load_ushort v10, v[10:11] offset:1152
	s_mov_b32 s12, 0x5040100
	s_waitcnt vmcnt(0) lgkmcnt(0)
	v_perm_b32 v2, v10, v2, s12
.LBB697_11:
	s_or_b64 exec, exec, s[0:1]
	v_or_b32_e32 v10, 0x300, v0
	v_cmp_gt_u32_e32 vcc, s7, v10
	s_and_saveexec_b64 s[0:1], vcc
	s_cbranch_execz .LBB697_13
; %bb.12:
	v_mov_b32_e32 v11, s11
	v_add_co_u32_e32 v10, vcc, s10, v17
	v_addc_co_u32_e32 v11, vcc, 0, v11, vcc
	flat_load_ushort v10, v[10:11] offset:1536
	s_mov_b32 s12, 0xffff
	s_waitcnt vmcnt(0) lgkmcnt(0)
	v_bfi_b32 v3, s12, v10, v3
.LBB697_13:
	s_or_b64 exec, exec, s[0:1]
	v_add_u32_e32 v10, 0x3c0, v0
	v_cmp_gt_u32_e32 vcc, s7, v10
	s_and_saveexec_b64 s[0:1], vcc
	s_cbranch_execz .LBB697_15
; %bb.14:
	v_mov_b32_e32 v11, s11
	v_add_co_u32_e32 v10, vcc, s10, v17
	v_addc_co_u32_e32 v11, vcc, 0, v11, vcc
	flat_load_ushort v10, v[10:11] offset:1920
	s_mov_b32 s12, 0x5040100
	s_waitcnt vmcnt(0) lgkmcnt(0)
	v_perm_b32 v3, v10, v3, s12
.LBB697_15:
	s_or_b64 exec, exec, s[0:1]
	v_add_u32_e32 v10, 0x480, v0
	v_cmp_gt_u32_e32 vcc, s7, v10
	s_and_saveexec_b64 s[0:1], vcc
	s_cbranch_execz .LBB697_17
; %bb.16:
	v_mov_b32_e32 v11, s11
	v_add_co_u32_e32 v10, vcc, s10, v17
	v_addc_co_u32_e32 v11, vcc, 0, v11, vcc
	flat_load_ushort v10, v[10:11] offset:2304
	s_mov_b32 s12, 0xffff
	s_waitcnt vmcnt(0) lgkmcnt(0)
	v_bfi_b32 v4, s12, v10, v4
.LBB697_17:
	s_or_b64 exec, exec, s[0:1]
	v_add_u32_e32 v10, 0x540, v0
	v_cmp_gt_u32_e32 vcc, s7, v10
	s_and_saveexec_b64 s[0:1], vcc
	s_cbranch_execz .LBB697_19
; %bb.18:
	v_mov_b32_e32 v11, s11
	v_add_co_u32_e32 v10, vcc, s10, v17
	v_addc_co_u32_e32 v11, vcc, 0, v11, vcc
	flat_load_ushort v10, v[10:11] offset:2688
	s_mov_b32 s12, 0x5040100
	s_waitcnt vmcnt(0) lgkmcnt(0)
	v_perm_b32 v4, v10, v4, s12
.LBB697_19:
	s_or_b64 exec, exec, s[0:1]
	v_or_b32_e32 v10, 0x600, v0
	v_cmp_gt_u32_e32 vcc, s7, v10
	s_and_saveexec_b64 s[0:1], vcc
	s_cbranch_execz .LBB697_21
; %bb.20:
	v_mov_b32_e32 v11, s11
	v_add_co_u32_e32 v10, vcc, s10, v17
	v_addc_co_u32_e32 v11, vcc, 0, v11, vcc
	flat_load_ushort v10, v[10:11] offset:3072
	s_mov_b32 s12, 0xffff
	s_waitcnt vmcnt(0) lgkmcnt(0)
	v_bfi_b32 v5, s12, v10, v5
.LBB697_21:
	s_or_b64 exec, exec, s[0:1]
	v_add_u32_e32 v10, 0x6c0, v0
	v_cmp_gt_u32_e32 vcc, s7, v10
	s_and_saveexec_b64 s[0:1], vcc
	s_cbranch_execz .LBB697_23
; %bb.22:
	v_mov_b32_e32 v11, s11
	v_add_co_u32_e32 v10, vcc, s10, v17
	v_addc_co_u32_e32 v11, vcc, 0, v11, vcc
	flat_load_ushort v10, v[10:11] offset:3456
	s_mov_b32 s12, 0x5040100
	s_waitcnt vmcnt(0) lgkmcnt(0)
	v_perm_b32 v5, v10, v5, s12
.LBB697_23:
	s_or_b64 exec, exec, s[0:1]
	v_add_u32_e32 v10, 0x780, v0
	v_cmp_gt_u32_e32 vcc, s7, v10
	s_and_saveexec_b64 s[0:1], vcc
	s_cbranch_execz .LBB697_25
; %bb.24:
	v_mov_b32_e32 v11, s11
	v_add_co_u32_e32 v10, vcc, s10, v17
	v_addc_co_u32_e32 v11, vcc, 0, v11, vcc
	flat_load_ushort v10, v[10:11] offset:3840
	s_mov_b32 s12, 0xffff
	s_waitcnt vmcnt(0) lgkmcnt(0)
	v_bfi_b32 v6, s12, v10, v6
.LBB697_25:
	s_or_b64 exec, exec, s[0:1]
	v_add_u32_e32 v10, 0x840, v0
	v_cmp_gt_u32_e32 vcc, s7, v10
	s_and_saveexec_b64 s[0:1], vcc
	s_cbranch_execz .LBB697_27
; %bb.26:
	v_lshlrev_b32_e32 v10, 1, v10
	v_mov_b32_e32 v11, s11
	v_add_co_u32_e32 v10, vcc, s10, v10
	v_addc_co_u32_e32 v11, vcc, 0, v11, vcc
	flat_load_ushort v10, v[10:11]
	s_mov_b32 s12, 0x5040100
	s_waitcnt vmcnt(0) lgkmcnt(0)
	v_perm_b32 v6, v10, v6, s12
.LBB697_27:
	s_or_b64 exec, exec, s[0:1]
	v_or_b32_e32 v10, 0x900, v0
	v_cmp_gt_u32_e32 vcc, s7, v10
	s_and_saveexec_b64 s[0:1], vcc
	s_cbranch_execz .LBB697_29
; %bb.28:
	v_lshlrev_b32_e32 v10, 1, v10
	v_mov_b32_e32 v11, s11
	v_add_co_u32_e32 v10, vcc, s10, v10
	v_addc_co_u32_e32 v11, vcc, 0, v11, vcc
	flat_load_ushort v10, v[10:11]
	s_mov_b32 s12, 0xffff
	s_waitcnt vmcnt(0) lgkmcnt(0)
	v_bfi_b32 v7, s12, v10, v7
.LBB697_29:
	s_or_b64 exec, exec, s[0:1]
	v_add_u32_e32 v10, 0x9c0, v0
	v_cmp_gt_u32_e32 vcc, s7, v10
	s_and_saveexec_b64 s[0:1], vcc
	s_cbranch_execz .LBB697_31
; %bb.30:
	v_lshlrev_b32_e32 v10, 1, v10
	v_mov_b32_e32 v11, s11
	v_add_co_u32_e32 v10, vcc, s10, v10
	v_addc_co_u32_e32 v11, vcc, 0, v11, vcc
	flat_load_ushort v10, v[10:11]
	s_mov_b32 s12, 0x5040100
	s_waitcnt vmcnt(0) lgkmcnt(0)
	v_perm_b32 v7, v10, v7, s12
.LBB697_31:
	s_or_b64 exec, exec, s[0:1]
	v_add_u32_e32 v10, 0xa80, v0
	v_cmp_gt_u32_e32 vcc, s7, v10
	s_and_saveexec_b64 s[0:1], vcc
	s_cbranch_execz .LBB697_33
; %bb.32:
	v_lshlrev_b32_e32 v10, 1, v10
	v_mov_b32_e32 v11, s11
	v_add_co_u32_e32 v10, vcc, s10, v10
	v_addc_co_u32_e32 v11, vcc, 0, v11, vcc
	flat_load_ushort v10, v[10:11]
	s_mov_b32 s12, 0xffff
	s_waitcnt vmcnt(0) lgkmcnt(0)
	v_bfi_b32 v8, s12, v10, v8
.LBB697_33:
	s_or_b64 exec, exec, s[0:1]
	v_add_u32_e32 v10, 0xb40, v0
	v_cmp_gt_u32_e32 vcc, s7, v10
	s_and_saveexec_b64 s[0:1], vcc
	s_cbranch_execz .LBB697_35
; %bb.34:
	v_lshlrev_b32_e32 v10, 1, v10
	v_mov_b32_e32 v11, s11
	v_add_co_u32_e32 v10, vcc, s10, v10
	v_addc_co_u32_e32 v11, vcc, 0, v11, vcc
	flat_load_ushort v10, v[10:11]
	s_mov_b32 s12, 0x5040100
	s_waitcnt vmcnt(0) lgkmcnt(0)
	v_perm_b32 v8, v10, v8, s12
.LBB697_35:
	s_or_b64 exec, exec, s[0:1]
	v_or_b32_e32 v10, 0xc00, v0
	v_cmp_gt_u32_e32 vcc, s7, v10
	s_and_saveexec_b64 s[0:1], vcc
	s_cbranch_execz .LBB697_37
; %bb.36:
	v_lshlrev_b32_e32 v10, 1, v10
	v_mov_b32_e32 v11, s11
	v_add_co_u32_e32 v10, vcc, s10, v10
	v_addc_co_u32_e32 v11, vcc, 0, v11, vcc
	flat_load_ushort v10, v[10:11]
	s_mov_b32 s12, 0xffff
	s_waitcnt vmcnt(0) lgkmcnt(0)
	v_bfi_b32 v9, s12, v10, v9
.LBB697_37:
	s_or_b64 exec, exec, s[0:1]
	v_add_u32_e32 v10, 0xcc0, v0
	v_cmp_gt_u32_e32 vcc, s7, v10
	s_and_saveexec_b64 s[0:1], vcc
	s_cbranch_execz .LBB697_39
; %bb.38:
	v_lshlrev_b32_e32 v10, 1, v10
	v_mov_b32_e32 v11, s11
	v_add_co_u32_e32 v10, vcc, s10, v10
	v_addc_co_u32_e32 v11, vcc, 0, v11, vcc
	flat_load_ushort v10, v[10:11]
	s_mov_b32 s12, 0x5040100
	s_waitcnt vmcnt(0) lgkmcnt(0)
	v_perm_b32 v9, v10, v9, s12
.LBB697_39:
	s_or_b64 exec, exec, s[0:1]
	ds_write_b16 v17, v1
	ds_write_b16_d16_hi v17, v1 offset:384
	ds_write_b16 v17, v2 offset:768
	ds_write_b16_d16_hi v17, v2 offset:1152
	ds_write_b16 v17, v3 offset:1536
	;; [unrolled: 2-line block ×8, first 2 shown]
	ds_write_b16_d16_hi v17, v9 offset:6528
	s_waitcnt lgkmcnt(0)
	s_barrier
.LBB697_40:
	v_mul_u32_u24_e32 v9, 18, v0
	v_lshlrev_b32_e32 v10, 1, v9
	s_waitcnt lgkmcnt(0)
	ds_read2_b32 v[7:8], v10 offset1:1
	ds_read2_b32 v[5:6], v10 offset0:2 offset1:3
	ds_read2_b32 v[3:4], v10 offset0:4 offset1:5
	ds_read2_b32 v[1:2], v10 offset0:6 offset1:7
	ds_read_b32 v20, v10 offset:32
	s_cmp_lg_u32 s6, 0
	s_cselect_b64 s[48:49], -1, 0
	s_cmp_lg_u64 s[2:3], 0
	s_cselect_b64 s[0:1], -1, 0
	s_or_b64 s[0:1], s[48:49], s[0:1]
	s_waitcnt lgkmcnt(4)
	v_lshrrev_b32_e32 v28, 16, v7
	v_lshrrev_b32_e32 v27, 16, v8
	s_waitcnt lgkmcnt(3)
	v_lshrrev_b32_e32 v26, 16, v5
	v_lshrrev_b32_e32 v25, 16, v6
	;; [unrolled: 3-line block ×4, first 2 shown]
	s_waitcnt lgkmcnt(0)
	v_lshrrev_b32_e32 v19, 16, v20
	s_mov_b64 s[52:53], 0
	s_and_b64 vcc, exec, s[0:1]
	s_barrier
	s_cbranch_vccz .LBB697_45
; %bb.41:
	v_mov_b32_e32 v12, s11
	v_add_co_u32_e64 v11, vcc, -2, s10
	v_addc_co_u32_e32 v12, vcc, -1, v12, vcc
	flat_load_ushort v11, v[11:12]
	s_and_b64 vcc, exec, s[8:9]
	ds_write_b16 v17, v19
	s_cbranch_vccz .LBB697_46
; %bb.42:
	v_cmp_ne_u32_e32 vcc, 0, v0
	s_waitcnt vmcnt(0) lgkmcnt(0)
	v_mov_b32_e32 v12, v11
	s_barrier
	s_and_saveexec_b64 s[0:1], vcc
; %bb.43:
	v_add_u32_e32 v12, -2, v17
	ds_read_u16 v12, v12
; %bb.44:
	s_or_b64 exec, exec, s[0:1]
	v_cmp_ne_u16_e32 vcc, v20, v19
	v_cndmask_b32_e64 v29, 0, 1, vcc
	v_cmp_ne_u16_e32 vcc, v21, v20
	v_cndmask_b32_e64 v30, 0, 1, vcc
	;; [unrolled: 2-line block ×17, first 2 shown]
	s_waitcnt lgkmcnt(0)
	v_cmp_ne_u16_e64 s[50:51], v12, v7
	s_branch .LBB697_50
.LBB697_45:
                                        ; implicit-def: $sgpr50_sgpr51
                                        ; implicit-def: $vgpr29
                                        ; implicit-def: $vgpr30
                                        ; implicit-def: $vgpr31
                                        ; implicit-def: $vgpr32
                                        ; implicit-def: $vgpr33
                                        ; implicit-def: $vgpr34
                                        ; implicit-def: $vgpr35
                                        ; implicit-def: $vgpr36
                                        ; implicit-def: $vgpr37
                                        ; implicit-def: $vgpr45
                                        ; implicit-def: $vgpr44
                                        ; implicit-def: $vgpr43
                                        ; implicit-def: $vgpr42
                                        ; implicit-def: $vgpr41
                                        ; implicit-def: $vgpr40
                                        ; implicit-def: $vgpr39
                                        ; implicit-def: $vgpr38
	s_branch .LBB697_51
.LBB697_46:
                                        ; implicit-def: $sgpr50_sgpr51
                                        ; implicit-def: $vgpr29
                                        ; implicit-def: $vgpr30
                                        ; implicit-def: $vgpr31
                                        ; implicit-def: $vgpr32
                                        ; implicit-def: $vgpr33
                                        ; implicit-def: $vgpr34
                                        ; implicit-def: $vgpr35
                                        ; implicit-def: $vgpr36
                                        ; implicit-def: $vgpr37
                                        ; implicit-def: $vgpr45
                                        ; implicit-def: $vgpr44
                                        ; implicit-def: $vgpr43
                                        ; implicit-def: $vgpr42
                                        ; implicit-def: $vgpr41
                                        ; implicit-def: $vgpr40
                                        ; implicit-def: $vgpr39
                                        ; implicit-def: $vgpr38
	s_cbranch_execz .LBB697_50
; %bb.47:
	v_cmp_ne_u32_e32 vcc, 0, v0
	s_waitcnt vmcnt(0) lgkmcnt(0)
	s_barrier
	s_and_saveexec_b64 s[0:1], vcc
; %bb.48:
	v_add_u32_e32 v11, -2, v17
	ds_read_u16 v11, v11
; %bb.49:
	s_or_b64 exec, exec, s[0:1]
	v_add_u32_e32 v12, 17, v9
	v_cmp_gt_u32_e32 vcc, s7, v12
	v_cmp_ne_u16_e64 s[0:1], v20, v19
	s_and_b64 s[0:1], vcc, s[0:1]
	v_add_u32_e32 v12, 16, v9
	v_cndmask_b32_e64 v29, 0, 1, s[0:1]
	v_cmp_gt_u32_e32 vcc, s7, v12
	v_cmp_ne_u16_e64 s[0:1], v21, v20
	s_and_b64 s[0:1], vcc, s[0:1]
	v_add_u32_e32 v12, 15, v9
	v_cndmask_b32_e64 v30, 0, 1, s[0:1]
	;; [unrolled: 5-line block ×15, first 2 shown]
	v_cmp_gt_u32_e32 vcc, s7, v12
	v_cmp_ne_u16_e64 s[0:1], v28, v8
	v_or_b32_e32 v12, 1, v9
	v_cmp_gt_u32_e64 s[2:3], s7, v12
	s_and_b64 s[0:1], vcc, s[0:1]
	v_cmp_ne_u16_e32 vcc, v7, v28
	v_cndmask_b32_e64 v44, 0, 1, s[0:1]
	s_waitcnt lgkmcnt(0)
	v_cmp_ne_u16_e64 s[0:1], v11, v7
	s_and_b64 s[2:3], s[2:3], vcc
	v_cmp_gt_u32_e32 vcc, s7, v9
	v_cndmask_b32_e64 v45, 0, 1, s[2:3]
	s_and_b64 s[50:51], vcc, s[0:1]
.LBB697_50:
	s_mov_b64 s[52:53], -1
	s_cbranch_execnz .LBB697_59
.LBB697_51:
	s_movk_i32 s0, 0xffde
	v_mad_i32_i24 v10, v0, s0, v10
	s_and_b64 vcc, exec, s[8:9]
	v_cmp_ne_u16_e64 s[0:1], v20, v19
	v_cmp_ne_u16_e64 s[2:3], v21, v20
	;; [unrolled: 1-line block ×17, first 2 shown]
	ds_write_b16 v10, v19
	s_cbranch_vccz .LBB697_55
; %bb.52:
	v_cmp_ne_u32_e32 vcc, 0, v0
	s_waitcnt vmcnt(0) lgkmcnt(0)
	s_barrier
                                        ; implicit-def: $sgpr50_sgpr51
	s_and_saveexec_b64 s[54:55], vcc
	s_xor_b64 s[54:55], exec, s[54:55]
	s_cbranch_execz .LBB697_54
; %bb.53:
	v_add_u32_e32 v11, -2, v10
	ds_read_u16 v11, v11
	s_or_b64 s[52:53], s[52:53], exec
	s_waitcnt lgkmcnt(0)
	v_cmp_ne_u16_e64 s[50:51], v11, v7
.LBB697_54:
	s_or_b64 exec, exec, s[54:55]
	v_cndmask_b32_e64 v29, 0, 1, s[0:1]
	v_cndmask_b32_e64 v30, 0, 1, s[2:3]
	v_cndmask_b32_e64 v31, 0, 1, s[38:39]
	v_cndmask_b32_e64 v32, 0, 1, s[8:9]
	v_cndmask_b32_e64 v33, 0, 1, s[10:11]
	v_cndmask_b32_e64 v34, 0, 1, s[12:13]
	v_cndmask_b32_e64 v35, 0, 1, s[14:15]
	v_cndmask_b32_e64 v36, 0, 1, s[16:17]
	v_cndmask_b32_e64 v37, 0, 1, s[18:19]
	v_cndmask_b32_e64 v38, 0, 1, s[20:21]
	v_cndmask_b32_e64 v39, 0, 1, s[22:23]
	v_cndmask_b32_e64 v40, 0, 1, s[24:25]
	v_cndmask_b32_e64 v41, 0, 1, s[26:27]
	v_cndmask_b32_e64 v42, 0, 1, s[28:29]
	v_cndmask_b32_e64 v43, 0, 1, s[30:31]
	v_cndmask_b32_e64 v44, 0, 1, s[34:35]
	v_cndmask_b32_e64 v45, 0, 1, s[36:37]
	s_branch .LBB697_59
.LBB697_55:
                                        ; implicit-def: $sgpr50_sgpr51
                                        ; implicit-def: $vgpr29
                                        ; implicit-def: $vgpr30
                                        ; implicit-def: $vgpr31
                                        ; implicit-def: $vgpr32
                                        ; implicit-def: $vgpr33
                                        ; implicit-def: $vgpr34
                                        ; implicit-def: $vgpr35
                                        ; implicit-def: $vgpr36
                                        ; implicit-def: $vgpr37
                                        ; implicit-def: $vgpr45
                                        ; implicit-def: $vgpr44
                                        ; implicit-def: $vgpr43
                                        ; implicit-def: $vgpr42
                                        ; implicit-def: $vgpr41
                                        ; implicit-def: $vgpr40
                                        ; implicit-def: $vgpr39
                                        ; implicit-def: $vgpr38
	s_cbranch_execz .LBB697_59
; %bb.56:
	s_waitcnt vmcnt(0) lgkmcnt(0)
	v_add_u32_e32 v11, 17, v9
	v_cmp_gt_u32_e32 vcc, s7, v11
	v_cmp_ne_u16_e64 s[0:1], v20, v19
	v_add_u32_e32 v11, 16, v9
	s_and_b64 s[2:3], vcc, s[0:1]
	v_cmp_gt_u32_e32 vcc, s7, v11
	v_cmp_ne_u16_e64 s[0:1], v21, v20
	v_add_u32_e32 v11, 15, v9
	s_and_b64 s[8:9], vcc, s[0:1]
	;; [unrolled: 4-line block ×15, first 2 shown]
	v_cmp_gt_u32_e32 vcc, s7, v11
	v_cmp_ne_u16_e64 s[0:1], v28, v8
	v_or_b32_e32 v11, 1, v9
	s_and_b64 s[38:39], vcc, s[0:1]
	v_cmp_gt_u32_e32 vcc, s7, v11
	v_cmp_ne_u16_e64 s[0:1], v7, v28
	s_and_b64 s[54:55], vcc, s[0:1]
	v_cmp_ne_u32_e32 vcc, 0, v0
	s_barrier
                                        ; implicit-def: $sgpr50_sgpr51
	s_and_saveexec_b64 s[56:57], vcc
	s_cbranch_execz .LBB697_58
; %bb.57:
	v_add_u32_e32 v10, -2, v10
	ds_read_u16 v10, v10
	v_cmp_gt_u32_e32 vcc, s7, v9
	s_or_b64 s[52:53], s[52:53], exec
	s_waitcnt lgkmcnt(0)
	v_cmp_ne_u16_e64 s[0:1], v10, v7
	s_and_b64 s[50:51], vcc, s[0:1]
.LBB697_58:
	s_or_b64 exec, exec, s[56:57]
	v_cndmask_b32_e64 v29, 0, 1, s[2:3]
	v_cndmask_b32_e64 v30, 0, 1, s[8:9]
	;; [unrolled: 1-line block ×17, first 2 shown]
.LBB697_59:
	v_mov_b32_e32 v50, 1
	s_and_saveexec_b64 s[0:1], s[52:53]
; %bb.60:
	v_cndmask_b32_e64 v50, 0, 1, s[50:51]
; %bb.61:
	s_or_b64 exec, exec, s[0:1]
	s_load_dwordx2 s[20:21], s[4:5], 0x68
	s_andn2_b64 vcc, exec, s[46:47]
	s_cbranch_vccnz .LBB697_63
; %bb.62:
	v_cmp_gt_u32_e32 vcc, s7, v9
	v_or_b32_e32 v10, 1, v9
	v_cndmask_b32_e32 v50, 0, v50, vcc
	v_cmp_gt_u32_e32 vcc, s7, v10
	v_add_u32_e32 v10, 2, v9
	v_cndmask_b32_e32 v45, 0, v45, vcc
	v_cmp_gt_u32_e32 vcc, s7, v10
	v_add_u32_e32 v10, 3, v9
	;; [unrolled: 3-line block ×16, first 2 shown]
	v_cndmask_b32_e32 v30, 0, v30, vcc
	v_cmp_gt_u32_e32 vcc, s7, v9
	v_cndmask_b32_e32 v29, 0, v29, vcc
.LBB697_63:
	v_and_b32_e32 v56, 0xff, v41
	v_and_b32_e32 v55, 0xff, v40
	v_add_u32_sdwa v10, v39, v38 dst_sel:DWORD dst_unused:UNUSED_PAD src0_sel:BYTE_0 src1_sel:BYTE_0
	v_and_b32_e32 v58, 0xff, v43
	v_and_b32_e32 v57, 0xff, v42
	v_add3_u32 v10, v10, v55, v56
	v_and_b32_e32 v60, 0xff, v45
	v_and_b32_e32 v59, 0xff, v44
	v_add3_u32 v10, v10, v57, v58
	;; [unrolled: 3-line block ×7, first 2 shown]
	v_add3_u32 v64, v10, v46, v9
	v_mbcnt_lo_u32_b32 v9, -1, 0
	v_mbcnt_hi_u32_b32 v62, -1, v9
	v_and_b32_e32 v9, 15, v62
	v_cmp_eq_u32_e64 s[12:13], 0, v9
	v_cmp_lt_u32_e64 s[10:11], 1, v9
	v_cmp_lt_u32_e64 s[8:9], 3, v9
	;; [unrolled: 1-line block ×3, first 2 shown]
	v_and_b32_e32 v9, 16, v62
	v_cmp_eq_u32_e64 s[2:3], 0, v9
	v_and_b32_e32 v9, 0xc0, v0
	v_min_u32_e32 v9, 0x80, v9
	v_or_b32_e32 v9, 63, v9
	v_cmp_lt_u32_e64 s[0:1], 31, v62
	v_lshrrev_b32_e32 v63, 6, v0
	v_cmp_eq_u32_e64 s[4:5], v0, v9
	s_and_b64 vcc, exec, s[48:49]
	s_waitcnt vmcnt(0) lgkmcnt(0)
	s_barrier
	s_cbranch_vccz .LBB697_85
; %bb.64:
	v_mov_b32_dpp v9, v64 row_shr:1 row_mask:0xf bank_mask:0xf
	v_cndmask_b32_e64 v9, v9, 0, s[12:13]
	v_add_u32_e32 v9, v9, v64
	s_nop 1
	v_mov_b32_dpp v10, v9 row_shr:2 row_mask:0xf bank_mask:0xf
	v_cndmask_b32_e64 v10, 0, v10, s[10:11]
	v_add_u32_e32 v9, v9, v10
	s_nop 1
	;; [unrolled: 4-line block ×4, first 2 shown]
	v_mov_b32_dpp v10, v9 row_bcast:15 row_mask:0xf bank_mask:0xf
	v_cndmask_b32_e64 v10, v10, 0, s[2:3]
	v_add_u32_e32 v9, v9, v10
	s_nop 1
	v_mov_b32_dpp v10, v9 row_bcast:31 row_mask:0xf bank_mask:0xf
	v_cndmask_b32_e64 v10, 0, v10, s[0:1]
	v_add_u32_e32 v9, v9, v10
	s_and_saveexec_b64 s[14:15], s[4:5]
; %bb.65:
	v_lshlrev_b32_e32 v10, 2, v63
	ds_write_b32 v10, v9
; %bb.66:
	s_or_b64 exec, exec, s[14:15]
	v_cmp_gt_u32_e32 vcc, 3, v0
	s_waitcnt lgkmcnt(0)
	s_barrier
	s_and_saveexec_b64 s[14:15], vcc
	s_cbranch_execz .LBB697_68
; %bb.67:
	v_lshlrev_b32_e32 v10, 2, v0
	ds_read_b32 v11, v10
	v_and_b32_e32 v12, 3, v62
	v_cmp_ne_u32_e32 vcc, 0, v12
	s_waitcnt lgkmcnt(0)
	v_mov_b32_dpp v13, v11 row_shr:1 row_mask:0xf bank_mask:0xf
	v_cndmask_b32_e32 v13, 0, v13, vcc
	v_add_u32_e32 v11, v13, v11
	v_cmp_lt_u32_e32 vcc, 1, v12
	s_nop 0
	v_mov_b32_dpp v13, v11 row_shr:2 row_mask:0xf bank_mask:0xf
	v_cndmask_b32_e32 v12, 0, v13, vcc
	v_add_u32_e32 v11, v11, v12
	ds_write_b32 v10, v11
.LBB697_68:
	s_or_b64 exec, exec, s[14:15]
	v_cmp_gt_u32_e32 vcc, 64, v0
	v_cmp_lt_u32_e64 s[14:15], 63, v0
	s_waitcnt lgkmcnt(0)
	s_barrier
                                        ; implicit-def: $vgpr65
	s_and_saveexec_b64 s[18:19], s[14:15]
	s_cbranch_execz .LBB697_70
; %bb.69:
	v_lshl_add_u32 v10, v63, 2, -4
	ds_read_b32 v65, v10
	s_waitcnt lgkmcnt(0)
	v_add_u32_e32 v9, v65, v9
.LBB697_70:
	s_or_b64 exec, exec, s[18:19]
	v_subrev_co_u32_e64 v10, s[14:15], 1, v62
	v_and_b32_e32 v11, 64, v62
	v_cmp_lt_i32_e64 s[18:19], v10, v11
	v_cndmask_b32_e64 v10, v10, v62, s[18:19]
	v_lshlrev_b32_e32 v10, 2, v10
	ds_bpermute_b32 v66, v10, v9
	s_and_saveexec_b64 s[18:19], vcc
	s_cbranch_execz .LBB697_90
; %bb.71:
	v_mov_b32_e32 v15, 0
	ds_read_b32 v9, v15 offset:8
	s_and_saveexec_b64 s[22:23], s[14:15]
	s_cbranch_execz .LBB697_73
; %bb.72:
	s_add_i32 s24, s6, 64
	s_mov_b32 s25, 0
	s_lshl_b64 s[24:25], s[24:25], 3
	s_add_u32 s24, s20, s24
	v_mov_b32_e32 v10, 1
	s_addc_u32 s25, s21, s25
	s_waitcnt lgkmcnt(0)
	global_store_dwordx2 v15, v[9:10], s[24:25]
.LBB697_73:
	s_or_b64 exec, exec, s[22:23]
	v_xad_u32 v11, v62, -1, s6
	v_add_u32_e32 v14, 64, v11
	v_lshlrev_b64 v[12:13], 3, v[14:15]
	v_mov_b32_e32 v10, s21
	v_add_co_u32_e32 v16, vcc, s20, v12
	v_addc_co_u32_e32 v17, vcc, v10, v13, vcc
	global_load_dwordx2 v[13:14], v[16:17], off glc
	s_waitcnt vmcnt(0)
	v_cmp_eq_u16_sdwa s[24:25], v14, v15 src0_sel:BYTE_0 src1_sel:DWORD
	s_and_saveexec_b64 s[22:23], s[24:25]
	s_cbranch_execz .LBB697_77
; %bb.74:
	s_mov_b64 s[24:25], 0
	v_mov_b32_e32 v10, 0
.LBB697_75:                             ; =>This Inner Loop Header: Depth=1
	global_load_dwordx2 v[13:14], v[16:17], off glc
	s_waitcnt vmcnt(0)
	v_cmp_ne_u16_sdwa s[26:27], v14, v10 src0_sel:BYTE_0 src1_sel:DWORD
	s_or_b64 s[24:25], s[26:27], s[24:25]
	s_andn2_b64 exec, exec, s[24:25]
	s_cbranch_execnz .LBB697_75
; %bb.76:
	s_or_b64 exec, exec, s[24:25]
.LBB697_77:
	s_or_b64 exec, exec, s[22:23]
	v_and_b32_e32 v68, 63, v62
	v_mov_b32_e32 v67, 2
	v_lshlrev_b64 v[15:16], v62, -1
	v_cmp_ne_u32_e32 vcc, 63, v68
	v_cmp_eq_u16_sdwa s[22:23], v14, v67 src0_sel:BYTE_0 src1_sel:DWORD
	v_addc_co_u32_e32 v17, vcc, 0, v62, vcc
	v_and_b32_e32 v10, s23, v16
	v_lshlrev_b32_e32 v69, 2, v17
	v_or_b32_e32 v10, 0x80000000, v10
	ds_bpermute_b32 v17, v69, v13
	v_and_b32_e32 v12, s22, v15
	v_ffbl_b32_e32 v10, v10
	v_add_u32_e32 v10, 32, v10
	v_ffbl_b32_e32 v12, v12
	v_min_u32_e32 v10, v12, v10
	v_cmp_lt_u32_e32 vcc, v68, v10
	s_waitcnt lgkmcnt(0)
	v_cndmask_b32_e32 v12, 0, v17, vcc
	v_cmp_gt_u32_e32 vcc, 62, v68
	v_add_u32_e32 v12, v12, v13
	v_cndmask_b32_e64 v13, 0, 2, vcc
	v_add_lshl_u32 v70, v13, v62, 2
	ds_bpermute_b32 v13, v70, v12
	v_add_u32_e32 v71, 2, v68
	v_cmp_le_u32_e32 vcc, v71, v10
	v_add_u32_e32 v73, 4, v68
	v_add_u32_e32 v75, 8, v68
	s_waitcnt lgkmcnt(0)
	v_cndmask_b32_e32 v13, 0, v13, vcc
	v_cmp_gt_u32_e32 vcc, 60, v68
	v_add_u32_e32 v12, v12, v13
	v_cndmask_b32_e64 v13, 0, 4, vcc
	v_add_lshl_u32 v72, v13, v62, 2
	ds_bpermute_b32 v13, v72, v12
	v_cmp_le_u32_e32 vcc, v73, v10
	v_add_u32_e32 v77, 16, v68
	v_add_u32_e32 v79, 32, v68
	s_waitcnt lgkmcnt(0)
	v_cndmask_b32_e32 v13, 0, v13, vcc
	v_cmp_gt_u32_e32 vcc, 56, v68
	v_add_u32_e32 v12, v12, v13
	v_cndmask_b32_e64 v13, 0, 8, vcc
	v_add_lshl_u32 v74, v13, v62, 2
	ds_bpermute_b32 v13, v74, v12
	v_cmp_le_u32_e32 vcc, v75, v10
	s_waitcnt lgkmcnt(0)
	v_cndmask_b32_e32 v13, 0, v13, vcc
	v_cmp_gt_u32_e32 vcc, 48, v68
	v_add_u32_e32 v12, v12, v13
	v_cndmask_b32_e64 v13, 0, 16, vcc
	v_add_lshl_u32 v76, v13, v62, 2
	ds_bpermute_b32 v13, v76, v12
	v_cmp_le_u32_e32 vcc, v77, v10
	s_waitcnt lgkmcnt(0)
	v_cndmask_b32_e32 v13, 0, v13, vcc
	v_add_u32_e32 v12, v12, v13
	v_mov_b32_e32 v13, 0x80
	v_lshl_or_b32 v78, v62, 2, v13
	ds_bpermute_b32 v13, v78, v12
	v_cmp_le_u32_e32 vcc, v79, v10
	s_waitcnt lgkmcnt(0)
	v_cndmask_b32_e32 v10, 0, v13, vcc
	v_add_u32_e32 v13, v12, v10
	v_mov_b32_e32 v12, 0
	s_branch .LBB697_80
.LBB697_78:                             ;   in Loop: Header=BB697_80 Depth=1
	s_or_b64 exec, exec, s[22:23]
	v_cmp_eq_u16_sdwa s[22:23], v14, v67 src0_sel:BYTE_0 src1_sel:DWORD
	v_and_b32_e32 v17, s23, v16
	v_or_b32_e32 v17, 0x80000000, v17
	ds_bpermute_b32 v80, v69, v13
	v_and_b32_e32 v18, s22, v15
	v_ffbl_b32_e32 v17, v17
	v_add_u32_e32 v17, 32, v17
	v_ffbl_b32_e32 v18, v18
	v_min_u32_e32 v17, v18, v17
	v_cmp_lt_u32_e32 vcc, v68, v17
	s_waitcnt lgkmcnt(0)
	v_cndmask_b32_e32 v18, 0, v80, vcc
	v_add_u32_e32 v13, v18, v13
	ds_bpermute_b32 v18, v70, v13
	v_cmp_le_u32_e32 vcc, v71, v17
	v_subrev_u32_e32 v11, 64, v11
	s_mov_b64 s[22:23], 0
	s_waitcnt lgkmcnt(0)
	v_cndmask_b32_e32 v18, 0, v18, vcc
	v_add_u32_e32 v13, v13, v18
	ds_bpermute_b32 v18, v72, v13
	v_cmp_le_u32_e32 vcc, v73, v17
	s_waitcnt lgkmcnt(0)
	v_cndmask_b32_e32 v18, 0, v18, vcc
	v_add_u32_e32 v13, v13, v18
	ds_bpermute_b32 v18, v74, v13
	v_cmp_le_u32_e32 vcc, v75, v17
	;; [unrolled: 5-line block ×4, first 2 shown]
	s_waitcnt lgkmcnt(0)
	v_cndmask_b32_e32 v17, 0, v18, vcc
	v_add3_u32 v13, v17, v10, v13
.LBB697_79:                             ;   in Loop: Header=BB697_80 Depth=1
	s_and_b64 vcc, exec, s[22:23]
	s_cbranch_vccnz .LBB697_86
.LBB697_80:                             ; =>This Loop Header: Depth=1
                                        ;     Child Loop BB697_83 Depth 2
	v_cmp_ne_u16_sdwa s[22:23], v14, v67 src0_sel:BYTE_0 src1_sel:DWORD
	v_mov_b32_e32 v10, v13
	s_cmp_lg_u64 s[22:23], exec
	s_mov_b64 s[22:23], -1
                                        ; implicit-def: $vgpr13
                                        ; implicit-def: $vgpr14
	s_cbranch_scc1 .LBB697_79
; %bb.81:                               ;   in Loop: Header=BB697_80 Depth=1
	v_lshlrev_b64 v[13:14], 3, v[11:12]
	v_mov_b32_e32 v18, s21
	v_add_co_u32_e32 v17, vcc, s20, v13
	v_addc_co_u32_e32 v18, vcc, v18, v14, vcc
	global_load_dwordx2 v[13:14], v[17:18], off glc
	s_waitcnt vmcnt(0)
	v_cmp_eq_u16_sdwa s[24:25], v14, v12 src0_sel:BYTE_0 src1_sel:DWORD
	s_and_saveexec_b64 s[22:23], s[24:25]
	s_cbranch_execz .LBB697_78
; %bb.82:                               ;   in Loop: Header=BB697_80 Depth=1
	s_mov_b64 s[24:25], 0
.LBB697_83:                             ;   Parent Loop BB697_80 Depth=1
                                        ; =>  This Inner Loop Header: Depth=2
	global_load_dwordx2 v[13:14], v[17:18], off glc
	s_waitcnt vmcnt(0)
	v_cmp_ne_u16_sdwa s[26:27], v14, v12 src0_sel:BYTE_0 src1_sel:DWORD
	s_or_b64 s[24:25], s[26:27], s[24:25]
	s_andn2_b64 exec, exec, s[24:25]
	s_cbranch_execnz .LBB697_83
; %bb.84:                               ;   in Loop: Header=BB697_80 Depth=1
	s_or_b64 exec, exec, s[24:25]
	s_branch .LBB697_78
.LBB697_85:
                                        ; implicit-def: $vgpr10
                                        ; implicit-def: $vgpr11
	s_cbranch_execnz .LBB697_91
	s_branch .LBB697_100
.LBB697_86:
	s_and_saveexec_b64 s[22:23], s[14:15]
	s_cbranch_execz .LBB697_88
; %bb.87:
	s_add_i32 s6, s6, 64
	s_mov_b32 s7, 0
	s_lshl_b64 s[6:7], s[6:7], 3
	s_add_u32 s6, s20, s6
	v_add_u32_e32 v11, v10, v9
	v_mov_b32_e32 v12, 2
	s_addc_u32 s7, s21, s7
	v_mov_b32_e32 v13, 0
	global_store_dwordx2 v13, v[11:12], s[6:7]
	ds_write_b64 v13, v[9:10] offset:6912
.LBB697_88:
	s_or_b64 exec, exec, s[22:23]
	v_cmp_eq_u32_e32 vcc, 0, v0
	s_and_b64 exec, exec, vcc
; %bb.89:
	v_mov_b32_e32 v9, 0
	ds_write_b32 v9, v10 offset:8
.LBB697_90:
	s_or_b64 exec, exec, s[18:19]
	v_mov_b32_e32 v9, 0
	s_waitcnt vmcnt(0) lgkmcnt(0)
	s_barrier
	ds_read_b32 v12, v9 offset:8
	s_waitcnt lgkmcnt(0)
	s_barrier
	ds_read_b64 v[9:10], v9 offset:6912
	v_cndmask_b32_e64 v11, v66, v65, s[14:15]
	v_cmp_ne_u32_e32 vcc, 0, v0
	v_cndmask_b32_e32 v11, 0, v11, vcc
	v_add_u32_e32 v11, v12, v11
	s_branch .LBB697_100
.LBB697_91:
	s_waitcnt lgkmcnt(0)
	v_mov_b32_dpp v9, v64 row_shr:1 row_mask:0xf bank_mask:0xf
	v_cndmask_b32_e64 v9, v9, 0, s[12:13]
	v_add_u32_e32 v9, v9, v64
	s_nop 1
	v_mov_b32_dpp v10, v9 row_shr:2 row_mask:0xf bank_mask:0xf
	v_cndmask_b32_e64 v10, 0, v10, s[10:11]
	v_add_u32_e32 v9, v9, v10
	s_nop 1
	;; [unrolled: 4-line block ×4, first 2 shown]
	v_mov_b32_dpp v10, v9 row_bcast:15 row_mask:0xf bank_mask:0xf
	v_cndmask_b32_e64 v10, v10, 0, s[2:3]
	v_add_u32_e32 v9, v9, v10
	s_nop 1
	v_mov_b32_dpp v10, v9 row_bcast:31 row_mask:0xf bank_mask:0xf
	v_cndmask_b32_e64 v10, 0, v10, s[0:1]
	v_add_u32_e32 v9, v9, v10
	s_and_saveexec_b64 s[0:1], s[4:5]
; %bb.92:
	v_lshlrev_b32_e32 v10, 2, v63
	ds_write_b32 v10, v9
; %bb.93:
	s_or_b64 exec, exec, s[0:1]
	v_cmp_gt_u32_e32 vcc, 3, v0
	s_waitcnt lgkmcnt(0)
	s_barrier
	s_and_saveexec_b64 s[0:1], vcc
	s_cbranch_execz .LBB697_95
; %bb.94:
	v_lshlrev_b32_e32 v10, 2, v0
	ds_read_b32 v11, v10
	v_and_b32_e32 v12, 3, v62
	v_cmp_ne_u32_e32 vcc, 0, v12
	s_waitcnt lgkmcnt(0)
	v_mov_b32_dpp v13, v11 row_shr:1 row_mask:0xf bank_mask:0xf
	v_cndmask_b32_e32 v13, 0, v13, vcc
	v_add_u32_e32 v11, v13, v11
	v_cmp_lt_u32_e32 vcc, 1, v12
	s_nop 0
	v_mov_b32_dpp v13, v11 row_shr:2 row_mask:0xf bank_mask:0xf
	v_cndmask_b32_e32 v12, 0, v13, vcc
	v_add_u32_e32 v11, v11, v12
	ds_write_b32 v10, v11
.LBB697_95:
	s_or_b64 exec, exec, s[0:1]
	v_cmp_lt_u32_e32 vcc, 63, v0
	v_mov_b32_e32 v10, 0
	v_mov_b32_e32 v11, 0
	s_waitcnt lgkmcnt(0)
	s_barrier
	s_and_saveexec_b64 s[0:1], vcc
; %bb.96:
	v_lshl_add_u32 v11, v63, 2, -4
	ds_read_b32 v11, v11
; %bb.97:
	s_or_b64 exec, exec, s[0:1]
	v_subrev_co_u32_e32 v12, vcc, 1, v62
	v_and_b32_e32 v13, 64, v62
	v_cmp_lt_i32_e64 s[0:1], v12, v13
	v_cndmask_b32_e64 v12, v12, v62, s[0:1]
	s_waitcnt lgkmcnt(0)
	v_add_u32_e32 v9, v11, v9
	v_lshlrev_b32_e32 v12, 2, v12
	ds_bpermute_b32 v12, v12, v9
	ds_read_b32 v9, v10 offset:8
	v_cmp_eq_u32_e64 s[0:1], 0, v0
	s_and_saveexec_b64 s[2:3], s[0:1]
	s_cbranch_execz .LBB697_99
; %bb.98:
	v_mov_b32_e32 v13, 0
	v_mov_b32_e32 v10, 2
	s_waitcnt lgkmcnt(0)
	global_store_dwordx2 v13, v[9:10], s[20:21] offset:512
.LBB697_99:
	s_or_b64 exec, exec, s[2:3]
	s_waitcnt lgkmcnt(1)
	v_cndmask_b32_e32 v10, v12, v11, vcc
	v_cndmask_b32_e64 v11, v10, 0, s[0:1]
	s_waitcnt vmcnt(0) lgkmcnt(0)
	s_barrier
	v_mov_b32_e32 v10, 0
.LBB697_100:
	s_movk_i32 s0, 0xc1
	s_waitcnt lgkmcnt(0)
	v_cmp_gt_u32_e32 vcc, s0, v9
	s_cbranch_vccz .LBB697_103
; %bb.101:
	v_cmp_eq_u32_e32 vcc, 0, v0
	s_and_b64 s[0:1], vcc, s[44:45]
	s_and_saveexec_b64 s[2:3], s[0:1]
	s_cbranch_execnz .LBB697_140
.LBB697_102:
	s_endpgm
.LBB697_103:
	v_and_b32_e32 v12, 1, v50
	v_cmp_eq_u32_e32 vcc, 1, v12
	s_and_saveexec_b64 s[0:1], vcc
; %bb.104:
	v_sub_u32_e32 v12, v11, v10
	v_lshlrev_b32_e32 v12, 1, v12
	ds_write_b16 v12, v7
; %bb.105:
	s_or_b64 exec, exec, s[0:1]
	v_add_u32_e32 v7, v11, v61
	v_and_b32_e32 v11, 1, v45
	v_cmp_eq_u32_e32 vcc, 1, v11
	s_and_saveexec_b64 s[0:1], vcc
; %bb.106:
	v_sub_u32_e32 v11, v7, v10
	v_lshlrev_b32_e32 v11, 1, v11
	ds_write_b16 v11, v28
; %bb.107:
	s_or_b64 exec, exec, s[0:1]
	v_and_b32_e32 v11, 1, v44
	v_add_u32_e32 v7, v7, v60
	v_cmp_eq_u32_e32 vcc, 1, v11
	s_and_saveexec_b64 s[0:1], vcc
; %bb.108:
	v_sub_u32_e32 v11, v7, v10
	v_lshlrev_b32_e32 v11, 1, v11
	ds_write_b16 v11, v8
; %bb.109:
	s_or_b64 exec, exec, s[0:1]
	v_and_b32_e32 v8, 1, v43
	v_add_u32_e32 v7, v7, v59
	v_cmp_eq_u32_e32 vcc, 1, v8
	s_and_saveexec_b64 s[0:1], vcc
; %bb.110:
	v_sub_u32_e32 v8, v7, v10
	v_lshlrev_b32_e32 v8, 1, v8
	ds_write_b16 v8, v27
; %bb.111:
	s_or_b64 exec, exec, s[0:1]
	v_and_b32_e32 v8, 1, v42
	v_add_u32_e32 v7, v7, v58
	v_cmp_eq_u32_e32 vcc, 1, v8
	s_and_saveexec_b64 s[0:1], vcc
; %bb.112:
	v_sub_u32_e32 v8, v7, v10
	v_lshlrev_b32_e32 v8, 1, v8
	ds_write_b16 v8, v5
; %bb.113:
	s_or_b64 exec, exec, s[0:1]
	v_add_u32_e32 v5, v7, v57
	v_and_b32_e32 v7, 1, v41
	v_cmp_eq_u32_e32 vcc, 1, v7
	s_and_saveexec_b64 s[0:1], vcc
; %bb.114:
	v_sub_u32_e32 v7, v5, v10
	v_lshlrev_b32_e32 v7, 1, v7
	ds_write_b16 v7, v26
; %bb.115:
	s_or_b64 exec, exec, s[0:1]
	v_and_b32_e32 v7, 1, v40
	v_add_u32_e32 v5, v5, v56
	v_cmp_eq_u32_e32 vcc, 1, v7
	s_and_saveexec_b64 s[0:1], vcc
; %bb.116:
	v_sub_u32_e32 v7, v5, v10
	v_lshlrev_b32_e32 v7, 1, v7
	ds_write_b16 v7, v6
; %bb.117:
	s_or_b64 exec, exec, s[0:1]
	v_and_b32_e32 v6, 1, v39
	v_add_u32_e32 v5, v5, v55
	v_cmp_eq_u32_e32 vcc, 1, v6
	s_and_saveexec_b64 s[0:1], vcc
; %bb.118:
	v_sub_u32_e32 v6, v5, v10
	v_lshlrev_b32_e32 v6, 1, v6
	ds_write_b16 v6, v25
; %bb.119:
	s_or_b64 exec, exec, s[0:1]
	v_and_b32_e32 v6, 1, v38
	v_add_u32_sdwa v5, v5, v39 dst_sel:DWORD dst_unused:UNUSED_PAD src0_sel:DWORD src1_sel:BYTE_0
	v_cmp_eq_u32_e32 vcc, 1, v6
	s_and_saveexec_b64 s[0:1], vcc
; %bb.120:
	v_sub_u32_e32 v6, v5, v10
	v_lshlrev_b32_e32 v6, 1, v6
	ds_write_b16 v6, v3
; %bb.121:
	s_or_b64 exec, exec, s[0:1]
	v_add_u32_sdwa v3, v5, v38 dst_sel:DWORD dst_unused:UNUSED_PAD src0_sel:DWORD src1_sel:BYTE_0
	v_and_b32_e32 v5, 1, v37
	v_cmp_eq_u32_e32 vcc, 1, v5
	s_and_saveexec_b64 s[0:1], vcc
; %bb.122:
	v_sub_u32_e32 v5, v3, v10
	v_lshlrev_b32_e32 v5, 1, v5
	ds_write_b16 v5, v24
; %bb.123:
	s_or_b64 exec, exec, s[0:1]
	v_and_b32_e32 v5, 1, v36
	v_add_u32_e32 v3, v3, v54
	v_cmp_eq_u32_e32 vcc, 1, v5
	s_and_saveexec_b64 s[0:1], vcc
; %bb.124:
	v_sub_u32_e32 v5, v3, v10
	v_lshlrev_b32_e32 v5, 1, v5
	ds_write_b16 v5, v4
; %bb.125:
	s_or_b64 exec, exec, s[0:1]
	v_and_b32_e32 v4, 1, v35
	v_add_u32_e32 v3, v3, v53
	;; [unrolled: 10-line block ×3, first 2 shown]
	v_cmp_eq_u32_e32 vcc, 1, v4
	s_and_saveexec_b64 s[0:1], vcc
; %bb.128:
	v_sub_u32_e32 v4, v3, v10
	v_lshlrev_b32_e32 v4, 1, v4
	ds_write_b16 v4, v1
; %bb.129:
	s_or_b64 exec, exec, s[0:1]
	v_add_u32_e32 v1, v3, v51
	v_and_b32_e32 v3, 1, v33
	v_cmp_eq_u32_e32 vcc, 1, v3
	s_and_saveexec_b64 s[0:1], vcc
; %bb.130:
	v_sub_u32_e32 v3, v1, v10
	v_lshlrev_b32_e32 v3, 1, v3
	ds_write_b16 v3, v22
; %bb.131:
	s_or_b64 exec, exec, s[0:1]
	v_and_b32_e32 v3, 1, v32
	v_add_u32_e32 v1, v1, v49
	v_cmp_eq_u32_e32 vcc, 1, v3
	s_and_saveexec_b64 s[0:1], vcc
; %bb.132:
	v_sub_u32_e32 v3, v1, v10
	v_lshlrev_b32_e32 v3, 1, v3
	ds_write_b16 v3, v2
; %bb.133:
	s_or_b64 exec, exec, s[0:1]
	v_and_b32_e32 v2, 1, v31
	v_add_u32_e32 v1, v1, v48
	;; [unrolled: 10-line block ×3, first 2 shown]
	v_cmp_eq_u32_e32 vcc, 1, v2
	s_and_saveexec_b64 s[0:1], vcc
; %bb.136:
	v_sub_u32_e32 v2, v1, v10
	v_lshlrev_b32_e32 v2, 1, v2
	ds_write_b16 v2, v20
; %bb.137:
	s_or_b64 exec, exec, s[0:1]
	v_and_b32_e32 v2, 1, v29
	v_cmp_eq_u32_e32 vcc, 1, v2
	s_and_saveexec_b64 s[0:1], vcc
; %bb.138:
	v_sub_u32_e32 v2, v46, v10
	v_lshlrev_b32_e32 v1, 1, v1
	v_lshl_add_u32 v1, v2, 1, v1
	ds_write_b16 v1, v19
; %bb.139:
	s_or_b64 exec, exec, s[0:1]
	s_waitcnt lgkmcnt(0)
	s_barrier
	v_cmp_eq_u32_e32 vcc, 0, v0
	s_and_b64 s[0:1], vcc, s[44:45]
	s_and_saveexec_b64 s[2:3], s[0:1]
	s_cbranch_execz .LBB697_102
.LBB697_140:
	v_mov_b32_e32 v0, s43
	v_add_co_u32_e32 v1, vcc, s42, v9
	v_addc_co_u32_e32 v3, vcc, 0, v0, vcc
	v_add_co_u32_e32 v0, vcc, v1, v10
	v_mov_b32_e32 v2, 0
	v_addc_co_u32_e32 v1, vcc, 0, v3, vcc
	global_store_dwordx2 v2, v[0:1], s[40:41]
	s_endpgm
	.section	.rodata,"a",@progbits
	.p2align	6, 0x0
	.amdhsa_kernel _ZN7rocprim17ROCPRIM_400000_NS6detail17trampoline_kernelINS0_14default_configENS1_25partition_config_selectorILNS1_17partition_subalgoE8EsNS0_10empty_typeEbEEZZNS1_14partition_implILS5_8ELb0ES3_jN6thrust23THRUST_200600_302600_NS6detail15normal_iteratorINSA_10device_ptrIsEEEEPS6_PKS6_NS0_5tupleIJNSA_16discard_iteratorINSA_11use_defaultEEES6_EEENSJ_IJSG_SG_EEENS0_18inequality_wrapperINSA_8equal_toIsEEEEPmJS6_EEE10hipError_tPvRmT3_T4_T5_T6_T7_T9_mT8_P12ihipStream_tbDpT10_ENKUlT_T0_E_clISt17integral_constantIbLb0EES1D_EEDaS18_S19_EUlS18_E_NS1_11comp_targetILNS1_3genE2ELNS1_11target_archE906ELNS1_3gpuE6ELNS1_3repE0EEENS1_30default_config_static_selectorELNS0_4arch9wavefront6targetE1EEEvT1_
		.amdhsa_group_segment_fixed_size 6920
		.amdhsa_private_segment_fixed_size 0
		.amdhsa_kernarg_size 120
		.amdhsa_user_sgpr_count 6
		.amdhsa_user_sgpr_private_segment_buffer 1
		.amdhsa_user_sgpr_dispatch_ptr 0
		.amdhsa_user_sgpr_queue_ptr 0
		.amdhsa_user_sgpr_kernarg_segment_ptr 1
		.amdhsa_user_sgpr_dispatch_id 0
		.amdhsa_user_sgpr_flat_scratch_init 0
		.amdhsa_user_sgpr_private_segment_size 0
		.amdhsa_uses_dynamic_stack 0
		.amdhsa_system_sgpr_private_segment_wavefront_offset 0
		.amdhsa_system_sgpr_workgroup_id_x 1
		.amdhsa_system_sgpr_workgroup_id_y 0
		.amdhsa_system_sgpr_workgroup_id_z 0
		.amdhsa_system_sgpr_workgroup_info 0
		.amdhsa_system_vgpr_workitem_id 0
		.amdhsa_next_free_vgpr 81
		.amdhsa_next_free_sgpr 77
		.amdhsa_reserve_vcc 1
		.amdhsa_reserve_flat_scratch 0
		.amdhsa_float_round_mode_32 0
		.amdhsa_float_round_mode_16_64 0
		.amdhsa_float_denorm_mode_32 3
		.amdhsa_float_denorm_mode_16_64 3
		.amdhsa_dx10_clamp 1
		.amdhsa_ieee_mode 1
		.amdhsa_fp16_overflow 0
		.amdhsa_exception_fp_ieee_invalid_op 0
		.amdhsa_exception_fp_denorm_src 0
		.amdhsa_exception_fp_ieee_div_zero 0
		.amdhsa_exception_fp_ieee_overflow 0
		.amdhsa_exception_fp_ieee_underflow 0
		.amdhsa_exception_fp_ieee_inexact 0
		.amdhsa_exception_int_div_zero 0
	.end_amdhsa_kernel
	.section	.text._ZN7rocprim17ROCPRIM_400000_NS6detail17trampoline_kernelINS0_14default_configENS1_25partition_config_selectorILNS1_17partition_subalgoE8EsNS0_10empty_typeEbEEZZNS1_14partition_implILS5_8ELb0ES3_jN6thrust23THRUST_200600_302600_NS6detail15normal_iteratorINSA_10device_ptrIsEEEEPS6_PKS6_NS0_5tupleIJNSA_16discard_iteratorINSA_11use_defaultEEES6_EEENSJ_IJSG_SG_EEENS0_18inequality_wrapperINSA_8equal_toIsEEEEPmJS6_EEE10hipError_tPvRmT3_T4_T5_T6_T7_T9_mT8_P12ihipStream_tbDpT10_ENKUlT_T0_E_clISt17integral_constantIbLb0EES1D_EEDaS18_S19_EUlS18_E_NS1_11comp_targetILNS1_3genE2ELNS1_11target_archE906ELNS1_3gpuE6ELNS1_3repE0EEENS1_30default_config_static_selectorELNS0_4arch9wavefront6targetE1EEEvT1_,"axG",@progbits,_ZN7rocprim17ROCPRIM_400000_NS6detail17trampoline_kernelINS0_14default_configENS1_25partition_config_selectorILNS1_17partition_subalgoE8EsNS0_10empty_typeEbEEZZNS1_14partition_implILS5_8ELb0ES3_jN6thrust23THRUST_200600_302600_NS6detail15normal_iteratorINSA_10device_ptrIsEEEEPS6_PKS6_NS0_5tupleIJNSA_16discard_iteratorINSA_11use_defaultEEES6_EEENSJ_IJSG_SG_EEENS0_18inequality_wrapperINSA_8equal_toIsEEEEPmJS6_EEE10hipError_tPvRmT3_T4_T5_T6_T7_T9_mT8_P12ihipStream_tbDpT10_ENKUlT_T0_E_clISt17integral_constantIbLb0EES1D_EEDaS18_S19_EUlS18_E_NS1_11comp_targetILNS1_3genE2ELNS1_11target_archE906ELNS1_3gpuE6ELNS1_3repE0EEENS1_30default_config_static_selectorELNS0_4arch9wavefront6targetE1EEEvT1_,comdat
.Lfunc_end697:
	.size	_ZN7rocprim17ROCPRIM_400000_NS6detail17trampoline_kernelINS0_14default_configENS1_25partition_config_selectorILNS1_17partition_subalgoE8EsNS0_10empty_typeEbEEZZNS1_14partition_implILS5_8ELb0ES3_jN6thrust23THRUST_200600_302600_NS6detail15normal_iteratorINSA_10device_ptrIsEEEEPS6_PKS6_NS0_5tupleIJNSA_16discard_iteratorINSA_11use_defaultEEES6_EEENSJ_IJSG_SG_EEENS0_18inequality_wrapperINSA_8equal_toIsEEEEPmJS6_EEE10hipError_tPvRmT3_T4_T5_T6_T7_T9_mT8_P12ihipStream_tbDpT10_ENKUlT_T0_E_clISt17integral_constantIbLb0EES1D_EEDaS18_S19_EUlS18_E_NS1_11comp_targetILNS1_3genE2ELNS1_11target_archE906ELNS1_3gpuE6ELNS1_3repE0EEENS1_30default_config_static_selectorELNS0_4arch9wavefront6targetE1EEEvT1_, .Lfunc_end697-_ZN7rocprim17ROCPRIM_400000_NS6detail17trampoline_kernelINS0_14default_configENS1_25partition_config_selectorILNS1_17partition_subalgoE8EsNS0_10empty_typeEbEEZZNS1_14partition_implILS5_8ELb0ES3_jN6thrust23THRUST_200600_302600_NS6detail15normal_iteratorINSA_10device_ptrIsEEEEPS6_PKS6_NS0_5tupleIJNSA_16discard_iteratorINSA_11use_defaultEEES6_EEENSJ_IJSG_SG_EEENS0_18inequality_wrapperINSA_8equal_toIsEEEEPmJS6_EEE10hipError_tPvRmT3_T4_T5_T6_T7_T9_mT8_P12ihipStream_tbDpT10_ENKUlT_T0_E_clISt17integral_constantIbLb0EES1D_EEDaS18_S19_EUlS18_E_NS1_11comp_targetILNS1_3genE2ELNS1_11target_archE906ELNS1_3gpuE6ELNS1_3repE0EEENS1_30default_config_static_selectorELNS0_4arch9wavefront6targetE1EEEvT1_
                                        ; -- End function
	.set _ZN7rocprim17ROCPRIM_400000_NS6detail17trampoline_kernelINS0_14default_configENS1_25partition_config_selectorILNS1_17partition_subalgoE8EsNS0_10empty_typeEbEEZZNS1_14partition_implILS5_8ELb0ES3_jN6thrust23THRUST_200600_302600_NS6detail15normal_iteratorINSA_10device_ptrIsEEEEPS6_PKS6_NS0_5tupleIJNSA_16discard_iteratorINSA_11use_defaultEEES6_EEENSJ_IJSG_SG_EEENS0_18inequality_wrapperINSA_8equal_toIsEEEEPmJS6_EEE10hipError_tPvRmT3_T4_T5_T6_T7_T9_mT8_P12ihipStream_tbDpT10_ENKUlT_T0_E_clISt17integral_constantIbLb0EES1D_EEDaS18_S19_EUlS18_E_NS1_11comp_targetILNS1_3genE2ELNS1_11target_archE906ELNS1_3gpuE6ELNS1_3repE0EEENS1_30default_config_static_selectorELNS0_4arch9wavefront6targetE1EEEvT1_.num_vgpr, 81
	.set _ZN7rocprim17ROCPRIM_400000_NS6detail17trampoline_kernelINS0_14default_configENS1_25partition_config_selectorILNS1_17partition_subalgoE8EsNS0_10empty_typeEbEEZZNS1_14partition_implILS5_8ELb0ES3_jN6thrust23THRUST_200600_302600_NS6detail15normal_iteratorINSA_10device_ptrIsEEEEPS6_PKS6_NS0_5tupleIJNSA_16discard_iteratorINSA_11use_defaultEEES6_EEENSJ_IJSG_SG_EEENS0_18inequality_wrapperINSA_8equal_toIsEEEEPmJS6_EEE10hipError_tPvRmT3_T4_T5_T6_T7_T9_mT8_P12ihipStream_tbDpT10_ENKUlT_T0_E_clISt17integral_constantIbLb0EES1D_EEDaS18_S19_EUlS18_E_NS1_11comp_targetILNS1_3genE2ELNS1_11target_archE906ELNS1_3gpuE6ELNS1_3repE0EEENS1_30default_config_static_selectorELNS0_4arch9wavefront6targetE1EEEvT1_.num_agpr, 0
	.set _ZN7rocprim17ROCPRIM_400000_NS6detail17trampoline_kernelINS0_14default_configENS1_25partition_config_selectorILNS1_17partition_subalgoE8EsNS0_10empty_typeEbEEZZNS1_14partition_implILS5_8ELb0ES3_jN6thrust23THRUST_200600_302600_NS6detail15normal_iteratorINSA_10device_ptrIsEEEEPS6_PKS6_NS0_5tupleIJNSA_16discard_iteratorINSA_11use_defaultEEES6_EEENSJ_IJSG_SG_EEENS0_18inequality_wrapperINSA_8equal_toIsEEEEPmJS6_EEE10hipError_tPvRmT3_T4_T5_T6_T7_T9_mT8_P12ihipStream_tbDpT10_ENKUlT_T0_E_clISt17integral_constantIbLb0EES1D_EEDaS18_S19_EUlS18_E_NS1_11comp_targetILNS1_3genE2ELNS1_11target_archE906ELNS1_3gpuE6ELNS1_3repE0EEENS1_30default_config_static_selectorELNS0_4arch9wavefront6targetE1EEEvT1_.numbered_sgpr, 58
	.set _ZN7rocprim17ROCPRIM_400000_NS6detail17trampoline_kernelINS0_14default_configENS1_25partition_config_selectorILNS1_17partition_subalgoE8EsNS0_10empty_typeEbEEZZNS1_14partition_implILS5_8ELb0ES3_jN6thrust23THRUST_200600_302600_NS6detail15normal_iteratorINSA_10device_ptrIsEEEEPS6_PKS6_NS0_5tupleIJNSA_16discard_iteratorINSA_11use_defaultEEES6_EEENSJ_IJSG_SG_EEENS0_18inequality_wrapperINSA_8equal_toIsEEEEPmJS6_EEE10hipError_tPvRmT3_T4_T5_T6_T7_T9_mT8_P12ihipStream_tbDpT10_ENKUlT_T0_E_clISt17integral_constantIbLb0EES1D_EEDaS18_S19_EUlS18_E_NS1_11comp_targetILNS1_3genE2ELNS1_11target_archE906ELNS1_3gpuE6ELNS1_3repE0EEENS1_30default_config_static_selectorELNS0_4arch9wavefront6targetE1EEEvT1_.num_named_barrier, 0
	.set _ZN7rocprim17ROCPRIM_400000_NS6detail17trampoline_kernelINS0_14default_configENS1_25partition_config_selectorILNS1_17partition_subalgoE8EsNS0_10empty_typeEbEEZZNS1_14partition_implILS5_8ELb0ES3_jN6thrust23THRUST_200600_302600_NS6detail15normal_iteratorINSA_10device_ptrIsEEEEPS6_PKS6_NS0_5tupleIJNSA_16discard_iteratorINSA_11use_defaultEEES6_EEENSJ_IJSG_SG_EEENS0_18inequality_wrapperINSA_8equal_toIsEEEEPmJS6_EEE10hipError_tPvRmT3_T4_T5_T6_T7_T9_mT8_P12ihipStream_tbDpT10_ENKUlT_T0_E_clISt17integral_constantIbLb0EES1D_EEDaS18_S19_EUlS18_E_NS1_11comp_targetILNS1_3genE2ELNS1_11target_archE906ELNS1_3gpuE6ELNS1_3repE0EEENS1_30default_config_static_selectorELNS0_4arch9wavefront6targetE1EEEvT1_.private_seg_size, 0
	.set _ZN7rocprim17ROCPRIM_400000_NS6detail17trampoline_kernelINS0_14default_configENS1_25partition_config_selectorILNS1_17partition_subalgoE8EsNS0_10empty_typeEbEEZZNS1_14partition_implILS5_8ELb0ES3_jN6thrust23THRUST_200600_302600_NS6detail15normal_iteratorINSA_10device_ptrIsEEEEPS6_PKS6_NS0_5tupleIJNSA_16discard_iteratorINSA_11use_defaultEEES6_EEENSJ_IJSG_SG_EEENS0_18inequality_wrapperINSA_8equal_toIsEEEEPmJS6_EEE10hipError_tPvRmT3_T4_T5_T6_T7_T9_mT8_P12ihipStream_tbDpT10_ENKUlT_T0_E_clISt17integral_constantIbLb0EES1D_EEDaS18_S19_EUlS18_E_NS1_11comp_targetILNS1_3genE2ELNS1_11target_archE906ELNS1_3gpuE6ELNS1_3repE0EEENS1_30default_config_static_selectorELNS0_4arch9wavefront6targetE1EEEvT1_.uses_vcc, 1
	.set _ZN7rocprim17ROCPRIM_400000_NS6detail17trampoline_kernelINS0_14default_configENS1_25partition_config_selectorILNS1_17partition_subalgoE8EsNS0_10empty_typeEbEEZZNS1_14partition_implILS5_8ELb0ES3_jN6thrust23THRUST_200600_302600_NS6detail15normal_iteratorINSA_10device_ptrIsEEEEPS6_PKS6_NS0_5tupleIJNSA_16discard_iteratorINSA_11use_defaultEEES6_EEENSJ_IJSG_SG_EEENS0_18inequality_wrapperINSA_8equal_toIsEEEEPmJS6_EEE10hipError_tPvRmT3_T4_T5_T6_T7_T9_mT8_P12ihipStream_tbDpT10_ENKUlT_T0_E_clISt17integral_constantIbLb0EES1D_EEDaS18_S19_EUlS18_E_NS1_11comp_targetILNS1_3genE2ELNS1_11target_archE906ELNS1_3gpuE6ELNS1_3repE0EEENS1_30default_config_static_selectorELNS0_4arch9wavefront6targetE1EEEvT1_.uses_flat_scratch, 0
	.set _ZN7rocprim17ROCPRIM_400000_NS6detail17trampoline_kernelINS0_14default_configENS1_25partition_config_selectorILNS1_17partition_subalgoE8EsNS0_10empty_typeEbEEZZNS1_14partition_implILS5_8ELb0ES3_jN6thrust23THRUST_200600_302600_NS6detail15normal_iteratorINSA_10device_ptrIsEEEEPS6_PKS6_NS0_5tupleIJNSA_16discard_iteratorINSA_11use_defaultEEES6_EEENSJ_IJSG_SG_EEENS0_18inequality_wrapperINSA_8equal_toIsEEEEPmJS6_EEE10hipError_tPvRmT3_T4_T5_T6_T7_T9_mT8_P12ihipStream_tbDpT10_ENKUlT_T0_E_clISt17integral_constantIbLb0EES1D_EEDaS18_S19_EUlS18_E_NS1_11comp_targetILNS1_3genE2ELNS1_11target_archE906ELNS1_3gpuE6ELNS1_3repE0EEENS1_30default_config_static_selectorELNS0_4arch9wavefront6targetE1EEEvT1_.has_dyn_sized_stack, 0
	.set _ZN7rocprim17ROCPRIM_400000_NS6detail17trampoline_kernelINS0_14default_configENS1_25partition_config_selectorILNS1_17partition_subalgoE8EsNS0_10empty_typeEbEEZZNS1_14partition_implILS5_8ELb0ES3_jN6thrust23THRUST_200600_302600_NS6detail15normal_iteratorINSA_10device_ptrIsEEEEPS6_PKS6_NS0_5tupleIJNSA_16discard_iteratorINSA_11use_defaultEEES6_EEENSJ_IJSG_SG_EEENS0_18inequality_wrapperINSA_8equal_toIsEEEEPmJS6_EEE10hipError_tPvRmT3_T4_T5_T6_T7_T9_mT8_P12ihipStream_tbDpT10_ENKUlT_T0_E_clISt17integral_constantIbLb0EES1D_EEDaS18_S19_EUlS18_E_NS1_11comp_targetILNS1_3genE2ELNS1_11target_archE906ELNS1_3gpuE6ELNS1_3repE0EEENS1_30default_config_static_selectorELNS0_4arch9wavefront6targetE1EEEvT1_.has_recursion, 0
	.set _ZN7rocprim17ROCPRIM_400000_NS6detail17trampoline_kernelINS0_14default_configENS1_25partition_config_selectorILNS1_17partition_subalgoE8EsNS0_10empty_typeEbEEZZNS1_14partition_implILS5_8ELb0ES3_jN6thrust23THRUST_200600_302600_NS6detail15normal_iteratorINSA_10device_ptrIsEEEEPS6_PKS6_NS0_5tupleIJNSA_16discard_iteratorINSA_11use_defaultEEES6_EEENSJ_IJSG_SG_EEENS0_18inequality_wrapperINSA_8equal_toIsEEEEPmJS6_EEE10hipError_tPvRmT3_T4_T5_T6_T7_T9_mT8_P12ihipStream_tbDpT10_ENKUlT_T0_E_clISt17integral_constantIbLb0EES1D_EEDaS18_S19_EUlS18_E_NS1_11comp_targetILNS1_3genE2ELNS1_11target_archE906ELNS1_3gpuE6ELNS1_3repE0EEENS1_30default_config_static_selectorELNS0_4arch9wavefront6targetE1EEEvT1_.has_indirect_call, 0
	.section	.AMDGPU.csdata,"",@progbits
; Kernel info:
; codeLenInByte = 6844
; TotalNumSgprs: 62
; NumVgprs: 81
; ScratchSize: 0
; MemoryBound: 0
; FloatMode: 240
; IeeeMode: 1
; LDSByteSize: 6920 bytes/workgroup (compile time only)
; SGPRBlocks: 10
; VGPRBlocks: 20
; NumSGPRsForWavesPerEU: 81
; NumVGPRsForWavesPerEU: 81
; Occupancy: 3
; WaveLimiterHint : 1
; COMPUTE_PGM_RSRC2:SCRATCH_EN: 0
; COMPUTE_PGM_RSRC2:USER_SGPR: 6
; COMPUTE_PGM_RSRC2:TRAP_HANDLER: 0
; COMPUTE_PGM_RSRC2:TGID_X_EN: 1
; COMPUTE_PGM_RSRC2:TGID_Y_EN: 0
; COMPUTE_PGM_RSRC2:TGID_Z_EN: 0
; COMPUTE_PGM_RSRC2:TIDIG_COMP_CNT: 0
	.section	.text._ZN7rocprim17ROCPRIM_400000_NS6detail17trampoline_kernelINS0_14default_configENS1_25partition_config_selectorILNS1_17partition_subalgoE8EsNS0_10empty_typeEbEEZZNS1_14partition_implILS5_8ELb0ES3_jN6thrust23THRUST_200600_302600_NS6detail15normal_iteratorINSA_10device_ptrIsEEEEPS6_PKS6_NS0_5tupleIJNSA_16discard_iteratorINSA_11use_defaultEEES6_EEENSJ_IJSG_SG_EEENS0_18inequality_wrapperINSA_8equal_toIsEEEEPmJS6_EEE10hipError_tPvRmT3_T4_T5_T6_T7_T9_mT8_P12ihipStream_tbDpT10_ENKUlT_T0_E_clISt17integral_constantIbLb0EES1D_EEDaS18_S19_EUlS18_E_NS1_11comp_targetILNS1_3genE10ELNS1_11target_archE1200ELNS1_3gpuE4ELNS1_3repE0EEENS1_30default_config_static_selectorELNS0_4arch9wavefront6targetE1EEEvT1_,"axG",@progbits,_ZN7rocprim17ROCPRIM_400000_NS6detail17trampoline_kernelINS0_14default_configENS1_25partition_config_selectorILNS1_17partition_subalgoE8EsNS0_10empty_typeEbEEZZNS1_14partition_implILS5_8ELb0ES3_jN6thrust23THRUST_200600_302600_NS6detail15normal_iteratorINSA_10device_ptrIsEEEEPS6_PKS6_NS0_5tupleIJNSA_16discard_iteratorINSA_11use_defaultEEES6_EEENSJ_IJSG_SG_EEENS0_18inequality_wrapperINSA_8equal_toIsEEEEPmJS6_EEE10hipError_tPvRmT3_T4_T5_T6_T7_T9_mT8_P12ihipStream_tbDpT10_ENKUlT_T0_E_clISt17integral_constantIbLb0EES1D_EEDaS18_S19_EUlS18_E_NS1_11comp_targetILNS1_3genE10ELNS1_11target_archE1200ELNS1_3gpuE4ELNS1_3repE0EEENS1_30default_config_static_selectorELNS0_4arch9wavefront6targetE1EEEvT1_,comdat
	.protected	_ZN7rocprim17ROCPRIM_400000_NS6detail17trampoline_kernelINS0_14default_configENS1_25partition_config_selectorILNS1_17partition_subalgoE8EsNS0_10empty_typeEbEEZZNS1_14partition_implILS5_8ELb0ES3_jN6thrust23THRUST_200600_302600_NS6detail15normal_iteratorINSA_10device_ptrIsEEEEPS6_PKS6_NS0_5tupleIJNSA_16discard_iteratorINSA_11use_defaultEEES6_EEENSJ_IJSG_SG_EEENS0_18inequality_wrapperINSA_8equal_toIsEEEEPmJS6_EEE10hipError_tPvRmT3_T4_T5_T6_T7_T9_mT8_P12ihipStream_tbDpT10_ENKUlT_T0_E_clISt17integral_constantIbLb0EES1D_EEDaS18_S19_EUlS18_E_NS1_11comp_targetILNS1_3genE10ELNS1_11target_archE1200ELNS1_3gpuE4ELNS1_3repE0EEENS1_30default_config_static_selectorELNS0_4arch9wavefront6targetE1EEEvT1_ ; -- Begin function _ZN7rocprim17ROCPRIM_400000_NS6detail17trampoline_kernelINS0_14default_configENS1_25partition_config_selectorILNS1_17partition_subalgoE8EsNS0_10empty_typeEbEEZZNS1_14partition_implILS5_8ELb0ES3_jN6thrust23THRUST_200600_302600_NS6detail15normal_iteratorINSA_10device_ptrIsEEEEPS6_PKS6_NS0_5tupleIJNSA_16discard_iteratorINSA_11use_defaultEEES6_EEENSJ_IJSG_SG_EEENS0_18inequality_wrapperINSA_8equal_toIsEEEEPmJS6_EEE10hipError_tPvRmT3_T4_T5_T6_T7_T9_mT8_P12ihipStream_tbDpT10_ENKUlT_T0_E_clISt17integral_constantIbLb0EES1D_EEDaS18_S19_EUlS18_E_NS1_11comp_targetILNS1_3genE10ELNS1_11target_archE1200ELNS1_3gpuE4ELNS1_3repE0EEENS1_30default_config_static_selectorELNS0_4arch9wavefront6targetE1EEEvT1_
	.globl	_ZN7rocprim17ROCPRIM_400000_NS6detail17trampoline_kernelINS0_14default_configENS1_25partition_config_selectorILNS1_17partition_subalgoE8EsNS0_10empty_typeEbEEZZNS1_14partition_implILS5_8ELb0ES3_jN6thrust23THRUST_200600_302600_NS6detail15normal_iteratorINSA_10device_ptrIsEEEEPS6_PKS6_NS0_5tupleIJNSA_16discard_iteratorINSA_11use_defaultEEES6_EEENSJ_IJSG_SG_EEENS0_18inequality_wrapperINSA_8equal_toIsEEEEPmJS6_EEE10hipError_tPvRmT3_T4_T5_T6_T7_T9_mT8_P12ihipStream_tbDpT10_ENKUlT_T0_E_clISt17integral_constantIbLb0EES1D_EEDaS18_S19_EUlS18_E_NS1_11comp_targetILNS1_3genE10ELNS1_11target_archE1200ELNS1_3gpuE4ELNS1_3repE0EEENS1_30default_config_static_selectorELNS0_4arch9wavefront6targetE1EEEvT1_
	.p2align	8
	.type	_ZN7rocprim17ROCPRIM_400000_NS6detail17trampoline_kernelINS0_14default_configENS1_25partition_config_selectorILNS1_17partition_subalgoE8EsNS0_10empty_typeEbEEZZNS1_14partition_implILS5_8ELb0ES3_jN6thrust23THRUST_200600_302600_NS6detail15normal_iteratorINSA_10device_ptrIsEEEEPS6_PKS6_NS0_5tupleIJNSA_16discard_iteratorINSA_11use_defaultEEES6_EEENSJ_IJSG_SG_EEENS0_18inequality_wrapperINSA_8equal_toIsEEEEPmJS6_EEE10hipError_tPvRmT3_T4_T5_T6_T7_T9_mT8_P12ihipStream_tbDpT10_ENKUlT_T0_E_clISt17integral_constantIbLb0EES1D_EEDaS18_S19_EUlS18_E_NS1_11comp_targetILNS1_3genE10ELNS1_11target_archE1200ELNS1_3gpuE4ELNS1_3repE0EEENS1_30default_config_static_selectorELNS0_4arch9wavefront6targetE1EEEvT1_,@function
_ZN7rocprim17ROCPRIM_400000_NS6detail17trampoline_kernelINS0_14default_configENS1_25partition_config_selectorILNS1_17partition_subalgoE8EsNS0_10empty_typeEbEEZZNS1_14partition_implILS5_8ELb0ES3_jN6thrust23THRUST_200600_302600_NS6detail15normal_iteratorINSA_10device_ptrIsEEEEPS6_PKS6_NS0_5tupleIJNSA_16discard_iteratorINSA_11use_defaultEEES6_EEENSJ_IJSG_SG_EEENS0_18inequality_wrapperINSA_8equal_toIsEEEEPmJS6_EEE10hipError_tPvRmT3_T4_T5_T6_T7_T9_mT8_P12ihipStream_tbDpT10_ENKUlT_T0_E_clISt17integral_constantIbLb0EES1D_EEDaS18_S19_EUlS18_E_NS1_11comp_targetILNS1_3genE10ELNS1_11target_archE1200ELNS1_3gpuE4ELNS1_3repE0EEENS1_30default_config_static_selectorELNS0_4arch9wavefront6targetE1EEEvT1_: ; @_ZN7rocprim17ROCPRIM_400000_NS6detail17trampoline_kernelINS0_14default_configENS1_25partition_config_selectorILNS1_17partition_subalgoE8EsNS0_10empty_typeEbEEZZNS1_14partition_implILS5_8ELb0ES3_jN6thrust23THRUST_200600_302600_NS6detail15normal_iteratorINSA_10device_ptrIsEEEEPS6_PKS6_NS0_5tupleIJNSA_16discard_iteratorINSA_11use_defaultEEES6_EEENSJ_IJSG_SG_EEENS0_18inequality_wrapperINSA_8equal_toIsEEEEPmJS6_EEE10hipError_tPvRmT3_T4_T5_T6_T7_T9_mT8_P12ihipStream_tbDpT10_ENKUlT_T0_E_clISt17integral_constantIbLb0EES1D_EEDaS18_S19_EUlS18_E_NS1_11comp_targetILNS1_3genE10ELNS1_11target_archE1200ELNS1_3gpuE4ELNS1_3repE0EEENS1_30default_config_static_selectorELNS0_4arch9wavefront6targetE1EEEvT1_
; %bb.0:
	.section	.rodata,"a",@progbits
	.p2align	6, 0x0
	.amdhsa_kernel _ZN7rocprim17ROCPRIM_400000_NS6detail17trampoline_kernelINS0_14default_configENS1_25partition_config_selectorILNS1_17partition_subalgoE8EsNS0_10empty_typeEbEEZZNS1_14partition_implILS5_8ELb0ES3_jN6thrust23THRUST_200600_302600_NS6detail15normal_iteratorINSA_10device_ptrIsEEEEPS6_PKS6_NS0_5tupleIJNSA_16discard_iteratorINSA_11use_defaultEEES6_EEENSJ_IJSG_SG_EEENS0_18inequality_wrapperINSA_8equal_toIsEEEEPmJS6_EEE10hipError_tPvRmT3_T4_T5_T6_T7_T9_mT8_P12ihipStream_tbDpT10_ENKUlT_T0_E_clISt17integral_constantIbLb0EES1D_EEDaS18_S19_EUlS18_E_NS1_11comp_targetILNS1_3genE10ELNS1_11target_archE1200ELNS1_3gpuE4ELNS1_3repE0EEENS1_30default_config_static_selectorELNS0_4arch9wavefront6targetE1EEEvT1_
		.amdhsa_group_segment_fixed_size 0
		.amdhsa_private_segment_fixed_size 0
		.amdhsa_kernarg_size 120
		.amdhsa_user_sgpr_count 6
		.amdhsa_user_sgpr_private_segment_buffer 1
		.amdhsa_user_sgpr_dispatch_ptr 0
		.amdhsa_user_sgpr_queue_ptr 0
		.amdhsa_user_sgpr_kernarg_segment_ptr 1
		.amdhsa_user_sgpr_dispatch_id 0
		.amdhsa_user_sgpr_flat_scratch_init 0
		.amdhsa_user_sgpr_private_segment_size 0
		.amdhsa_uses_dynamic_stack 0
		.amdhsa_system_sgpr_private_segment_wavefront_offset 0
		.amdhsa_system_sgpr_workgroup_id_x 1
		.amdhsa_system_sgpr_workgroup_id_y 0
		.amdhsa_system_sgpr_workgroup_id_z 0
		.amdhsa_system_sgpr_workgroup_info 0
		.amdhsa_system_vgpr_workitem_id 0
		.amdhsa_next_free_vgpr 1
		.amdhsa_next_free_sgpr 0
		.amdhsa_reserve_vcc 0
		.amdhsa_reserve_flat_scratch 0
		.amdhsa_float_round_mode_32 0
		.amdhsa_float_round_mode_16_64 0
		.amdhsa_float_denorm_mode_32 3
		.amdhsa_float_denorm_mode_16_64 3
		.amdhsa_dx10_clamp 1
		.amdhsa_ieee_mode 1
		.amdhsa_fp16_overflow 0
		.amdhsa_exception_fp_ieee_invalid_op 0
		.amdhsa_exception_fp_denorm_src 0
		.amdhsa_exception_fp_ieee_div_zero 0
		.amdhsa_exception_fp_ieee_overflow 0
		.amdhsa_exception_fp_ieee_underflow 0
		.amdhsa_exception_fp_ieee_inexact 0
		.amdhsa_exception_int_div_zero 0
	.end_amdhsa_kernel
	.section	.text._ZN7rocprim17ROCPRIM_400000_NS6detail17trampoline_kernelINS0_14default_configENS1_25partition_config_selectorILNS1_17partition_subalgoE8EsNS0_10empty_typeEbEEZZNS1_14partition_implILS5_8ELb0ES3_jN6thrust23THRUST_200600_302600_NS6detail15normal_iteratorINSA_10device_ptrIsEEEEPS6_PKS6_NS0_5tupleIJNSA_16discard_iteratorINSA_11use_defaultEEES6_EEENSJ_IJSG_SG_EEENS0_18inequality_wrapperINSA_8equal_toIsEEEEPmJS6_EEE10hipError_tPvRmT3_T4_T5_T6_T7_T9_mT8_P12ihipStream_tbDpT10_ENKUlT_T0_E_clISt17integral_constantIbLb0EES1D_EEDaS18_S19_EUlS18_E_NS1_11comp_targetILNS1_3genE10ELNS1_11target_archE1200ELNS1_3gpuE4ELNS1_3repE0EEENS1_30default_config_static_selectorELNS0_4arch9wavefront6targetE1EEEvT1_,"axG",@progbits,_ZN7rocprim17ROCPRIM_400000_NS6detail17trampoline_kernelINS0_14default_configENS1_25partition_config_selectorILNS1_17partition_subalgoE8EsNS0_10empty_typeEbEEZZNS1_14partition_implILS5_8ELb0ES3_jN6thrust23THRUST_200600_302600_NS6detail15normal_iteratorINSA_10device_ptrIsEEEEPS6_PKS6_NS0_5tupleIJNSA_16discard_iteratorINSA_11use_defaultEEES6_EEENSJ_IJSG_SG_EEENS0_18inequality_wrapperINSA_8equal_toIsEEEEPmJS6_EEE10hipError_tPvRmT3_T4_T5_T6_T7_T9_mT8_P12ihipStream_tbDpT10_ENKUlT_T0_E_clISt17integral_constantIbLb0EES1D_EEDaS18_S19_EUlS18_E_NS1_11comp_targetILNS1_3genE10ELNS1_11target_archE1200ELNS1_3gpuE4ELNS1_3repE0EEENS1_30default_config_static_selectorELNS0_4arch9wavefront6targetE1EEEvT1_,comdat
.Lfunc_end698:
	.size	_ZN7rocprim17ROCPRIM_400000_NS6detail17trampoline_kernelINS0_14default_configENS1_25partition_config_selectorILNS1_17partition_subalgoE8EsNS0_10empty_typeEbEEZZNS1_14partition_implILS5_8ELb0ES3_jN6thrust23THRUST_200600_302600_NS6detail15normal_iteratorINSA_10device_ptrIsEEEEPS6_PKS6_NS0_5tupleIJNSA_16discard_iteratorINSA_11use_defaultEEES6_EEENSJ_IJSG_SG_EEENS0_18inequality_wrapperINSA_8equal_toIsEEEEPmJS6_EEE10hipError_tPvRmT3_T4_T5_T6_T7_T9_mT8_P12ihipStream_tbDpT10_ENKUlT_T0_E_clISt17integral_constantIbLb0EES1D_EEDaS18_S19_EUlS18_E_NS1_11comp_targetILNS1_3genE10ELNS1_11target_archE1200ELNS1_3gpuE4ELNS1_3repE0EEENS1_30default_config_static_selectorELNS0_4arch9wavefront6targetE1EEEvT1_, .Lfunc_end698-_ZN7rocprim17ROCPRIM_400000_NS6detail17trampoline_kernelINS0_14default_configENS1_25partition_config_selectorILNS1_17partition_subalgoE8EsNS0_10empty_typeEbEEZZNS1_14partition_implILS5_8ELb0ES3_jN6thrust23THRUST_200600_302600_NS6detail15normal_iteratorINSA_10device_ptrIsEEEEPS6_PKS6_NS0_5tupleIJNSA_16discard_iteratorINSA_11use_defaultEEES6_EEENSJ_IJSG_SG_EEENS0_18inequality_wrapperINSA_8equal_toIsEEEEPmJS6_EEE10hipError_tPvRmT3_T4_T5_T6_T7_T9_mT8_P12ihipStream_tbDpT10_ENKUlT_T0_E_clISt17integral_constantIbLb0EES1D_EEDaS18_S19_EUlS18_E_NS1_11comp_targetILNS1_3genE10ELNS1_11target_archE1200ELNS1_3gpuE4ELNS1_3repE0EEENS1_30default_config_static_selectorELNS0_4arch9wavefront6targetE1EEEvT1_
                                        ; -- End function
	.set _ZN7rocprim17ROCPRIM_400000_NS6detail17trampoline_kernelINS0_14default_configENS1_25partition_config_selectorILNS1_17partition_subalgoE8EsNS0_10empty_typeEbEEZZNS1_14partition_implILS5_8ELb0ES3_jN6thrust23THRUST_200600_302600_NS6detail15normal_iteratorINSA_10device_ptrIsEEEEPS6_PKS6_NS0_5tupleIJNSA_16discard_iteratorINSA_11use_defaultEEES6_EEENSJ_IJSG_SG_EEENS0_18inequality_wrapperINSA_8equal_toIsEEEEPmJS6_EEE10hipError_tPvRmT3_T4_T5_T6_T7_T9_mT8_P12ihipStream_tbDpT10_ENKUlT_T0_E_clISt17integral_constantIbLb0EES1D_EEDaS18_S19_EUlS18_E_NS1_11comp_targetILNS1_3genE10ELNS1_11target_archE1200ELNS1_3gpuE4ELNS1_3repE0EEENS1_30default_config_static_selectorELNS0_4arch9wavefront6targetE1EEEvT1_.num_vgpr, 0
	.set _ZN7rocprim17ROCPRIM_400000_NS6detail17trampoline_kernelINS0_14default_configENS1_25partition_config_selectorILNS1_17partition_subalgoE8EsNS0_10empty_typeEbEEZZNS1_14partition_implILS5_8ELb0ES3_jN6thrust23THRUST_200600_302600_NS6detail15normal_iteratorINSA_10device_ptrIsEEEEPS6_PKS6_NS0_5tupleIJNSA_16discard_iteratorINSA_11use_defaultEEES6_EEENSJ_IJSG_SG_EEENS0_18inequality_wrapperINSA_8equal_toIsEEEEPmJS6_EEE10hipError_tPvRmT3_T4_T5_T6_T7_T9_mT8_P12ihipStream_tbDpT10_ENKUlT_T0_E_clISt17integral_constantIbLb0EES1D_EEDaS18_S19_EUlS18_E_NS1_11comp_targetILNS1_3genE10ELNS1_11target_archE1200ELNS1_3gpuE4ELNS1_3repE0EEENS1_30default_config_static_selectorELNS0_4arch9wavefront6targetE1EEEvT1_.num_agpr, 0
	.set _ZN7rocprim17ROCPRIM_400000_NS6detail17trampoline_kernelINS0_14default_configENS1_25partition_config_selectorILNS1_17partition_subalgoE8EsNS0_10empty_typeEbEEZZNS1_14partition_implILS5_8ELb0ES3_jN6thrust23THRUST_200600_302600_NS6detail15normal_iteratorINSA_10device_ptrIsEEEEPS6_PKS6_NS0_5tupleIJNSA_16discard_iteratorINSA_11use_defaultEEES6_EEENSJ_IJSG_SG_EEENS0_18inequality_wrapperINSA_8equal_toIsEEEEPmJS6_EEE10hipError_tPvRmT3_T4_T5_T6_T7_T9_mT8_P12ihipStream_tbDpT10_ENKUlT_T0_E_clISt17integral_constantIbLb0EES1D_EEDaS18_S19_EUlS18_E_NS1_11comp_targetILNS1_3genE10ELNS1_11target_archE1200ELNS1_3gpuE4ELNS1_3repE0EEENS1_30default_config_static_selectorELNS0_4arch9wavefront6targetE1EEEvT1_.numbered_sgpr, 0
	.set _ZN7rocprim17ROCPRIM_400000_NS6detail17trampoline_kernelINS0_14default_configENS1_25partition_config_selectorILNS1_17partition_subalgoE8EsNS0_10empty_typeEbEEZZNS1_14partition_implILS5_8ELb0ES3_jN6thrust23THRUST_200600_302600_NS6detail15normal_iteratorINSA_10device_ptrIsEEEEPS6_PKS6_NS0_5tupleIJNSA_16discard_iteratorINSA_11use_defaultEEES6_EEENSJ_IJSG_SG_EEENS0_18inequality_wrapperINSA_8equal_toIsEEEEPmJS6_EEE10hipError_tPvRmT3_T4_T5_T6_T7_T9_mT8_P12ihipStream_tbDpT10_ENKUlT_T0_E_clISt17integral_constantIbLb0EES1D_EEDaS18_S19_EUlS18_E_NS1_11comp_targetILNS1_3genE10ELNS1_11target_archE1200ELNS1_3gpuE4ELNS1_3repE0EEENS1_30default_config_static_selectorELNS0_4arch9wavefront6targetE1EEEvT1_.num_named_barrier, 0
	.set _ZN7rocprim17ROCPRIM_400000_NS6detail17trampoline_kernelINS0_14default_configENS1_25partition_config_selectorILNS1_17partition_subalgoE8EsNS0_10empty_typeEbEEZZNS1_14partition_implILS5_8ELb0ES3_jN6thrust23THRUST_200600_302600_NS6detail15normal_iteratorINSA_10device_ptrIsEEEEPS6_PKS6_NS0_5tupleIJNSA_16discard_iteratorINSA_11use_defaultEEES6_EEENSJ_IJSG_SG_EEENS0_18inequality_wrapperINSA_8equal_toIsEEEEPmJS6_EEE10hipError_tPvRmT3_T4_T5_T6_T7_T9_mT8_P12ihipStream_tbDpT10_ENKUlT_T0_E_clISt17integral_constantIbLb0EES1D_EEDaS18_S19_EUlS18_E_NS1_11comp_targetILNS1_3genE10ELNS1_11target_archE1200ELNS1_3gpuE4ELNS1_3repE0EEENS1_30default_config_static_selectorELNS0_4arch9wavefront6targetE1EEEvT1_.private_seg_size, 0
	.set _ZN7rocprim17ROCPRIM_400000_NS6detail17trampoline_kernelINS0_14default_configENS1_25partition_config_selectorILNS1_17partition_subalgoE8EsNS0_10empty_typeEbEEZZNS1_14partition_implILS5_8ELb0ES3_jN6thrust23THRUST_200600_302600_NS6detail15normal_iteratorINSA_10device_ptrIsEEEEPS6_PKS6_NS0_5tupleIJNSA_16discard_iteratorINSA_11use_defaultEEES6_EEENSJ_IJSG_SG_EEENS0_18inequality_wrapperINSA_8equal_toIsEEEEPmJS6_EEE10hipError_tPvRmT3_T4_T5_T6_T7_T9_mT8_P12ihipStream_tbDpT10_ENKUlT_T0_E_clISt17integral_constantIbLb0EES1D_EEDaS18_S19_EUlS18_E_NS1_11comp_targetILNS1_3genE10ELNS1_11target_archE1200ELNS1_3gpuE4ELNS1_3repE0EEENS1_30default_config_static_selectorELNS0_4arch9wavefront6targetE1EEEvT1_.uses_vcc, 0
	.set _ZN7rocprim17ROCPRIM_400000_NS6detail17trampoline_kernelINS0_14default_configENS1_25partition_config_selectorILNS1_17partition_subalgoE8EsNS0_10empty_typeEbEEZZNS1_14partition_implILS5_8ELb0ES3_jN6thrust23THRUST_200600_302600_NS6detail15normal_iteratorINSA_10device_ptrIsEEEEPS6_PKS6_NS0_5tupleIJNSA_16discard_iteratorINSA_11use_defaultEEES6_EEENSJ_IJSG_SG_EEENS0_18inequality_wrapperINSA_8equal_toIsEEEEPmJS6_EEE10hipError_tPvRmT3_T4_T5_T6_T7_T9_mT8_P12ihipStream_tbDpT10_ENKUlT_T0_E_clISt17integral_constantIbLb0EES1D_EEDaS18_S19_EUlS18_E_NS1_11comp_targetILNS1_3genE10ELNS1_11target_archE1200ELNS1_3gpuE4ELNS1_3repE0EEENS1_30default_config_static_selectorELNS0_4arch9wavefront6targetE1EEEvT1_.uses_flat_scratch, 0
	.set _ZN7rocprim17ROCPRIM_400000_NS6detail17trampoline_kernelINS0_14default_configENS1_25partition_config_selectorILNS1_17partition_subalgoE8EsNS0_10empty_typeEbEEZZNS1_14partition_implILS5_8ELb0ES3_jN6thrust23THRUST_200600_302600_NS6detail15normal_iteratorINSA_10device_ptrIsEEEEPS6_PKS6_NS0_5tupleIJNSA_16discard_iteratorINSA_11use_defaultEEES6_EEENSJ_IJSG_SG_EEENS0_18inequality_wrapperINSA_8equal_toIsEEEEPmJS6_EEE10hipError_tPvRmT3_T4_T5_T6_T7_T9_mT8_P12ihipStream_tbDpT10_ENKUlT_T0_E_clISt17integral_constantIbLb0EES1D_EEDaS18_S19_EUlS18_E_NS1_11comp_targetILNS1_3genE10ELNS1_11target_archE1200ELNS1_3gpuE4ELNS1_3repE0EEENS1_30default_config_static_selectorELNS0_4arch9wavefront6targetE1EEEvT1_.has_dyn_sized_stack, 0
	.set _ZN7rocprim17ROCPRIM_400000_NS6detail17trampoline_kernelINS0_14default_configENS1_25partition_config_selectorILNS1_17partition_subalgoE8EsNS0_10empty_typeEbEEZZNS1_14partition_implILS5_8ELb0ES3_jN6thrust23THRUST_200600_302600_NS6detail15normal_iteratorINSA_10device_ptrIsEEEEPS6_PKS6_NS0_5tupleIJNSA_16discard_iteratorINSA_11use_defaultEEES6_EEENSJ_IJSG_SG_EEENS0_18inequality_wrapperINSA_8equal_toIsEEEEPmJS6_EEE10hipError_tPvRmT3_T4_T5_T6_T7_T9_mT8_P12ihipStream_tbDpT10_ENKUlT_T0_E_clISt17integral_constantIbLb0EES1D_EEDaS18_S19_EUlS18_E_NS1_11comp_targetILNS1_3genE10ELNS1_11target_archE1200ELNS1_3gpuE4ELNS1_3repE0EEENS1_30default_config_static_selectorELNS0_4arch9wavefront6targetE1EEEvT1_.has_recursion, 0
	.set _ZN7rocprim17ROCPRIM_400000_NS6detail17trampoline_kernelINS0_14default_configENS1_25partition_config_selectorILNS1_17partition_subalgoE8EsNS0_10empty_typeEbEEZZNS1_14partition_implILS5_8ELb0ES3_jN6thrust23THRUST_200600_302600_NS6detail15normal_iteratorINSA_10device_ptrIsEEEEPS6_PKS6_NS0_5tupleIJNSA_16discard_iteratorINSA_11use_defaultEEES6_EEENSJ_IJSG_SG_EEENS0_18inequality_wrapperINSA_8equal_toIsEEEEPmJS6_EEE10hipError_tPvRmT3_T4_T5_T6_T7_T9_mT8_P12ihipStream_tbDpT10_ENKUlT_T0_E_clISt17integral_constantIbLb0EES1D_EEDaS18_S19_EUlS18_E_NS1_11comp_targetILNS1_3genE10ELNS1_11target_archE1200ELNS1_3gpuE4ELNS1_3repE0EEENS1_30default_config_static_selectorELNS0_4arch9wavefront6targetE1EEEvT1_.has_indirect_call, 0
	.section	.AMDGPU.csdata,"",@progbits
; Kernel info:
; codeLenInByte = 0
; TotalNumSgprs: 4
; NumVgprs: 0
; ScratchSize: 0
; MemoryBound: 0
; FloatMode: 240
; IeeeMode: 1
; LDSByteSize: 0 bytes/workgroup (compile time only)
; SGPRBlocks: 0
; VGPRBlocks: 0
; NumSGPRsForWavesPerEU: 4
; NumVGPRsForWavesPerEU: 1
; Occupancy: 10
; WaveLimiterHint : 0
; COMPUTE_PGM_RSRC2:SCRATCH_EN: 0
; COMPUTE_PGM_RSRC2:USER_SGPR: 6
; COMPUTE_PGM_RSRC2:TRAP_HANDLER: 0
; COMPUTE_PGM_RSRC2:TGID_X_EN: 1
; COMPUTE_PGM_RSRC2:TGID_Y_EN: 0
; COMPUTE_PGM_RSRC2:TGID_Z_EN: 0
; COMPUTE_PGM_RSRC2:TIDIG_COMP_CNT: 0
	.section	.text._ZN7rocprim17ROCPRIM_400000_NS6detail17trampoline_kernelINS0_14default_configENS1_25partition_config_selectorILNS1_17partition_subalgoE8EsNS0_10empty_typeEbEEZZNS1_14partition_implILS5_8ELb0ES3_jN6thrust23THRUST_200600_302600_NS6detail15normal_iteratorINSA_10device_ptrIsEEEEPS6_PKS6_NS0_5tupleIJNSA_16discard_iteratorINSA_11use_defaultEEES6_EEENSJ_IJSG_SG_EEENS0_18inequality_wrapperINSA_8equal_toIsEEEEPmJS6_EEE10hipError_tPvRmT3_T4_T5_T6_T7_T9_mT8_P12ihipStream_tbDpT10_ENKUlT_T0_E_clISt17integral_constantIbLb0EES1D_EEDaS18_S19_EUlS18_E_NS1_11comp_targetILNS1_3genE9ELNS1_11target_archE1100ELNS1_3gpuE3ELNS1_3repE0EEENS1_30default_config_static_selectorELNS0_4arch9wavefront6targetE1EEEvT1_,"axG",@progbits,_ZN7rocprim17ROCPRIM_400000_NS6detail17trampoline_kernelINS0_14default_configENS1_25partition_config_selectorILNS1_17partition_subalgoE8EsNS0_10empty_typeEbEEZZNS1_14partition_implILS5_8ELb0ES3_jN6thrust23THRUST_200600_302600_NS6detail15normal_iteratorINSA_10device_ptrIsEEEEPS6_PKS6_NS0_5tupleIJNSA_16discard_iteratorINSA_11use_defaultEEES6_EEENSJ_IJSG_SG_EEENS0_18inequality_wrapperINSA_8equal_toIsEEEEPmJS6_EEE10hipError_tPvRmT3_T4_T5_T6_T7_T9_mT8_P12ihipStream_tbDpT10_ENKUlT_T0_E_clISt17integral_constantIbLb0EES1D_EEDaS18_S19_EUlS18_E_NS1_11comp_targetILNS1_3genE9ELNS1_11target_archE1100ELNS1_3gpuE3ELNS1_3repE0EEENS1_30default_config_static_selectorELNS0_4arch9wavefront6targetE1EEEvT1_,comdat
	.protected	_ZN7rocprim17ROCPRIM_400000_NS6detail17trampoline_kernelINS0_14default_configENS1_25partition_config_selectorILNS1_17partition_subalgoE8EsNS0_10empty_typeEbEEZZNS1_14partition_implILS5_8ELb0ES3_jN6thrust23THRUST_200600_302600_NS6detail15normal_iteratorINSA_10device_ptrIsEEEEPS6_PKS6_NS0_5tupleIJNSA_16discard_iteratorINSA_11use_defaultEEES6_EEENSJ_IJSG_SG_EEENS0_18inequality_wrapperINSA_8equal_toIsEEEEPmJS6_EEE10hipError_tPvRmT3_T4_T5_T6_T7_T9_mT8_P12ihipStream_tbDpT10_ENKUlT_T0_E_clISt17integral_constantIbLb0EES1D_EEDaS18_S19_EUlS18_E_NS1_11comp_targetILNS1_3genE9ELNS1_11target_archE1100ELNS1_3gpuE3ELNS1_3repE0EEENS1_30default_config_static_selectorELNS0_4arch9wavefront6targetE1EEEvT1_ ; -- Begin function _ZN7rocprim17ROCPRIM_400000_NS6detail17trampoline_kernelINS0_14default_configENS1_25partition_config_selectorILNS1_17partition_subalgoE8EsNS0_10empty_typeEbEEZZNS1_14partition_implILS5_8ELb0ES3_jN6thrust23THRUST_200600_302600_NS6detail15normal_iteratorINSA_10device_ptrIsEEEEPS6_PKS6_NS0_5tupleIJNSA_16discard_iteratorINSA_11use_defaultEEES6_EEENSJ_IJSG_SG_EEENS0_18inequality_wrapperINSA_8equal_toIsEEEEPmJS6_EEE10hipError_tPvRmT3_T4_T5_T6_T7_T9_mT8_P12ihipStream_tbDpT10_ENKUlT_T0_E_clISt17integral_constantIbLb0EES1D_EEDaS18_S19_EUlS18_E_NS1_11comp_targetILNS1_3genE9ELNS1_11target_archE1100ELNS1_3gpuE3ELNS1_3repE0EEENS1_30default_config_static_selectorELNS0_4arch9wavefront6targetE1EEEvT1_
	.globl	_ZN7rocprim17ROCPRIM_400000_NS6detail17trampoline_kernelINS0_14default_configENS1_25partition_config_selectorILNS1_17partition_subalgoE8EsNS0_10empty_typeEbEEZZNS1_14partition_implILS5_8ELb0ES3_jN6thrust23THRUST_200600_302600_NS6detail15normal_iteratorINSA_10device_ptrIsEEEEPS6_PKS6_NS0_5tupleIJNSA_16discard_iteratorINSA_11use_defaultEEES6_EEENSJ_IJSG_SG_EEENS0_18inequality_wrapperINSA_8equal_toIsEEEEPmJS6_EEE10hipError_tPvRmT3_T4_T5_T6_T7_T9_mT8_P12ihipStream_tbDpT10_ENKUlT_T0_E_clISt17integral_constantIbLb0EES1D_EEDaS18_S19_EUlS18_E_NS1_11comp_targetILNS1_3genE9ELNS1_11target_archE1100ELNS1_3gpuE3ELNS1_3repE0EEENS1_30default_config_static_selectorELNS0_4arch9wavefront6targetE1EEEvT1_
	.p2align	8
	.type	_ZN7rocprim17ROCPRIM_400000_NS6detail17trampoline_kernelINS0_14default_configENS1_25partition_config_selectorILNS1_17partition_subalgoE8EsNS0_10empty_typeEbEEZZNS1_14partition_implILS5_8ELb0ES3_jN6thrust23THRUST_200600_302600_NS6detail15normal_iteratorINSA_10device_ptrIsEEEEPS6_PKS6_NS0_5tupleIJNSA_16discard_iteratorINSA_11use_defaultEEES6_EEENSJ_IJSG_SG_EEENS0_18inequality_wrapperINSA_8equal_toIsEEEEPmJS6_EEE10hipError_tPvRmT3_T4_T5_T6_T7_T9_mT8_P12ihipStream_tbDpT10_ENKUlT_T0_E_clISt17integral_constantIbLb0EES1D_EEDaS18_S19_EUlS18_E_NS1_11comp_targetILNS1_3genE9ELNS1_11target_archE1100ELNS1_3gpuE3ELNS1_3repE0EEENS1_30default_config_static_selectorELNS0_4arch9wavefront6targetE1EEEvT1_,@function
_ZN7rocprim17ROCPRIM_400000_NS6detail17trampoline_kernelINS0_14default_configENS1_25partition_config_selectorILNS1_17partition_subalgoE8EsNS0_10empty_typeEbEEZZNS1_14partition_implILS5_8ELb0ES3_jN6thrust23THRUST_200600_302600_NS6detail15normal_iteratorINSA_10device_ptrIsEEEEPS6_PKS6_NS0_5tupleIJNSA_16discard_iteratorINSA_11use_defaultEEES6_EEENSJ_IJSG_SG_EEENS0_18inequality_wrapperINSA_8equal_toIsEEEEPmJS6_EEE10hipError_tPvRmT3_T4_T5_T6_T7_T9_mT8_P12ihipStream_tbDpT10_ENKUlT_T0_E_clISt17integral_constantIbLb0EES1D_EEDaS18_S19_EUlS18_E_NS1_11comp_targetILNS1_3genE9ELNS1_11target_archE1100ELNS1_3gpuE3ELNS1_3repE0EEENS1_30default_config_static_selectorELNS0_4arch9wavefront6targetE1EEEvT1_: ; @_ZN7rocprim17ROCPRIM_400000_NS6detail17trampoline_kernelINS0_14default_configENS1_25partition_config_selectorILNS1_17partition_subalgoE8EsNS0_10empty_typeEbEEZZNS1_14partition_implILS5_8ELb0ES3_jN6thrust23THRUST_200600_302600_NS6detail15normal_iteratorINSA_10device_ptrIsEEEEPS6_PKS6_NS0_5tupleIJNSA_16discard_iteratorINSA_11use_defaultEEES6_EEENSJ_IJSG_SG_EEENS0_18inequality_wrapperINSA_8equal_toIsEEEEPmJS6_EEE10hipError_tPvRmT3_T4_T5_T6_T7_T9_mT8_P12ihipStream_tbDpT10_ENKUlT_T0_E_clISt17integral_constantIbLb0EES1D_EEDaS18_S19_EUlS18_E_NS1_11comp_targetILNS1_3genE9ELNS1_11target_archE1100ELNS1_3gpuE3ELNS1_3repE0EEENS1_30default_config_static_selectorELNS0_4arch9wavefront6targetE1EEEvT1_
; %bb.0:
	.section	.rodata,"a",@progbits
	.p2align	6, 0x0
	.amdhsa_kernel _ZN7rocprim17ROCPRIM_400000_NS6detail17trampoline_kernelINS0_14default_configENS1_25partition_config_selectorILNS1_17partition_subalgoE8EsNS0_10empty_typeEbEEZZNS1_14partition_implILS5_8ELb0ES3_jN6thrust23THRUST_200600_302600_NS6detail15normal_iteratorINSA_10device_ptrIsEEEEPS6_PKS6_NS0_5tupleIJNSA_16discard_iteratorINSA_11use_defaultEEES6_EEENSJ_IJSG_SG_EEENS0_18inequality_wrapperINSA_8equal_toIsEEEEPmJS6_EEE10hipError_tPvRmT3_T4_T5_T6_T7_T9_mT8_P12ihipStream_tbDpT10_ENKUlT_T0_E_clISt17integral_constantIbLb0EES1D_EEDaS18_S19_EUlS18_E_NS1_11comp_targetILNS1_3genE9ELNS1_11target_archE1100ELNS1_3gpuE3ELNS1_3repE0EEENS1_30default_config_static_selectorELNS0_4arch9wavefront6targetE1EEEvT1_
		.amdhsa_group_segment_fixed_size 0
		.amdhsa_private_segment_fixed_size 0
		.amdhsa_kernarg_size 120
		.amdhsa_user_sgpr_count 6
		.amdhsa_user_sgpr_private_segment_buffer 1
		.amdhsa_user_sgpr_dispatch_ptr 0
		.amdhsa_user_sgpr_queue_ptr 0
		.amdhsa_user_sgpr_kernarg_segment_ptr 1
		.amdhsa_user_sgpr_dispatch_id 0
		.amdhsa_user_sgpr_flat_scratch_init 0
		.amdhsa_user_sgpr_private_segment_size 0
		.amdhsa_uses_dynamic_stack 0
		.amdhsa_system_sgpr_private_segment_wavefront_offset 0
		.amdhsa_system_sgpr_workgroup_id_x 1
		.amdhsa_system_sgpr_workgroup_id_y 0
		.amdhsa_system_sgpr_workgroup_id_z 0
		.amdhsa_system_sgpr_workgroup_info 0
		.amdhsa_system_vgpr_workitem_id 0
		.amdhsa_next_free_vgpr 1
		.amdhsa_next_free_sgpr 0
		.amdhsa_reserve_vcc 0
		.amdhsa_reserve_flat_scratch 0
		.amdhsa_float_round_mode_32 0
		.amdhsa_float_round_mode_16_64 0
		.amdhsa_float_denorm_mode_32 3
		.amdhsa_float_denorm_mode_16_64 3
		.amdhsa_dx10_clamp 1
		.amdhsa_ieee_mode 1
		.amdhsa_fp16_overflow 0
		.amdhsa_exception_fp_ieee_invalid_op 0
		.amdhsa_exception_fp_denorm_src 0
		.amdhsa_exception_fp_ieee_div_zero 0
		.amdhsa_exception_fp_ieee_overflow 0
		.amdhsa_exception_fp_ieee_underflow 0
		.amdhsa_exception_fp_ieee_inexact 0
		.amdhsa_exception_int_div_zero 0
	.end_amdhsa_kernel
	.section	.text._ZN7rocprim17ROCPRIM_400000_NS6detail17trampoline_kernelINS0_14default_configENS1_25partition_config_selectorILNS1_17partition_subalgoE8EsNS0_10empty_typeEbEEZZNS1_14partition_implILS5_8ELb0ES3_jN6thrust23THRUST_200600_302600_NS6detail15normal_iteratorINSA_10device_ptrIsEEEEPS6_PKS6_NS0_5tupleIJNSA_16discard_iteratorINSA_11use_defaultEEES6_EEENSJ_IJSG_SG_EEENS0_18inequality_wrapperINSA_8equal_toIsEEEEPmJS6_EEE10hipError_tPvRmT3_T4_T5_T6_T7_T9_mT8_P12ihipStream_tbDpT10_ENKUlT_T0_E_clISt17integral_constantIbLb0EES1D_EEDaS18_S19_EUlS18_E_NS1_11comp_targetILNS1_3genE9ELNS1_11target_archE1100ELNS1_3gpuE3ELNS1_3repE0EEENS1_30default_config_static_selectorELNS0_4arch9wavefront6targetE1EEEvT1_,"axG",@progbits,_ZN7rocprim17ROCPRIM_400000_NS6detail17trampoline_kernelINS0_14default_configENS1_25partition_config_selectorILNS1_17partition_subalgoE8EsNS0_10empty_typeEbEEZZNS1_14partition_implILS5_8ELb0ES3_jN6thrust23THRUST_200600_302600_NS6detail15normal_iteratorINSA_10device_ptrIsEEEEPS6_PKS6_NS0_5tupleIJNSA_16discard_iteratorINSA_11use_defaultEEES6_EEENSJ_IJSG_SG_EEENS0_18inequality_wrapperINSA_8equal_toIsEEEEPmJS6_EEE10hipError_tPvRmT3_T4_T5_T6_T7_T9_mT8_P12ihipStream_tbDpT10_ENKUlT_T0_E_clISt17integral_constantIbLb0EES1D_EEDaS18_S19_EUlS18_E_NS1_11comp_targetILNS1_3genE9ELNS1_11target_archE1100ELNS1_3gpuE3ELNS1_3repE0EEENS1_30default_config_static_selectorELNS0_4arch9wavefront6targetE1EEEvT1_,comdat
.Lfunc_end699:
	.size	_ZN7rocprim17ROCPRIM_400000_NS6detail17trampoline_kernelINS0_14default_configENS1_25partition_config_selectorILNS1_17partition_subalgoE8EsNS0_10empty_typeEbEEZZNS1_14partition_implILS5_8ELb0ES3_jN6thrust23THRUST_200600_302600_NS6detail15normal_iteratorINSA_10device_ptrIsEEEEPS6_PKS6_NS0_5tupleIJNSA_16discard_iteratorINSA_11use_defaultEEES6_EEENSJ_IJSG_SG_EEENS0_18inequality_wrapperINSA_8equal_toIsEEEEPmJS6_EEE10hipError_tPvRmT3_T4_T5_T6_T7_T9_mT8_P12ihipStream_tbDpT10_ENKUlT_T0_E_clISt17integral_constantIbLb0EES1D_EEDaS18_S19_EUlS18_E_NS1_11comp_targetILNS1_3genE9ELNS1_11target_archE1100ELNS1_3gpuE3ELNS1_3repE0EEENS1_30default_config_static_selectorELNS0_4arch9wavefront6targetE1EEEvT1_, .Lfunc_end699-_ZN7rocprim17ROCPRIM_400000_NS6detail17trampoline_kernelINS0_14default_configENS1_25partition_config_selectorILNS1_17partition_subalgoE8EsNS0_10empty_typeEbEEZZNS1_14partition_implILS5_8ELb0ES3_jN6thrust23THRUST_200600_302600_NS6detail15normal_iteratorINSA_10device_ptrIsEEEEPS6_PKS6_NS0_5tupleIJNSA_16discard_iteratorINSA_11use_defaultEEES6_EEENSJ_IJSG_SG_EEENS0_18inequality_wrapperINSA_8equal_toIsEEEEPmJS6_EEE10hipError_tPvRmT3_T4_T5_T6_T7_T9_mT8_P12ihipStream_tbDpT10_ENKUlT_T0_E_clISt17integral_constantIbLb0EES1D_EEDaS18_S19_EUlS18_E_NS1_11comp_targetILNS1_3genE9ELNS1_11target_archE1100ELNS1_3gpuE3ELNS1_3repE0EEENS1_30default_config_static_selectorELNS0_4arch9wavefront6targetE1EEEvT1_
                                        ; -- End function
	.set _ZN7rocprim17ROCPRIM_400000_NS6detail17trampoline_kernelINS0_14default_configENS1_25partition_config_selectorILNS1_17partition_subalgoE8EsNS0_10empty_typeEbEEZZNS1_14partition_implILS5_8ELb0ES3_jN6thrust23THRUST_200600_302600_NS6detail15normal_iteratorINSA_10device_ptrIsEEEEPS6_PKS6_NS0_5tupleIJNSA_16discard_iteratorINSA_11use_defaultEEES6_EEENSJ_IJSG_SG_EEENS0_18inequality_wrapperINSA_8equal_toIsEEEEPmJS6_EEE10hipError_tPvRmT3_T4_T5_T6_T7_T9_mT8_P12ihipStream_tbDpT10_ENKUlT_T0_E_clISt17integral_constantIbLb0EES1D_EEDaS18_S19_EUlS18_E_NS1_11comp_targetILNS1_3genE9ELNS1_11target_archE1100ELNS1_3gpuE3ELNS1_3repE0EEENS1_30default_config_static_selectorELNS0_4arch9wavefront6targetE1EEEvT1_.num_vgpr, 0
	.set _ZN7rocprim17ROCPRIM_400000_NS6detail17trampoline_kernelINS0_14default_configENS1_25partition_config_selectorILNS1_17partition_subalgoE8EsNS0_10empty_typeEbEEZZNS1_14partition_implILS5_8ELb0ES3_jN6thrust23THRUST_200600_302600_NS6detail15normal_iteratorINSA_10device_ptrIsEEEEPS6_PKS6_NS0_5tupleIJNSA_16discard_iteratorINSA_11use_defaultEEES6_EEENSJ_IJSG_SG_EEENS0_18inequality_wrapperINSA_8equal_toIsEEEEPmJS6_EEE10hipError_tPvRmT3_T4_T5_T6_T7_T9_mT8_P12ihipStream_tbDpT10_ENKUlT_T0_E_clISt17integral_constantIbLb0EES1D_EEDaS18_S19_EUlS18_E_NS1_11comp_targetILNS1_3genE9ELNS1_11target_archE1100ELNS1_3gpuE3ELNS1_3repE0EEENS1_30default_config_static_selectorELNS0_4arch9wavefront6targetE1EEEvT1_.num_agpr, 0
	.set _ZN7rocprim17ROCPRIM_400000_NS6detail17trampoline_kernelINS0_14default_configENS1_25partition_config_selectorILNS1_17partition_subalgoE8EsNS0_10empty_typeEbEEZZNS1_14partition_implILS5_8ELb0ES3_jN6thrust23THRUST_200600_302600_NS6detail15normal_iteratorINSA_10device_ptrIsEEEEPS6_PKS6_NS0_5tupleIJNSA_16discard_iteratorINSA_11use_defaultEEES6_EEENSJ_IJSG_SG_EEENS0_18inequality_wrapperINSA_8equal_toIsEEEEPmJS6_EEE10hipError_tPvRmT3_T4_T5_T6_T7_T9_mT8_P12ihipStream_tbDpT10_ENKUlT_T0_E_clISt17integral_constantIbLb0EES1D_EEDaS18_S19_EUlS18_E_NS1_11comp_targetILNS1_3genE9ELNS1_11target_archE1100ELNS1_3gpuE3ELNS1_3repE0EEENS1_30default_config_static_selectorELNS0_4arch9wavefront6targetE1EEEvT1_.numbered_sgpr, 0
	.set _ZN7rocprim17ROCPRIM_400000_NS6detail17trampoline_kernelINS0_14default_configENS1_25partition_config_selectorILNS1_17partition_subalgoE8EsNS0_10empty_typeEbEEZZNS1_14partition_implILS5_8ELb0ES3_jN6thrust23THRUST_200600_302600_NS6detail15normal_iteratorINSA_10device_ptrIsEEEEPS6_PKS6_NS0_5tupleIJNSA_16discard_iteratorINSA_11use_defaultEEES6_EEENSJ_IJSG_SG_EEENS0_18inequality_wrapperINSA_8equal_toIsEEEEPmJS6_EEE10hipError_tPvRmT3_T4_T5_T6_T7_T9_mT8_P12ihipStream_tbDpT10_ENKUlT_T0_E_clISt17integral_constantIbLb0EES1D_EEDaS18_S19_EUlS18_E_NS1_11comp_targetILNS1_3genE9ELNS1_11target_archE1100ELNS1_3gpuE3ELNS1_3repE0EEENS1_30default_config_static_selectorELNS0_4arch9wavefront6targetE1EEEvT1_.num_named_barrier, 0
	.set _ZN7rocprim17ROCPRIM_400000_NS6detail17trampoline_kernelINS0_14default_configENS1_25partition_config_selectorILNS1_17partition_subalgoE8EsNS0_10empty_typeEbEEZZNS1_14partition_implILS5_8ELb0ES3_jN6thrust23THRUST_200600_302600_NS6detail15normal_iteratorINSA_10device_ptrIsEEEEPS6_PKS6_NS0_5tupleIJNSA_16discard_iteratorINSA_11use_defaultEEES6_EEENSJ_IJSG_SG_EEENS0_18inequality_wrapperINSA_8equal_toIsEEEEPmJS6_EEE10hipError_tPvRmT3_T4_T5_T6_T7_T9_mT8_P12ihipStream_tbDpT10_ENKUlT_T0_E_clISt17integral_constantIbLb0EES1D_EEDaS18_S19_EUlS18_E_NS1_11comp_targetILNS1_3genE9ELNS1_11target_archE1100ELNS1_3gpuE3ELNS1_3repE0EEENS1_30default_config_static_selectorELNS0_4arch9wavefront6targetE1EEEvT1_.private_seg_size, 0
	.set _ZN7rocprim17ROCPRIM_400000_NS6detail17trampoline_kernelINS0_14default_configENS1_25partition_config_selectorILNS1_17partition_subalgoE8EsNS0_10empty_typeEbEEZZNS1_14partition_implILS5_8ELb0ES3_jN6thrust23THRUST_200600_302600_NS6detail15normal_iteratorINSA_10device_ptrIsEEEEPS6_PKS6_NS0_5tupleIJNSA_16discard_iteratorINSA_11use_defaultEEES6_EEENSJ_IJSG_SG_EEENS0_18inequality_wrapperINSA_8equal_toIsEEEEPmJS6_EEE10hipError_tPvRmT3_T4_T5_T6_T7_T9_mT8_P12ihipStream_tbDpT10_ENKUlT_T0_E_clISt17integral_constantIbLb0EES1D_EEDaS18_S19_EUlS18_E_NS1_11comp_targetILNS1_3genE9ELNS1_11target_archE1100ELNS1_3gpuE3ELNS1_3repE0EEENS1_30default_config_static_selectorELNS0_4arch9wavefront6targetE1EEEvT1_.uses_vcc, 0
	.set _ZN7rocprim17ROCPRIM_400000_NS6detail17trampoline_kernelINS0_14default_configENS1_25partition_config_selectorILNS1_17partition_subalgoE8EsNS0_10empty_typeEbEEZZNS1_14partition_implILS5_8ELb0ES3_jN6thrust23THRUST_200600_302600_NS6detail15normal_iteratorINSA_10device_ptrIsEEEEPS6_PKS6_NS0_5tupleIJNSA_16discard_iteratorINSA_11use_defaultEEES6_EEENSJ_IJSG_SG_EEENS0_18inequality_wrapperINSA_8equal_toIsEEEEPmJS6_EEE10hipError_tPvRmT3_T4_T5_T6_T7_T9_mT8_P12ihipStream_tbDpT10_ENKUlT_T0_E_clISt17integral_constantIbLb0EES1D_EEDaS18_S19_EUlS18_E_NS1_11comp_targetILNS1_3genE9ELNS1_11target_archE1100ELNS1_3gpuE3ELNS1_3repE0EEENS1_30default_config_static_selectorELNS0_4arch9wavefront6targetE1EEEvT1_.uses_flat_scratch, 0
	.set _ZN7rocprim17ROCPRIM_400000_NS6detail17trampoline_kernelINS0_14default_configENS1_25partition_config_selectorILNS1_17partition_subalgoE8EsNS0_10empty_typeEbEEZZNS1_14partition_implILS5_8ELb0ES3_jN6thrust23THRUST_200600_302600_NS6detail15normal_iteratorINSA_10device_ptrIsEEEEPS6_PKS6_NS0_5tupleIJNSA_16discard_iteratorINSA_11use_defaultEEES6_EEENSJ_IJSG_SG_EEENS0_18inequality_wrapperINSA_8equal_toIsEEEEPmJS6_EEE10hipError_tPvRmT3_T4_T5_T6_T7_T9_mT8_P12ihipStream_tbDpT10_ENKUlT_T0_E_clISt17integral_constantIbLb0EES1D_EEDaS18_S19_EUlS18_E_NS1_11comp_targetILNS1_3genE9ELNS1_11target_archE1100ELNS1_3gpuE3ELNS1_3repE0EEENS1_30default_config_static_selectorELNS0_4arch9wavefront6targetE1EEEvT1_.has_dyn_sized_stack, 0
	.set _ZN7rocprim17ROCPRIM_400000_NS6detail17trampoline_kernelINS0_14default_configENS1_25partition_config_selectorILNS1_17partition_subalgoE8EsNS0_10empty_typeEbEEZZNS1_14partition_implILS5_8ELb0ES3_jN6thrust23THRUST_200600_302600_NS6detail15normal_iteratorINSA_10device_ptrIsEEEEPS6_PKS6_NS0_5tupleIJNSA_16discard_iteratorINSA_11use_defaultEEES6_EEENSJ_IJSG_SG_EEENS0_18inequality_wrapperINSA_8equal_toIsEEEEPmJS6_EEE10hipError_tPvRmT3_T4_T5_T6_T7_T9_mT8_P12ihipStream_tbDpT10_ENKUlT_T0_E_clISt17integral_constantIbLb0EES1D_EEDaS18_S19_EUlS18_E_NS1_11comp_targetILNS1_3genE9ELNS1_11target_archE1100ELNS1_3gpuE3ELNS1_3repE0EEENS1_30default_config_static_selectorELNS0_4arch9wavefront6targetE1EEEvT1_.has_recursion, 0
	.set _ZN7rocprim17ROCPRIM_400000_NS6detail17trampoline_kernelINS0_14default_configENS1_25partition_config_selectorILNS1_17partition_subalgoE8EsNS0_10empty_typeEbEEZZNS1_14partition_implILS5_8ELb0ES3_jN6thrust23THRUST_200600_302600_NS6detail15normal_iteratorINSA_10device_ptrIsEEEEPS6_PKS6_NS0_5tupleIJNSA_16discard_iteratorINSA_11use_defaultEEES6_EEENSJ_IJSG_SG_EEENS0_18inequality_wrapperINSA_8equal_toIsEEEEPmJS6_EEE10hipError_tPvRmT3_T4_T5_T6_T7_T9_mT8_P12ihipStream_tbDpT10_ENKUlT_T0_E_clISt17integral_constantIbLb0EES1D_EEDaS18_S19_EUlS18_E_NS1_11comp_targetILNS1_3genE9ELNS1_11target_archE1100ELNS1_3gpuE3ELNS1_3repE0EEENS1_30default_config_static_selectorELNS0_4arch9wavefront6targetE1EEEvT1_.has_indirect_call, 0
	.section	.AMDGPU.csdata,"",@progbits
; Kernel info:
; codeLenInByte = 0
; TotalNumSgprs: 4
; NumVgprs: 0
; ScratchSize: 0
; MemoryBound: 0
; FloatMode: 240
; IeeeMode: 1
; LDSByteSize: 0 bytes/workgroup (compile time only)
; SGPRBlocks: 0
; VGPRBlocks: 0
; NumSGPRsForWavesPerEU: 4
; NumVGPRsForWavesPerEU: 1
; Occupancy: 10
; WaveLimiterHint : 0
; COMPUTE_PGM_RSRC2:SCRATCH_EN: 0
; COMPUTE_PGM_RSRC2:USER_SGPR: 6
; COMPUTE_PGM_RSRC2:TRAP_HANDLER: 0
; COMPUTE_PGM_RSRC2:TGID_X_EN: 1
; COMPUTE_PGM_RSRC2:TGID_Y_EN: 0
; COMPUTE_PGM_RSRC2:TGID_Z_EN: 0
; COMPUTE_PGM_RSRC2:TIDIG_COMP_CNT: 0
	.section	.text._ZN7rocprim17ROCPRIM_400000_NS6detail17trampoline_kernelINS0_14default_configENS1_25partition_config_selectorILNS1_17partition_subalgoE8EsNS0_10empty_typeEbEEZZNS1_14partition_implILS5_8ELb0ES3_jN6thrust23THRUST_200600_302600_NS6detail15normal_iteratorINSA_10device_ptrIsEEEEPS6_PKS6_NS0_5tupleIJNSA_16discard_iteratorINSA_11use_defaultEEES6_EEENSJ_IJSG_SG_EEENS0_18inequality_wrapperINSA_8equal_toIsEEEEPmJS6_EEE10hipError_tPvRmT3_T4_T5_T6_T7_T9_mT8_P12ihipStream_tbDpT10_ENKUlT_T0_E_clISt17integral_constantIbLb0EES1D_EEDaS18_S19_EUlS18_E_NS1_11comp_targetILNS1_3genE8ELNS1_11target_archE1030ELNS1_3gpuE2ELNS1_3repE0EEENS1_30default_config_static_selectorELNS0_4arch9wavefront6targetE1EEEvT1_,"axG",@progbits,_ZN7rocprim17ROCPRIM_400000_NS6detail17trampoline_kernelINS0_14default_configENS1_25partition_config_selectorILNS1_17partition_subalgoE8EsNS0_10empty_typeEbEEZZNS1_14partition_implILS5_8ELb0ES3_jN6thrust23THRUST_200600_302600_NS6detail15normal_iteratorINSA_10device_ptrIsEEEEPS6_PKS6_NS0_5tupleIJNSA_16discard_iteratorINSA_11use_defaultEEES6_EEENSJ_IJSG_SG_EEENS0_18inequality_wrapperINSA_8equal_toIsEEEEPmJS6_EEE10hipError_tPvRmT3_T4_T5_T6_T7_T9_mT8_P12ihipStream_tbDpT10_ENKUlT_T0_E_clISt17integral_constantIbLb0EES1D_EEDaS18_S19_EUlS18_E_NS1_11comp_targetILNS1_3genE8ELNS1_11target_archE1030ELNS1_3gpuE2ELNS1_3repE0EEENS1_30default_config_static_selectorELNS0_4arch9wavefront6targetE1EEEvT1_,comdat
	.protected	_ZN7rocprim17ROCPRIM_400000_NS6detail17trampoline_kernelINS0_14default_configENS1_25partition_config_selectorILNS1_17partition_subalgoE8EsNS0_10empty_typeEbEEZZNS1_14partition_implILS5_8ELb0ES3_jN6thrust23THRUST_200600_302600_NS6detail15normal_iteratorINSA_10device_ptrIsEEEEPS6_PKS6_NS0_5tupleIJNSA_16discard_iteratorINSA_11use_defaultEEES6_EEENSJ_IJSG_SG_EEENS0_18inequality_wrapperINSA_8equal_toIsEEEEPmJS6_EEE10hipError_tPvRmT3_T4_T5_T6_T7_T9_mT8_P12ihipStream_tbDpT10_ENKUlT_T0_E_clISt17integral_constantIbLb0EES1D_EEDaS18_S19_EUlS18_E_NS1_11comp_targetILNS1_3genE8ELNS1_11target_archE1030ELNS1_3gpuE2ELNS1_3repE0EEENS1_30default_config_static_selectorELNS0_4arch9wavefront6targetE1EEEvT1_ ; -- Begin function _ZN7rocprim17ROCPRIM_400000_NS6detail17trampoline_kernelINS0_14default_configENS1_25partition_config_selectorILNS1_17partition_subalgoE8EsNS0_10empty_typeEbEEZZNS1_14partition_implILS5_8ELb0ES3_jN6thrust23THRUST_200600_302600_NS6detail15normal_iteratorINSA_10device_ptrIsEEEEPS6_PKS6_NS0_5tupleIJNSA_16discard_iteratorINSA_11use_defaultEEES6_EEENSJ_IJSG_SG_EEENS0_18inequality_wrapperINSA_8equal_toIsEEEEPmJS6_EEE10hipError_tPvRmT3_T4_T5_T6_T7_T9_mT8_P12ihipStream_tbDpT10_ENKUlT_T0_E_clISt17integral_constantIbLb0EES1D_EEDaS18_S19_EUlS18_E_NS1_11comp_targetILNS1_3genE8ELNS1_11target_archE1030ELNS1_3gpuE2ELNS1_3repE0EEENS1_30default_config_static_selectorELNS0_4arch9wavefront6targetE1EEEvT1_
	.globl	_ZN7rocprim17ROCPRIM_400000_NS6detail17trampoline_kernelINS0_14default_configENS1_25partition_config_selectorILNS1_17partition_subalgoE8EsNS0_10empty_typeEbEEZZNS1_14partition_implILS5_8ELb0ES3_jN6thrust23THRUST_200600_302600_NS6detail15normal_iteratorINSA_10device_ptrIsEEEEPS6_PKS6_NS0_5tupleIJNSA_16discard_iteratorINSA_11use_defaultEEES6_EEENSJ_IJSG_SG_EEENS0_18inequality_wrapperINSA_8equal_toIsEEEEPmJS6_EEE10hipError_tPvRmT3_T4_T5_T6_T7_T9_mT8_P12ihipStream_tbDpT10_ENKUlT_T0_E_clISt17integral_constantIbLb0EES1D_EEDaS18_S19_EUlS18_E_NS1_11comp_targetILNS1_3genE8ELNS1_11target_archE1030ELNS1_3gpuE2ELNS1_3repE0EEENS1_30default_config_static_selectorELNS0_4arch9wavefront6targetE1EEEvT1_
	.p2align	8
	.type	_ZN7rocprim17ROCPRIM_400000_NS6detail17trampoline_kernelINS0_14default_configENS1_25partition_config_selectorILNS1_17partition_subalgoE8EsNS0_10empty_typeEbEEZZNS1_14partition_implILS5_8ELb0ES3_jN6thrust23THRUST_200600_302600_NS6detail15normal_iteratorINSA_10device_ptrIsEEEEPS6_PKS6_NS0_5tupleIJNSA_16discard_iteratorINSA_11use_defaultEEES6_EEENSJ_IJSG_SG_EEENS0_18inequality_wrapperINSA_8equal_toIsEEEEPmJS6_EEE10hipError_tPvRmT3_T4_T5_T6_T7_T9_mT8_P12ihipStream_tbDpT10_ENKUlT_T0_E_clISt17integral_constantIbLb0EES1D_EEDaS18_S19_EUlS18_E_NS1_11comp_targetILNS1_3genE8ELNS1_11target_archE1030ELNS1_3gpuE2ELNS1_3repE0EEENS1_30default_config_static_selectorELNS0_4arch9wavefront6targetE1EEEvT1_,@function
_ZN7rocprim17ROCPRIM_400000_NS6detail17trampoline_kernelINS0_14default_configENS1_25partition_config_selectorILNS1_17partition_subalgoE8EsNS0_10empty_typeEbEEZZNS1_14partition_implILS5_8ELb0ES3_jN6thrust23THRUST_200600_302600_NS6detail15normal_iteratorINSA_10device_ptrIsEEEEPS6_PKS6_NS0_5tupleIJNSA_16discard_iteratorINSA_11use_defaultEEES6_EEENSJ_IJSG_SG_EEENS0_18inequality_wrapperINSA_8equal_toIsEEEEPmJS6_EEE10hipError_tPvRmT3_T4_T5_T6_T7_T9_mT8_P12ihipStream_tbDpT10_ENKUlT_T0_E_clISt17integral_constantIbLb0EES1D_EEDaS18_S19_EUlS18_E_NS1_11comp_targetILNS1_3genE8ELNS1_11target_archE1030ELNS1_3gpuE2ELNS1_3repE0EEENS1_30default_config_static_selectorELNS0_4arch9wavefront6targetE1EEEvT1_: ; @_ZN7rocprim17ROCPRIM_400000_NS6detail17trampoline_kernelINS0_14default_configENS1_25partition_config_selectorILNS1_17partition_subalgoE8EsNS0_10empty_typeEbEEZZNS1_14partition_implILS5_8ELb0ES3_jN6thrust23THRUST_200600_302600_NS6detail15normal_iteratorINSA_10device_ptrIsEEEEPS6_PKS6_NS0_5tupleIJNSA_16discard_iteratorINSA_11use_defaultEEES6_EEENSJ_IJSG_SG_EEENS0_18inequality_wrapperINSA_8equal_toIsEEEEPmJS6_EEE10hipError_tPvRmT3_T4_T5_T6_T7_T9_mT8_P12ihipStream_tbDpT10_ENKUlT_T0_E_clISt17integral_constantIbLb0EES1D_EEDaS18_S19_EUlS18_E_NS1_11comp_targetILNS1_3genE8ELNS1_11target_archE1030ELNS1_3gpuE2ELNS1_3repE0EEENS1_30default_config_static_selectorELNS0_4arch9wavefront6targetE1EEEvT1_
; %bb.0:
	.section	.rodata,"a",@progbits
	.p2align	6, 0x0
	.amdhsa_kernel _ZN7rocprim17ROCPRIM_400000_NS6detail17trampoline_kernelINS0_14default_configENS1_25partition_config_selectorILNS1_17partition_subalgoE8EsNS0_10empty_typeEbEEZZNS1_14partition_implILS5_8ELb0ES3_jN6thrust23THRUST_200600_302600_NS6detail15normal_iteratorINSA_10device_ptrIsEEEEPS6_PKS6_NS0_5tupleIJNSA_16discard_iteratorINSA_11use_defaultEEES6_EEENSJ_IJSG_SG_EEENS0_18inequality_wrapperINSA_8equal_toIsEEEEPmJS6_EEE10hipError_tPvRmT3_T4_T5_T6_T7_T9_mT8_P12ihipStream_tbDpT10_ENKUlT_T0_E_clISt17integral_constantIbLb0EES1D_EEDaS18_S19_EUlS18_E_NS1_11comp_targetILNS1_3genE8ELNS1_11target_archE1030ELNS1_3gpuE2ELNS1_3repE0EEENS1_30default_config_static_selectorELNS0_4arch9wavefront6targetE1EEEvT1_
		.amdhsa_group_segment_fixed_size 0
		.amdhsa_private_segment_fixed_size 0
		.amdhsa_kernarg_size 120
		.amdhsa_user_sgpr_count 6
		.amdhsa_user_sgpr_private_segment_buffer 1
		.amdhsa_user_sgpr_dispatch_ptr 0
		.amdhsa_user_sgpr_queue_ptr 0
		.amdhsa_user_sgpr_kernarg_segment_ptr 1
		.amdhsa_user_sgpr_dispatch_id 0
		.amdhsa_user_sgpr_flat_scratch_init 0
		.amdhsa_user_sgpr_private_segment_size 0
		.amdhsa_uses_dynamic_stack 0
		.amdhsa_system_sgpr_private_segment_wavefront_offset 0
		.amdhsa_system_sgpr_workgroup_id_x 1
		.amdhsa_system_sgpr_workgroup_id_y 0
		.amdhsa_system_sgpr_workgroup_id_z 0
		.amdhsa_system_sgpr_workgroup_info 0
		.amdhsa_system_vgpr_workitem_id 0
		.amdhsa_next_free_vgpr 1
		.amdhsa_next_free_sgpr 0
		.amdhsa_reserve_vcc 0
		.amdhsa_reserve_flat_scratch 0
		.amdhsa_float_round_mode_32 0
		.amdhsa_float_round_mode_16_64 0
		.amdhsa_float_denorm_mode_32 3
		.amdhsa_float_denorm_mode_16_64 3
		.amdhsa_dx10_clamp 1
		.amdhsa_ieee_mode 1
		.amdhsa_fp16_overflow 0
		.amdhsa_exception_fp_ieee_invalid_op 0
		.amdhsa_exception_fp_denorm_src 0
		.amdhsa_exception_fp_ieee_div_zero 0
		.amdhsa_exception_fp_ieee_overflow 0
		.amdhsa_exception_fp_ieee_underflow 0
		.amdhsa_exception_fp_ieee_inexact 0
		.amdhsa_exception_int_div_zero 0
	.end_amdhsa_kernel
	.section	.text._ZN7rocprim17ROCPRIM_400000_NS6detail17trampoline_kernelINS0_14default_configENS1_25partition_config_selectorILNS1_17partition_subalgoE8EsNS0_10empty_typeEbEEZZNS1_14partition_implILS5_8ELb0ES3_jN6thrust23THRUST_200600_302600_NS6detail15normal_iteratorINSA_10device_ptrIsEEEEPS6_PKS6_NS0_5tupleIJNSA_16discard_iteratorINSA_11use_defaultEEES6_EEENSJ_IJSG_SG_EEENS0_18inequality_wrapperINSA_8equal_toIsEEEEPmJS6_EEE10hipError_tPvRmT3_T4_T5_T6_T7_T9_mT8_P12ihipStream_tbDpT10_ENKUlT_T0_E_clISt17integral_constantIbLb0EES1D_EEDaS18_S19_EUlS18_E_NS1_11comp_targetILNS1_3genE8ELNS1_11target_archE1030ELNS1_3gpuE2ELNS1_3repE0EEENS1_30default_config_static_selectorELNS0_4arch9wavefront6targetE1EEEvT1_,"axG",@progbits,_ZN7rocprim17ROCPRIM_400000_NS6detail17trampoline_kernelINS0_14default_configENS1_25partition_config_selectorILNS1_17partition_subalgoE8EsNS0_10empty_typeEbEEZZNS1_14partition_implILS5_8ELb0ES3_jN6thrust23THRUST_200600_302600_NS6detail15normal_iteratorINSA_10device_ptrIsEEEEPS6_PKS6_NS0_5tupleIJNSA_16discard_iteratorINSA_11use_defaultEEES6_EEENSJ_IJSG_SG_EEENS0_18inequality_wrapperINSA_8equal_toIsEEEEPmJS6_EEE10hipError_tPvRmT3_T4_T5_T6_T7_T9_mT8_P12ihipStream_tbDpT10_ENKUlT_T0_E_clISt17integral_constantIbLb0EES1D_EEDaS18_S19_EUlS18_E_NS1_11comp_targetILNS1_3genE8ELNS1_11target_archE1030ELNS1_3gpuE2ELNS1_3repE0EEENS1_30default_config_static_selectorELNS0_4arch9wavefront6targetE1EEEvT1_,comdat
.Lfunc_end700:
	.size	_ZN7rocprim17ROCPRIM_400000_NS6detail17trampoline_kernelINS0_14default_configENS1_25partition_config_selectorILNS1_17partition_subalgoE8EsNS0_10empty_typeEbEEZZNS1_14partition_implILS5_8ELb0ES3_jN6thrust23THRUST_200600_302600_NS6detail15normal_iteratorINSA_10device_ptrIsEEEEPS6_PKS6_NS0_5tupleIJNSA_16discard_iteratorINSA_11use_defaultEEES6_EEENSJ_IJSG_SG_EEENS0_18inequality_wrapperINSA_8equal_toIsEEEEPmJS6_EEE10hipError_tPvRmT3_T4_T5_T6_T7_T9_mT8_P12ihipStream_tbDpT10_ENKUlT_T0_E_clISt17integral_constantIbLb0EES1D_EEDaS18_S19_EUlS18_E_NS1_11comp_targetILNS1_3genE8ELNS1_11target_archE1030ELNS1_3gpuE2ELNS1_3repE0EEENS1_30default_config_static_selectorELNS0_4arch9wavefront6targetE1EEEvT1_, .Lfunc_end700-_ZN7rocprim17ROCPRIM_400000_NS6detail17trampoline_kernelINS0_14default_configENS1_25partition_config_selectorILNS1_17partition_subalgoE8EsNS0_10empty_typeEbEEZZNS1_14partition_implILS5_8ELb0ES3_jN6thrust23THRUST_200600_302600_NS6detail15normal_iteratorINSA_10device_ptrIsEEEEPS6_PKS6_NS0_5tupleIJNSA_16discard_iteratorINSA_11use_defaultEEES6_EEENSJ_IJSG_SG_EEENS0_18inequality_wrapperINSA_8equal_toIsEEEEPmJS6_EEE10hipError_tPvRmT3_T4_T5_T6_T7_T9_mT8_P12ihipStream_tbDpT10_ENKUlT_T0_E_clISt17integral_constantIbLb0EES1D_EEDaS18_S19_EUlS18_E_NS1_11comp_targetILNS1_3genE8ELNS1_11target_archE1030ELNS1_3gpuE2ELNS1_3repE0EEENS1_30default_config_static_selectorELNS0_4arch9wavefront6targetE1EEEvT1_
                                        ; -- End function
	.set _ZN7rocprim17ROCPRIM_400000_NS6detail17trampoline_kernelINS0_14default_configENS1_25partition_config_selectorILNS1_17partition_subalgoE8EsNS0_10empty_typeEbEEZZNS1_14partition_implILS5_8ELb0ES3_jN6thrust23THRUST_200600_302600_NS6detail15normal_iteratorINSA_10device_ptrIsEEEEPS6_PKS6_NS0_5tupleIJNSA_16discard_iteratorINSA_11use_defaultEEES6_EEENSJ_IJSG_SG_EEENS0_18inequality_wrapperINSA_8equal_toIsEEEEPmJS6_EEE10hipError_tPvRmT3_T4_T5_T6_T7_T9_mT8_P12ihipStream_tbDpT10_ENKUlT_T0_E_clISt17integral_constantIbLb0EES1D_EEDaS18_S19_EUlS18_E_NS1_11comp_targetILNS1_3genE8ELNS1_11target_archE1030ELNS1_3gpuE2ELNS1_3repE0EEENS1_30default_config_static_selectorELNS0_4arch9wavefront6targetE1EEEvT1_.num_vgpr, 0
	.set _ZN7rocprim17ROCPRIM_400000_NS6detail17trampoline_kernelINS0_14default_configENS1_25partition_config_selectorILNS1_17partition_subalgoE8EsNS0_10empty_typeEbEEZZNS1_14partition_implILS5_8ELb0ES3_jN6thrust23THRUST_200600_302600_NS6detail15normal_iteratorINSA_10device_ptrIsEEEEPS6_PKS6_NS0_5tupleIJNSA_16discard_iteratorINSA_11use_defaultEEES6_EEENSJ_IJSG_SG_EEENS0_18inequality_wrapperINSA_8equal_toIsEEEEPmJS6_EEE10hipError_tPvRmT3_T4_T5_T6_T7_T9_mT8_P12ihipStream_tbDpT10_ENKUlT_T0_E_clISt17integral_constantIbLb0EES1D_EEDaS18_S19_EUlS18_E_NS1_11comp_targetILNS1_3genE8ELNS1_11target_archE1030ELNS1_3gpuE2ELNS1_3repE0EEENS1_30default_config_static_selectorELNS0_4arch9wavefront6targetE1EEEvT1_.num_agpr, 0
	.set _ZN7rocprim17ROCPRIM_400000_NS6detail17trampoline_kernelINS0_14default_configENS1_25partition_config_selectorILNS1_17partition_subalgoE8EsNS0_10empty_typeEbEEZZNS1_14partition_implILS5_8ELb0ES3_jN6thrust23THRUST_200600_302600_NS6detail15normal_iteratorINSA_10device_ptrIsEEEEPS6_PKS6_NS0_5tupleIJNSA_16discard_iteratorINSA_11use_defaultEEES6_EEENSJ_IJSG_SG_EEENS0_18inequality_wrapperINSA_8equal_toIsEEEEPmJS6_EEE10hipError_tPvRmT3_T4_T5_T6_T7_T9_mT8_P12ihipStream_tbDpT10_ENKUlT_T0_E_clISt17integral_constantIbLb0EES1D_EEDaS18_S19_EUlS18_E_NS1_11comp_targetILNS1_3genE8ELNS1_11target_archE1030ELNS1_3gpuE2ELNS1_3repE0EEENS1_30default_config_static_selectorELNS0_4arch9wavefront6targetE1EEEvT1_.numbered_sgpr, 0
	.set _ZN7rocprim17ROCPRIM_400000_NS6detail17trampoline_kernelINS0_14default_configENS1_25partition_config_selectorILNS1_17partition_subalgoE8EsNS0_10empty_typeEbEEZZNS1_14partition_implILS5_8ELb0ES3_jN6thrust23THRUST_200600_302600_NS6detail15normal_iteratorINSA_10device_ptrIsEEEEPS6_PKS6_NS0_5tupleIJNSA_16discard_iteratorINSA_11use_defaultEEES6_EEENSJ_IJSG_SG_EEENS0_18inequality_wrapperINSA_8equal_toIsEEEEPmJS6_EEE10hipError_tPvRmT3_T4_T5_T6_T7_T9_mT8_P12ihipStream_tbDpT10_ENKUlT_T0_E_clISt17integral_constantIbLb0EES1D_EEDaS18_S19_EUlS18_E_NS1_11comp_targetILNS1_3genE8ELNS1_11target_archE1030ELNS1_3gpuE2ELNS1_3repE0EEENS1_30default_config_static_selectorELNS0_4arch9wavefront6targetE1EEEvT1_.num_named_barrier, 0
	.set _ZN7rocprim17ROCPRIM_400000_NS6detail17trampoline_kernelINS0_14default_configENS1_25partition_config_selectorILNS1_17partition_subalgoE8EsNS0_10empty_typeEbEEZZNS1_14partition_implILS5_8ELb0ES3_jN6thrust23THRUST_200600_302600_NS6detail15normal_iteratorINSA_10device_ptrIsEEEEPS6_PKS6_NS0_5tupleIJNSA_16discard_iteratorINSA_11use_defaultEEES6_EEENSJ_IJSG_SG_EEENS0_18inequality_wrapperINSA_8equal_toIsEEEEPmJS6_EEE10hipError_tPvRmT3_T4_T5_T6_T7_T9_mT8_P12ihipStream_tbDpT10_ENKUlT_T0_E_clISt17integral_constantIbLb0EES1D_EEDaS18_S19_EUlS18_E_NS1_11comp_targetILNS1_3genE8ELNS1_11target_archE1030ELNS1_3gpuE2ELNS1_3repE0EEENS1_30default_config_static_selectorELNS0_4arch9wavefront6targetE1EEEvT1_.private_seg_size, 0
	.set _ZN7rocprim17ROCPRIM_400000_NS6detail17trampoline_kernelINS0_14default_configENS1_25partition_config_selectorILNS1_17partition_subalgoE8EsNS0_10empty_typeEbEEZZNS1_14partition_implILS5_8ELb0ES3_jN6thrust23THRUST_200600_302600_NS6detail15normal_iteratorINSA_10device_ptrIsEEEEPS6_PKS6_NS0_5tupleIJNSA_16discard_iteratorINSA_11use_defaultEEES6_EEENSJ_IJSG_SG_EEENS0_18inequality_wrapperINSA_8equal_toIsEEEEPmJS6_EEE10hipError_tPvRmT3_T4_T5_T6_T7_T9_mT8_P12ihipStream_tbDpT10_ENKUlT_T0_E_clISt17integral_constantIbLb0EES1D_EEDaS18_S19_EUlS18_E_NS1_11comp_targetILNS1_3genE8ELNS1_11target_archE1030ELNS1_3gpuE2ELNS1_3repE0EEENS1_30default_config_static_selectorELNS0_4arch9wavefront6targetE1EEEvT1_.uses_vcc, 0
	.set _ZN7rocprim17ROCPRIM_400000_NS6detail17trampoline_kernelINS0_14default_configENS1_25partition_config_selectorILNS1_17partition_subalgoE8EsNS0_10empty_typeEbEEZZNS1_14partition_implILS5_8ELb0ES3_jN6thrust23THRUST_200600_302600_NS6detail15normal_iteratorINSA_10device_ptrIsEEEEPS6_PKS6_NS0_5tupleIJNSA_16discard_iteratorINSA_11use_defaultEEES6_EEENSJ_IJSG_SG_EEENS0_18inequality_wrapperINSA_8equal_toIsEEEEPmJS6_EEE10hipError_tPvRmT3_T4_T5_T6_T7_T9_mT8_P12ihipStream_tbDpT10_ENKUlT_T0_E_clISt17integral_constantIbLb0EES1D_EEDaS18_S19_EUlS18_E_NS1_11comp_targetILNS1_3genE8ELNS1_11target_archE1030ELNS1_3gpuE2ELNS1_3repE0EEENS1_30default_config_static_selectorELNS0_4arch9wavefront6targetE1EEEvT1_.uses_flat_scratch, 0
	.set _ZN7rocprim17ROCPRIM_400000_NS6detail17trampoline_kernelINS0_14default_configENS1_25partition_config_selectorILNS1_17partition_subalgoE8EsNS0_10empty_typeEbEEZZNS1_14partition_implILS5_8ELb0ES3_jN6thrust23THRUST_200600_302600_NS6detail15normal_iteratorINSA_10device_ptrIsEEEEPS6_PKS6_NS0_5tupleIJNSA_16discard_iteratorINSA_11use_defaultEEES6_EEENSJ_IJSG_SG_EEENS0_18inequality_wrapperINSA_8equal_toIsEEEEPmJS6_EEE10hipError_tPvRmT3_T4_T5_T6_T7_T9_mT8_P12ihipStream_tbDpT10_ENKUlT_T0_E_clISt17integral_constantIbLb0EES1D_EEDaS18_S19_EUlS18_E_NS1_11comp_targetILNS1_3genE8ELNS1_11target_archE1030ELNS1_3gpuE2ELNS1_3repE0EEENS1_30default_config_static_selectorELNS0_4arch9wavefront6targetE1EEEvT1_.has_dyn_sized_stack, 0
	.set _ZN7rocprim17ROCPRIM_400000_NS6detail17trampoline_kernelINS0_14default_configENS1_25partition_config_selectorILNS1_17partition_subalgoE8EsNS0_10empty_typeEbEEZZNS1_14partition_implILS5_8ELb0ES3_jN6thrust23THRUST_200600_302600_NS6detail15normal_iteratorINSA_10device_ptrIsEEEEPS6_PKS6_NS0_5tupleIJNSA_16discard_iteratorINSA_11use_defaultEEES6_EEENSJ_IJSG_SG_EEENS0_18inequality_wrapperINSA_8equal_toIsEEEEPmJS6_EEE10hipError_tPvRmT3_T4_T5_T6_T7_T9_mT8_P12ihipStream_tbDpT10_ENKUlT_T0_E_clISt17integral_constantIbLb0EES1D_EEDaS18_S19_EUlS18_E_NS1_11comp_targetILNS1_3genE8ELNS1_11target_archE1030ELNS1_3gpuE2ELNS1_3repE0EEENS1_30default_config_static_selectorELNS0_4arch9wavefront6targetE1EEEvT1_.has_recursion, 0
	.set _ZN7rocprim17ROCPRIM_400000_NS6detail17trampoline_kernelINS0_14default_configENS1_25partition_config_selectorILNS1_17partition_subalgoE8EsNS0_10empty_typeEbEEZZNS1_14partition_implILS5_8ELb0ES3_jN6thrust23THRUST_200600_302600_NS6detail15normal_iteratorINSA_10device_ptrIsEEEEPS6_PKS6_NS0_5tupleIJNSA_16discard_iteratorINSA_11use_defaultEEES6_EEENSJ_IJSG_SG_EEENS0_18inequality_wrapperINSA_8equal_toIsEEEEPmJS6_EEE10hipError_tPvRmT3_T4_T5_T6_T7_T9_mT8_P12ihipStream_tbDpT10_ENKUlT_T0_E_clISt17integral_constantIbLb0EES1D_EEDaS18_S19_EUlS18_E_NS1_11comp_targetILNS1_3genE8ELNS1_11target_archE1030ELNS1_3gpuE2ELNS1_3repE0EEENS1_30default_config_static_selectorELNS0_4arch9wavefront6targetE1EEEvT1_.has_indirect_call, 0
	.section	.AMDGPU.csdata,"",@progbits
; Kernel info:
; codeLenInByte = 0
; TotalNumSgprs: 4
; NumVgprs: 0
; ScratchSize: 0
; MemoryBound: 0
; FloatMode: 240
; IeeeMode: 1
; LDSByteSize: 0 bytes/workgroup (compile time only)
; SGPRBlocks: 0
; VGPRBlocks: 0
; NumSGPRsForWavesPerEU: 4
; NumVGPRsForWavesPerEU: 1
; Occupancy: 10
; WaveLimiterHint : 0
; COMPUTE_PGM_RSRC2:SCRATCH_EN: 0
; COMPUTE_PGM_RSRC2:USER_SGPR: 6
; COMPUTE_PGM_RSRC2:TRAP_HANDLER: 0
; COMPUTE_PGM_RSRC2:TGID_X_EN: 1
; COMPUTE_PGM_RSRC2:TGID_Y_EN: 0
; COMPUTE_PGM_RSRC2:TGID_Z_EN: 0
; COMPUTE_PGM_RSRC2:TIDIG_COMP_CNT: 0
	.section	.text._ZN7rocprim17ROCPRIM_400000_NS6detail17trampoline_kernelINS0_14default_configENS1_25partition_config_selectorILNS1_17partition_subalgoE8EsNS0_10empty_typeEbEEZZNS1_14partition_implILS5_8ELb0ES3_jN6thrust23THRUST_200600_302600_NS6detail15normal_iteratorINSA_10device_ptrIsEEEEPS6_PKS6_NS0_5tupleIJNSA_16discard_iteratorINSA_11use_defaultEEES6_EEENSJ_IJSG_SG_EEENS0_18inequality_wrapperINSA_8equal_toIsEEEEPmJS6_EEE10hipError_tPvRmT3_T4_T5_T6_T7_T9_mT8_P12ihipStream_tbDpT10_ENKUlT_T0_E_clISt17integral_constantIbLb1EES1D_EEDaS18_S19_EUlS18_E_NS1_11comp_targetILNS1_3genE0ELNS1_11target_archE4294967295ELNS1_3gpuE0ELNS1_3repE0EEENS1_30default_config_static_selectorELNS0_4arch9wavefront6targetE1EEEvT1_,"axG",@progbits,_ZN7rocprim17ROCPRIM_400000_NS6detail17trampoline_kernelINS0_14default_configENS1_25partition_config_selectorILNS1_17partition_subalgoE8EsNS0_10empty_typeEbEEZZNS1_14partition_implILS5_8ELb0ES3_jN6thrust23THRUST_200600_302600_NS6detail15normal_iteratorINSA_10device_ptrIsEEEEPS6_PKS6_NS0_5tupleIJNSA_16discard_iteratorINSA_11use_defaultEEES6_EEENSJ_IJSG_SG_EEENS0_18inequality_wrapperINSA_8equal_toIsEEEEPmJS6_EEE10hipError_tPvRmT3_T4_T5_T6_T7_T9_mT8_P12ihipStream_tbDpT10_ENKUlT_T0_E_clISt17integral_constantIbLb1EES1D_EEDaS18_S19_EUlS18_E_NS1_11comp_targetILNS1_3genE0ELNS1_11target_archE4294967295ELNS1_3gpuE0ELNS1_3repE0EEENS1_30default_config_static_selectorELNS0_4arch9wavefront6targetE1EEEvT1_,comdat
	.protected	_ZN7rocprim17ROCPRIM_400000_NS6detail17trampoline_kernelINS0_14default_configENS1_25partition_config_selectorILNS1_17partition_subalgoE8EsNS0_10empty_typeEbEEZZNS1_14partition_implILS5_8ELb0ES3_jN6thrust23THRUST_200600_302600_NS6detail15normal_iteratorINSA_10device_ptrIsEEEEPS6_PKS6_NS0_5tupleIJNSA_16discard_iteratorINSA_11use_defaultEEES6_EEENSJ_IJSG_SG_EEENS0_18inequality_wrapperINSA_8equal_toIsEEEEPmJS6_EEE10hipError_tPvRmT3_T4_T5_T6_T7_T9_mT8_P12ihipStream_tbDpT10_ENKUlT_T0_E_clISt17integral_constantIbLb1EES1D_EEDaS18_S19_EUlS18_E_NS1_11comp_targetILNS1_3genE0ELNS1_11target_archE4294967295ELNS1_3gpuE0ELNS1_3repE0EEENS1_30default_config_static_selectorELNS0_4arch9wavefront6targetE1EEEvT1_ ; -- Begin function _ZN7rocprim17ROCPRIM_400000_NS6detail17trampoline_kernelINS0_14default_configENS1_25partition_config_selectorILNS1_17partition_subalgoE8EsNS0_10empty_typeEbEEZZNS1_14partition_implILS5_8ELb0ES3_jN6thrust23THRUST_200600_302600_NS6detail15normal_iteratorINSA_10device_ptrIsEEEEPS6_PKS6_NS0_5tupleIJNSA_16discard_iteratorINSA_11use_defaultEEES6_EEENSJ_IJSG_SG_EEENS0_18inequality_wrapperINSA_8equal_toIsEEEEPmJS6_EEE10hipError_tPvRmT3_T4_T5_T6_T7_T9_mT8_P12ihipStream_tbDpT10_ENKUlT_T0_E_clISt17integral_constantIbLb1EES1D_EEDaS18_S19_EUlS18_E_NS1_11comp_targetILNS1_3genE0ELNS1_11target_archE4294967295ELNS1_3gpuE0ELNS1_3repE0EEENS1_30default_config_static_selectorELNS0_4arch9wavefront6targetE1EEEvT1_
	.globl	_ZN7rocprim17ROCPRIM_400000_NS6detail17trampoline_kernelINS0_14default_configENS1_25partition_config_selectorILNS1_17partition_subalgoE8EsNS0_10empty_typeEbEEZZNS1_14partition_implILS5_8ELb0ES3_jN6thrust23THRUST_200600_302600_NS6detail15normal_iteratorINSA_10device_ptrIsEEEEPS6_PKS6_NS0_5tupleIJNSA_16discard_iteratorINSA_11use_defaultEEES6_EEENSJ_IJSG_SG_EEENS0_18inequality_wrapperINSA_8equal_toIsEEEEPmJS6_EEE10hipError_tPvRmT3_T4_T5_T6_T7_T9_mT8_P12ihipStream_tbDpT10_ENKUlT_T0_E_clISt17integral_constantIbLb1EES1D_EEDaS18_S19_EUlS18_E_NS1_11comp_targetILNS1_3genE0ELNS1_11target_archE4294967295ELNS1_3gpuE0ELNS1_3repE0EEENS1_30default_config_static_selectorELNS0_4arch9wavefront6targetE1EEEvT1_
	.p2align	8
	.type	_ZN7rocprim17ROCPRIM_400000_NS6detail17trampoline_kernelINS0_14default_configENS1_25partition_config_selectorILNS1_17partition_subalgoE8EsNS0_10empty_typeEbEEZZNS1_14partition_implILS5_8ELb0ES3_jN6thrust23THRUST_200600_302600_NS6detail15normal_iteratorINSA_10device_ptrIsEEEEPS6_PKS6_NS0_5tupleIJNSA_16discard_iteratorINSA_11use_defaultEEES6_EEENSJ_IJSG_SG_EEENS0_18inequality_wrapperINSA_8equal_toIsEEEEPmJS6_EEE10hipError_tPvRmT3_T4_T5_T6_T7_T9_mT8_P12ihipStream_tbDpT10_ENKUlT_T0_E_clISt17integral_constantIbLb1EES1D_EEDaS18_S19_EUlS18_E_NS1_11comp_targetILNS1_3genE0ELNS1_11target_archE4294967295ELNS1_3gpuE0ELNS1_3repE0EEENS1_30default_config_static_selectorELNS0_4arch9wavefront6targetE1EEEvT1_,@function
_ZN7rocprim17ROCPRIM_400000_NS6detail17trampoline_kernelINS0_14default_configENS1_25partition_config_selectorILNS1_17partition_subalgoE8EsNS0_10empty_typeEbEEZZNS1_14partition_implILS5_8ELb0ES3_jN6thrust23THRUST_200600_302600_NS6detail15normal_iteratorINSA_10device_ptrIsEEEEPS6_PKS6_NS0_5tupleIJNSA_16discard_iteratorINSA_11use_defaultEEES6_EEENSJ_IJSG_SG_EEENS0_18inequality_wrapperINSA_8equal_toIsEEEEPmJS6_EEE10hipError_tPvRmT3_T4_T5_T6_T7_T9_mT8_P12ihipStream_tbDpT10_ENKUlT_T0_E_clISt17integral_constantIbLb1EES1D_EEDaS18_S19_EUlS18_E_NS1_11comp_targetILNS1_3genE0ELNS1_11target_archE4294967295ELNS1_3gpuE0ELNS1_3repE0EEENS1_30default_config_static_selectorELNS0_4arch9wavefront6targetE1EEEvT1_: ; @_ZN7rocprim17ROCPRIM_400000_NS6detail17trampoline_kernelINS0_14default_configENS1_25partition_config_selectorILNS1_17partition_subalgoE8EsNS0_10empty_typeEbEEZZNS1_14partition_implILS5_8ELb0ES3_jN6thrust23THRUST_200600_302600_NS6detail15normal_iteratorINSA_10device_ptrIsEEEEPS6_PKS6_NS0_5tupleIJNSA_16discard_iteratorINSA_11use_defaultEEES6_EEENSJ_IJSG_SG_EEENS0_18inequality_wrapperINSA_8equal_toIsEEEEPmJS6_EEE10hipError_tPvRmT3_T4_T5_T6_T7_T9_mT8_P12ihipStream_tbDpT10_ENKUlT_T0_E_clISt17integral_constantIbLb1EES1D_EEDaS18_S19_EUlS18_E_NS1_11comp_targetILNS1_3genE0ELNS1_11target_archE4294967295ELNS1_3gpuE0ELNS1_3repE0EEENS1_30default_config_static_selectorELNS0_4arch9wavefront6targetE1EEEvT1_
; %bb.0:
	.section	.rodata,"a",@progbits
	.p2align	6, 0x0
	.amdhsa_kernel _ZN7rocprim17ROCPRIM_400000_NS6detail17trampoline_kernelINS0_14default_configENS1_25partition_config_selectorILNS1_17partition_subalgoE8EsNS0_10empty_typeEbEEZZNS1_14partition_implILS5_8ELb0ES3_jN6thrust23THRUST_200600_302600_NS6detail15normal_iteratorINSA_10device_ptrIsEEEEPS6_PKS6_NS0_5tupleIJNSA_16discard_iteratorINSA_11use_defaultEEES6_EEENSJ_IJSG_SG_EEENS0_18inequality_wrapperINSA_8equal_toIsEEEEPmJS6_EEE10hipError_tPvRmT3_T4_T5_T6_T7_T9_mT8_P12ihipStream_tbDpT10_ENKUlT_T0_E_clISt17integral_constantIbLb1EES1D_EEDaS18_S19_EUlS18_E_NS1_11comp_targetILNS1_3genE0ELNS1_11target_archE4294967295ELNS1_3gpuE0ELNS1_3repE0EEENS1_30default_config_static_selectorELNS0_4arch9wavefront6targetE1EEEvT1_
		.amdhsa_group_segment_fixed_size 0
		.amdhsa_private_segment_fixed_size 0
		.amdhsa_kernarg_size 136
		.amdhsa_user_sgpr_count 6
		.amdhsa_user_sgpr_private_segment_buffer 1
		.amdhsa_user_sgpr_dispatch_ptr 0
		.amdhsa_user_sgpr_queue_ptr 0
		.amdhsa_user_sgpr_kernarg_segment_ptr 1
		.amdhsa_user_sgpr_dispatch_id 0
		.amdhsa_user_sgpr_flat_scratch_init 0
		.amdhsa_user_sgpr_private_segment_size 0
		.amdhsa_uses_dynamic_stack 0
		.amdhsa_system_sgpr_private_segment_wavefront_offset 0
		.amdhsa_system_sgpr_workgroup_id_x 1
		.amdhsa_system_sgpr_workgroup_id_y 0
		.amdhsa_system_sgpr_workgroup_id_z 0
		.amdhsa_system_sgpr_workgroup_info 0
		.amdhsa_system_vgpr_workitem_id 0
		.amdhsa_next_free_vgpr 1
		.amdhsa_next_free_sgpr 0
		.amdhsa_reserve_vcc 0
		.amdhsa_reserve_flat_scratch 0
		.amdhsa_float_round_mode_32 0
		.amdhsa_float_round_mode_16_64 0
		.amdhsa_float_denorm_mode_32 3
		.amdhsa_float_denorm_mode_16_64 3
		.amdhsa_dx10_clamp 1
		.amdhsa_ieee_mode 1
		.amdhsa_fp16_overflow 0
		.amdhsa_exception_fp_ieee_invalid_op 0
		.amdhsa_exception_fp_denorm_src 0
		.amdhsa_exception_fp_ieee_div_zero 0
		.amdhsa_exception_fp_ieee_overflow 0
		.amdhsa_exception_fp_ieee_underflow 0
		.amdhsa_exception_fp_ieee_inexact 0
		.amdhsa_exception_int_div_zero 0
	.end_amdhsa_kernel
	.section	.text._ZN7rocprim17ROCPRIM_400000_NS6detail17trampoline_kernelINS0_14default_configENS1_25partition_config_selectorILNS1_17partition_subalgoE8EsNS0_10empty_typeEbEEZZNS1_14partition_implILS5_8ELb0ES3_jN6thrust23THRUST_200600_302600_NS6detail15normal_iteratorINSA_10device_ptrIsEEEEPS6_PKS6_NS0_5tupleIJNSA_16discard_iteratorINSA_11use_defaultEEES6_EEENSJ_IJSG_SG_EEENS0_18inequality_wrapperINSA_8equal_toIsEEEEPmJS6_EEE10hipError_tPvRmT3_T4_T5_T6_T7_T9_mT8_P12ihipStream_tbDpT10_ENKUlT_T0_E_clISt17integral_constantIbLb1EES1D_EEDaS18_S19_EUlS18_E_NS1_11comp_targetILNS1_3genE0ELNS1_11target_archE4294967295ELNS1_3gpuE0ELNS1_3repE0EEENS1_30default_config_static_selectorELNS0_4arch9wavefront6targetE1EEEvT1_,"axG",@progbits,_ZN7rocprim17ROCPRIM_400000_NS6detail17trampoline_kernelINS0_14default_configENS1_25partition_config_selectorILNS1_17partition_subalgoE8EsNS0_10empty_typeEbEEZZNS1_14partition_implILS5_8ELb0ES3_jN6thrust23THRUST_200600_302600_NS6detail15normal_iteratorINSA_10device_ptrIsEEEEPS6_PKS6_NS0_5tupleIJNSA_16discard_iteratorINSA_11use_defaultEEES6_EEENSJ_IJSG_SG_EEENS0_18inequality_wrapperINSA_8equal_toIsEEEEPmJS6_EEE10hipError_tPvRmT3_T4_T5_T6_T7_T9_mT8_P12ihipStream_tbDpT10_ENKUlT_T0_E_clISt17integral_constantIbLb1EES1D_EEDaS18_S19_EUlS18_E_NS1_11comp_targetILNS1_3genE0ELNS1_11target_archE4294967295ELNS1_3gpuE0ELNS1_3repE0EEENS1_30default_config_static_selectorELNS0_4arch9wavefront6targetE1EEEvT1_,comdat
.Lfunc_end701:
	.size	_ZN7rocprim17ROCPRIM_400000_NS6detail17trampoline_kernelINS0_14default_configENS1_25partition_config_selectorILNS1_17partition_subalgoE8EsNS0_10empty_typeEbEEZZNS1_14partition_implILS5_8ELb0ES3_jN6thrust23THRUST_200600_302600_NS6detail15normal_iteratorINSA_10device_ptrIsEEEEPS6_PKS6_NS0_5tupleIJNSA_16discard_iteratorINSA_11use_defaultEEES6_EEENSJ_IJSG_SG_EEENS0_18inequality_wrapperINSA_8equal_toIsEEEEPmJS6_EEE10hipError_tPvRmT3_T4_T5_T6_T7_T9_mT8_P12ihipStream_tbDpT10_ENKUlT_T0_E_clISt17integral_constantIbLb1EES1D_EEDaS18_S19_EUlS18_E_NS1_11comp_targetILNS1_3genE0ELNS1_11target_archE4294967295ELNS1_3gpuE0ELNS1_3repE0EEENS1_30default_config_static_selectorELNS0_4arch9wavefront6targetE1EEEvT1_, .Lfunc_end701-_ZN7rocprim17ROCPRIM_400000_NS6detail17trampoline_kernelINS0_14default_configENS1_25partition_config_selectorILNS1_17partition_subalgoE8EsNS0_10empty_typeEbEEZZNS1_14partition_implILS5_8ELb0ES3_jN6thrust23THRUST_200600_302600_NS6detail15normal_iteratorINSA_10device_ptrIsEEEEPS6_PKS6_NS0_5tupleIJNSA_16discard_iteratorINSA_11use_defaultEEES6_EEENSJ_IJSG_SG_EEENS0_18inequality_wrapperINSA_8equal_toIsEEEEPmJS6_EEE10hipError_tPvRmT3_T4_T5_T6_T7_T9_mT8_P12ihipStream_tbDpT10_ENKUlT_T0_E_clISt17integral_constantIbLb1EES1D_EEDaS18_S19_EUlS18_E_NS1_11comp_targetILNS1_3genE0ELNS1_11target_archE4294967295ELNS1_3gpuE0ELNS1_3repE0EEENS1_30default_config_static_selectorELNS0_4arch9wavefront6targetE1EEEvT1_
                                        ; -- End function
	.set _ZN7rocprim17ROCPRIM_400000_NS6detail17trampoline_kernelINS0_14default_configENS1_25partition_config_selectorILNS1_17partition_subalgoE8EsNS0_10empty_typeEbEEZZNS1_14partition_implILS5_8ELb0ES3_jN6thrust23THRUST_200600_302600_NS6detail15normal_iteratorINSA_10device_ptrIsEEEEPS6_PKS6_NS0_5tupleIJNSA_16discard_iteratorINSA_11use_defaultEEES6_EEENSJ_IJSG_SG_EEENS0_18inequality_wrapperINSA_8equal_toIsEEEEPmJS6_EEE10hipError_tPvRmT3_T4_T5_T6_T7_T9_mT8_P12ihipStream_tbDpT10_ENKUlT_T0_E_clISt17integral_constantIbLb1EES1D_EEDaS18_S19_EUlS18_E_NS1_11comp_targetILNS1_3genE0ELNS1_11target_archE4294967295ELNS1_3gpuE0ELNS1_3repE0EEENS1_30default_config_static_selectorELNS0_4arch9wavefront6targetE1EEEvT1_.num_vgpr, 0
	.set _ZN7rocprim17ROCPRIM_400000_NS6detail17trampoline_kernelINS0_14default_configENS1_25partition_config_selectorILNS1_17partition_subalgoE8EsNS0_10empty_typeEbEEZZNS1_14partition_implILS5_8ELb0ES3_jN6thrust23THRUST_200600_302600_NS6detail15normal_iteratorINSA_10device_ptrIsEEEEPS6_PKS6_NS0_5tupleIJNSA_16discard_iteratorINSA_11use_defaultEEES6_EEENSJ_IJSG_SG_EEENS0_18inequality_wrapperINSA_8equal_toIsEEEEPmJS6_EEE10hipError_tPvRmT3_T4_T5_T6_T7_T9_mT8_P12ihipStream_tbDpT10_ENKUlT_T0_E_clISt17integral_constantIbLb1EES1D_EEDaS18_S19_EUlS18_E_NS1_11comp_targetILNS1_3genE0ELNS1_11target_archE4294967295ELNS1_3gpuE0ELNS1_3repE0EEENS1_30default_config_static_selectorELNS0_4arch9wavefront6targetE1EEEvT1_.num_agpr, 0
	.set _ZN7rocprim17ROCPRIM_400000_NS6detail17trampoline_kernelINS0_14default_configENS1_25partition_config_selectorILNS1_17partition_subalgoE8EsNS0_10empty_typeEbEEZZNS1_14partition_implILS5_8ELb0ES3_jN6thrust23THRUST_200600_302600_NS6detail15normal_iteratorINSA_10device_ptrIsEEEEPS6_PKS6_NS0_5tupleIJNSA_16discard_iteratorINSA_11use_defaultEEES6_EEENSJ_IJSG_SG_EEENS0_18inequality_wrapperINSA_8equal_toIsEEEEPmJS6_EEE10hipError_tPvRmT3_T4_T5_T6_T7_T9_mT8_P12ihipStream_tbDpT10_ENKUlT_T0_E_clISt17integral_constantIbLb1EES1D_EEDaS18_S19_EUlS18_E_NS1_11comp_targetILNS1_3genE0ELNS1_11target_archE4294967295ELNS1_3gpuE0ELNS1_3repE0EEENS1_30default_config_static_selectorELNS0_4arch9wavefront6targetE1EEEvT1_.numbered_sgpr, 0
	.set _ZN7rocprim17ROCPRIM_400000_NS6detail17trampoline_kernelINS0_14default_configENS1_25partition_config_selectorILNS1_17partition_subalgoE8EsNS0_10empty_typeEbEEZZNS1_14partition_implILS5_8ELb0ES3_jN6thrust23THRUST_200600_302600_NS6detail15normal_iteratorINSA_10device_ptrIsEEEEPS6_PKS6_NS0_5tupleIJNSA_16discard_iteratorINSA_11use_defaultEEES6_EEENSJ_IJSG_SG_EEENS0_18inequality_wrapperINSA_8equal_toIsEEEEPmJS6_EEE10hipError_tPvRmT3_T4_T5_T6_T7_T9_mT8_P12ihipStream_tbDpT10_ENKUlT_T0_E_clISt17integral_constantIbLb1EES1D_EEDaS18_S19_EUlS18_E_NS1_11comp_targetILNS1_3genE0ELNS1_11target_archE4294967295ELNS1_3gpuE0ELNS1_3repE0EEENS1_30default_config_static_selectorELNS0_4arch9wavefront6targetE1EEEvT1_.num_named_barrier, 0
	.set _ZN7rocprim17ROCPRIM_400000_NS6detail17trampoline_kernelINS0_14default_configENS1_25partition_config_selectorILNS1_17partition_subalgoE8EsNS0_10empty_typeEbEEZZNS1_14partition_implILS5_8ELb0ES3_jN6thrust23THRUST_200600_302600_NS6detail15normal_iteratorINSA_10device_ptrIsEEEEPS6_PKS6_NS0_5tupleIJNSA_16discard_iteratorINSA_11use_defaultEEES6_EEENSJ_IJSG_SG_EEENS0_18inequality_wrapperINSA_8equal_toIsEEEEPmJS6_EEE10hipError_tPvRmT3_T4_T5_T6_T7_T9_mT8_P12ihipStream_tbDpT10_ENKUlT_T0_E_clISt17integral_constantIbLb1EES1D_EEDaS18_S19_EUlS18_E_NS1_11comp_targetILNS1_3genE0ELNS1_11target_archE4294967295ELNS1_3gpuE0ELNS1_3repE0EEENS1_30default_config_static_selectorELNS0_4arch9wavefront6targetE1EEEvT1_.private_seg_size, 0
	.set _ZN7rocprim17ROCPRIM_400000_NS6detail17trampoline_kernelINS0_14default_configENS1_25partition_config_selectorILNS1_17partition_subalgoE8EsNS0_10empty_typeEbEEZZNS1_14partition_implILS5_8ELb0ES3_jN6thrust23THRUST_200600_302600_NS6detail15normal_iteratorINSA_10device_ptrIsEEEEPS6_PKS6_NS0_5tupleIJNSA_16discard_iteratorINSA_11use_defaultEEES6_EEENSJ_IJSG_SG_EEENS0_18inequality_wrapperINSA_8equal_toIsEEEEPmJS6_EEE10hipError_tPvRmT3_T4_T5_T6_T7_T9_mT8_P12ihipStream_tbDpT10_ENKUlT_T0_E_clISt17integral_constantIbLb1EES1D_EEDaS18_S19_EUlS18_E_NS1_11comp_targetILNS1_3genE0ELNS1_11target_archE4294967295ELNS1_3gpuE0ELNS1_3repE0EEENS1_30default_config_static_selectorELNS0_4arch9wavefront6targetE1EEEvT1_.uses_vcc, 0
	.set _ZN7rocprim17ROCPRIM_400000_NS6detail17trampoline_kernelINS0_14default_configENS1_25partition_config_selectorILNS1_17partition_subalgoE8EsNS0_10empty_typeEbEEZZNS1_14partition_implILS5_8ELb0ES3_jN6thrust23THRUST_200600_302600_NS6detail15normal_iteratorINSA_10device_ptrIsEEEEPS6_PKS6_NS0_5tupleIJNSA_16discard_iteratorINSA_11use_defaultEEES6_EEENSJ_IJSG_SG_EEENS0_18inequality_wrapperINSA_8equal_toIsEEEEPmJS6_EEE10hipError_tPvRmT3_T4_T5_T6_T7_T9_mT8_P12ihipStream_tbDpT10_ENKUlT_T0_E_clISt17integral_constantIbLb1EES1D_EEDaS18_S19_EUlS18_E_NS1_11comp_targetILNS1_3genE0ELNS1_11target_archE4294967295ELNS1_3gpuE0ELNS1_3repE0EEENS1_30default_config_static_selectorELNS0_4arch9wavefront6targetE1EEEvT1_.uses_flat_scratch, 0
	.set _ZN7rocprim17ROCPRIM_400000_NS6detail17trampoline_kernelINS0_14default_configENS1_25partition_config_selectorILNS1_17partition_subalgoE8EsNS0_10empty_typeEbEEZZNS1_14partition_implILS5_8ELb0ES3_jN6thrust23THRUST_200600_302600_NS6detail15normal_iteratorINSA_10device_ptrIsEEEEPS6_PKS6_NS0_5tupleIJNSA_16discard_iteratorINSA_11use_defaultEEES6_EEENSJ_IJSG_SG_EEENS0_18inequality_wrapperINSA_8equal_toIsEEEEPmJS6_EEE10hipError_tPvRmT3_T4_T5_T6_T7_T9_mT8_P12ihipStream_tbDpT10_ENKUlT_T0_E_clISt17integral_constantIbLb1EES1D_EEDaS18_S19_EUlS18_E_NS1_11comp_targetILNS1_3genE0ELNS1_11target_archE4294967295ELNS1_3gpuE0ELNS1_3repE0EEENS1_30default_config_static_selectorELNS0_4arch9wavefront6targetE1EEEvT1_.has_dyn_sized_stack, 0
	.set _ZN7rocprim17ROCPRIM_400000_NS6detail17trampoline_kernelINS0_14default_configENS1_25partition_config_selectorILNS1_17partition_subalgoE8EsNS0_10empty_typeEbEEZZNS1_14partition_implILS5_8ELb0ES3_jN6thrust23THRUST_200600_302600_NS6detail15normal_iteratorINSA_10device_ptrIsEEEEPS6_PKS6_NS0_5tupleIJNSA_16discard_iteratorINSA_11use_defaultEEES6_EEENSJ_IJSG_SG_EEENS0_18inequality_wrapperINSA_8equal_toIsEEEEPmJS6_EEE10hipError_tPvRmT3_T4_T5_T6_T7_T9_mT8_P12ihipStream_tbDpT10_ENKUlT_T0_E_clISt17integral_constantIbLb1EES1D_EEDaS18_S19_EUlS18_E_NS1_11comp_targetILNS1_3genE0ELNS1_11target_archE4294967295ELNS1_3gpuE0ELNS1_3repE0EEENS1_30default_config_static_selectorELNS0_4arch9wavefront6targetE1EEEvT1_.has_recursion, 0
	.set _ZN7rocprim17ROCPRIM_400000_NS6detail17trampoline_kernelINS0_14default_configENS1_25partition_config_selectorILNS1_17partition_subalgoE8EsNS0_10empty_typeEbEEZZNS1_14partition_implILS5_8ELb0ES3_jN6thrust23THRUST_200600_302600_NS6detail15normal_iteratorINSA_10device_ptrIsEEEEPS6_PKS6_NS0_5tupleIJNSA_16discard_iteratorINSA_11use_defaultEEES6_EEENSJ_IJSG_SG_EEENS0_18inequality_wrapperINSA_8equal_toIsEEEEPmJS6_EEE10hipError_tPvRmT3_T4_T5_T6_T7_T9_mT8_P12ihipStream_tbDpT10_ENKUlT_T0_E_clISt17integral_constantIbLb1EES1D_EEDaS18_S19_EUlS18_E_NS1_11comp_targetILNS1_3genE0ELNS1_11target_archE4294967295ELNS1_3gpuE0ELNS1_3repE0EEENS1_30default_config_static_selectorELNS0_4arch9wavefront6targetE1EEEvT1_.has_indirect_call, 0
	.section	.AMDGPU.csdata,"",@progbits
; Kernel info:
; codeLenInByte = 0
; TotalNumSgprs: 4
; NumVgprs: 0
; ScratchSize: 0
; MemoryBound: 0
; FloatMode: 240
; IeeeMode: 1
; LDSByteSize: 0 bytes/workgroup (compile time only)
; SGPRBlocks: 0
; VGPRBlocks: 0
; NumSGPRsForWavesPerEU: 4
; NumVGPRsForWavesPerEU: 1
; Occupancy: 10
; WaveLimiterHint : 0
; COMPUTE_PGM_RSRC2:SCRATCH_EN: 0
; COMPUTE_PGM_RSRC2:USER_SGPR: 6
; COMPUTE_PGM_RSRC2:TRAP_HANDLER: 0
; COMPUTE_PGM_RSRC2:TGID_X_EN: 1
; COMPUTE_PGM_RSRC2:TGID_Y_EN: 0
; COMPUTE_PGM_RSRC2:TGID_Z_EN: 0
; COMPUTE_PGM_RSRC2:TIDIG_COMP_CNT: 0
	.section	.text._ZN7rocprim17ROCPRIM_400000_NS6detail17trampoline_kernelINS0_14default_configENS1_25partition_config_selectorILNS1_17partition_subalgoE8EsNS0_10empty_typeEbEEZZNS1_14partition_implILS5_8ELb0ES3_jN6thrust23THRUST_200600_302600_NS6detail15normal_iteratorINSA_10device_ptrIsEEEEPS6_PKS6_NS0_5tupleIJNSA_16discard_iteratorINSA_11use_defaultEEES6_EEENSJ_IJSG_SG_EEENS0_18inequality_wrapperINSA_8equal_toIsEEEEPmJS6_EEE10hipError_tPvRmT3_T4_T5_T6_T7_T9_mT8_P12ihipStream_tbDpT10_ENKUlT_T0_E_clISt17integral_constantIbLb1EES1D_EEDaS18_S19_EUlS18_E_NS1_11comp_targetILNS1_3genE5ELNS1_11target_archE942ELNS1_3gpuE9ELNS1_3repE0EEENS1_30default_config_static_selectorELNS0_4arch9wavefront6targetE1EEEvT1_,"axG",@progbits,_ZN7rocprim17ROCPRIM_400000_NS6detail17trampoline_kernelINS0_14default_configENS1_25partition_config_selectorILNS1_17partition_subalgoE8EsNS0_10empty_typeEbEEZZNS1_14partition_implILS5_8ELb0ES3_jN6thrust23THRUST_200600_302600_NS6detail15normal_iteratorINSA_10device_ptrIsEEEEPS6_PKS6_NS0_5tupleIJNSA_16discard_iteratorINSA_11use_defaultEEES6_EEENSJ_IJSG_SG_EEENS0_18inequality_wrapperINSA_8equal_toIsEEEEPmJS6_EEE10hipError_tPvRmT3_T4_T5_T6_T7_T9_mT8_P12ihipStream_tbDpT10_ENKUlT_T0_E_clISt17integral_constantIbLb1EES1D_EEDaS18_S19_EUlS18_E_NS1_11comp_targetILNS1_3genE5ELNS1_11target_archE942ELNS1_3gpuE9ELNS1_3repE0EEENS1_30default_config_static_selectorELNS0_4arch9wavefront6targetE1EEEvT1_,comdat
	.protected	_ZN7rocprim17ROCPRIM_400000_NS6detail17trampoline_kernelINS0_14default_configENS1_25partition_config_selectorILNS1_17partition_subalgoE8EsNS0_10empty_typeEbEEZZNS1_14partition_implILS5_8ELb0ES3_jN6thrust23THRUST_200600_302600_NS6detail15normal_iteratorINSA_10device_ptrIsEEEEPS6_PKS6_NS0_5tupleIJNSA_16discard_iteratorINSA_11use_defaultEEES6_EEENSJ_IJSG_SG_EEENS0_18inequality_wrapperINSA_8equal_toIsEEEEPmJS6_EEE10hipError_tPvRmT3_T4_T5_T6_T7_T9_mT8_P12ihipStream_tbDpT10_ENKUlT_T0_E_clISt17integral_constantIbLb1EES1D_EEDaS18_S19_EUlS18_E_NS1_11comp_targetILNS1_3genE5ELNS1_11target_archE942ELNS1_3gpuE9ELNS1_3repE0EEENS1_30default_config_static_selectorELNS0_4arch9wavefront6targetE1EEEvT1_ ; -- Begin function _ZN7rocprim17ROCPRIM_400000_NS6detail17trampoline_kernelINS0_14default_configENS1_25partition_config_selectorILNS1_17partition_subalgoE8EsNS0_10empty_typeEbEEZZNS1_14partition_implILS5_8ELb0ES3_jN6thrust23THRUST_200600_302600_NS6detail15normal_iteratorINSA_10device_ptrIsEEEEPS6_PKS6_NS0_5tupleIJNSA_16discard_iteratorINSA_11use_defaultEEES6_EEENSJ_IJSG_SG_EEENS0_18inequality_wrapperINSA_8equal_toIsEEEEPmJS6_EEE10hipError_tPvRmT3_T4_T5_T6_T7_T9_mT8_P12ihipStream_tbDpT10_ENKUlT_T0_E_clISt17integral_constantIbLb1EES1D_EEDaS18_S19_EUlS18_E_NS1_11comp_targetILNS1_3genE5ELNS1_11target_archE942ELNS1_3gpuE9ELNS1_3repE0EEENS1_30default_config_static_selectorELNS0_4arch9wavefront6targetE1EEEvT1_
	.globl	_ZN7rocprim17ROCPRIM_400000_NS6detail17trampoline_kernelINS0_14default_configENS1_25partition_config_selectorILNS1_17partition_subalgoE8EsNS0_10empty_typeEbEEZZNS1_14partition_implILS5_8ELb0ES3_jN6thrust23THRUST_200600_302600_NS6detail15normal_iteratorINSA_10device_ptrIsEEEEPS6_PKS6_NS0_5tupleIJNSA_16discard_iteratorINSA_11use_defaultEEES6_EEENSJ_IJSG_SG_EEENS0_18inequality_wrapperINSA_8equal_toIsEEEEPmJS6_EEE10hipError_tPvRmT3_T4_T5_T6_T7_T9_mT8_P12ihipStream_tbDpT10_ENKUlT_T0_E_clISt17integral_constantIbLb1EES1D_EEDaS18_S19_EUlS18_E_NS1_11comp_targetILNS1_3genE5ELNS1_11target_archE942ELNS1_3gpuE9ELNS1_3repE0EEENS1_30default_config_static_selectorELNS0_4arch9wavefront6targetE1EEEvT1_
	.p2align	8
	.type	_ZN7rocprim17ROCPRIM_400000_NS6detail17trampoline_kernelINS0_14default_configENS1_25partition_config_selectorILNS1_17partition_subalgoE8EsNS0_10empty_typeEbEEZZNS1_14partition_implILS5_8ELb0ES3_jN6thrust23THRUST_200600_302600_NS6detail15normal_iteratorINSA_10device_ptrIsEEEEPS6_PKS6_NS0_5tupleIJNSA_16discard_iteratorINSA_11use_defaultEEES6_EEENSJ_IJSG_SG_EEENS0_18inequality_wrapperINSA_8equal_toIsEEEEPmJS6_EEE10hipError_tPvRmT3_T4_T5_T6_T7_T9_mT8_P12ihipStream_tbDpT10_ENKUlT_T0_E_clISt17integral_constantIbLb1EES1D_EEDaS18_S19_EUlS18_E_NS1_11comp_targetILNS1_3genE5ELNS1_11target_archE942ELNS1_3gpuE9ELNS1_3repE0EEENS1_30default_config_static_selectorELNS0_4arch9wavefront6targetE1EEEvT1_,@function
_ZN7rocprim17ROCPRIM_400000_NS6detail17trampoline_kernelINS0_14default_configENS1_25partition_config_selectorILNS1_17partition_subalgoE8EsNS0_10empty_typeEbEEZZNS1_14partition_implILS5_8ELb0ES3_jN6thrust23THRUST_200600_302600_NS6detail15normal_iteratorINSA_10device_ptrIsEEEEPS6_PKS6_NS0_5tupleIJNSA_16discard_iteratorINSA_11use_defaultEEES6_EEENSJ_IJSG_SG_EEENS0_18inequality_wrapperINSA_8equal_toIsEEEEPmJS6_EEE10hipError_tPvRmT3_T4_T5_T6_T7_T9_mT8_P12ihipStream_tbDpT10_ENKUlT_T0_E_clISt17integral_constantIbLb1EES1D_EEDaS18_S19_EUlS18_E_NS1_11comp_targetILNS1_3genE5ELNS1_11target_archE942ELNS1_3gpuE9ELNS1_3repE0EEENS1_30default_config_static_selectorELNS0_4arch9wavefront6targetE1EEEvT1_: ; @_ZN7rocprim17ROCPRIM_400000_NS6detail17trampoline_kernelINS0_14default_configENS1_25partition_config_selectorILNS1_17partition_subalgoE8EsNS0_10empty_typeEbEEZZNS1_14partition_implILS5_8ELb0ES3_jN6thrust23THRUST_200600_302600_NS6detail15normal_iteratorINSA_10device_ptrIsEEEEPS6_PKS6_NS0_5tupleIJNSA_16discard_iteratorINSA_11use_defaultEEES6_EEENSJ_IJSG_SG_EEENS0_18inequality_wrapperINSA_8equal_toIsEEEEPmJS6_EEE10hipError_tPvRmT3_T4_T5_T6_T7_T9_mT8_P12ihipStream_tbDpT10_ENKUlT_T0_E_clISt17integral_constantIbLb1EES1D_EEDaS18_S19_EUlS18_E_NS1_11comp_targetILNS1_3genE5ELNS1_11target_archE942ELNS1_3gpuE9ELNS1_3repE0EEENS1_30default_config_static_selectorELNS0_4arch9wavefront6targetE1EEEvT1_
; %bb.0:
	.section	.rodata,"a",@progbits
	.p2align	6, 0x0
	.amdhsa_kernel _ZN7rocprim17ROCPRIM_400000_NS6detail17trampoline_kernelINS0_14default_configENS1_25partition_config_selectorILNS1_17partition_subalgoE8EsNS0_10empty_typeEbEEZZNS1_14partition_implILS5_8ELb0ES3_jN6thrust23THRUST_200600_302600_NS6detail15normal_iteratorINSA_10device_ptrIsEEEEPS6_PKS6_NS0_5tupleIJNSA_16discard_iteratorINSA_11use_defaultEEES6_EEENSJ_IJSG_SG_EEENS0_18inequality_wrapperINSA_8equal_toIsEEEEPmJS6_EEE10hipError_tPvRmT3_T4_T5_T6_T7_T9_mT8_P12ihipStream_tbDpT10_ENKUlT_T0_E_clISt17integral_constantIbLb1EES1D_EEDaS18_S19_EUlS18_E_NS1_11comp_targetILNS1_3genE5ELNS1_11target_archE942ELNS1_3gpuE9ELNS1_3repE0EEENS1_30default_config_static_selectorELNS0_4arch9wavefront6targetE1EEEvT1_
		.amdhsa_group_segment_fixed_size 0
		.amdhsa_private_segment_fixed_size 0
		.amdhsa_kernarg_size 136
		.amdhsa_user_sgpr_count 6
		.amdhsa_user_sgpr_private_segment_buffer 1
		.amdhsa_user_sgpr_dispatch_ptr 0
		.amdhsa_user_sgpr_queue_ptr 0
		.amdhsa_user_sgpr_kernarg_segment_ptr 1
		.amdhsa_user_sgpr_dispatch_id 0
		.amdhsa_user_sgpr_flat_scratch_init 0
		.amdhsa_user_sgpr_private_segment_size 0
		.amdhsa_uses_dynamic_stack 0
		.amdhsa_system_sgpr_private_segment_wavefront_offset 0
		.amdhsa_system_sgpr_workgroup_id_x 1
		.amdhsa_system_sgpr_workgroup_id_y 0
		.amdhsa_system_sgpr_workgroup_id_z 0
		.amdhsa_system_sgpr_workgroup_info 0
		.amdhsa_system_vgpr_workitem_id 0
		.amdhsa_next_free_vgpr 1
		.amdhsa_next_free_sgpr 0
		.amdhsa_reserve_vcc 0
		.amdhsa_reserve_flat_scratch 0
		.amdhsa_float_round_mode_32 0
		.amdhsa_float_round_mode_16_64 0
		.amdhsa_float_denorm_mode_32 3
		.amdhsa_float_denorm_mode_16_64 3
		.amdhsa_dx10_clamp 1
		.amdhsa_ieee_mode 1
		.amdhsa_fp16_overflow 0
		.amdhsa_exception_fp_ieee_invalid_op 0
		.amdhsa_exception_fp_denorm_src 0
		.amdhsa_exception_fp_ieee_div_zero 0
		.amdhsa_exception_fp_ieee_overflow 0
		.amdhsa_exception_fp_ieee_underflow 0
		.amdhsa_exception_fp_ieee_inexact 0
		.amdhsa_exception_int_div_zero 0
	.end_amdhsa_kernel
	.section	.text._ZN7rocprim17ROCPRIM_400000_NS6detail17trampoline_kernelINS0_14default_configENS1_25partition_config_selectorILNS1_17partition_subalgoE8EsNS0_10empty_typeEbEEZZNS1_14partition_implILS5_8ELb0ES3_jN6thrust23THRUST_200600_302600_NS6detail15normal_iteratorINSA_10device_ptrIsEEEEPS6_PKS6_NS0_5tupleIJNSA_16discard_iteratorINSA_11use_defaultEEES6_EEENSJ_IJSG_SG_EEENS0_18inequality_wrapperINSA_8equal_toIsEEEEPmJS6_EEE10hipError_tPvRmT3_T4_T5_T6_T7_T9_mT8_P12ihipStream_tbDpT10_ENKUlT_T0_E_clISt17integral_constantIbLb1EES1D_EEDaS18_S19_EUlS18_E_NS1_11comp_targetILNS1_3genE5ELNS1_11target_archE942ELNS1_3gpuE9ELNS1_3repE0EEENS1_30default_config_static_selectorELNS0_4arch9wavefront6targetE1EEEvT1_,"axG",@progbits,_ZN7rocprim17ROCPRIM_400000_NS6detail17trampoline_kernelINS0_14default_configENS1_25partition_config_selectorILNS1_17partition_subalgoE8EsNS0_10empty_typeEbEEZZNS1_14partition_implILS5_8ELb0ES3_jN6thrust23THRUST_200600_302600_NS6detail15normal_iteratorINSA_10device_ptrIsEEEEPS6_PKS6_NS0_5tupleIJNSA_16discard_iteratorINSA_11use_defaultEEES6_EEENSJ_IJSG_SG_EEENS0_18inequality_wrapperINSA_8equal_toIsEEEEPmJS6_EEE10hipError_tPvRmT3_T4_T5_T6_T7_T9_mT8_P12ihipStream_tbDpT10_ENKUlT_T0_E_clISt17integral_constantIbLb1EES1D_EEDaS18_S19_EUlS18_E_NS1_11comp_targetILNS1_3genE5ELNS1_11target_archE942ELNS1_3gpuE9ELNS1_3repE0EEENS1_30default_config_static_selectorELNS0_4arch9wavefront6targetE1EEEvT1_,comdat
.Lfunc_end702:
	.size	_ZN7rocprim17ROCPRIM_400000_NS6detail17trampoline_kernelINS0_14default_configENS1_25partition_config_selectorILNS1_17partition_subalgoE8EsNS0_10empty_typeEbEEZZNS1_14partition_implILS5_8ELb0ES3_jN6thrust23THRUST_200600_302600_NS6detail15normal_iteratorINSA_10device_ptrIsEEEEPS6_PKS6_NS0_5tupleIJNSA_16discard_iteratorINSA_11use_defaultEEES6_EEENSJ_IJSG_SG_EEENS0_18inequality_wrapperINSA_8equal_toIsEEEEPmJS6_EEE10hipError_tPvRmT3_T4_T5_T6_T7_T9_mT8_P12ihipStream_tbDpT10_ENKUlT_T0_E_clISt17integral_constantIbLb1EES1D_EEDaS18_S19_EUlS18_E_NS1_11comp_targetILNS1_3genE5ELNS1_11target_archE942ELNS1_3gpuE9ELNS1_3repE0EEENS1_30default_config_static_selectorELNS0_4arch9wavefront6targetE1EEEvT1_, .Lfunc_end702-_ZN7rocprim17ROCPRIM_400000_NS6detail17trampoline_kernelINS0_14default_configENS1_25partition_config_selectorILNS1_17partition_subalgoE8EsNS0_10empty_typeEbEEZZNS1_14partition_implILS5_8ELb0ES3_jN6thrust23THRUST_200600_302600_NS6detail15normal_iteratorINSA_10device_ptrIsEEEEPS6_PKS6_NS0_5tupleIJNSA_16discard_iteratorINSA_11use_defaultEEES6_EEENSJ_IJSG_SG_EEENS0_18inequality_wrapperINSA_8equal_toIsEEEEPmJS6_EEE10hipError_tPvRmT3_T4_T5_T6_T7_T9_mT8_P12ihipStream_tbDpT10_ENKUlT_T0_E_clISt17integral_constantIbLb1EES1D_EEDaS18_S19_EUlS18_E_NS1_11comp_targetILNS1_3genE5ELNS1_11target_archE942ELNS1_3gpuE9ELNS1_3repE0EEENS1_30default_config_static_selectorELNS0_4arch9wavefront6targetE1EEEvT1_
                                        ; -- End function
	.set _ZN7rocprim17ROCPRIM_400000_NS6detail17trampoline_kernelINS0_14default_configENS1_25partition_config_selectorILNS1_17partition_subalgoE8EsNS0_10empty_typeEbEEZZNS1_14partition_implILS5_8ELb0ES3_jN6thrust23THRUST_200600_302600_NS6detail15normal_iteratorINSA_10device_ptrIsEEEEPS6_PKS6_NS0_5tupleIJNSA_16discard_iteratorINSA_11use_defaultEEES6_EEENSJ_IJSG_SG_EEENS0_18inequality_wrapperINSA_8equal_toIsEEEEPmJS6_EEE10hipError_tPvRmT3_T4_T5_T6_T7_T9_mT8_P12ihipStream_tbDpT10_ENKUlT_T0_E_clISt17integral_constantIbLb1EES1D_EEDaS18_S19_EUlS18_E_NS1_11comp_targetILNS1_3genE5ELNS1_11target_archE942ELNS1_3gpuE9ELNS1_3repE0EEENS1_30default_config_static_selectorELNS0_4arch9wavefront6targetE1EEEvT1_.num_vgpr, 0
	.set _ZN7rocprim17ROCPRIM_400000_NS6detail17trampoline_kernelINS0_14default_configENS1_25partition_config_selectorILNS1_17partition_subalgoE8EsNS0_10empty_typeEbEEZZNS1_14partition_implILS5_8ELb0ES3_jN6thrust23THRUST_200600_302600_NS6detail15normal_iteratorINSA_10device_ptrIsEEEEPS6_PKS6_NS0_5tupleIJNSA_16discard_iteratorINSA_11use_defaultEEES6_EEENSJ_IJSG_SG_EEENS0_18inequality_wrapperINSA_8equal_toIsEEEEPmJS6_EEE10hipError_tPvRmT3_T4_T5_T6_T7_T9_mT8_P12ihipStream_tbDpT10_ENKUlT_T0_E_clISt17integral_constantIbLb1EES1D_EEDaS18_S19_EUlS18_E_NS1_11comp_targetILNS1_3genE5ELNS1_11target_archE942ELNS1_3gpuE9ELNS1_3repE0EEENS1_30default_config_static_selectorELNS0_4arch9wavefront6targetE1EEEvT1_.num_agpr, 0
	.set _ZN7rocprim17ROCPRIM_400000_NS6detail17trampoline_kernelINS0_14default_configENS1_25partition_config_selectorILNS1_17partition_subalgoE8EsNS0_10empty_typeEbEEZZNS1_14partition_implILS5_8ELb0ES3_jN6thrust23THRUST_200600_302600_NS6detail15normal_iteratorINSA_10device_ptrIsEEEEPS6_PKS6_NS0_5tupleIJNSA_16discard_iteratorINSA_11use_defaultEEES6_EEENSJ_IJSG_SG_EEENS0_18inequality_wrapperINSA_8equal_toIsEEEEPmJS6_EEE10hipError_tPvRmT3_T4_T5_T6_T7_T9_mT8_P12ihipStream_tbDpT10_ENKUlT_T0_E_clISt17integral_constantIbLb1EES1D_EEDaS18_S19_EUlS18_E_NS1_11comp_targetILNS1_3genE5ELNS1_11target_archE942ELNS1_3gpuE9ELNS1_3repE0EEENS1_30default_config_static_selectorELNS0_4arch9wavefront6targetE1EEEvT1_.numbered_sgpr, 0
	.set _ZN7rocprim17ROCPRIM_400000_NS6detail17trampoline_kernelINS0_14default_configENS1_25partition_config_selectorILNS1_17partition_subalgoE8EsNS0_10empty_typeEbEEZZNS1_14partition_implILS5_8ELb0ES3_jN6thrust23THRUST_200600_302600_NS6detail15normal_iteratorINSA_10device_ptrIsEEEEPS6_PKS6_NS0_5tupleIJNSA_16discard_iteratorINSA_11use_defaultEEES6_EEENSJ_IJSG_SG_EEENS0_18inequality_wrapperINSA_8equal_toIsEEEEPmJS6_EEE10hipError_tPvRmT3_T4_T5_T6_T7_T9_mT8_P12ihipStream_tbDpT10_ENKUlT_T0_E_clISt17integral_constantIbLb1EES1D_EEDaS18_S19_EUlS18_E_NS1_11comp_targetILNS1_3genE5ELNS1_11target_archE942ELNS1_3gpuE9ELNS1_3repE0EEENS1_30default_config_static_selectorELNS0_4arch9wavefront6targetE1EEEvT1_.num_named_barrier, 0
	.set _ZN7rocprim17ROCPRIM_400000_NS6detail17trampoline_kernelINS0_14default_configENS1_25partition_config_selectorILNS1_17partition_subalgoE8EsNS0_10empty_typeEbEEZZNS1_14partition_implILS5_8ELb0ES3_jN6thrust23THRUST_200600_302600_NS6detail15normal_iteratorINSA_10device_ptrIsEEEEPS6_PKS6_NS0_5tupleIJNSA_16discard_iteratorINSA_11use_defaultEEES6_EEENSJ_IJSG_SG_EEENS0_18inequality_wrapperINSA_8equal_toIsEEEEPmJS6_EEE10hipError_tPvRmT3_T4_T5_T6_T7_T9_mT8_P12ihipStream_tbDpT10_ENKUlT_T0_E_clISt17integral_constantIbLb1EES1D_EEDaS18_S19_EUlS18_E_NS1_11comp_targetILNS1_3genE5ELNS1_11target_archE942ELNS1_3gpuE9ELNS1_3repE0EEENS1_30default_config_static_selectorELNS0_4arch9wavefront6targetE1EEEvT1_.private_seg_size, 0
	.set _ZN7rocprim17ROCPRIM_400000_NS6detail17trampoline_kernelINS0_14default_configENS1_25partition_config_selectorILNS1_17partition_subalgoE8EsNS0_10empty_typeEbEEZZNS1_14partition_implILS5_8ELb0ES3_jN6thrust23THRUST_200600_302600_NS6detail15normal_iteratorINSA_10device_ptrIsEEEEPS6_PKS6_NS0_5tupleIJNSA_16discard_iteratorINSA_11use_defaultEEES6_EEENSJ_IJSG_SG_EEENS0_18inequality_wrapperINSA_8equal_toIsEEEEPmJS6_EEE10hipError_tPvRmT3_T4_T5_T6_T7_T9_mT8_P12ihipStream_tbDpT10_ENKUlT_T0_E_clISt17integral_constantIbLb1EES1D_EEDaS18_S19_EUlS18_E_NS1_11comp_targetILNS1_3genE5ELNS1_11target_archE942ELNS1_3gpuE9ELNS1_3repE0EEENS1_30default_config_static_selectorELNS0_4arch9wavefront6targetE1EEEvT1_.uses_vcc, 0
	.set _ZN7rocprim17ROCPRIM_400000_NS6detail17trampoline_kernelINS0_14default_configENS1_25partition_config_selectorILNS1_17partition_subalgoE8EsNS0_10empty_typeEbEEZZNS1_14partition_implILS5_8ELb0ES3_jN6thrust23THRUST_200600_302600_NS6detail15normal_iteratorINSA_10device_ptrIsEEEEPS6_PKS6_NS0_5tupleIJNSA_16discard_iteratorINSA_11use_defaultEEES6_EEENSJ_IJSG_SG_EEENS0_18inequality_wrapperINSA_8equal_toIsEEEEPmJS6_EEE10hipError_tPvRmT3_T4_T5_T6_T7_T9_mT8_P12ihipStream_tbDpT10_ENKUlT_T0_E_clISt17integral_constantIbLb1EES1D_EEDaS18_S19_EUlS18_E_NS1_11comp_targetILNS1_3genE5ELNS1_11target_archE942ELNS1_3gpuE9ELNS1_3repE0EEENS1_30default_config_static_selectorELNS0_4arch9wavefront6targetE1EEEvT1_.uses_flat_scratch, 0
	.set _ZN7rocprim17ROCPRIM_400000_NS6detail17trampoline_kernelINS0_14default_configENS1_25partition_config_selectorILNS1_17partition_subalgoE8EsNS0_10empty_typeEbEEZZNS1_14partition_implILS5_8ELb0ES3_jN6thrust23THRUST_200600_302600_NS6detail15normal_iteratorINSA_10device_ptrIsEEEEPS6_PKS6_NS0_5tupleIJNSA_16discard_iteratorINSA_11use_defaultEEES6_EEENSJ_IJSG_SG_EEENS0_18inequality_wrapperINSA_8equal_toIsEEEEPmJS6_EEE10hipError_tPvRmT3_T4_T5_T6_T7_T9_mT8_P12ihipStream_tbDpT10_ENKUlT_T0_E_clISt17integral_constantIbLb1EES1D_EEDaS18_S19_EUlS18_E_NS1_11comp_targetILNS1_3genE5ELNS1_11target_archE942ELNS1_3gpuE9ELNS1_3repE0EEENS1_30default_config_static_selectorELNS0_4arch9wavefront6targetE1EEEvT1_.has_dyn_sized_stack, 0
	.set _ZN7rocprim17ROCPRIM_400000_NS6detail17trampoline_kernelINS0_14default_configENS1_25partition_config_selectorILNS1_17partition_subalgoE8EsNS0_10empty_typeEbEEZZNS1_14partition_implILS5_8ELb0ES3_jN6thrust23THRUST_200600_302600_NS6detail15normal_iteratorINSA_10device_ptrIsEEEEPS6_PKS6_NS0_5tupleIJNSA_16discard_iteratorINSA_11use_defaultEEES6_EEENSJ_IJSG_SG_EEENS0_18inequality_wrapperINSA_8equal_toIsEEEEPmJS6_EEE10hipError_tPvRmT3_T4_T5_T6_T7_T9_mT8_P12ihipStream_tbDpT10_ENKUlT_T0_E_clISt17integral_constantIbLb1EES1D_EEDaS18_S19_EUlS18_E_NS1_11comp_targetILNS1_3genE5ELNS1_11target_archE942ELNS1_3gpuE9ELNS1_3repE0EEENS1_30default_config_static_selectorELNS0_4arch9wavefront6targetE1EEEvT1_.has_recursion, 0
	.set _ZN7rocprim17ROCPRIM_400000_NS6detail17trampoline_kernelINS0_14default_configENS1_25partition_config_selectorILNS1_17partition_subalgoE8EsNS0_10empty_typeEbEEZZNS1_14partition_implILS5_8ELb0ES3_jN6thrust23THRUST_200600_302600_NS6detail15normal_iteratorINSA_10device_ptrIsEEEEPS6_PKS6_NS0_5tupleIJNSA_16discard_iteratorINSA_11use_defaultEEES6_EEENSJ_IJSG_SG_EEENS0_18inequality_wrapperINSA_8equal_toIsEEEEPmJS6_EEE10hipError_tPvRmT3_T4_T5_T6_T7_T9_mT8_P12ihipStream_tbDpT10_ENKUlT_T0_E_clISt17integral_constantIbLb1EES1D_EEDaS18_S19_EUlS18_E_NS1_11comp_targetILNS1_3genE5ELNS1_11target_archE942ELNS1_3gpuE9ELNS1_3repE0EEENS1_30default_config_static_selectorELNS0_4arch9wavefront6targetE1EEEvT1_.has_indirect_call, 0
	.section	.AMDGPU.csdata,"",@progbits
; Kernel info:
; codeLenInByte = 0
; TotalNumSgprs: 4
; NumVgprs: 0
; ScratchSize: 0
; MemoryBound: 0
; FloatMode: 240
; IeeeMode: 1
; LDSByteSize: 0 bytes/workgroup (compile time only)
; SGPRBlocks: 0
; VGPRBlocks: 0
; NumSGPRsForWavesPerEU: 4
; NumVGPRsForWavesPerEU: 1
; Occupancy: 10
; WaveLimiterHint : 0
; COMPUTE_PGM_RSRC2:SCRATCH_EN: 0
; COMPUTE_PGM_RSRC2:USER_SGPR: 6
; COMPUTE_PGM_RSRC2:TRAP_HANDLER: 0
; COMPUTE_PGM_RSRC2:TGID_X_EN: 1
; COMPUTE_PGM_RSRC2:TGID_Y_EN: 0
; COMPUTE_PGM_RSRC2:TGID_Z_EN: 0
; COMPUTE_PGM_RSRC2:TIDIG_COMP_CNT: 0
	.section	.text._ZN7rocprim17ROCPRIM_400000_NS6detail17trampoline_kernelINS0_14default_configENS1_25partition_config_selectorILNS1_17partition_subalgoE8EsNS0_10empty_typeEbEEZZNS1_14partition_implILS5_8ELb0ES3_jN6thrust23THRUST_200600_302600_NS6detail15normal_iteratorINSA_10device_ptrIsEEEEPS6_PKS6_NS0_5tupleIJNSA_16discard_iteratorINSA_11use_defaultEEES6_EEENSJ_IJSG_SG_EEENS0_18inequality_wrapperINSA_8equal_toIsEEEEPmJS6_EEE10hipError_tPvRmT3_T4_T5_T6_T7_T9_mT8_P12ihipStream_tbDpT10_ENKUlT_T0_E_clISt17integral_constantIbLb1EES1D_EEDaS18_S19_EUlS18_E_NS1_11comp_targetILNS1_3genE4ELNS1_11target_archE910ELNS1_3gpuE8ELNS1_3repE0EEENS1_30default_config_static_selectorELNS0_4arch9wavefront6targetE1EEEvT1_,"axG",@progbits,_ZN7rocprim17ROCPRIM_400000_NS6detail17trampoline_kernelINS0_14default_configENS1_25partition_config_selectorILNS1_17partition_subalgoE8EsNS0_10empty_typeEbEEZZNS1_14partition_implILS5_8ELb0ES3_jN6thrust23THRUST_200600_302600_NS6detail15normal_iteratorINSA_10device_ptrIsEEEEPS6_PKS6_NS0_5tupleIJNSA_16discard_iteratorINSA_11use_defaultEEES6_EEENSJ_IJSG_SG_EEENS0_18inequality_wrapperINSA_8equal_toIsEEEEPmJS6_EEE10hipError_tPvRmT3_T4_T5_T6_T7_T9_mT8_P12ihipStream_tbDpT10_ENKUlT_T0_E_clISt17integral_constantIbLb1EES1D_EEDaS18_S19_EUlS18_E_NS1_11comp_targetILNS1_3genE4ELNS1_11target_archE910ELNS1_3gpuE8ELNS1_3repE0EEENS1_30default_config_static_selectorELNS0_4arch9wavefront6targetE1EEEvT1_,comdat
	.protected	_ZN7rocprim17ROCPRIM_400000_NS6detail17trampoline_kernelINS0_14default_configENS1_25partition_config_selectorILNS1_17partition_subalgoE8EsNS0_10empty_typeEbEEZZNS1_14partition_implILS5_8ELb0ES3_jN6thrust23THRUST_200600_302600_NS6detail15normal_iteratorINSA_10device_ptrIsEEEEPS6_PKS6_NS0_5tupleIJNSA_16discard_iteratorINSA_11use_defaultEEES6_EEENSJ_IJSG_SG_EEENS0_18inequality_wrapperINSA_8equal_toIsEEEEPmJS6_EEE10hipError_tPvRmT3_T4_T5_T6_T7_T9_mT8_P12ihipStream_tbDpT10_ENKUlT_T0_E_clISt17integral_constantIbLb1EES1D_EEDaS18_S19_EUlS18_E_NS1_11comp_targetILNS1_3genE4ELNS1_11target_archE910ELNS1_3gpuE8ELNS1_3repE0EEENS1_30default_config_static_selectorELNS0_4arch9wavefront6targetE1EEEvT1_ ; -- Begin function _ZN7rocprim17ROCPRIM_400000_NS6detail17trampoline_kernelINS0_14default_configENS1_25partition_config_selectorILNS1_17partition_subalgoE8EsNS0_10empty_typeEbEEZZNS1_14partition_implILS5_8ELb0ES3_jN6thrust23THRUST_200600_302600_NS6detail15normal_iteratorINSA_10device_ptrIsEEEEPS6_PKS6_NS0_5tupleIJNSA_16discard_iteratorINSA_11use_defaultEEES6_EEENSJ_IJSG_SG_EEENS0_18inequality_wrapperINSA_8equal_toIsEEEEPmJS6_EEE10hipError_tPvRmT3_T4_T5_T6_T7_T9_mT8_P12ihipStream_tbDpT10_ENKUlT_T0_E_clISt17integral_constantIbLb1EES1D_EEDaS18_S19_EUlS18_E_NS1_11comp_targetILNS1_3genE4ELNS1_11target_archE910ELNS1_3gpuE8ELNS1_3repE0EEENS1_30default_config_static_selectorELNS0_4arch9wavefront6targetE1EEEvT1_
	.globl	_ZN7rocprim17ROCPRIM_400000_NS6detail17trampoline_kernelINS0_14default_configENS1_25partition_config_selectorILNS1_17partition_subalgoE8EsNS0_10empty_typeEbEEZZNS1_14partition_implILS5_8ELb0ES3_jN6thrust23THRUST_200600_302600_NS6detail15normal_iteratorINSA_10device_ptrIsEEEEPS6_PKS6_NS0_5tupleIJNSA_16discard_iteratorINSA_11use_defaultEEES6_EEENSJ_IJSG_SG_EEENS0_18inequality_wrapperINSA_8equal_toIsEEEEPmJS6_EEE10hipError_tPvRmT3_T4_T5_T6_T7_T9_mT8_P12ihipStream_tbDpT10_ENKUlT_T0_E_clISt17integral_constantIbLb1EES1D_EEDaS18_S19_EUlS18_E_NS1_11comp_targetILNS1_3genE4ELNS1_11target_archE910ELNS1_3gpuE8ELNS1_3repE0EEENS1_30default_config_static_selectorELNS0_4arch9wavefront6targetE1EEEvT1_
	.p2align	8
	.type	_ZN7rocprim17ROCPRIM_400000_NS6detail17trampoline_kernelINS0_14default_configENS1_25partition_config_selectorILNS1_17partition_subalgoE8EsNS0_10empty_typeEbEEZZNS1_14partition_implILS5_8ELb0ES3_jN6thrust23THRUST_200600_302600_NS6detail15normal_iteratorINSA_10device_ptrIsEEEEPS6_PKS6_NS0_5tupleIJNSA_16discard_iteratorINSA_11use_defaultEEES6_EEENSJ_IJSG_SG_EEENS0_18inequality_wrapperINSA_8equal_toIsEEEEPmJS6_EEE10hipError_tPvRmT3_T4_T5_T6_T7_T9_mT8_P12ihipStream_tbDpT10_ENKUlT_T0_E_clISt17integral_constantIbLb1EES1D_EEDaS18_S19_EUlS18_E_NS1_11comp_targetILNS1_3genE4ELNS1_11target_archE910ELNS1_3gpuE8ELNS1_3repE0EEENS1_30default_config_static_selectorELNS0_4arch9wavefront6targetE1EEEvT1_,@function
_ZN7rocprim17ROCPRIM_400000_NS6detail17trampoline_kernelINS0_14default_configENS1_25partition_config_selectorILNS1_17partition_subalgoE8EsNS0_10empty_typeEbEEZZNS1_14partition_implILS5_8ELb0ES3_jN6thrust23THRUST_200600_302600_NS6detail15normal_iteratorINSA_10device_ptrIsEEEEPS6_PKS6_NS0_5tupleIJNSA_16discard_iteratorINSA_11use_defaultEEES6_EEENSJ_IJSG_SG_EEENS0_18inequality_wrapperINSA_8equal_toIsEEEEPmJS6_EEE10hipError_tPvRmT3_T4_T5_T6_T7_T9_mT8_P12ihipStream_tbDpT10_ENKUlT_T0_E_clISt17integral_constantIbLb1EES1D_EEDaS18_S19_EUlS18_E_NS1_11comp_targetILNS1_3genE4ELNS1_11target_archE910ELNS1_3gpuE8ELNS1_3repE0EEENS1_30default_config_static_selectorELNS0_4arch9wavefront6targetE1EEEvT1_: ; @_ZN7rocprim17ROCPRIM_400000_NS6detail17trampoline_kernelINS0_14default_configENS1_25partition_config_selectorILNS1_17partition_subalgoE8EsNS0_10empty_typeEbEEZZNS1_14partition_implILS5_8ELb0ES3_jN6thrust23THRUST_200600_302600_NS6detail15normal_iteratorINSA_10device_ptrIsEEEEPS6_PKS6_NS0_5tupleIJNSA_16discard_iteratorINSA_11use_defaultEEES6_EEENSJ_IJSG_SG_EEENS0_18inequality_wrapperINSA_8equal_toIsEEEEPmJS6_EEE10hipError_tPvRmT3_T4_T5_T6_T7_T9_mT8_P12ihipStream_tbDpT10_ENKUlT_T0_E_clISt17integral_constantIbLb1EES1D_EEDaS18_S19_EUlS18_E_NS1_11comp_targetILNS1_3genE4ELNS1_11target_archE910ELNS1_3gpuE8ELNS1_3repE0EEENS1_30default_config_static_selectorELNS0_4arch9wavefront6targetE1EEEvT1_
; %bb.0:
	.section	.rodata,"a",@progbits
	.p2align	6, 0x0
	.amdhsa_kernel _ZN7rocprim17ROCPRIM_400000_NS6detail17trampoline_kernelINS0_14default_configENS1_25partition_config_selectorILNS1_17partition_subalgoE8EsNS0_10empty_typeEbEEZZNS1_14partition_implILS5_8ELb0ES3_jN6thrust23THRUST_200600_302600_NS6detail15normal_iteratorINSA_10device_ptrIsEEEEPS6_PKS6_NS0_5tupleIJNSA_16discard_iteratorINSA_11use_defaultEEES6_EEENSJ_IJSG_SG_EEENS0_18inequality_wrapperINSA_8equal_toIsEEEEPmJS6_EEE10hipError_tPvRmT3_T4_T5_T6_T7_T9_mT8_P12ihipStream_tbDpT10_ENKUlT_T0_E_clISt17integral_constantIbLb1EES1D_EEDaS18_S19_EUlS18_E_NS1_11comp_targetILNS1_3genE4ELNS1_11target_archE910ELNS1_3gpuE8ELNS1_3repE0EEENS1_30default_config_static_selectorELNS0_4arch9wavefront6targetE1EEEvT1_
		.amdhsa_group_segment_fixed_size 0
		.amdhsa_private_segment_fixed_size 0
		.amdhsa_kernarg_size 136
		.amdhsa_user_sgpr_count 6
		.amdhsa_user_sgpr_private_segment_buffer 1
		.amdhsa_user_sgpr_dispatch_ptr 0
		.amdhsa_user_sgpr_queue_ptr 0
		.amdhsa_user_sgpr_kernarg_segment_ptr 1
		.amdhsa_user_sgpr_dispatch_id 0
		.amdhsa_user_sgpr_flat_scratch_init 0
		.amdhsa_user_sgpr_private_segment_size 0
		.amdhsa_uses_dynamic_stack 0
		.amdhsa_system_sgpr_private_segment_wavefront_offset 0
		.amdhsa_system_sgpr_workgroup_id_x 1
		.amdhsa_system_sgpr_workgroup_id_y 0
		.amdhsa_system_sgpr_workgroup_id_z 0
		.amdhsa_system_sgpr_workgroup_info 0
		.amdhsa_system_vgpr_workitem_id 0
		.amdhsa_next_free_vgpr 1
		.amdhsa_next_free_sgpr 0
		.amdhsa_reserve_vcc 0
		.amdhsa_reserve_flat_scratch 0
		.amdhsa_float_round_mode_32 0
		.amdhsa_float_round_mode_16_64 0
		.amdhsa_float_denorm_mode_32 3
		.amdhsa_float_denorm_mode_16_64 3
		.amdhsa_dx10_clamp 1
		.amdhsa_ieee_mode 1
		.amdhsa_fp16_overflow 0
		.amdhsa_exception_fp_ieee_invalid_op 0
		.amdhsa_exception_fp_denorm_src 0
		.amdhsa_exception_fp_ieee_div_zero 0
		.amdhsa_exception_fp_ieee_overflow 0
		.amdhsa_exception_fp_ieee_underflow 0
		.amdhsa_exception_fp_ieee_inexact 0
		.amdhsa_exception_int_div_zero 0
	.end_amdhsa_kernel
	.section	.text._ZN7rocprim17ROCPRIM_400000_NS6detail17trampoline_kernelINS0_14default_configENS1_25partition_config_selectorILNS1_17partition_subalgoE8EsNS0_10empty_typeEbEEZZNS1_14partition_implILS5_8ELb0ES3_jN6thrust23THRUST_200600_302600_NS6detail15normal_iteratorINSA_10device_ptrIsEEEEPS6_PKS6_NS0_5tupleIJNSA_16discard_iteratorINSA_11use_defaultEEES6_EEENSJ_IJSG_SG_EEENS0_18inequality_wrapperINSA_8equal_toIsEEEEPmJS6_EEE10hipError_tPvRmT3_T4_T5_T6_T7_T9_mT8_P12ihipStream_tbDpT10_ENKUlT_T0_E_clISt17integral_constantIbLb1EES1D_EEDaS18_S19_EUlS18_E_NS1_11comp_targetILNS1_3genE4ELNS1_11target_archE910ELNS1_3gpuE8ELNS1_3repE0EEENS1_30default_config_static_selectorELNS0_4arch9wavefront6targetE1EEEvT1_,"axG",@progbits,_ZN7rocprim17ROCPRIM_400000_NS6detail17trampoline_kernelINS0_14default_configENS1_25partition_config_selectorILNS1_17partition_subalgoE8EsNS0_10empty_typeEbEEZZNS1_14partition_implILS5_8ELb0ES3_jN6thrust23THRUST_200600_302600_NS6detail15normal_iteratorINSA_10device_ptrIsEEEEPS6_PKS6_NS0_5tupleIJNSA_16discard_iteratorINSA_11use_defaultEEES6_EEENSJ_IJSG_SG_EEENS0_18inequality_wrapperINSA_8equal_toIsEEEEPmJS6_EEE10hipError_tPvRmT3_T4_T5_T6_T7_T9_mT8_P12ihipStream_tbDpT10_ENKUlT_T0_E_clISt17integral_constantIbLb1EES1D_EEDaS18_S19_EUlS18_E_NS1_11comp_targetILNS1_3genE4ELNS1_11target_archE910ELNS1_3gpuE8ELNS1_3repE0EEENS1_30default_config_static_selectorELNS0_4arch9wavefront6targetE1EEEvT1_,comdat
.Lfunc_end703:
	.size	_ZN7rocprim17ROCPRIM_400000_NS6detail17trampoline_kernelINS0_14default_configENS1_25partition_config_selectorILNS1_17partition_subalgoE8EsNS0_10empty_typeEbEEZZNS1_14partition_implILS5_8ELb0ES3_jN6thrust23THRUST_200600_302600_NS6detail15normal_iteratorINSA_10device_ptrIsEEEEPS6_PKS6_NS0_5tupleIJNSA_16discard_iteratorINSA_11use_defaultEEES6_EEENSJ_IJSG_SG_EEENS0_18inequality_wrapperINSA_8equal_toIsEEEEPmJS6_EEE10hipError_tPvRmT3_T4_T5_T6_T7_T9_mT8_P12ihipStream_tbDpT10_ENKUlT_T0_E_clISt17integral_constantIbLb1EES1D_EEDaS18_S19_EUlS18_E_NS1_11comp_targetILNS1_3genE4ELNS1_11target_archE910ELNS1_3gpuE8ELNS1_3repE0EEENS1_30default_config_static_selectorELNS0_4arch9wavefront6targetE1EEEvT1_, .Lfunc_end703-_ZN7rocprim17ROCPRIM_400000_NS6detail17trampoline_kernelINS0_14default_configENS1_25partition_config_selectorILNS1_17partition_subalgoE8EsNS0_10empty_typeEbEEZZNS1_14partition_implILS5_8ELb0ES3_jN6thrust23THRUST_200600_302600_NS6detail15normal_iteratorINSA_10device_ptrIsEEEEPS6_PKS6_NS0_5tupleIJNSA_16discard_iteratorINSA_11use_defaultEEES6_EEENSJ_IJSG_SG_EEENS0_18inequality_wrapperINSA_8equal_toIsEEEEPmJS6_EEE10hipError_tPvRmT3_T4_T5_T6_T7_T9_mT8_P12ihipStream_tbDpT10_ENKUlT_T0_E_clISt17integral_constantIbLb1EES1D_EEDaS18_S19_EUlS18_E_NS1_11comp_targetILNS1_3genE4ELNS1_11target_archE910ELNS1_3gpuE8ELNS1_3repE0EEENS1_30default_config_static_selectorELNS0_4arch9wavefront6targetE1EEEvT1_
                                        ; -- End function
	.set _ZN7rocprim17ROCPRIM_400000_NS6detail17trampoline_kernelINS0_14default_configENS1_25partition_config_selectorILNS1_17partition_subalgoE8EsNS0_10empty_typeEbEEZZNS1_14partition_implILS5_8ELb0ES3_jN6thrust23THRUST_200600_302600_NS6detail15normal_iteratorINSA_10device_ptrIsEEEEPS6_PKS6_NS0_5tupleIJNSA_16discard_iteratorINSA_11use_defaultEEES6_EEENSJ_IJSG_SG_EEENS0_18inequality_wrapperINSA_8equal_toIsEEEEPmJS6_EEE10hipError_tPvRmT3_T4_T5_T6_T7_T9_mT8_P12ihipStream_tbDpT10_ENKUlT_T0_E_clISt17integral_constantIbLb1EES1D_EEDaS18_S19_EUlS18_E_NS1_11comp_targetILNS1_3genE4ELNS1_11target_archE910ELNS1_3gpuE8ELNS1_3repE0EEENS1_30default_config_static_selectorELNS0_4arch9wavefront6targetE1EEEvT1_.num_vgpr, 0
	.set _ZN7rocprim17ROCPRIM_400000_NS6detail17trampoline_kernelINS0_14default_configENS1_25partition_config_selectorILNS1_17partition_subalgoE8EsNS0_10empty_typeEbEEZZNS1_14partition_implILS5_8ELb0ES3_jN6thrust23THRUST_200600_302600_NS6detail15normal_iteratorINSA_10device_ptrIsEEEEPS6_PKS6_NS0_5tupleIJNSA_16discard_iteratorINSA_11use_defaultEEES6_EEENSJ_IJSG_SG_EEENS0_18inequality_wrapperINSA_8equal_toIsEEEEPmJS6_EEE10hipError_tPvRmT3_T4_T5_T6_T7_T9_mT8_P12ihipStream_tbDpT10_ENKUlT_T0_E_clISt17integral_constantIbLb1EES1D_EEDaS18_S19_EUlS18_E_NS1_11comp_targetILNS1_3genE4ELNS1_11target_archE910ELNS1_3gpuE8ELNS1_3repE0EEENS1_30default_config_static_selectorELNS0_4arch9wavefront6targetE1EEEvT1_.num_agpr, 0
	.set _ZN7rocprim17ROCPRIM_400000_NS6detail17trampoline_kernelINS0_14default_configENS1_25partition_config_selectorILNS1_17partition_subalgoE8EsNS0_10empty_typeEbEEZZNS1_14partition_implILS5_8ELb0ES3_jN6thrust23THRUST_200600_302600_NS6detail15normal_iteratorINSA_10device_ptrIsEEEEPS6_PKS6_NS0_5tupleIJNSA_16discard_iteratorINSA_11use_defaultEEES6_EEENSJ_IJSG_SG_EEENS0_18inequality_wrapperINSA_8equal_toIsEEEEPmJS6_EEE10hipError_tPvRmT3_T4_T5_T6_T7_T9_mT8_P12ihipStream_tbDpT10_ENKUlT_T0_E_clISt17integral_constantIbLb1EES1D_EEDaS18_S19_EUlS18_E_NS1_11comp_targetILNS1_3genE4ELNS1_11target_archE910ELNS1_3gpuE8ELNS1_3repE0EEENS1_30default_config_static_selectorELNS0_4arch9wavefront6targetE1EEEvT1_.numbered_sgpr, 0
	.set _ZN7rocprim17ROCPRIM_400000_NS6detail17trampoline_kernelINS0_14default_configENS1_25partition_config_selectorILNS1_17partition_subalgoE8EsNS0_10empty_typeEbEEZZNS1_14partition_implILS5_8ELb0ES3_jN6thrust23THRUST_200600_302600_NS6detail15normal_iteratorINSA_10device_ptrIsEEEEPS6_PKS6_NS0_5tupleIJNSA_16discard_iteratorINSA_11use_defaultEEES6_EEENSJ_IJSG_SG_EEENS0_18inequality_wrapperINSA_8equal_toIsEEEEPmJS6_EEE10hipError_tPvRmT3_T4_T5_T6_T7_T9_mT8_P12ihipStream_tbDpT10_ENKUlT_T0_E_clISt17integral_constantIbLb1EES1D_EEDaS18_S19_EUlS18_E_NS1_11comp_targetILNS1_3genE4ELNS1_11target_archE910ELNS1_3gpuE8ELNS1_3repE0EEENS1_30default_config_static_selectorELNS0_4arch9wavefront6targetE1EEEvT1_.num_named_barrier, 0
	.set _ZN7rocprim17ROCPRIM_400000_NS6detail17trampoline_kernelINS0_14default_configENS1_25partition_config_selectorILNS1_17partition_subalgoE8EsNS0_10empty_typeEbEEZZNS1_14partition_implILS5_8ELb0ES3_jN6thrust23THRUST_200600_302600_NS6detail15normal_iteratorINSA_10device_ptrIsEEEEPS6_PKS6_NS0_5tupleIJNSA_16discard_iteratorINSA_11use_defaultEEES6_EEENSJ_IJSG_SG_EEENS0_18inequality_wrapperINSA_8equal_toIsEEEEPmJS6_EEE10hipError_tPvRmT3_T4_T5_T6_T7_T9_mT8_P12ihipStream_tbDpT10_ENKUlT_T0_E_clISt17integral_constantIbLb1EES1D_EEDaS18_S19_EUlS18_E_NS1_11comp_targetILNS1_3genE4ELNS1_11target_archE910ELNS1_3gpuE8ELNS1_3repE0EEENS1_30default_config_static_selectorELNS0_4arch9wavefront6targetE1EEEvT1_.private_seg_size, 0
	.set _ZN7rocprim17ROCPRIM_400000_NS6detail17trampoline_kernelINS0_14default_configENS1_25partition_config_selectorILNS1_17partition_subalgoE8EsNS0_10empty_typeEbEEZZNS1_14partition_implILS5_8ELb0ES3_jN6thrust23THRUST_200600_302600_NS6detail15normal_iteratorINSA_10device_ptrIsEEEEPS6_PKS6_NS0_5tupleIJNSA_16discard_iteratorINSA_11use_defaultEEES6_EEENSJ_IJSG_SG_EEENS0_18inequality_wrapperINSA_8equal_toIsEEEEPmJS6_EEE10hipError_tPvRmT3_T4_T5_T6_T7_T9_mT8_P12ihipStream_tbDpT10_ENKUlT_T0_E_clISt17integral_constantIbLb1EES1D_EEDaS18_S19_EUlS18_E_NS1_11comp_targetILNS1_3genE4ELNS1_11target_archE910ELNS1_3gpuE8ELNS1_3repE0EEENS1_30default_config_static_selectorELNS0_4arch9wavefront6targetE1EEEvT1_.uses_vcc, 0
	.set _ZN7rocprim17ROCPRIM_400000_NS6detail17trampoline_kernelINS0_14default_configENS1_25partition_config_selectorILNS1_17partition_subalgoE8EsNS0_10empty_typeEbEEZZNS1_14partition_implILS5_8ELb0ES3_jN6thrust23THRUST_200600_302600_NS6detail15normal_iteratorINSA_10device_ptrIsEEEEPS6_PKS6_NS0_5tupleIJNSA_16discard_iteratorINSA_11use_defaultEEES6_EEENSJ_IJSG_SG_EEENS0_18inequality_wrapperINSA_8equal_toIsEEEEPmJS6_EEE10hipError_tPvRmT3_T4_T5_T6_T7_T9_mT8_P12ihipStream_tbDpT10_ENKUlT_T0_E_clISt17integral_constantIbLb1EES1D_EEDaS18_S19_EUlS18_E_NS1_11comp_targetILNS1_3genE4ELNS1_11target_archE910ELNS1_3gpuE8ELNS1_3repE0EEENS1_30default_config_static_selectorELNS0_4arch9wavefront6targetE1EEEvT1_.uses_flat_scratch, 0
	.set _ZN7rocprim17ROCPRIM_400000_NS6detail17trampoline_kernelINS0_14default_configENS1_25partition_config_selectorILNS1_17partition_subalgoE8EsNS0_10empty_typeEbEEZZNS1_14partition_implILS5_8ELb0ES3_jN6thrust23THRUST_200600_302600_NS6detail15normal_iteratorINSA_10device_ptrIsEEEEPS6_PKS6_NS0_5tupleIJNSA_16discard_iteratorINSA_11use_defaultEEES6_EEENSJ_IJSG_SG_EEENS0_18inequality_wrapperINSA_8equal_toIsEEEEPmJS6_EEE10hipError_tPvRmT3_T4_T5_T6_T7_T9_mT8_P12ihipStream_tbDpT10_ENKUlT_T0_E_clISt17integral_constantIbLb1EES1D_EEDaS18_S19_EUlS18_E_NS1_11comp_targetILNS1_3genE4ELNS1_11target_archE910ELNS1_3gpuE8ELNS1_3repE0EEENS1_30default_config_static_selectorELNS0_4arch9wavefront6targetE1EEEvT1_.has_dyn_sized_stack, 0
	.set _ZN7rocprim17ROCPRIM_400000_NS6detail17trampoline_kernelINS0_14default_configENS1_25partition_config_selectorILNS1_17partition_subalgoE8EsNS0_10empty_typeEbEEZZNS1_14partition_implILS5_8ELb0ES3_jN6thrust23THRUST_200600_302600_NS6detail15normal_iteratorINSA_10device_ptrIsEEEEPS6_PKS6_NS0_5tupleIJNSA_16discard_iteratorINSA_11use_defaultEEES6_EEENSJ_IJSG_SG_EEENS0_18inequality_wrapperINSA_8equal_toIsEEEEPmJS6_EEE10hipError_tPvRmT3_T4_T5_T6_T7_T9_mT8_P12ihipStream_tbDpT10_ENKUlT_T0_E_clISt17integral_constantIbLb1EES1D_EEDaS18_S19_EUlS18_E_NS1_11comp_targetILNS1_3genE4ELNS1_11target_archE910ELNS1_3gpuE8ELNS1_3repE0EEENS1_30default_config_static_selectorELNS0_4arch9wavefront6targetE1EEEvT1_.has_recursion, 0
	.set _ZN7rocprim17ROCPRIM_400000_NS6detail17trampoline_kernelINS0_14default_configENS1_25partition_config_selectorILNS1_17partition_subalgoE8EsNS0_10empty_typeEbEEZZNS1_14partition_implILS5_8ELb0ES3_jN6thrust23THRUST_200600_302600_NS6detail15normal_iteratorINSA_10device_ptrIsEEEEPS6_PKS6_NS0_5tupleIJNSA_16discard_iteratorINSA_11use_defaultEEES6_EEENSJ_IJSG_SG_EEENS0_18inequality_wrapperINSA_8equal_toIsEEEEPmJS6_EEE10hipError_tPvRmT3_T4_T5_T6_T7_T9_mT8_P12ihipStream_tbDpT10_ENKUlT_T0_E_clISt17integral_constantIbLb1EES1D_EEDaS18_S19_EUlS18_E_NS1_11comp_targetILNS1_3genE4ELNS1_11target_archE910ELNS1_3gpuE8ELNS1_3repE0EEENS1_30default_config_static_selectorELNS0_4arch9wavefront6targetE1EEEvT1_.has_indirect_call, 0
	.section	.AMDGPU.csdata,"",@progbits
; Kernel info:
; codeLenInByte = 0
; TotalNumSgprs: 4
; NumVgprs: 0
; ScratchSize: 0
; MemoryBound: 0
; FloatMode: 240
; IeeeMode: 1
; LDSByteSize: 0 bytes/workgroup (compile time only)
; SGPRBlocks: 0
; VGPRBlocks: 0
; NumSGPRsForWavesPerEU: 4
; NumVGPRsForWavesPerEU: 1
; Occupancy: 10
; WaveLimiterHint : 0
; COMPUTE_PGM_RSRC2:SCRATCH_EN: 0
; COMPUTE_PGM_RSRC2:USER_SGPR: 6
; COMPUTE_PGM_RSRC2:TRAP_HANDLER: 0
; COMPUTE_PGM_RSRC2:TGID_X_EN: 1
; COMPUTE_PGM_RSRC2:TGID_Y_EN: 0
; COMPUTE_PGM_RSRC2:TGID_Z_EN: 0
; COMPUTE_PGM_RSRC2:TIDIG_COMP_CNT: 0
	.section	.text._ZN7rocprim17ROCPRIM_400000_NS6detail17trampoline_kernelINS0_14default_configENS1_25partition_config_selectorILNS1_17partition_subalgoE8EsNS0_10empty_typeEbEEZZNS1_14partition_implILS5_8ELb0ES3_jN6thrust23THRUST_200600_302600_NS6detail15normal_iteratorINSA_10device_ptrIsEEEEPS6_PKS6_NS0_5tupleIJNSA_16discard_iteratorINSA_11use_defaultEEES6_EEENSJ_IJSG_SG_EEENS0_18inequality_wrapperINSA_8equal_toIsEEEEPmJS6_EEE10hipError_tPvRmT3_T4_T5_T6_T7_T9_mT8_P12ihipStream_tbDpT10_ENKUlT_T0_E_clISt17integral_constantIbLb1EES1D_EEDaS18_S19_EUlS18_E_NS1_11comp_targetILNS1_3genE3ELNS1_11target_archE908ELNS1_3gpuE7ELNS1_3repE0EEENS1_30default_config_static_selectorELNS0_4arch9wavefront6targetE1EEEvT1_,"axG",@progbits,_ZN7rocprim17ROCPRIM_400000_NS6detail17trampoline_kernelINS0_14default_configENS1_25partition_config_selectorILNS1_17partition_subalgoE8EsNS0_10empty_typeEbEEZZNS1_14partition_implILS5_8ELb0ES3_jN6thrust23THRUST_200600_302600_NS6detail15normal_iteratorINSA_10device_ptrIsEEEEPS6_PKS6_NS0_5tupleIJNSA_16discard_iteratorINSA_11use_defaultEEES6_EEENSJ_IJSG_SG_EEENS0_18inequality_wrapperINSA_8equal_toIsEEEEPmJS6_EEE10hipError_tPvRmT3_T4_T5_T6_T7_T9_mT8_P12ihipStream_tbDpT10_ENKUlT_T0_E_clISt17integral_constantIbLb1EES1D_EEDaS18_S19_EUlS18_E_NS1_11comp_targetILNS1_3genE3ELNS1_11target_archE908ELNS1_3gpuE7ELNS1_3repE0EEENS1_30default_config_static_selectorELNS0_4arch9wavefront6targetE1EEEvT1_,comdat
	.protected	_ZN7rocprim17ROCPRIM_400000_NS6detail17trampoline_kernelINS0_14default_configENS1_25partition_config_selectorILNS1_17partition_subalgoE8EsNS0_10empty_typeEbEEZZNS1_14partition_implILS5_8ELb0ES3_jN6thrust23THRUST_200600_302600_NS6detail15normal_iteratorINSA_10device_ptrIsEEEEPS6_PKS6_NS0_5tupleIJNSA_16discard_iteratorINSA_11use_defaultEEES6_EEENSJ_IJSG_SG_EEENS0_18inequality_wrapperINSA_8equal_toIsEEEEPmJS6_EEE10hipError_tPvRmT3_T4_T5_T6_T7_T9_mT8_P12ihipStream_tbDpT10_ENKUlT_T0_E_clISt17integral_constantIbLb1EES1D_EEDaS18_S19_EUlS18_E_NS1_11comp_targetILNS1_3genE3ELNS1_11target_archE908ELNS1_3gpuE7ELNS1_3repE0EEENS1_30default_config_static_selectorELNS0_4arch9wavefront6targetE1EEEvT1_ ; -- Begin function _ZN7rocprim17ROCPRIM_400000_NS6detail17trampoline_kernelINS0_14default_configENS1_25partition_config_selectorILNS1_17partition_subalgoE8EsNS0_10empty_typeEbEEZZNS1_14partition_implILS5_8ELb0ES3_jN6thrust23THRUST_200600_302600_NS6detail15normal_iteratorINSA_10device_ptrIsEEEEPS6_PKS6_NS0_5tupleIJNSA_16discard_iteratorINSA_11use_defaultEEES6_EEENSJ_IJSG_SG_EEENS0_18inequality_wrapperINSA_8equal_toIsEEEEPmJS6_EEE10hipError_tPvRmT3_T4_T5_T6_T7_T9_mT8_P12ihipStream_tbDpT10_ENKUlT_T0_E_clISt17integral_constantIbLb1EES1D_EEDaS18_S19_EUlS18_E_NS1_11comp_targetILNS1_3genE3ELNS1_11target_archE908ELNS1_3gpuE7ELNS1_3repE0EEENS1_30default_config_static_selectorELNS0_4arch9wavefront6targetE1EEEvT1_
	.globl	_ZN7rocprim17ROCPRIM_400000_NS6detail17trampoline_kernelINS0_14default_configENS1_25partition_config_selectorILNS1_17partition_subalgoE8EsNS0_10empty_typeEbEEZZNS1_14partition_implILS5_8ELb0ES3_jN6thrust23THRUST_200600_302600_NS6detail15normal_iteratorINSA_10device_ptrIsEEEEPS6_PKS6_NS0_5tupleIJNSA_16discard_iteratorINSA_11use_defaultEEES6_EEENSJ_IJSG_SG_EEENS0_18inequality_wrapperINSA_8equal_toIsEEEEPmJS6_EEE10hipError_tPvRmT3_T4_T5_T6_T7_T9_mT8_P12ihipStream_tbDpT10_ENKUlT_T0_E_clISt17integral_constantIbLb1EES1D_EEDaS18_S19_EUlS18_E_NS1_11comp_targetILNS1_3genE3ELNS1_11target_archE908ELNS1_3gpuE7ELNS1_3repE0EEENS1_30default_config_static_selectorELNS0_4arch9wavefront6targetE1EEEvT1_
	.p2align	8
	.type	_ZN7rocprim17ROCPRIM_400000_NS6detail17trampoline_kernelINS0_14default_configENS1_25partition_config_selectorILNS1_17partition_subalgoE8EsNS0_10empty_typeEbEEZZNS1_14partition_implILS5_8ELb0ES3_jN6thrust23THRUST_200600_302600_NS6detail15normal_iteratorINSA_10device_ptrIsEEEEPS6_PKS6_NS0_5tupleIJNSA_16discard_iteratorINSA_11use_defaultEEES6_EEENSJ_IJSG_SG_EEENS0_18inequality_wrapperINSA_8equal_toIsEEEEPmJS6_EEE10hipError_tPvRmT3_T4_T5_T6_T7_T9_mT8_P12ihipStream_tbDpT10_ENKUlT_T0_E_clISt17integral_constantIbLb1EES1D_EEDaS18_S19_EUlS18_E_NS1_11comp_targetILNS1_3genE3ELNS1_11target_archE908ELNS1_3gpuE7ELNS1_3repE0EEENS1_30default_config_static_selectorELNS0_4arch9wavefront6targetE1EEEvT1_,@function
_ZN7rocprim17ROCPRIM_400000_NS6detail17trampoline_kernelINS0_14default_configENS1_25partition_config_selectorILNS1_17partition_subalgoE8EsNS0_10empty_typeEbEEZZNS1_14partition_implILS5_8ELb0ES3_jN6thrust23THRUST_200600_302600_NS6detail15normal_iteratorINSA_10device_ptrIsEEEEPS6_PKS6_NS0_5tupleIJNSA_16discard_iteratorINSA_11use_defaultEEES6_EEENSJ_IJSG_SG_EEENS0_18inequality_wrapperINSA_8equal_toIsEEEEPmJS6_EEE10hipError_tPvRmT3_T4_T5_T6_T7_T9_mT8_P12ihipStream_tbDpT10_ENKUlT_T0_E_clISt17integral_constantIbLb1EES1D_EEDaS18_S19_EUlS18_E_NS1_11comp_targetILNS1_3genE3ELNS1_11target_archE908ELNS1_3gpuE7ELNS1_3repE0EEENS1_30default_config_static_selectorELNS0_4arch9wavefront6targetE1EEEvT1_: ; @_ZN7rocprim17ROCPRIM_400000_NS6detail17trampoline_kernelINS0_14default_configENS1_25partition_config_selectorILNS1_17partition_subalgoE8EsNS0_10empty_typeEbEEZZNS1_14partition_implILS5_8ELb0ES3_jN6thrust23THRUST_200600_302600_NS6detail15normal_iteratorINSA_10device_ptrIsEEEEPS6_PKS6_NS0_5tupleIJNSA_16discard_iteratorINSA_11use_defaultEEES6_EEENSJ_IJSG_SG_EEENS0_18inequality_wrapperINSA_8equal_toIsEEEEPmJS6_EEE10hipError_tPvRmT3_T4_T5_T6_T7_T9_mT8_P12ihipStream_tbDpT10_ENKUlT_T0_E_clISt17integral_constantIbLb1EES1D_EEDaS18_S19_EUlS18_E_NS1_11comp_targetILNS1_3genE3ELNS1_11target_archE908ELNS1_3gpuE7ELNS1_3repE0EEENS1_30default_config_static_selectorELNS0_4arch9wavefront6targetE1EEEvT1_
; %bb.0:
	.section	.rodata,"a",@progbits
	.p2align	6, 0x0
	.amdhsa_kernel _ZN7rocprim17ROCPRIM_400000_NS6detail17trampoline_kernelINS0_14default_configENS1_25partition_config_selectorILNS1_17partition_subalgoE8EsNS0_10empty_typeEbEEZZNS1_14partition_implILS5_8ELb0ES3_jN6thrust23THRUST_200600_302600_NS6detail15normal_iteratorINSA_10device_ptrIsEEEEPS6_PKS6_NS0_5tupleIJNSA_16discard_iteratorINSA_11use_defaultEEES6_EEENSJ_IJSG_SG_EEENS0_18inequality_wrapperINSA_8equal_toIsEEEEPmJS6_EEE10hipError_tPvRmT3_T4_T5_T6_T7_T9_mT8_P12ihipStream_tbDpT10_ENKUlT_T0_E_clISt17integral_constantIbLb1EES1D_EEDaS18_S19_EUlS18_E_NS1_11comp_targetILNS1_3genE3ELNS1_11target_archE908ELNS1_3gpuE7ELNS1_3repE0EEENS1_30default_config_static_selectorELNS0_4arch9wavefront6targetE1EEEvT1_
		.amdhsa_group_segment_fixed_size 0
		.amdhsa_private_segment_fixed_size 0
		.amdhsa_kernarg_size 136
		.amdhsa_user_sgpr_count 6
		.amdhsa_user_sgpr_private_segment_buffer 1
		.amdhsa_user_sgpr_dispatch_ptr 0
		.amdhsa_user_sgpr_queue_ptr 0
		.amdhsa_user_sgpr_kernarg_segment_ptr 1
		.amdhsa_user_sgpr_dispatch_id 0
		.amdhsa_user_sgpr_flat_scratch_init 0
		.amdhsa_user_sgpr_private_segment_size 0
		.amdhsa_uses_dynamic_stack 0
		.amdhsa_system_sgpr_private_segment_wavefront_offset 0
		.amdhsa_system_sgpr_workgroup_id_x 1
		.amdhsa_system_sgpr_workgroup_id_y 0
		.amdhsa_system_sgpr_workgroup_id_z 0
		.amdhsa_system_sgpr_workgroup_info 0
		.amdhsa_system_vgpr_workitem_id 0
		.amdhsa_next_free_vgpr 1
		.amdhsa_next_free_sgpr 0
		.amdhsa_reserve_vcc 0
		.amdhsa_reserve_flat_scratch 0
		.amdhsa_float_round_mode_32 0
		.amdhsa_float_round_mode_16_64 0
		.amdhsa_float_denorm_mode_32 3
		.amdhsa_float_denorm_mode_16_64 3
		.amdhsa_dx10_clamp 1
		.amdhsa_ieee_mode 1
		.amdhsa_fp16_overflow 0
		.amdhsa_exception_fp_ieee_invalid_op 0
		.amdhsa_exception_fp_denorm_src 0
		.amdhsa_exception_fp_ieee_div_zero 0
		.amdhsa_exception_fp_ieee_overflow 0
		.amdhsa_exception_fp_ieee_underflow 0
		.amdhsa_exception_fp_ieee_inexact 0
		.amdhsa_exception_int_div_zero 0
	.end_amdhsa_kernel
	.section	.text._ZN7rocprim17ROCPRIM_400000_NS6detail17trampoline_kernelINS0_14default_configENS1_25partition_config_selectorILNS1_17partition_subalgoE8EsNS0_10empty_typeEbEEZZNS1_14partition_implILS5_8ELb0ES3_jN6thrust23THRUST_200600_302600_NS6detail15normal_iteratorINSA_10device_ptrIsEEEEPS6_PKS6_NS0_5tupleIJNSA_16discard_iteratorINSA_11use_defaultEEES6_EEENSJ_IJSG_SG_EEENS0_18inequality_wrapperINSA_8equal_toIsEEEEPmJS6_EEE10hipError_tPvRmT3_T4_T5_T6_T7_T9_mT8_P12ihipStream_tbDpT10_ENKUlT_T0_E_clISt17integral_constantIbLb1EES1D_EEDaS18_S19_EUlS18_E_NS1_11comp_targetILNS1_3genE3ELNS1_11target_archE908ELNS1_3gpuE7ELNS1_3repE0EEENS1_30default_config_static_selectorELNS0_4arch9wavefront6targetE1EEEvT1_,"axG",@progbits,_ZN7rocprim17ROCPRIM_400000_NS6detail17trampoline_kernelINS0_14default_configENS1_25partition_config_selectorILNS1_17partition_subalgoE8EsNS0_10empty_typeEbEEZZNS1_14partition_implILS5_8ELb0ES3_jN6thrust23THRUST_200600_302600_NS6detail15normal_iteratorINSA_10device_ptrIsEEEEPS6_PKS6_NS0_5tupleIJNSA_16discard_iteratorINSA_11use_defaultEEES6_EEENSJ_IJSG_SG_EEENS0_18inequality_wrapperINSA_8equal_toIsEEEEPmJS6_EEE10hipError_tPvRmT3_T4_T5_T6_T7_T9_mT8_P12ihipStream_tbDpT10_ENKUlT_T0_E_clISt17integral_constantIbLb1EES1D_EEDaS18_S19_EUlS18_E_NS1_11comp_targetILNS1_3genE3ELNS1_11target_archE908ELNS1_3gpuE7ELNS1_3repE0EEENS1_30default_config_static_selectorELNS0_4arch9wavefront6targetE1EEEvT1_,comdat
.Lfunc_end704:
	.size	_ZN7rocprim17ROCPRIM_400000_NS6detail17trampoline_kernelINS0_14default_configENS1_25partition_config_selectorILNS1_17partition_subalgoE8EsNS0_10empty_typeEbEEZZNS1_14partition_implILS5_8ELb0ES3_jN6thrust23THRUST_200600_302600_NS6detail15normal_iteratorINSA_10device_ptrIsEEEEPS6_PKS6_NS0_5tupleIJNSA_16discard_iteratorINSA_11use_defaultEEES6_EEENSJ_IJSG_SG_EEENS0_18inequality_wrapperINSA_8equal_toIsEEEEPmJS6_EEE10hipError_tPvRmT3_T4_T5_T6_T7_T9_mT8_P12ihipStream_tbDpT10_ENKUlT_T0_E_clISt17integral_constantIbLb1EES1D_EEDaS18_S19_EUlS18_E_NS1_11comp_targetILNS1_3genE3ELNS1_11target_archE908ELNS1_3gpuE7ELNS1_3repE0EEENS1_30default_config_static_selectorELNS0_4arch9wavefront6targetE1EEEvT1_, .Lfunc_end704-_ZN7rocprim17ROCPRIM_400000_NS6detail17trampoline_kernelINS0_14default_configENS1_25partition_config_selectorILNS1_17partition_subalgoE8EsNS0_10empty_typeEbEEZZNS1_14partition_implILS5_8ELb0ES3_jN6thrust23THRUST_200600_302600_NS6detail15normal_iteratorINSA_10device_ptrIsEEEEPS6_PKS6_NS0_5tupleIJNSA_16discard_iteratorINSA_11use_defaultEEES6_EEENSJ_IJSG_SG_EEENS0_18inequality_wrapperINSA_8equal_toIsEEEEPmJS6_EEE10hipError_tPvRmT3_T4_T5_T6_T7_T9_mT8_P12ihipStream_tbDpT10_ENKUlT_T0_E_clISt17integral_constantIbLb1EES1D_EEDaS18_S19_EUlS18_E_NS1_11comp_targetILNS1_3genE3ELNS1_11target_archE908ELNS1_3gpuE7ELNS1_3repE0EEENS1_30default_config_static_selectorELNS0_4arch9wavefront6targetE1EEEvT1_
                                        ; -- End function
	.set _ZN7rocprim17ROCPRIM_400000_NS6detail17trampoline_kernelINS0_14default_configENS1_25partition_config_selectorILNS1_17partition_subalgoE8EsNS0_10empty_typeEbEEZZNS1_14partition_implILS5_8ELb0ES3_jN6thrust23THRUST_200600_302600_NS6detail15normal_iteratorINSA_10device_ptrIsEEEEPS6_PKS6_NS0_5tupleIJNSA_16discard_iteratorINSA_11use_defaultEEES6_EEENSJ_IJSG_SG_EEENS0_18inequality_wrapperINSA_8equal_toIsEEEEPmJS6_EEE10hipError_tPvRmT3_T4_T5_T6_T7_T9_mT8_P12ihipStream_tbDpT10_ENKUlT_T0_E_clISt17integral_constantIbLb1EES1D_EEDaS18_S19_EUlS18_E_NS1_11comp_targetILNS1_3genE3ELNS1_11target_archE908ELNS1_3gpuE7ELNS1_3repE0EEENS1_30default_config_static_selectorELNS0_4arch9wavefront6targetE1EEEvT1_.num_vgpr, 0
	.set _ZN7rocprim17ROCPRIM_400000_NS6detail17trampoline_kernelINS0_14default_configENS1_25partition_config_selectorILNS1_17partition_subalgoE8EsNS0_10empty_typeEbEEZZNS1_14partition_implILS5_8ELb0ES3_jN6thrust23THRUST_200600_302600_NS6detail15normal_iteratorINSA_10device_ptrIsEEEEPS6_PKS6_NS0_5tupleIJNSA_16discard_iteratorINSA_11use_defaultEEES6_EEENSJ_IJSG_SG_EEENS0_18inequality_wrapperINSA_8equal_toIsEEEEPmJS6_EEE10hipError_tPvRmT3_T4_T5_T6_T7_T9_mT8_P12ihipStream_tbDpT10_ENKUlT_T0_E_clISt17integral_constantIbLb1EES1D_EEDaS18_S19_EUlS18_E_NS1_11comp_targetILNS1_3genE3ELNS1_11target_archE908ELNS1_3gpuE7ELNS1_3repE0EEENS1_30default_config_static_selectorELNS0_4arch9wavefront6targetE1EEEvT1_.num_agpr, 0
	.set _ZN7rocprim17ROCPRIM_400000_NS6detail17trampoline_kernelINS0_14default_configENS1_25partition_config_selectorILNS1_17partition_subalgoE8EsNS0_10empty_typeEbEEZZNS1_14partition_implILS5_8ELb0ES3_jN6thrust23THRUST_200600_302600_NS6detail15normal_iteratorINSA_10device_ptrIsEEEEPS6_PKS6_NS0_5tupleIJNSA_16discard_iteratorINSA_11use_defaultEEES6_EEENSJ_IJSG_SG_EEENS0_18inequality_wrapperINSA_8equal_toIsEEEEPmJS6_EEE10hipError_tPvRmT3_T4_T5_T6_T7_T9_mT8_P12ihipStream_tbDpT10_ENKUlT_T0_E_clISt17integral_constantIbLb1EES1D_EEDaS18_S19_EUlS18_E_NS1_11comp_targetILNS1_3genE3ELNS1_11target_archE908ELNS1_3gpuE7ELNS1_3repE0EEENS1_30default_config_static_selectorELNS0_4arch9wavefront6targetE1EEEvT1_.numbered_sgpr, 0
	.set _ZN7rocprim17ROCPRIM_400000_NS6detail17trampoline_kernelINS0_14default_configENS1_25partition_config_selectorILNS1_17partition_subalgoE8EsNS0_10empty_typeEbEEZZNS1_14partition_implILS5_8ELb0ES3_jN6thrust23THRUST_200600_302600_NS6detail15normal_iteratorINSA_10device_ptrIsEEEEPS6_PKS6_NS0_5tupleIJNSA_16discard_iteratorINSA_11use_defaultEEES6_EEENSJ_IJSG_SG_EEENS0_18inequality_wrapperINSA_8equal_toIsEEEEPmJS6_EEE10hipError_tPvRmT3_T4_T5_T6_T7_T9_mT8_P12ihipStream_tbDpT10_ENKUlT_T0_E_clISt17integral_constantIbLb1EES1D_EEDaS18_S19_EUlS18_E_NS1_11comp_targetILNS1_3genE3ELNS1_11target_archE908ELNS1_3gpuE7ELNS1_3repE0EEENS1_30default_config_static_selectorELNS0_4arch9wavefront6targetE1EEEvT1_.num_named_barrier, 0
	.set _ZN7rocprim17ROCPRIM_400000_NS6detail17trampoline_kernelINS0_14default_configENS1_25partition_config_selectorILNS1_17partition_subalgoE8EsNS0_10empty_typeEbEEZZNS1_14partition_implILS5_8ELb0ES3_jN6thrust23THRUST_200600_302600_NS6detail15normal_iteratorINSA_10device_ptrIsEEEEPS6_PKS6_NS0_5tupleIJNSA_16discard_iteratorINSA_11use_defaultEEES6_EEENSJ_IJSG_SG_EEENS0_18inequality_wrapperINSA_8equal_toIsEEEEPmJS6_EEE10hipError_tPvRmT3_T4_T5_T6_T7_T9_mT8_P12ihipStream_tbDpT10_ENKUlT_T0_E_clISt17integral_constantIbLb1EES1D_EEDaS18_S19_EUlS18_E_NS1_11comp_targetILNS1_3genE3ELNS1_11target_archE908ELNS1_3gpuE7ELNS1_3repE0EEENS1_30default_config_static_selectorELNS0_4arch9wavefront6targetE1EEEvT1_.private_seg_size, 0
	.set _ZN7rocprim17ROCPRIM_400000_NS6detail17trampoline_kernelINS0_14default_configENS1_25partition_config_selectorILNS1_17partition_subalgoE8EsNS0_10empty_typeEbEEZZNS1_14partition_implILS5_8ELb0ES3_jN6thrust23THRUST_200600_302600_NS6detail15normal_iteratorINSA_10device_ptrIsEEEEPS6_PKS6_NS0_5tupleIJNSA_16discard_iteratorINSA_11use_defaultEEES6_EEENSJ_IJSG_SG_EEENS0_18inequality_wrapperINSA_8equal_toIsEEEEPmJS6_EEE10hipError_tPvRmT3_T4_T5_T6_T7_T9_mT8_P12ihipStream_tbDpT10_ENKUlT_T0_E_clISt17integral_constantIbLb1EES1D_EEDaS18_S19_EUlS18_E_NS1_11comp_targetILNS1_3genE3ELNS1_11target_archE908ELNS1_3gpuE7ELNS1_3repE0EEENS1_30default_config_static_selectorELNS0_4arch9wavefront6targetE1EEEvT1_.uses_vcc, 0
	.set _ZN7rocprim17ROCPRIM_400000_NS6detail17trampoline_kernelINS0_14default_configENS1_25partition_config_selectorILNS1_17partition_subalgoE8EsNS0_10empty_typeEbEEZZNS1_14partition_implILS5_8ELb0ES3_jN6thrust23THRUST_200600_302600_NS6detail15normal_iteratorINSA_10device_ptrIsEEEEPS6_PKS6_NS0_5tupleIJNSA_16discard_iteratorINSA_11use_defaultEEES6_EEENSJ_IJSG_SG_EEENS0_18inequality_wrapperINSA_8equal_toIsEEEEPmJS6_EEE10hipError_tPvRmT3_T4_T5_T6_T7_T9_mT8_P12ihipStream_tbDpT10_ENKUlT_T0_E_clISt17integral_constantIbLb1EES1D_EEDaS18_S19_EUlS18_E_NS1_11comp_targetILNS1_3genE3ELNS1_11target_archE908ELNS1_3gpuE7ELNS1_3repE0EEENS1_30default_config_static_selectorELNS0_4arch9wavefront6targetE1EEEvT1_.uses_flat_scratch, 0
	.set _ZN7rocprim17ROCPRIM_400000_NS6detail17trampoline_kernelINS0_14default_configENS1_25partition_config_selectorILNS1_17partition_subalgoE8EsNS0_10empty_typeEbEEZZNS1_14partition_implILS5_8ELb0ES3_jN6thrust23THRUST_200600_302600_NS6detail15normal_iteratorINSA_10device_ptrIsEEEEPS6_PKS6_NS0_5tupleIJNSA_16discard_iteratorINSA_11use_defaultEEES6_EEENSJ_IJSG_SG_EEENS0_18inequality_wrapperINSA_8equal_toIsEEEEPmJS6_EEE10hipError_tPvRmT3_T4_T5_T6_T7_T9_mT8_P12ihipStream_tbDpT10_ENKUlT_T0_E_clISt17integral_constantIbLb1EES1D_EEDaS18_S19_EUlS18_E_NS1_11comp_targetILNS1_3genE3ELNS1_11target_archE908ELNS1_3gpuE7ELNS1_3repE0EEENS1_30default_config_static_selectorELNS0_4arch9wavefront6targetE1EEEvT1_.has_dyn_sized_stack, 0
	.set _ZN7rocprim17ROCPRIM_400000_NS6detail17trampoline_kernelINS0_14default_configENS1_25partition_config_selectorILNS1_17partition_subalgoE8EsNS0_10empty_typeEbEEZZNS1_14partition_implILS5_8ELb0ES3_jN6thrust23THRUST_200600_302600_NS6detail15normal_iteratorINSA_10device_ptrIsEEEEPS6_PKS6_NS0_5tupleIJNSA_16discard_iteratorINSA_11use_defaultEEES6_EEENSJ_IJSG_SG_EEENS0_18inequality_wrapperINSA_8equal_toIsEEEEPmJS6_EEE10hipError_tPvRmT3_T4_T5_T6_T7_T9_mT8_P12ihipStream_tbDpT10_ENKUlT_T0_E_clISt17integral_constantIbLb1EES1D_EEDaS18_S19_EUlS18_E_NS1_11comp_targetILNS1_3genE3ELNS1_11target_archE908ELNS1_3gpuE7ELNS1_3repE0EEENS1_30default_config_static_selectorELNS0_4arch9wavefront6targetE1EEEvT1_.has_recursion, 0
	.set _ZN7rocprim17ROCPRIM_400000_NS6detail17trampoline_kernelINS0_14default_configENS1_25partition_config_selectorILNS1_17partition_subalgoE8EsNS0_10empty_typeEbEEZZNS1_14partition_implILS5_8ELb0ES3_jN6thrust23THRUST_200600_302600_NS6detail15normal_iteratorINSA_10device_ptrIsEEEEPS6_PKS6_NS0_5tupleIJNSA_16discard_iteratorINSA_11use_defaultEEES6_EEENSJ_IJSG_SG_EEENS0_18inequality_wrapperINSA_8equal_toIsEEEEPmJS6_EEE10hipError_tPvRmT3_T4_T5_T6_T7_T9_mT8_P12ihipStream_tbDpT10_ENKUlT_T0_E_clISt17integral_constantIbLb1EES1D_EEDaS18_S19_EUlS18_E_NS1_11comp_targetILNS1_3genE3ELNS1_11target_archE908ELNS1_3gpuE7ELNS1_3repE0EEENS1_30default_config_static_selectorELNS0_4arch9wavefront6targetE1EEEvT1_.has_indirect_call, 0
	.section	.AMDGPU.csdata,"",@progbits
; Kernel info:
; codeLenInByte = 0
; TotalNumSgprs: 4
; NumVgprs: 0
; ScratchSize: 0
; MemoryBound: 0
; FloatMode: 240
; IeeeMode: 1
; LDSByteSize: 0 bytes/workgroup (compile time only)
; SGPRBlocks: 0
; VGPRBlocks: 0
; NumSGPRsForWavesPerEU: 4
; NumVGPRsForWavesPerEU: 1
; Occupancy: 10
; WaveLimiterHint : 0
; COMPUTE_PGM_RSRC2:SCRATCH_EN: 0
; COMPUTE_PGM_RSRC2:USER_SGPR: 6
; COMPUTE_PGM_RSRC2:TRAP_HANDLER: 0
; COMPUTE_PGM_RSRC2:TGID_X_EN: 1
; COMPUTE_PGM_RSRC2:TGID_Y_EN: 0
; COMPUTE_PGM_RSRC2:TGID_Z_EN: 0
; COMPUTE_PGM_RSRC2:TIDIG_COMP_CNT: 0
	.section	.text._ZN7rocprim17ROCPRIM_400000_NS6detail17trampoline_kernelINS0_14default_configENS1_25partition_config_selectorILNS1_17partition_subalgoE8EsNS0_10empty_typeEbEEZZNS1_14partition_implILS5_8ELb0ES3_jN6thrust23THRUST_200600_302600_NS6detail15normal_iteratorINSA_10device_ptrIsEEEEPS6_PKS6_NS0_5tupleIJNSA_16discard_iteratorINSA_11use_defaultEEES6_EEENSJ_IJSG_SG_EEENS0_18inequality_wrapperINSA_8equal_toIsEEEEPmJS6_EEE10hipError_tPvRmT3_T4_T5_T6_T7_T9_mT8_P12ihipStream_tbDpT10_ENKUlT_T0_E_clISt17integral_constantIbLb1EES1D_EEDaS18_S19_EUlS18_E_NS1_11comp_targetILNS1_3genE2ELNS1_11target_archE906ELNS1_3gpuE6ELNS1_3repE0EEENS1_30default_config_static_selectorELNS0_4arch9wavefront6targetE1EEEvT1_,"axG",@progbits,_ZN7rocprim17ROCPRIM_400000_NS6detail17trampoline_kernelINS0_14default_configENS1_25partition_config_selectorILNS1_17partition_subalgoE8EsNS0_10empty_typeEbEEZZNS1_14partition_implILS5_8ELb0ES3_jN6thrust23THRUST_200600_302600_NS6detail15normal_iteratorINSA_10device_ptrIsEEEEPS6_PKS6_NS0_5tupleIJNSA_16discard_iteratorINSA_11use_defaultEEES6_EEENSJ_IJSG_SG_EEENS0_18inequality_wrapperINSA_8equal_toIsEEEEPmJS6_EEE10hipError_tPvRmT3_T4_T5_T6_T7_T9_mT8_P12ihipStream_tbDpT10_ENKUlT_T0_E_clISt17integral_constantIbLb1EES1D_EEDaS18_S19_EUlS18_E_NS1_11comp_targetILNS1_3genE2ELNS1_11target_archE906ELNS1_3gpuE6ELNS1_3repE0EEENS1_30default_config_static_selectorELNS0_4arch9wavefront6targetE1EEEvT1_,comdat
	.protected	_ZN7rocprim17ROCPRIM_400000_NS6detail17trampoline_kernelINS0_14default_configENS1_25partition_config_selectorILNS1_17partition_subalgoE8EsNS0_10empty_typeEbEEZZNS1_14partition_implILS5_8ELb0ES3_jN6thrust23THRUST_200600_302600_NS6detail15normal_iteratorINSA_10device_ptrIsEEEEPS6_PKS6_NS0_5tupleIJNSA_16discard_iteratorINSA_11use_defaultEEES6_EEENSJ_IJSG_SG_EEENS0_18inequality_wrapperINSA_8equal_toIsEEEEPmJS6_EEE10hipError_tPvRmT3_T4_T5_T6_T7_T9_mT8_P12ihipStream_tbDpT10_ENKUlT_T0_E_clISt17integral_constantIbLb1EES1D_EEDaS18_S19_EUlS18_E_NS1_11comp_targetILNS1_3genE2ELNS1_11target_archE906ELNS1_3gpuE6ELNS1_3repE0EEENS1_30default_config_static_selectorELNS0_4arch9wavefront6targetE1EEEvT1_ ; -- Begin function _ZN7rocprim17ROCPRIM_400000_NS6detail17trampoline_kernelINS0_14default_configENS1_25partition_config_selectorILNS1_17partition_subalgoE8EsNS0_10empty_typeEbEEZZNS1_14partition_implILS5_8ELb0ES3_jN6thrust23THRUST_200600_302600_NS6detail15normal_iteratorINSA_10device_ptrIsEEEEPS6_PKS6_NS0_5tupleIJNSA_16discard_iteratorINSA_11use_defaultEEES6_EEENSJ_IJSG_SG_EEENS0_18inequality_wrapperINSA_8equal_toIsEEEEPmJS6_EEE10hipError_tPvRmT3_T4_T5_T6_T7_T9_mT8_P12ihipStream_tbDpT10_ENKUlT_T0_E_clISt17integral_constantIbLb1EES1D_EEDaS18_S19_EUlS18_E_NS1_11comp_targetILNS1_3genE2ELNS1_11target_archE906ELNS1_3gpuE6ELNS1_3repE0EEENS1_30default_config_static_selectorELNS0_4arch9wavefront6targetE1EEEvT1_
	.globl	_ZN7rocprim17ROCPRIM_400000_NS6detail17trampoline_kernelINS0_14default_configENS1_25partition_config_selectorILNS1_17partition_subalgoE8EsNS0_10empty_typeEbEEZZNS1_14partition_implILS5_8ELb0ES3_jN6thrust23THRUST_200600_302600_NS6detail15normal_iteratorINSA_10device_ptrIsEEEEPS6_PKS6_NS0_5tupleIJNSA_16discard_iteratorINSA_11use_defaultEEES6_EEENSJ_IJSG_SG_EEENS0_18inequality_wrapperINSA_8equal_toIsEEEEPmJS6_EEE10hipError_tPvRmT3_T4_T5_T6_T7_T9_mT8_P12ihipStream_tbDpT10_ENKUlT_T0_E_clISt17integral_constantIbLb1EES1D_EEDaS18_S19_EUlS18_E_NS1_11comp_targetILNS1_3genE2ELNS1_11target_archE906ELNS1_3gpuE6ELNS1_3repE0EEENS1_30default_config_static_selectorELNS0_4arch9wavefront6targetE1EEEvT1_
	.p2align	8
	.type	_ZN7rocprim17ROCPRIM_400000_NS6detail17trampoline_kernelINS0_14default_configENS1_25partition_config_selectorILNS1_17partition_subalgoE8EsNS0_10empty_typeEbEEZZNS1_14partition_implILS5_8ELb0ES3_jN6thrust23THRUST_200600_302600_NS6detail15normal_iteratorINSA_10device_ptrIsEEEEPS6_PKS6_NS0_5tupleIJNSA_16discard_iteratorINSA_11use_defaultEEES6_EEENSJ_IJSG_SG_EEENS0_18inequality_wrapperINSA_8equal_toIsEEEEPmJS6_EEE10hipError_tPvRmT3_T4_T5_T6_T7_T9_mT8_P12ihipStream_tbDpT10_ENKUlT_T0_E_clISt17integral_constantIbLb1EES1D_EEDaS18_S19_EUlS18_E_NS1_11comp_targetILNS1_3genE2ELNS1_11target_archE906ELNS1_3gpuE6ELNS1_3repE0EEENS1_30default_config_static_selectorELNS0_4arch9wavefront6targetE1EEEvT1_,@function
_ZN7rocprim17ROCPRIM_400000_NS6detail17trampoline_kernelINS0_14default_configENS1_25partition_config_selectorILNS1_17partition_subalgoE8EsNS0_10empty_typeEbEEZZNS1_14partition_implILS5_8ELb0ES3_jN6thrust23THRUST_200600_302600_NS6detail15normal_iteratorINSA_10device_ptrIsEEEEPS6_PKS6_NS0_5tupleIJNSA_16discard_iteratorINSA_11use_defaultEEES6_EEENSJ_IJSG_SG_EEENS0_18inequality_wrapperINSA_8equal_toIsEEEEPmJS6_EEE10hipError_tPvRmT3_T4_T5_T6_T7_T9_mT8_P12ihipStream_tbDpT10_ENKUlT_T0_E_clISt17integral_constantIbLb1EES1D_EEDaS18_S19_EUlS18_E_NS1_11comp_targetILNS1_3genE2ELNS1_11target_archE906ELNS1_3gpuE6ELNS1_3repE0EEENS1_30default_config_static_selectorELNS0_4arch9wavefront6targetE1EEEvT1_: ; @_ZN7rocprim17ROCPRIM_400000_NS6detail17trampoline_kernelINS0_14default_configENS1_25partition_config_selectorILNS1_17partition_subalgoE8EsNS0_10empty_typeEbEEZZNS1_14partition_implILS5_8ELb0ES3_jN6thrust23THRUST_200600_302600_NS6detail15normal_iteratorINSA_10device_ptrIsEEEEPS6_PKS6_NS0_5tupleIJNSA_16discard_iteratorINSA_11use_defaultEEES6_EEENSJ_IJSG_SG_EEENS0_18inequality_wrapperINSA_8equal_toIsEEEEPmJS6_EEE10hipError_tPvRmT3_T4_T5_T6_T7_T9_mT8_P12ihipStream_tbDpT10_ENKUlT_T0_E_clISt17integral_constantIbLb1EES1D_EEDaS18_S19_EUlS18_E_NS1_11comp_targetILNS1_3genE2ELNS1_11target_archE906ELNS1_3gpuE6ELNS1_3repE0EEENS1_30default_config_static_selectorELNS0_4arch9wavefront6targetE1EEEvT1_
; %bb.0:
	s_endpgm
	.section	.rodata,"a",@progbits
	.p2align	6, 0x0
	.amdhsa_kernel _ZN7rocprim17ROCPRIM_400000_NS6detail17trampoline_kernelINS0_14default_configENS1_25partition_config_selectorILNS1_17partition_subalgoE8EsNS0_10empty_typeEbEEZZNS1_14partition_implILS5_8ELb0ES3_jN6thrust23THRUST_200600_302600_NS6detail15normal_iteratorINSA_10device_ptrIsEEEEPS6_PKS6_NS0_5tupleIJNSA_16discard_iteratorINSA_11use_defaultEEES6_EEENSJ_IJSG_SG_EEENS0_18inequality_wrapperINSA_8equal_toIsEEEEPmJS6_EEE10hipError_tPvRmT3_T4_T5_T6_T7_T9_mT8_P12ihipStream_tbDpT10_ENKUlT_T0_E_clISt17integral_constantIbLb1EES1D_EEDaS18_S19_EUlS18_E_NS1_11comp_targetILNS1_3genE2ELNS1_11target_archE906ELNS1_3gpuE6ELNS1_3repE0EEENS1_30default_config_static_selectorELNS0_4arch9wavefront6targetE1EEEvT1_
		.amdhsa_group_segment_fixed_size 0
		.amdhsa_private_segment_fixed_size 0
		.amdhsa_kernarg_size 136
		.amdhsa_user_sgpr_count 6
		.amdhsa_user_sgpr_private_segment_buffer 1
		.amdhsa_user_sgpr_dispatch_ptr 0
		.amdhsa_user_sgpr_queue_ptr 0
		.amdhsa_user_sgpr_kernarg_segment_ptr 1
		.amdhsa_user_sgpr_dispatch_id 0
		.amdhsa_user_sgpr_flat_scratch_init 0
		.amdhsa_user_sgpr_private_segment_size 0
		.amdhsa_uses_dynamic_stack 0
		.amdhsa_system_sgpr_private_segment_wavefront_offset 0
		.amdhsa_system_sgpr_workgroup_id_x 1
		.amdhsa_system_sgpr_workgroup_id_y 0
		.amdhsa_system_sgpr_workgroup_id_z 0
		.amdhsa_system_sgpr_workgroup_info 0
		.amdhsa_system_vgpr_workitem_id 0
		.amdhsa_next_free_vgpr 1
		.amdhsa_next_free_sgpr 0
		.amdhsa_reserve_vcc 0
		.amdhsa_reserve_flat_scratch 0
		.amdhsa_float_round_mode_32 0
		.amdhsa_float_round_mode_16_64 0
		.amdhsa_float_denorm_mode_32 3
		.amdhsa_float_denorm_mode_16_64 3
		.amdhsa_dx10_clamp 1
		.amdhsa_ieee_mode 1
		.amdhsa_fp16_overflow 0
		.amdhsa_exception_fp_ieee_invalid_op 0
		.amdhsa_exception_fp_denorm_src 0
		.amdhsa_exception_fp_ieee_div_zero 0
		.amdhsa_exception_fp_ieee_overflow 0
		.amdhsa_exception_fp_ieee_underflow 0
		.amdhsa_exception_fp_ieee_inexact 0
		.amdhsa_exception_int_div_zero 0
	.end_amdhsa_kernel
	.section	.text._ZN7rocprim17ROCPRIM_400000_NS6detail17trampoline_kernelINS0_14default_configENS1_25partition_config_selectorILNS1_17partition_subalgoE8EsNS0_10empty_typeEbEEZZNS1_14partition_implILS5_8ELb0ES3_jN6thrust23THRUST_200600_302600_NS6detail15normal_iteratorINSA_10device_ptrIsEEEEPS6_PKS6_NS0_5tupleIJNSA_16discard_iteratorINSA_11use_defaultEEES6_EEENSJ_IJSG_SG_EEENS0_18inequality_wrapperINSA_8equal_toIsEEEEPmJS6_EEE10hipError_tPvRmT3_T4_T5_T6_T7_T9_mT8_P12ihipStream_tbDpT10_ENKUlT_T0_E_clISt17integral_constantIbLb1EES1D_EEDaS18_S19_EUlS18_E_NS1_11comp_targetILNS1_3genE2ELNS1_11target_archE906ELNS1_3gpuE6ELNS1_3repE0EEENS1_30default_config_static_selectorELNS0_4arch9wavefront6targetE1EEEvT1_,"axG",@progbits,_ZN7rocprim17ROCPRIM_400000_NS6detail17trampoline_kernelINS0_14default_configENS1_25partition_config_selectorILNS1_17partition_subalgoE8EsNS0_10empty_typeEbEEZZNS1_14partition_implILS5_8ELb0ES3_jN6thrust23THRUST_200600_302600_NS6detail15normal_iteratorINSA_10device_ptrIsEEEEPS6_PKS6_NS0_5tupleIJNSA_16discard_iteratorINSA_11use_defaultEEES6_EEENSJ_IJSG_SG_EEENS0_18inequality_wrapperINSA_8equal_toIsEEEEPmJS6_EEE10hipError_tPvRmT3_T4_T5_T6_T7_T9_mT8_P12ihipStream_tbDpT10_ENKUlT_T0_E_clISt17integral_constantIbLb1EES1D_EEDaS18_S19_EUlS18_E_NS1_11comp_targetILNS1_3genE2ELNS1_11target_archE906ELNS1_3gpuE6ELNS1_3repE0EEENS1_30default_config_static_selectorELNS0_4arch9wavefront6targetE1EEEvT1_,comdat
.Lfunc_end705:
	.size	_ZN7rocprim17ROCPRIM_400000_NS6detail17trampoline_kernelINS0_14default_configENS1_25partition_config_selectorILNS1_17partition_subalgoE8EsNS0_10empty_typeEbEEZZNS1_14partition_implILS5_8ELb0ES3_jN6thrust23THRUST_200600_302600_NS6detail15normal_iteratorINSA_10device_ptrIsEEEEPS6_PKS6_NS0_5tupleIJNSA_16discard_iteratorINSA_11use_defaultEEES6_EEENSJ_IJSG_SG_EEENS0_18inequality_wrapperINSA_8equal_toIsEEEEPmJS6_EEE10hipError_tPvRmT3_T4_T5_T6_T7_T9_mT8_P12ihipStream_tbDpT10_ENKUlT_T0_E_clISt17integral_constantIbLb1EES1D_EEDaS18_S19_EUlS18_E_NS1_11comp_targetILNS1_3genE2ELNS1_11target_archE906ELNS1_3gpuE6ELNS1_3repE0EEENS1_30default_config_static_selectorELNS0_4arch9wavefront6targetE1EEEvT1_, .Lfunc_end705-_ZN7rocprim17ROCPRIM_400000_NS6detail17trampoline_kernelINS0_14default_configENS1_25partition_config_selectorILNS1_17partition_subalgoE8EsNS0_10empty_typeEbEEZZNS1_14partition_implILS5_8ELb0ES3_jN6thrust23THRUST_200600_302600_NS6detail15normal_iteratorINSA_10device_ptrIsEEEEPS6_PKS6_NS0_5tupleIJNSA_16discard_iteratorINSA_11use_defaultEEES6_EEENSJ_IJSG_SG_EEENS0_18inequality_wrapperINSA_8equal_toIsEEEEPmJS6_EEE10hipError_tPvRmT3_T4_T5_T6_T7_T9_mT8_P12ihipStream_tbDpT10_ENKUlT_T0_E_clISt17integral_constantIbLb1EES1D_EEDaS18_S19_EUlS18_E_NS1_11comp_targetILNS1_3genE2ELNS1_11target_archE906ELNS1_3gpuE6ELNS1_3repE0EEENS1_30default_config_static_selectorELNS0_4arch9wavefront6targetE1EEEvT1_
                                        ; -- End function
	.set _ZN7rocprim17ROCPRIM_400000_NS6detail17trampoline_kernelINS0_14default_configENS1_25partition_config_selectorILNS1_17partition_subalgoE8EsNS0_10empty_typeEbEEZZNS1_14partition_implILS5_8ELb0ES3_jN6thrust23THRUST_200600_302600_NS6detail15normal_iteratorINSA_10device_ptrIsEEEEPS6_PKS6_NS0_5tupleIJNSA_16discard_iteratorINSA_11use_defaultEEES6_EEENSJ_IJSG_SG_EEENS0_18inequality_wrapperINSA_8equal_toIsEEEEPmJS6_EEE10hipError_tPvRmT3_T4_T5_T6_T7_T9_mT8_P12ihipStream_tbDpT10_ENKUlT_T0_E_clISt17integral_constantIbLb1EES1D_EEDaS18_S19_EUlS18_E_NS1_11comp_targetILNS1_3genE2ELNS1_11target_archE906ELNS1_3gpuE6ELNS1_3repE0EEENS1_30default_config_static_selectorELNS0_4arch9wavefront6targetE1EEEvT1_.num_vgpr, 0
	.set _ZN7rocprim17ROCPRIM_400000_NS6detail17trampoline_kernelINS0_14default_configENS1_25partition_config_selectorILNS1_17partition_subalgoE8EsNS0_10empty_typeEbEEZZNS1_14partition_implILS5_8ELb0ES3_jN6thrust23THRUST_200600_302600_NS6detail15normal_iteratorINSA_10device_ptrIsEEEEPS6_PKS6_NS0_5tupleIJNSA_16discard_iteratorINSA_11use_defaultEEES6_EEENSJ_IJSG_SG_EEENS0_18inequality_wrapperINSA_8equal_toIsEEEEPmJS6_EEE10hipError_tPvRmT3_T4_T5_T6_T7_T9_mT8_P12ihipStream_tbDpT10_ENKUlT_T0_E_clISt17integral_constantIbLb1EES1D_EEDaS18_S19_EUlS18_E_NS1_11comp_targetILNS1_3genE2ELNS1_11target_archE906ELNS1_3gpuE6ELNS1_3repE0EEENS1_30default_config_static_selectorELNS0_4arch9wavefront6targetE1EEEvT1_.num_agpr, 0
	.set _ZN7rocprim17ROCPRIM_400000_NS6detail17trampoline_kernelINS0_14default_configENS1_25partition_config_selectorILNS1_17partition_subalgoE8EsNS0_10empty_typeEbEEZZNS1_14partition_implILS5_8ELb0ES3_jN6thrust23THRUST_200600_302600_NS6detail15normal_iteratorINSA_10device_ptrIsEEEEPS6_PKS6_NS0_5tupleIJNSA_16discard_iteratorINSA_11use_defaultEEES6_EEENSJ_IJSG_SG_EEENS0_18inequality_wrapperINSA_8equal_toIsEEEEPmJS6_EEE10hipError_tPvRmT3_T4_T5_T6_T7_T9_mT8_P12ihipStream_tbDpT10_ENKUlT_T0_E_clISt17integral_constantIbLb1EES1D_EEDaS18_S19_EUlS18_E_NS1_11comp_targetILNS1_3genE2ELNS1_11target_archE906ELNS1_3gpuE6ELNS1_3repE0EEENS1_30default_config_static_selectorELNS0_4arch9wavefront6targetE1EEEvT1_.numbered_sgpr, 0
	.set _ZN7rocprim17ROCPRIM_400000_NS6detail17trampoline_kernelINS0_14default_configENS1_25partition_config_selectorILNS1_17partition_subalgoE8EsNS0_10empty_typeEbEEZZNS1_14partition_implILS5_8ELb0ES3_jN6thrust23THRUST_200600_302600_NS6detail15normal_iteratorINSA_10device_ptrIsEEEEPS6_PKS6_NS0_5tupleIJNSA_16discard_iteratorINSA_11use_defaultEEES6_EEENSJ_IJSG_SG_EEENS0_18inequality_wrapperINSA_8equal_toIsEEEEPmJS6_EEE10hipError_tPvRmT3_T4_T5_T6_T7_T9_mT8_P12ihipStream_tbDpT10_ENKUlT_T0_E_clISt17integral_constantIbLb1EES1D_EEDaS18_S19_EUlS18_E_NS1_11comp_targetILNS1_3genE2ELNS1_11target_archE906ELNS1_3gpuE6ELNS1_3repE0EEENS1_30default_config_static_selectorELNS0_4arch9wavefront6targetE1EEEvT1_.num_named_barrier, 0
	.set _ZN7rocprim17ROCPRIM_400000_NS6detail17trampoline_kernelINS0_14default_configENS1_25partition_config_selectorILNS1_17partition_subalgoE8EsNS0_10empty_typeEbEEZZNS1_14partition_implILS5_8ELb0ES3_jN6thrust23THRUST_200600_302600_NS6detail15normal_iteratorINSA_10device_ptrIsEEEEPS6_PKS6_NS0_5tupleIJNSA_16discard_iteratorINSA_11use_defaultEEES6_EEENSJ_IJSG_SG_EEENS0_18inequality_wrapperINSA_8equal_toIsEEEEPmJS6_EEE10hipError_tPvRmT3_T4_T5_T6_T7_T9_mT8_P12ihipStream_tbDpT10_ENKUlT_T0_E_clISt17integral_constantIbLb1EES1D_EEDaS18_S19_EUlS18_E_NS1_11comp_targetILNS1_3genE2ELNS1_11target_archE906ELNS1_3gpuE6ELNS1_3repE0EEENS1_30default_config_static_selectorELNS0_4arch9wavefront6targetE1EEEvT1_.private_seg_size, 0
	.set _ZN7rocprim17ROCPRIM_400000_NS6detail17trampoline_kernelINS0_14default_configENS1_25partition_config_selectorILNS1_17partition_subalgoE8EsNS0_10empty_typeEbEEZZNS1_14partition_implILS5_8ELb0ES3_jN6thrust23THRUST_200600_302600_NS6detail15normal_iteratorINSA_10device_ptrIsEEEEPS6_PKS6_NS0_5tupleIJNSA_16discard_iteratorINSA_11use_defaultEEES6_EEENSJ_IJSG_SG_EEENS0_18inequality_wrapperINSA_8equal_toIsEEEEPmJS6_EEE10hipError_tPvRmT3_T4_T5_T6_T7_T9_mT8_P12ihipStream_tbDpT10_ENKUlT_T0_E_clISt17integral_constantIbLb1EES1D_EEDaS18_S19_EUlS18_E_NS1_11comp_targetILNS1_3genE2ELNS1_11target_archE906ELNS1_3gpuE6ELNS1_3repE0EEENS1_30default_config_static_selectorELNS0_4arch9wavefront6targetE1EEEvT1_.uses_vcc, 0
	.set _ZN7rocprim17ROCPRIM_400000_NS6detail17trampoline_kernelINS0_14default_configENS1_25partition_config_selectorILNS1_17partition_subalgoE8EsNS0_10empty_typeEbEEZZNS1_14partition_implILS5_8ELb0ES3_jN6thrust23THRUST_200600_302600_NS6detail15normal_iteratorINSA_10device_ptrIsEEEEPS6_PKS6_NS0_5tupleIJNSA_16discard_iteratorINSA_11use_defaultEEES6_EEENSJ_IJSG_SG_EEENS0_18inequality_wrapperINSA_8equal_toIsEEEEPmJS6_EEE10hipError_tPvRmT3_T4_T5_T6_T7_T9_mT8_P12ihipStream_tbDpT10_ENKUlT_T0_E_clISt17integral_constantIbLb1EES1D_EEDaS18_S19_EUlS18_E_NS1_11comp_targetILNS1_3genE2ELNS1_11target_archE906ELNS1_3gpuE6ELNS1_3repE0EEENS1_30default_config_static_selectorELNS0_4arch9wavefront6targetE1EEEvT1_.uses_flat_scratch, 0
	.set _ZN7rocprim17ROCPRIM_400000_NS6detail17trampoline_kernelINS0_14default_configENS1_25partition_config_selectorILNS1_17partition_subalgoE8EsNS0_10empty_typeEbEEZZNS1_14partition_implILS5_8ELb0ES3_jN6thrust23THRUST_200600_302600_NS6detail15normal_iteratorINSA_10device_ptrIsEEEEPS6_PKS6_NS0_5tupleIJNSA_16discard_iteratorINSA_11use_defaultEEES6_EEENSJ_IJSG_SG_EEENS0_18inequality_wrapperINSA_8equal_toIsEEEEPmJS6_EEE10hipError_tPvRmT3_T4_T5_T6_T7_T9_mT8_P12ihipStream_tbDpT10_ENKUlT_T0_E_clISt17integral_constantIbLb1EES1D_EEDaS18_S19_EUlS18_E_NS1_11comp_targetILNS1_3genE2ELNS1_11target_archE906ELNS1_3gpuE6ELNS1_3repE0EEENS1_30default_config_static_selectorELNS0_4arch9wavefront6targetE1EEEvT1_.has_dyn_sized_stack, 0
	.set _ZN7rocprim17ROCPRIM_400000_NS6detail17trampoline_kernelINS0_14default_configENS1_25partition_config_selectorILNS1_17partition_subalgoE8EsNS0_10empty_typeEbEEZZNS1_14partition_implILS5_8ELb0ES3_jN6thrust23THRUST_200600_302600_NS6detail15normal_iteratorINSA_10device_ptrIsEEEEPS6_PKS6_NS0_5tupleIJNSA_16discard_iteratorINSA_11use_defaultEEES6_EEENSJ_IJSG_SG_EEENS0_18inequality_wrapperINSA_8equal_toIsEEEEPmJS6_EEE10hipError_tPvRmT3_T4_T5_T6_T7_T9_mT8_P12ihipStream_tbDpT10_ENKUlT_T0_E_clISt17integral_constantIbLb1EES1D_EEDaS18_S19_EUlS18_E_NS1_11comp_targetILNS1_3genE2ELNS1_11target_archE906ELNS1_3gpuE6ELNS1_3repE0EEENS1_30default_config_static_selectorELNS0_4arch9wavefront6targetE1EEEvT1_.has_recursion, 0
	.set _ZN7rocprim17ROCPRIM_400000_NS6detail17trampoline_kernelINS0_14default_configENS1_25partition_config_selectorILNS1_17partition_subalgoE8EsNS0_10empty_typeEbEEZZNS1_14partition_implILS5_8ELb0ES3_jN6thrust23THRUST_200600_302600_NS6detail15normal_iteratorINSA_10device_ptrIsEEEEPS6_PKS6_NS0_5tupleIJNSA_16discard_iteratorINSA_11use_defaultEEES6_EEENSJ_IJSG_SG_EEENS0_18inequality_wrapperINSA_8equal_toIsEEEEPmJS6_EEE10hipError_tPvRmT3_T4_T5_T6_T7_T9_mT8_P12ihipStream_tbDpT10_ENKUlT_T0_E_clISt17integral_constantIbLb1EES1D_EEDaS18_S19_EUlS18_E_NS1_11comp_targetILNS1_3genE2ELNS1_11target_archE906ELNS1_3gpuE6ELNS1_3repE0EEENS1_30default_config_static_selectorELNS0_4arch9wavefront6targetE1EEEvT1_.has_indirect_call, 0
	.section	.AMDGPU.csdata,"",@progbits
; Kernel info:
; codeLenInByte = 4
; TotalNumSgprs: 4
; NumVgprs: 0
; ScratchSize: 0
; MemoryBound: 0
; FloatMode: 240
; IeeeMode: 1
; LDSByteSize: 0 bytes/workgroup (compile time only)
; SGPRBlocks: 0
; VGPRBlocks: 0
; NumSGPRsForWavesPerEU: 4
; NumVGPRsForWavesPerEU: 1
; Occupancy: 10
; WaveLimiterHint : 0
; COMPUTE_PGM_RSRC2:SCRATCH_EN: 0
; COMPUTE_PGM_RSRC2:USER_SGPR: 6
; COMPUTE_PGM_RSRC2:TRAP_HANDLER: 0
; COMPUTE_PGM_RSRC2:TGID_X_EN: 1
; COMPUTE_PGM_RSRC2:TGID_Y_EN: 0
; COMPUTE_PGM_RSRC2:TGID_Z_EN: 0
; COMPUTE_PGM_RSRC2:TIDIG_COMP_CNT: 0
	.section	.text._ZN7rocprim17ROCPRIM_400000_NS6detail17trampoline_kernelINS0_14default_configENS1_25partition_config_selectorILNS1_17partition_subalgoE8EsNS0_10empty_typeEbEEZZNS1_14partition_implILS5_8ELb0ES3_jN6thrust23THRUST_200600_302600_NS6detail15normal_iteratorINSA_10device_ptrIsEEEEPS6_PKS6_NS0_5tupleIJNSA_16discard_iteratorINSA_11use_defaultEEES6_EEENSJ_IJSG_SG_EEENS0_18inequality_wrapperINSA_8equal_toIsEEEEPmJS6_EEE10hipError_tPvRmT3_T4_T5_T6_T7_T9_mT8_P12ihipStream_tbDpT10_ENKUlT_T0_E_clISt17integral_constantIbLb1EES1D_EEDaS18_S19_EUlS18_E_NS1_11comp_targetILNS1_3genE10ELNS1_11target_archE1200ELNS1_3gpuE4ELNS1_3repE0EEENS1_30default_config_static_selectorELNS0_4arch9wavefront6targetE1EEEvT1_,"axG",@progbits,_ZN7rocprim17ROCPRIM_400000_NS6detail17trampoline_kernelINS0_14default_configENS1_25partition_config_selectorILNS1_17partition_subalgoE8EsNS0_10empty_typeEbEEZZNS1_14partition_implILS5_8ELb0ES3_jN6thrust23THRUST_200600_302600_NS6detail15normal_iteratorINSA_10device_ptrIsEEEEPS6_PKS6_NS0_5tupleIJNSA_16discard_iteratorINSA_11use_defaultEEES6_EEENSJ_IJSG_SG_EEENS0_18inequality_wrapperINSA_8equal_toIsEEEEPmJS6_EEE10hipError_tPvRmT3_T4_T5_T6_T7_T9_mT8_P12ihipStream_tbDpT10_ENKUlT_T0_E_clISt17integral_constantIbLb1EES1D_EEDaS18_S19_EUlS18_E_NS1_11comp_targetILNS1_3genE10ELNS1_11target_archE1200ELNS1_3gpuE4ELNS1_3repE0EEENS1_30default_config_static_selectorELNS0_4arch9wavefront6targetE1EEEvT1_,comdat
	.protected	_ZN7rocprim17ROCPRIM_400000_NS6detail17trampoline_kernelINS0_14default_configENS1_25partition_config_selectorILNS1_17partition_subalgoE8EsNS0_10empty_typeEbEEZZNS1_14partition_implILS5_8ELb0ES3_jN6thrust23THRUST_200600_302600_NS6detail15normal_iteratorINSA_10device_ptrIsEEEEPS6_PKS6_NS0_5tupleIJNSA_16discard_iteratorINSA_11use_defaultEEES6_EEENSJ_IJSG_SG_EEENS0_18inequality_wrapperINSA_8equal_toIsEEEEPmJS6_EEE10hipError_tPvRmT3_T4_T5_T6_T7_T9_mT8_P12ihipStream_tbDpT10_ENKUlT_T0_E_clISt17integral_constantIbLb1EES1D_EEDaS18_S19_EUlS18_E_NS1_11comp_targetILNS1_3genE10ELNS1_11target_archE1200ELNS1_3gpuE4ELNS1_3repE0EEENS1_30default_config_static_selectorELNS0_4arch9wavefront6targetE1EEEvT1_ ; -- Begin function _ZN7rocprim17ROCPRIM_400000_NS6detail17trampoline_kernelINS0_14default_configENS1_25partition_config_selectorILNS1_17partition_subalgoE8EsNS0_10empty_typeEbEEZZNS1_14partition_implILS5_8ELb0ES3_jN6thrust23THRUST_200600_302600_NS6detail15normal_iteratorINSA_10device_ptrIsEEEEPS6_PKS6_NS0_5tupleIJNSA_16discard_iteratorINSA_11use_defaultEEES6_EEENSJ_IJSG_SG_EEENS0_18inequality_wrapperINSA_8equal_toIsEEEEPmJS6_EEE10hipError_tPvRmT3_T4_T5_T6_T7_T9_mT8_P12ihipStream_tbDpT10_ENKUlT_T0_E_clISt17integral_constantIbLb1EES1D_EEDaS18_S19_EUlS18_E_NS1_11comp_targetILNS1_3genE10ELNS1_11target_archE1200ELNS1_3gpuE4ELNS1_3repE0EEENS1_30default_config_static_selectorELNS0_4arch9wavefront6targetE1EEEvT1_
	.globl	_ZN7rocprim17ROCPRIM_400000_NS6detail17trampoline_kernelINS0_14default_configENS1_25partition_config_selectorILNS1_17partition_subalgoE8EsNS0_10empty_typeEbEEZZNS1_14partition_implILS5_8ELb0ES3_jN6thrust23THRUST_200600_302600_NS6detail15normal_iteratorINSA_10device_ptrIsEEEEPS6_PKS6_NS0_5tupleIJNSA_16discard_iteratorINSA_11use_defaultEEES6_EEENSJ_IJSG_SG_EEENS0_18inequality_wrapperINSA_8equal_toIsEEEEPmJS6_EEE10hipError_tPvRmT3_T4_T5_T6_T7_T9_mT8_P12ihipStream_tbDpT10_ENKUlT_T0_E_clISt17integral_constantIbLb1EES1D_EEDaS18_S19_EUlS18_E_NS1_11comp_targetILNS1_3genE10ELNS1_11target_archE1200ELNS1_3gpuE4ELNS1_3repE0EEENS1_30default_config_static_selectorELNS0_4arch9wavefront6targetE1EEEvT1_
	.p2align	8
	.type	_ZN7rocprim17ROCPRIM_400000_NS6detail17trampoline_kernelINS0_14default_configENS1_25partition_config_selectorILNS1_17partition_subalgoE8EsNS0_10empty_typeEbEEZZNS1_14partition_implILS5_8ELb0ES3_jN6thrust23THRUST_200600_302600_NS6detail15normal_iteratorINSA_10device_ptrIsEEEEPS6_PKS6_NS0_5tupleIJNSA_16discard_iteratorINSA_11use_defaultEEES6_EEENSJ_IJSG_SG_EEENS0_18inequality_wrapperINSA_8equal_toIsEEEEPmJS6_EEE10hipError_tPvRmT3_T4_T5_T6_T7_T9_mT8_P12ihipStream_tbDpT10_ENKUlT_T0_E_clISt17integral_constantIbLb1EES1D_EEDaS18_S19_EUlS18_E_NS1_11comp_targetILNS1_3genE10ELNS1_11target_archE1200ELNS1_3gpuE4ELNS1_3repE0EEENS1_30default_config_static_selectorELNS0_4arch9wavefront6targetE1EEEvT1_,@function
_ZN7rocprim17ROCPRIM_400000_NS6detail17trampoline_kernelINS0_14default_configENS1_25partition_config_selectorILNS1_17partition_subalgoE8EsNS0_10empty_typeEbEEZZNS1_14partition_implILS5_8ELb0ES3_jN6thrust23THRUST_200600_302600_NS6detail15normal_iteratorINSA_10device_ptrIsEEEEPS6_PKS6_NS0_5tupleIJNSA_16discard_iteratorINSA_11use_defaultEEES6_EEENSJ_IJSG_SG_EEENS0_18inequality_wrapperINSA_8equal_toIsEEEEPmJS6_EEE10hipError_tPvRmT3_T4_T5_T6_T7_T9_mT8_P12ihipStream_tbDpT10_ENKUlT_T0_E_clISt17integral_constantIbLb1EES1D_EEDaS18_S19_EUlS18_E_NS1_11comp_targetILNS1_3genE10ELNS1_11target_archE1200ELNS1_3gpuE4ELNS1_3repE0EEENS1_30default_config_static_selectorELNS0_4arch9wavefront6targetE1EEEvT1_: ; @_ZN7rocprim17ROCPRIM_400000_NS6detail17trampoline_kernelINS0_14default_configENS1_25partition_config_selectorILNS1_17partition_subalgoE8EsNS0_10empty_typeEbEEZZNS1_14partition_implILS5_8ELb0ES3_jN6thrust23THRUST_200600_302600_NS6detail15normal_iteratorINSA_10device_ptrIsEEEEPS6_PKS6_NS0_5tupleIJNSA_16discard_iteratorINSA_11use_defaultEEES6_EEENSJ_IJSG_SG_EEENS0_18inequality_wrapperINSA_8equal_toIsEEEEPmJS6_EEE10hipError_tPvRmT3_T4_T5_T6_T7_T9_mT8_P12ihipStream_tbDpT10_ENKUlT_T0_E_clISt17integral_constantIbLb1EES1D_EEDaS18_S19_EUlS18_E_NS1_11comp_targetILNS1_3genE10ELNS1_11target_archE1200ELNS1_3gpuE4ELNS1_3repE0EEENS1_30default_config_static_selectorELNS0_4arch9wavefront6targetE1EEEvT1_
; %bb.0:
	.section	.rodata,"a",@progbits
	.p2align	6, 0x0
	.amdhsa_kernel _ZN7rocprim17ROCPRIM_400000_NS6detail17trampoline_kernelINS0_14default_configENS1_25partition_config_selectorILNS1_17partition_subalgoE8EsNS0_10empty_typeEbEEZZNS1_14partition_implILS5_8ELb0ES3_jN6thrust23THRUST_200600_302600_NS6detail15normal_iteratorINSA_10device_ptrIsEEEEPS6_PKS6_NS0_5tupleIJNSA_16discard_iteratorINSA_11use_defaultEEES6_EEENSJ_IJSG_SG_EEENS0_18inequality_wrapperINSA_8equal_toIsEEEEPmJS6_EEE10hipError_tPvRmT3_T4_T5_T6_T7_T9_mT8_P12ihipStream_tbDpT10_ENKUlT_T0_E_clISt17integral_constantIbLb1EES1D_EEDaS18_S19_EUlS18_E_NS1_11comp_targetILNS1_3genE10ELNS1_11target_archE1200ELNS1_3gpuE4ELNS1_3repE0EEENS1_30default_config_static_selectorELNS0_4arch9wavefront6targetE1EEEvT1_
		.amdhsa_group_segment_fixed_size 0
		.amdhsa_private_segment_fixed_size 0
		.amdhsa_kernarg_size 136
		.amdhsa_user_sgpr_count 6
		.amdhsa_user_sgpr_private_segment_buffer 1
		.amdhsa_user_sgpr_dispatch_ptr 0
		.amdhsa_user_sgpr_queue_ptr 0
		.amdhsa_user_sgpr_kernarg_segment_ptr 1
		.amdhsa_user_sgpr_dispatch_id 0
		.amdhsa_user_sgpr_flat_scratch_init 0
		.amdhsa_user_sgpr_private_segment_size 0
		.amdhsa_uses_dynamic_stack 0
		.amdhsa_system_sgpr_private_segment_wavefront_offset 0
		.amdhsa_system_sgpr_workgroup_id_x 1
		.amdhsa_system_sgpr_workgroup_id_y 0
		.amdhsa_system_sgpr_workgroup_id_z 0
		.amdhsa_system_sgpr_workgroup_info 0
		.amdhsa_system_vgpr_workitem_id 0
		.amdhsa_next_free_vgpr 1
		.amdhsa_next_free_sgpr 0
		.amdhsa_reserve_vcc 0
		.amdhsa_reserve_flat_scratch 0
		.amdhsa_float_round_mode_32 0
		.amdhsa_float_round_mode_16_64 0
		.amdhsa_float_denorm_mode_32 3
		.amdhsa_float_denorm_mode_16_64 3
		.amdhsa_dx10_clamp 1
		.amdhsa_ieee_mode 1
		.amdhsa_fp16_overflow 0
		.amdhsa_exception_fp_ieee_invalid_op 0
		.amdhsa_exception_fp_denorm_src 0
		.amdhsa_exception_fp_ieee_div_zero 0
		.amdhsa_exception_fp_ieee_overflow 0
		.amdhsa_exception_fp_ieee_underflow 0
		.amdhsa_exception_fp_ieee_inexact 0
		.amdhsa_exception_int_div_zero 0
	.end_amdhsa_kernel
	.section	.text._ZN7rocprim17ROCPRIM_400000_NS6detail17trampoline_kernelINS0_14default_configENS1_25partition_config_selectorILNS1_17partition_subalgoE8EsNS0_10empty_typeEbEEZZNS1_14partition_implILS5_8ELb0ES3_jN6thrust23THRUST_200600_302600_NS6detail15normal_iteratorINSA_10device_ptrIsEEEEPS6_PKS6_NS0_5tupleIJNSA_16discard_iteratorINSA_11use_defaultEEES6_EEENSJ_IJSG_SG_EEENS0_18inequality_wrapperINSA_8equal_toIsEEEEPmJS6_EEE10hipError_tPvRmT3_T4_T5_T6_T7_T9_mT8_P12ihipStream_tbDpT10_ENKUlT_T0_E_clISt17integral_constantIbLb1EES1D_EEDaS18_S19_EUlS18_E_NS1_11comp_targetILNS1_3genE10ELNS1_11target_archE1200ELNS1_3gpuE4ELNS1_3repE0EEENS1_30default_config_static_selectorELNS0_4arch9wavefront6targetE1EEEvT1_,"axG",@progbits,_ZN7rocprim17ROCPRIM_400000_NS6detail17trampoline_kernelINS0_14default_configENS1_25partition_config_selectorILNS1_17partition_subalgoE8EsNS0_10empty_typeEbEEZZNS1_14partition_implILS5_8ELb0ES3_jN6thrust23THRUST_200600_302600_NS6detail15normal_iteratorINSA_10device_ptrIsEEEEPS6_PKS6_NS0_5tupleIJNSA_16discard_iteratorINSA_11use_defaultEEES6_EEENSJ_IJSG_SG_EEENS0_18inequality_wrapperINSA_8equal_toIsEEEEPmJS6_EEE10hipError_tPvRmT3_T4_T5_T6_T7_T9_mT8_P12ihipStream_tbDpT10_ENKUlT_T0_E_clISt17integral_constantIbLb1EES1D_EEDaS18_S19_EUlS18_E_NS1_11comp_targetILNS1_3genE10ELNS1_11target_archE1200ELNS1_3gpuE4ELNS1_3repE0EEENS1_30default_config_static_selectorELNS0_4arch9wavefront6targetE1EEEvT1_,comdat
.Lfunc_end706:
	.size	_ZN7rocprim17ROCPRIM_400000_NS6detail17trampoline_kernelINS0_14default_configENS1_25partition_config_selectorILNS1_17partition_subalgoE8EsNS0_10empty_typeEbEEZZNS1_14partition_implILS5_8ELb0ES3_jN6thrust23THRUST_200600_302600_NS6detail15normal_iteratorINSA_10device_ptrIsEEEEPS6_PKS6_NS0_5tupleIJNSA_16discard_iteratorINSA_11use_defaultEEES6_EEENSJ_IJSG_SG_EEENS0_18inequality_wrapperINSA_8equal_toIsEEEEPmJS6_EEE10hipError_tPvRmT3_T4_T5_T6_T7_T9_mT8_P12ihipStream_tbDpT10_ENKUlT_T0_E_clISt17integral_constantIbLb1EES1D_EEDaS18_S19_EUlS18_E_NS1_11comp_targetILNS1_3genE10ELNS1_11target_archE1200ELNS1_3gpuE4ELNS1_3repE0EEENS1_30default_config_static_selectorELNS0_4arch9wavefront6targetE1EEEvT1_, .Lfunc_end706-_ZN7rocprim17ROCPRIM_400000_NS6detail17trampoline_kernelINS0_14default_configENS1_25partition_config_selectorILNS1_17partition_subalgoE8EsNS0_10empty_typeEbEEZZNS1_14partition_implILS5_8ELb0ES3_jN6thrust23THRUST_200600_302600_NS6detail15normal_iteratorINSA_10device_ptrIsEEEEPS6_PKS6_NS0_5tupleIJNSA_16discard_iteratorINSA_11use_defaultEEES6_EEENSJ_IJSG_SG_EEENS0_18inequality_wrapperINSA_8equal_toIsEEEEPmJS6_EEE10hipError_tPvRmT3_T4_T5_T6_T7_T9_mT8_P12ihipStream_tbDpT10_ENKUlT_T0_E_clISt17integral_constantIbLb1EES1D_EEDaS18_S19_EUlS18_E_NS1_11comp_targetILNS1_3genE10ELNS1_11target_archE1200ELNS1_3gpuE4ELNS1_3repE0EEENS1_30default_config_static_selectorELNS0_4arch9wavefront6targetE1EEEvT1_
                                        ; -- End function
	.set _ZN7rocprim17ROCPRIM_400000_NS6detail17trampoline_kernelINS0_14default_configENS1_25partition_config_selectorILNS1_17partition_subalgoE8EsNS0_10empty_typeEbEEZZNS1_14partition_implILS5_8ELb0ES3_jN6thrust23THRUST_200600_302600_NS6detail15normal_iteratorINSA_10device_ptrIsEEEEPS6_PKS6_NS0_5tupleIJNSA_16discard_iteratorINSA_11use_defaultEEES6_EEENSJ_IJSG_SG_EEENS0_18inequality_wrapperINSA_8equal_toIsEEEEPmJS6_EEE10hipError_tPvRmT3_T4_T5_T6_T7_T9_mT8_P12ihipStream_tbDpT10_ENKUlT_T0_E_clISt17integral_constantIbLb1EES1D_EEDaS18_S19_EUlS18_E_NS1_11comp_targetILNS1_3genE10ELNS1_11target_archE1200ELNS1_3gpuE4ELNS1_3repE0EEENS1_30default_config_static_selectorELNS0_4arch9wavefront6targetE1EEEvT1_.num_vgpr, 0
	.set _ZN7rocprim17ROCPRIM_400000_NS6detail17trampoline_kernelINS0_14default_configENS1_25partition_config_selectorILNS1_17partition_subalgoE8EsNS0_10empty_typeEbEEZZNS1_14partition_implILS5_8ELb0ES3_jN6thrust23THRUST_200600_302600_NS6detail15normal_iteratorINSA_10device_ptrIsEEEEPS6_PKS6_NS0_5tupleIJNSA_16discard_iteratorINSA_11use_defaultEEES6_EEENSJ_IJSG_SG_EEENS0_18inequality_wrapperINSA_8equal_toIsEEEEPmJS6_EEE10hipError_tPvRmT3_T4_T5_T6_T7_T9_mT8_P12ihipStream_tbDpT10_ENKUlT_T0_E_clISt17integral_constantIbLb1EES1D_EEDaS18_S19_EUlS18_E_NS1_11comp_targetILNS1_3genE10ELNS1_11target_archE1200ELNS1_3gpuE4ELNS1_3repE0EEENS1_30default_config_static_selectorELNS0_4arch9wavefront6targetE1EEEvT1_.num_agpr, 0
	.set _ZN7rocprim17ROCPRIM_400000_NS6detail17trampoline_kernelINS0_14default_configENS1_25partition_config_selectorILNS1_17partition_subalgoE8EsNS0_10empty_typeEbEEZZNS1_14partition_implILS5_8ELb0ES3_jN6thrust23THRUST_200600_302600_NS6detail15normal_iteratorINSA_10device_ptrIsEEEEPS6_PKS6_NS0_5tupleIJNSA_16discard_iteratorINSA_11use_defaultEEES6_EEENSJ_IJSG_SG_EEENS0_18inequality_wrapperINSA_8equal_toIsEEEEPmJS6_EEE10hipError_tPvRmT3_T4_T5_T6_T7_T9_mT8_P12ihipStream_tbDpT10_ENKUlT_T0_E_clISt17integral_constantIbLb1EES1D_EEDaS18_S19_EUlS18_E_NS1_11comp_targetILNS1_3genE10ELNS1_11target_archE1200ELNS1_3gpuE4ELNS1_3repE0EEENS1_30default_config_static_selectorELNS0_4arch9wavefront6targetE1EEEvT1_.numbered_sgpr, 0
	.set _ZN7rocprim17ROCPRIM_400000_NS6detail17trampoline_kernelINS0_14default_configENS1_25partition_config_selectorILNS1_17partition_subalgoE8EsNS0_10empty_typeEbEEZZNS1_14partition_implILS5_8ELb0ES3_jN6thrust23THRUST_200600_302600_NS6detail15normal_iteratorINSA_10device_ptrIsEEEEPS6_PKS6_NS0_5tupleIJNSA_16discard_iteratorINSA_11use_defaultEEES6_EEENSJ_IJSG_SG_EEENS0_18inequality_wrapperINSA_8equal_toIsEEEEPmJS6_EEE10hipError_tPvRmT3_T4_T5_T6_T7_T9_mT8_P12ihipStream_tbDpT10_ENKUlT_T0_E_clISt17integral_constantIbLb1EES1D_EEDaS18_S19_EUlS18_E_NS1_11comp_targetILNS1_3genE10ELNS1_11target_archE1200ELNS1_3gpuE4ELNS1_3repE0EEENS1_30default_config_static_selectorELNS0_4arch9wavefront6targetE1EEEvT1_.num_named_barrier, 0
	.set _ZN7rocprim17ROCPRIM_400000_NS6detail17trampoline_kernelINS0_14default_configENS1_25partition_config_selectorILNS1_17partition_subalgoE8EsNS0_10empty_typeEbEEZZNS1_14partition_implILS5_8ELb0ES3_jN6thrust23THRUST_200600_302600_NS6detail15normal_iteratorINSA_10device_ptrIsEEEEPS6_PKS6_NS0_5tupleIJNSA_16discard_iteratorINSA_11use_defaultEEES6_EEENSJ_IJSG_SG_EEENS0_18inequality_wrapperINSA_8equal_toIsEEEEPmJS6_EEE10hipError_tPvRmT3_T4_T5_T6_T7_T9_mT8_P12ihipStream_tbDpT10_ENKUlT_T0_E_clISt17integral_constantIbLb1EES1D_EEDaS18_S19_EUlS18_E_NS1_11comp_targetILNS1_3genE10ELNS1_11target_archE1200ELNS1_3gpuE4ELNS1_3repE0EEENS1_30default_config_static_selectorELNS0_4arch9wavefront6targetE1EEEvT1_.private_seg_size, 0
	.set _ZN7rocprim17ROCPRIM_400000_NS6detail17trampoline_kernelINS0_14default_configENS1_25partition_config_selectorILNS1_17partition_subalgoE8EsNS0_10empty_typeEbEEZZNS1_14partition_implILS5_8ELb0ES3_jN6thrust23THRUST_200600_302600_NS6detail15normal_iteratorINSA_10device_ptrIsEEEEPS6_PKS6_NS0_5tupleIJNSA_16discard_iteratorINSA_11use_defaultEEES6_EEENSJ_IJSG_SG_EEENS0_18inequality_wrapperINSA_8equal_toIsEEEEPmJS6_EEE10hipError_tPvRmT3_T4_T5_T6_T7_T9_mT8_P12ihipStream_tbDpT10_ENKUlT_T0_E_clISt17integral_constantIbLb1EES1D_EEDaS18_S19_EUlS18_E_NS1_11comp_targetILNS1_3genE10ELNS1_11target_archE1200ELNS1_3gpuE4ELNS1_3repE0EEENS1_30default_config_static_selectorELNS0_4arch9wavefront6targetE1EEEvT1_.uses_vcc, 0
	.set _ZN7rocprim17ROCPRIM_400000_NS6detail17trampoline_kernelINS0_14default_configENS1_25partition_config_selectorILNS1_17partition_subalgoE8EsNS0_10empty_typeEbEEZZNS1_14partition_implILS5_8ELb0ES3_jN6thrust23THRUST_200600_302600_NS6detail15normal_iteratorINSA_10device_ptrIsEEEEPS6_PKS6_NS0_5tupleIJNSA_16discard_iteratorINSA_11use_defaultEEES6_EEENSJ_IJSG_SG_EEENS0_18inequality_wrapperINSA_8equal_toIsEEEEPmJS6_EEE10hipError_tPvRmT3_T4_T5_T6_T7_T9_mT8_P12ihipStream_tbDpT10_ENKUlT_T0_E_clISt17integral_constantIbLb1EES1D_EEDaS18_S19_EUlS18_E_NS1_11comp_targetILNS1_3genE10ELNS1_11target_archE1200ELNS1_3gpuE4ELNS1_3repE0EEENS1_30default_config_static_selectorELNS0_4arch9wavefront6targetE1EEEvT1_.uses_flat_scratch, 0
	.set _ZN7rocprim17ROCPRIM_400000_NS6detail17trampoline_kernelINS0_14default_configENS1_25partition_config_selectorILNS1_17partition_subalgoE8EsNS0_10empty_typeEbEEZZNS1_14partition_implILS5_8ELb0ES3_jN6thrust23THRUST_200600_302600_NS6detail15normal_iteratorINSA_10device_ptrIsEEEEPS6_PKS6_NS0_5tupleIJNSA_16discard_iteratorINSA_11use_defaultEEES6_EEENSJ_IJSG_SG_EEENS0_18inequality_wrapperINSA_8equal_toIsEEEEPmJS6_EEE10hipError_tPvRmT3_T4_T5_T6_T7_T9_mT8_P12ihipStream_tbDpT10_ENKUlT_T0_E_clISt17integral_constantIbLb1EES1D_EEDaS18_S19_EUlS18_E_NS1_11comp_targetILNS1_3genE10ELNS1_11target_archE1200ELNS1_3gpuE4ELNS1_3repE0EEENS1_30default_config_static_selectorELNS0_4arch9wavefront6targetE1EEEvT1_.has_dyn_sized_stack, 0
	.set _ZN7rocprim17ROCPRIM_400000_NS6detail17trampoline_kernelINS0_14default_configENS1_25partition_config_selectorILNS1_17partition_subalgoE8EsNS0_10empty_typeEbEEZZNS1_14partition_implILS5_8ELb0ES3_jN6thrust23THRUST_200600_302600_NS6detail15normal_iteratorINSA_10device_ptrIsEEEEPS6_PKS6_NS0_5tupleIJNSA_16discard_iteratorINSA_11use_defaultEEES6_EEENSJ_IJSG_SG_EEENS0_18inequality_wrapperINSA_8equal_toIsEEEEPmJS6_EEE10hipError_tPvRmT3_T4_T5_T6_T7_T9_mT8_P12ihipStream_tbDpT10_ENKUlT_T0_E_clISt17integral_constantIbLb1EES1D_EEDaS18_S19_EUlS18_E_NS1_11comp_targetILNS1_3genE10ELNS1_11target_archE1200ELNS1_3gpuE4ELNS1_3repE0EEENS1_30default_config_static_selectorELNS0_4arch9wavefront6targetE1EEEvT1_.has_recursion, 0
	.set _ZN7rocprim17ROCPRIM_400000_NS6detail17trampoline_kernelINS0_14default_configENS1_25partition_config_selectorILNS1_17partition_subalgoE8EsNS0_10empty_typeEbEEZZNS1_14partition_implILS5_8ELb0ES3_jN6thrust23THRUST_200600_302600_NS6detail15normal_iteratorINSA_10device_ptrIsEEEEPS6_PKS6_NS0_5tupleIJNSA_16discard_iteratorINSA_11use_defaultEEES6_EEENSJ_IJSG_SG_EEENS0_18inequality_wrapperINSA_8equal_toIsEEEEPmJS6_EEE10hipError_tPvRmT3_T4_T5_T6_T7_T9_mT8_P12ihipStream_tbDpT10_ENKUlT_T0_E_clISt17integral_constantIbLb1EES1D_EEDaS18_S19_EUlS18_E_NS1_11comp_targetILNS1_3genE10ELNS1_11target_archE1200ELNS1_3gpuE4ELNS1_3repE0EEENS1_30default_config_static_selectorELNS0_4arch9wavefront6targetE1EEEvT1_.has_indirect_call, 0
	.section	.AMDGPU.csdata,"",@progbits
; Kernel info:
; codeLenInByte = 0
; TotalNumSgprs: 4
; NumVgprs: 0
; ScratchSize: 0
; MemoryBound: 0
; FloatMode: 240
; IeeeMode: 1
; LDSByteSize: 0 bytes/workgroup (compile time only)
; SGPRBlocks: 0
; VGPRBlocks: 0
; NumSGPRsForWavesPerEU: 4
; NumVGPRsForWavesPerEU: 1
; Occupancy: 10
; WaveLimiterHint : 0
; COMPUTE_PGM_RSRC2:SCRATCH_EN: 0
; COMPUTE_PGM_RSRC2:USER_SGPR: 6
; COMPUTE_PGM_RSRC2:TRAP_HANDLER: 0
; COMPUTE_PGM_RSRC2:TGID_X_EN: 1
; COMPUTE_PGM_RSRC2:TGID_Y_EN: 0
; COMPUTE_PGM_RSRC2:TGID_Z_EN: 0
; COMPUTE_PGM_RSRC2:TIDIG_COMP_CNT: 0
	.section	.text._ZN7rocprim17ROCPRIM_400000_NS6detail17trampoline_kernelINS0_14default_configENS1_25partition_config_selectorILNS1_17partition_subalgoE8EsNS0_10empty_typeEbEEZZNS1_14partition_implILS5_8ELb0ES3_jN6thrust23THRUST_200600_302600_NS6detail15normal_iteratorINSA_10device_ptrIsEEEEPS6_PKS6_NS0_5tupleIJNSA_16discard_iteratorINSA_11use_defaultEEES6_EEENSJ_IJSG_SG_EEENS0_18inequality_wrapperINSA_8equal_toIsEEEEPmJS6_EEE10hipError_tPvRmT3_T4_T5_T6_T7_T9_mT8_P12ihipStream_tbDpT10_ENKUlT_T0_E_clISt17integral_constantIbLb1EES1D_EEDaS18_S19_EUlS18_E_NS1_11comp_targetILNS1_3genE9ELNS1_11target_archE1100ELNS1_3gpuE3ELNS1_3repE0EEENS1_30default_config_static_selectorELNS0_4arch9wavefront6targetE1EEEvT1_,"axG",@progbits,_ZN7rocprim17ROCPRIM_400000_NS6detail17trampoline_kernelINS0_14default_configENS1_25partition_config_selectorILNS1_17partition_subalgoE8EsNS0_10empty_typeEbEEZZNS1_14partition_implILS5_8ELb0ES3_jN6thrust23THRUST_200600_302600_NS6detail15normal_iteratorINSA_10device_ptrIsEEEEPS6_PKS6_NS0_5tupleIJNSA_16discard_iteratorINSA_11use_defaultEEES6_EEENSJ_IJSG_SG_EEENS0_18inequality_wrapperINSA_8equal_toIsEEEEPmJS6_EEE10hipError_tPvRmT3_T4_T5_T6_T7_T9_mT8_P12ihipStream_tbDpT10_ENKUlT_T0_E_clISt17integral_constantIbLb1EES1D_EEDaS18_S19_EUlS18_E_NS1_11comp_targetILNS1_3genE9ELNS1_11target_archE1100ELNS1_3gpuE3ELNS1_3repE0EEENS1_30default_config_static_selectorELNS0_4arch9wavefront6targetE1EEEvT1_,comdat
	.protected	_ZN7rocprim17ROCPRIM_400000_NS6detail17trampoline_kernelINS0_14default_configENS1_25partition_config_selectorILNS1_17partition_subalgoE8EsNS0_10empty_typeEbEEZZNS1_14partition_implILS5_8ELb0ES3_jN6thrust23THRUST_200600_302600_NS6detail15normal_iteratorINSA_10device_ptrIsEEEEPS6_PKS6_NS0_5tupleIJNSA_16discard_iteratorINSA_11use_defaultEEES6_EEENSJ_IJSG_SG_EEENS0_18inequality_wrapperINSA_8equal_toIsEEEEPmJS6_EEE10hipError_tPvRmT3_T4_T5_T6_T7_T9_mT8_P12ihipStream_tbDpT10_ENKUlT_T0_E_clISt17integral_constantIbLb1EES1D_EEDaS18_S19_EUlS18_E_NS1_11comp_targetILNS1_3genE9ELNS1_11target_archE1100ELNS1_3gpuE3ELNS1_3repE0EEENS1_30default_config_static_selectorELNS0_4arch9wavefront6targetE1EEEvT1_ ; -- Begin function _ZN7rocprim17ROCPRIM_400000_NS6detail17trampoline_kernelINS0_14default_configENS1_25partition_config_selectorILNS1_17partition_subalgoE8EsNS0_10empty_typeEbEEZZNS1_14partition_implILS5_8ELb0ES3_jN6thrust23THRUST_200600_302600_NS6detail15normal_iteratorINSA_10device_ptrIsEEEEPS6_PKS6_NS0_5tupleIJNSA_16discard_iteratorINSA_11use_defaultEEES6_EEENSJ_IJSG_SG_EEENS0_18inequality_wrapperINSA_8equal_toIsEEEEPmJS6_EEE10hipError_tPvRmT3_T4_T5_T6_T7_T9_mT8_P12ihipStream_tbDpT10_ENKUlT_T0_E_clISt17integral_constantIbLb1EES1D_EEDaS18_S19_EUlS18_E_NS1_11comp_targetILNS1_3genE9ELNS1_11target_archE1100ELNS1_3gpuE3ELNS1_3repE0EEENS1_30default_config_static_selectorELNS0_4arch9wavefront6targetE1EEEvT1_
	.globl	_ZN7rocprim17ROCPRIM_400000_NS6detail17trampoline_kernelINS0_14default_configENS1_25partition_config_selectorILNS1_17partition_subalgoE8EsNS0_10empty_typeEbEEZZNS1_14partition_implILS5_8ELb0ES3_jN6thrust23THRUST_200600_302600_NS6detail15normal_iteratorINSA_10device_ptrIsEEEEPS6_PKS6_NS0_5tupleIJNSA_16discard_iteratorINSA_11use_defaultEEES6_EEENSJ_IJSG_SG_EEENS0_18inequality_wrapperINSA_8equal_toIsEEEEPmJS6_EEE10hipError_tPvRmT3_T4_T5_T6_T7_T9_mT8_P12ihipStream_tbDpT10_ENKUlT_T0_E_clISt17integral_constantIbLb1EES1D_EEDaS18_S19_EUlS18_E_NS1_11comp_targetILNS1_3genE9ELNS1_11target_archE1100ELNS1_3gpuE3ELNS1_3repE0EEENS1_30default_config_static_selectorELNS0_4arch9wavefront6targetE1EEEvT1_
	.p2align	8
	.type	_ZN7rocprim17ROCPRIM_400000_NS6detail17trampoline_kernelINS0_14default_configENS1_25partition_config_selectorILNS1_17partition_subalgoE8EsNS0_10empty_typeEbEEZZNS1_14partition_implILS5_8ELb0ES3_jN6thrust23THRUST_200600_302600_NS6detail15normal_iteratorINSA_10device_ptrIsEEEEPS6_PKS6_NS0_5tupleIJNSA_16discard_iteratorINSA_11use_defaultEEES6_EEENSJ_IJSG_SG_EEENS0_18inequality_wrapperINSA_8equal_toIsEEEEPmJS6_EEE10hipError_tPvRmT3_T4_T5_T6_T7_T9_mT8_P12ihipStream_tbDpT10_ENKUlT_T0_E_clISt17integral_constantIbLb1EES1D_EEDaS18_S19_EUlS18_E_NS1_11comp_targetILNS1_3genE9ELNS1_11target_archE1100ELNS1_3gpuE3ELNS1_3repE0EEENS1_30default_config_static_selectorELNS0_4arch9wavefront6targetE1EEEvT1_,@function
_ZN7rocprim17ROCPRIM_400000_NS6detail17trampoline_kernelINS0_14default_configENS1_25partition_config_selectorILNS1_17partition_subalgoE8EsNS0_10empty_typeEbEEZZNS1_14partition_implILS5_8ELb0ES3_jN6thrust23THRUST_200600_302600_NS6detail15normal_iteratorINSA_10device_ptrIsEEEEPS6_PKS6_NS0_5tupleIJNSA_16discard_iteratorINSA_11use_defaultEEES6_EEENSJ_IJSG_SG_EEENS0_18inequality_wrapperINSA_8equal_toIsEEEEPmJS6_EEE10hipError_tPvRmT3_T4_T5_T6_T7_T9_mT8_P12ihipStream_tbDpT10_ENKUlT_T0_E_clISt17integral_constantIbLb1EES1D_EEDaS18_S19_EUlS18_E_NS1_11comp_targetILNS1_3genE9ELNS1_11target_archE1100ELNS1_3gpuE3ELNS1_3repE0EEENS1_30default_config_static_selectorELNS0_4arch9wavefront6targetE1EEEvT1_: ; @_ZN7rocprim17ROCPRIM_400000_NS6detail17trampoline_kernelINS0_14default_configENS1_25partition_config_selectorILNS1_17partition_subalgoE8EsNS0_10empty_typeEbEEZZNS1_14partition_implILS5_8ELb0ES3_jN6thrust23THRUST_200600_302600_NS6detail15normal_iteratorINSA_10device_ptrIsEEEEPS6_PKS6_NS0_5tupleIJNSA_16discard_iteratorINSA_11use_defaultEEES6_EEENSJ_IJSG_SG_EEENS0_18inequality_wrapperINSA_8equal_toIsEEEEPmJS6_EEE10hipError_tPvRmT3_T4_T5_T6_T7_T9_mT8_P12ihipStream_tbDpT10_ENKUlT_T0_E_clISt17integral_constantIbLb1EES1D_EEDaS18_S19_EUlS18_E_NS1_11comp_targetILNS1_3genE9ELNS1_11target_archE1100ELNS1_3gpuE3ELNS1_3repE0EEENS1_30default_config_static_selectorELNS0_4arch9wavefront6targetE1EEEvT1_
; %bb.0:
	.section	.rodata,"a",@progbits
	.p2align	6, 0x0
	.amdhsa_kernel _ZN7rocprim17ROCPRIM_400000_NS6detail17trampoline_kernelINS0_14default_configENS1_25partition_config_selectorILNS1_17partition_subalgoE8EsNS0_10empty_typeEbEEZZNS1_14partition_implILS5_8ELb0ES3_jN6thrust23THRUST_200600_302600_NS6detail15normal_iteratorINSA_10device_ptrIsEEEEPS6_PKS6_NS0_5tupleIJNSA_16discard_iteratorINSA_11use_defaultEEES6_EEENSJ_IJSG_SG_EEENS0_18inequality_wrapperINSA_8equal_toIsEEEEPmJS6_EEE10hipError_tPvRmT3_T4_T5_T6_T7_T9_mT8_P12ihipStream_tbDpT10_ENKUlT_T0_E_clISt17integral_constantIbLb1EES1D_EEDaS18_S19_EUlS18_E_NS1_11comp_targetILNS1_3genE9ELNS1_11target_archE1100ELNS1_3gpuE3ELNS1_3repE0EEENS1_30default_config_static_selectorELNS0_4arch9wavefront6targetE1EEEvT1_
		.amdhsa_group_segment_fixed_size 0
		.amdhsa_private_segment_fixed_size 0
		.amdhsa_kernarg_size 136
		.amdhsa_user_sgpr_count 6
		.amdhsa_user_sgpr_private_segment_buffer 1
		.amdhsa_user_sgpr_dispatch_ptr 0
		.amdhsa_user_sgpr_queue_ptr 0
		.amdhsa_user_sgpr_kernarg_segment_ptr 1
		.amdhsa_user_sgpr_dispatch_id 0
		.amdhsa_user_sgpr_flat_scratch_init 0
		.amdhsa_user_sgpr_private_segment_size 0
		.amdhsa_uses_dynamic_stack 0
		.amdhsa_system_sgpr_private_segment_wavefront_offset 0
		.amdhsa_system_sgpr_workgroup_id_x 1
		.amdhsa_system_sgpr_workgroup_id_y 0
		.amdhsa_system_sgpr_workgroup_id_z 0
		.amdhsa_system_sgpr_workgroup_info 0
		.amdhsa_system_vgpr_workitem_id 0
		.amdhsa_next_free_vgpr 1
		.amdhsa_next_free_sgpr 0
		.amdhsa_reserve_vcc 0
		.amdhsa_reserve_flat_scratch 0
		.amdhsa_float_round_mode_32 0
		.amdhsa_float_round_mode_16_64 0
		.amdhsa_float_denorm_mode_32 3
		.amdhsa_float_denorm_mode_16_64 3
		.amdhsa_dx10_clamp 1
		.amdhsa_ieee_mode 1
		.amdhsa_fp16_overflow 0
		.amdhsa_exception_fp_ieee_invalid_op 0
		.amdhsa_exception_fp_denorm_src 0
		.amdhsa_exception_fp_ieee_div_zero 0
		.amdhsa_exception_fp_ieee_overflow 0
		.amdhsa_exception_fp_ieee_underflow 0
		.amdhsa_exception_fp_ieee_inexact 0
		.amdhsa_exception_int_div_zero 0
	.end_amdhsa_kernel
	.section	.text._ZN7rocprim17ROCPRIM_400000_NS6detail17trampoline_kernelINS0_14default_configENS1_25partition_config_selectorILNS1_17partition_subalgoE8EsNS0_10empty_typeEbEEZZNS1_14partition_implILS5_8ELb0ES3_jN6thrust23THRUST_200600_302600_NS6detail15normal_iteratorINSA_10device_ptrIsEEEEPS6_PKS6_NS0_5tupleIJNSA_16discard_iteratorINSA_11use_defaultEEES6_EEENSJ_IJSG_SG_EEENS0_18inequality_wrapperINSA_8equal_toIsEEEEPmJS6_EEE10hipError_tPvRmT3_T4_T5_T6_T7_T9_mT8_P12ihipStream_tbDpT10_ENKUlT_T0_E_clISt17integral_constantIbLb1EES1D_EEDaS18_S19_EUlS18_E_NS1_11comp_targetILNS1_3genE9ELNS1_11target_archE1100ELNS1_3gpuE3ELNS1_3repE0EEENS1_30default_config_static_selectorELNS0_4arch9wavefront6targetE1EEEvT1_,"axG",@progbits,_ZN7rocprim17ROCPRIM_400000_NS6detail17trampoline_kernelINS0_14default_configENS1_25partition_config_selectorILNS1_17partition_subalgoE8EsNS0_10empty_typeEbEEZZNS1_14partition_implILS5_8ELb0ES3_jN6thrust23THRUST_200600_302600_NS6detail15normal_iteratorINSA_10device_ptrIsEEEEPS6_PKS6_NS0_5tupleIJNSA_16discard_iteratorINSA_11use_defaultEEES6_EEENSJ_IJSG_SG_EEENS0_18inequality_wrapperINSA_8equal_toIsEEEEPmJS6_EEE10hipError_tPvRmT3_T4_T5_T6_T7_T9_mT8_P12ihipStream_tbDpT10_ENKUlT_T0_E_clISt17integral_constantIbLb1EES1D_EEDaS18_S19_EUlS18_E_NS1_11comp_targetILNS1_3genE9ELNS1_11target_archE1100ELNS1_3gpuE3ELNS1_3repE0EEENS1_30default_config_static_selectorELNS0_4arch9wavefront6targetE1EEEvT1_,comdat
.Lfunc_end707:
	.size	_ZN7rocprim17ROCPRIM_400000_NS6detail17trampoline_kernelINS0_14default_configENS1_25partition_config_selectorILNS1_17partition_subalgoE8EsNS0_10empty_typeEbEEZZNS1_14partition_implILS5_8ELb0ES3_jN6thrust23THRUST_200600_302600_NS6detail15normal_iteratorINSA_10device_ptrIsEEEEPS6_PKS6_NS0_5tupleIJNSA_16discard_iteratorINSA_11use_defaultEEES6_EEENSJ_IJSG_SG_EEENS0_18inequality_wrapperINSA_8equal_toIsEEEEPmJS6_EEE10hipError_tPvRmT3_T4_T5_T6_T7_T9_mT8_P12ihipStream_tbDpT10_ENKUlT_T0_E_clISt17integral_constantIbLb1EES1D_EEDaS18_S19_EUlS18_E_NS1_11comp_targetILNS1_3genE9ELNS1_11target_archE1100ELNS1_3gpuE3ELNS1_3repE0EEENS1_30default_config_static_selectorELNS0_4arch9wavefront6targetE1EEEvT1_, .Lfunc_end707-_ZN7rocprim17ROCPRIM_400000_NS6detail17trampoline_kernelINS0_14default_configENS1_25partition_config_selectorILNS1_17partition_subalgoE8EsNS0_10empty_typeEbEEZZNS1_14partition_implILS5_8ELb0ES3_jN6thrust23THRUST_200600_302600_NS6detail15normal_iteratorINSA_10device_ptrIsEEEEPS6_PKS6_NS0_5tupleIJNSA_16discard_iteratorINSA_11use_defaultEEES6_EEENSJ_IJSG_SG_EEENS0_18inequality_wrapperINSA_8equal_toIsEEEEPmJS6_EEE10hipError_tPvRmT3_T4_T5_T6_T7_T9_mT8_P12ihipStream_tbDpT10_ENKUlT_T0_E_clISt17integral_constantIbLb1EES1D_EEDaS18_S19_EUlS18_E_NS1_11comp_targetILNS1_3genE9ELNS1_11target_archE1100ELNS1_3gpuE3ELNS1_3repE0EEENS1_30default_config_static_selectorELNS0_4arch9wavefront6targetE1EEEvT1_
                                        ; -- End function
	.set _ZN7rocprim17ROCPRIM_400000_NS6detail17trampoline_kernelINS0_14default_configENS1_25partition_config_selectorILNS1_17partition_subalgoE8EsNS0_10empty_typeEbEEZZNS1_14partition_implILS5_8ELb0ES3_jN6thrust23THRUST_200600_302600_NS6detail15normal_iteratorINSA_10device_ptrIsEEEEPS6_PKS6_NS0_5tupleIJNSA_16discard_iteratorINSA_11use_defaultEEES6_EEENSJ_IJSG_SG_EEENS0_18inequality_wrapperINSA_8equal_toIsEEEEPmJS6_EEE10hipError_tPvRmT3_T4_T5_T6_T7_T9_mT8_P12ihipStream_tbDpT10_ENKUlT_T0_E_clISt17integral_constantIbLb1EES1D_EEDaS18_S19_EUlS18_E_NS1_11comp_targetILNS1_3genE9ELNS1_11target_archE1100ELNS1_3gpuE3ELNS1_3repE0EEENS1_30default_config_static_selectorELNS0_4arch9wavefront6targetE1EEEvT1_.num_vgpr, 0
	.set _ZN7rocprim17ROCPRIM_400000_NS6detail17trampoline_kernelINS0_14default_configENS1_25partition_config_selectorILNS1_17partition_subalgoE8EsNS0_10empty_typeEbEEZZNS1_14partition_implILS5_8ELb0ES3_jN6thrust23THRUST_200600_302600_NS6detail15normal_iteratorINSA_10device_ptrIsEEEEPS6_PKS6_NS0_5tupleIJNSA_16discard_iteratorINSA_11use_defaultEEES6_EEENSJ_IJSG_SG_EEENS0_18inequality_wrapperINSA_8equal_toIsEEEEPmJS6_EEE10hipError_tPvRmT3_T4_T5_T6_T7_T9_mT8_P12ihipStream_tbDpT10_ENKUlT_T0_E_clISt17integral_constantIbLb1EES1D_EEDaS18_S19_EUlS18_E_NS1_11comp_targetILNS1_3genE9ELNS1_11target_archE1100ELNS1_3gpuE3ELNS1_3repE0EEENS1_30default_config_static_selectorELNS0_4arch9wavefront6targetE1EEEvT1_.num_agpr, 0
	.set _ZN7rocprim17ROCPRIM_400000_NS6detail17trampoline_kernelINS0_14default_configENS1_25partition_config_selectorILNS1_17partition_subalgoE8EsNS0_10empty_typeEbEEZZNS1_14partition_implILS5_8ELb0ES3_jN6thrust23THRUST_200600_302600_NS6detail15normal_iteratorINSA_10device_ptrIsEEEEPS6_PKS6_NS0_5tupleIJNSA_16discard_iteratorINSA_11use_defaultEEES6_EEENSJ_IJSG_SG_EEENS0_18inequality_wrapperINSA_8equal_toIsEEEEPmJS6_EEE10hipError_tPvRmT3_T4_T5_T6_T7_T9_mT8_P12ihipStream_tbDpT10_ENKUlT_T0_E_clISt17integral_constantIbLb1EES1D_EEDaS18_S19_EUlS18_E_NS1_11comp_targetILNS1_3genE9ELNS1_11target_archE1100ELNS1_3gpuE3ELNS1_3repE0EEENS1_30default_config_static_selectorELNS0_4arch9wavefront6targetE1EEEvT1_.numbered_sgpr, 0
	.set _ZN7rocprim17ROCPRIM_400000_NS6detail17trampoline_kernelINS0_14default_configENS1_25partition_config_selectorILNS1_17partition_subalgoE8EsNS0_10empty_typeEbEEZZNS1_14partition_implILS5_8ELb0ES3_jN6thrust23THRUST_200600_302600_NS6detail15normal_iteratorINSA_10device_ptrIsEEEEPS6_PKS6_NS0_5tupleIJNSA_16discard_iteratorINSA_11use_defaultEEES6_EEENSJ_IJSG_SG_EEENS0_18inequality_wrapperINSA_8equal_toIsEEEEPmJS6_EEE10hipError_tPvRmT3_T4_T5_T6_T7_T9_mT8_P12ihipStream_tbDpT10_ENKUlT_T0_E_clISt17integral_constantIbLb1EES1D_EEDaS18_S19_EUlS18_E_NS1_11comp_targetILNS1_3genE9ELNS1_11target_archE1100ELNS1_3gpuE3ELNS1_3repE0EEENS1_30default_config_static_selectorELNS0_4arch9wavefront6targetE1EEEvT1_.num_named_barrier, 0
	.set _ZN7rocprim17ROCPRIM_400000_NS6detail17trampoline_kernelINS0_14default_configENS1_25partition_config_selectorILNS1_17partition_subalgoE8EsNS0_10empty_typeEbEEZZNS1_14partition_implILS5_8ELb0ES3_jN6thrust23THRUST_200600_302600_NS6detail15normal_iteratorINSA_10device_ptrIsEEEEPS6_PKS6_NS0_5tupleIJNSA_16discard_iteratorINSA_11use_defaultEEES6_EEENSJ_IJSG_SG_EEENS0_18inequality_wrapperINSA_8equal_toIsEEEEPmJS6_EEE10hipError_tPvRmT3_T4_T5_T6_T7_T9_mT8_P12ihipStream_tbDpT10_ENKUlT_T0_E_clISt17integral_constantIbLb1EES1D_EEDaS18_S19_EUlS18_E_NS1_11comp_targetILNS1_3genE9ELNS1_11target_archE1100ELNS1_3gpuE3ELNS1_3repE0EEENS1_30default_config_static_selectorELNS0_4arch9wavefront6targetE1EEEvT1_.private_seg_size, 0
	.set _ZN7rocprim17ROCPRIM_400000_NS6detail17trampoline_kernelINS0_14default_configENS1_25partition_config_selectorILNS1_17partition_subalgoE8EsNS0_10empty_typeEbEEZZNS1_14partition_implILS5_8ELb0ES3_jN6thrust23THRUST_200600_302600_NS6detail15normal_iteratorINSA_10device_ptrIsEEEEPS6_PKS6_NS0_5tupleIJNSA_16discard_iteratorINSA_11use_defaultEEES6_EEENSJ_IJSG_SG_EEENS0_18inequality_wrapperINSA_8equal_toIsEEEEPmJS6_EEE10hipError_tPvRmT3_T4_T5_T6_T7_T9_mT8_P12ihipStream_tbDpT10_ENKUlT_T0_E_clISt17integral_constantIbLb1EES1D_EEDaS18_S19_EUlS18_E_NS1_11comp_targetILNS1_3genE9ELNS1_11target_archE1100ELNS1_3gpuE3ELNS1_3repE0EEENS1_30default_config_static_selectorELNS0_4arch9wavefront6targetE1EEEvT1_.uses_vcc, 0
	.set _ZN7rocprim17ROCPRIM_400000_NS6detail17trampoline_kernelINS0_14default_configENS1_25partition_config_selectorILNS1_17partition_subalgoE8EsNS0_10empty_typeEbEEZZNS1_14partition_implILS5_8ELb0ES3_jN6thrust23THRUST_200600_302600_NS6detail15normal_iteratorINSA_10device_ptrIsEEEEPS6_PKS6_NS0_5tupleIJNSA_16discard_iteratorINSA_11use_defaultEEES6_EEENSJ_IJSG_SG_EEENS0_18inequality_wrapperINSA_8equal_toIsEEEEPmJS6_EEE10hipError_tPvRmT3_T4_T5_T6_T7_T9_mT8_P12ihipStream_tbDpT10_ENKUlT_T0_E_clISt17integral_constantIbLb1EES1D_EEDaS18_S19_EUlS18_E_NS1_11comp_targetILNS1_3genE9ELNS1_11target_archE1100ELNS1_3gpuE3ELNS1_3repE0EEENS1_30default_config_static_selectorELNS0_4arch9wavefront6targetE1EEEvT1_.uses_flat_scratch, 0
	.set _ZN7rocprim17ROCPRIM_400000_NS6detail17trampoline_kernelINS0_14default_configENS1_25partition_config_selectorILNS1_17partition_subalgoE8EsNS0_10empty_typeEbEEZZNS1_14partition_implILS5_8ELb0ES3_jN6thrust23THRUST_200600_302600_NS6detail15normal_iteratorINSA_10device_ptrIsEEEEPS6_PKS6_NS0_5tupleIJNSA_16discard_iteratorINSA_11use_defaultEEES6_EEENSJ_IJSG_SG_EEENS0_18inequality_wrapperINSA_8equal_toIsEEEEPmJS6_EEE10hipError_tPvRmT3_T4_T5_T6_T7_T9_mT8_P12ihipStream_tbDpT10_ENKUlT_T0_E_clISt17integral_constantIbLb1EES1D_EEDaS18_S19_EUlS18_E_NS1_11comp_targetILNS1_3genE9ELNS1_11target_archE1100ELNS1_3gpuE3ELNS1_3repE0EEENS1_30default_config_static_selectorELNS0_4arch9wavefront6targetE1EEEvT1_.has_dyn_sized_stack, 0
	.set _ZN7rocprim17ROCPRIM_400000_NS6detail17trampoline_kernelINS0_14default_configENS1_25partition_config_selectorILNS1_17partition_subalgoE8EsNS0_10empty_typeEbEEZZNS1_14partition_implILS5_8ELb0ES3_jN6thrust23THRUST_200600_302600_NS6detail15normal_iteratorINSA_10device_ptrIsEEEEPS6_PKS6_NS0_5tupleIJNSA_16discard_iteratorINSA_11use_defaultEEES6_EEENSJ_IJSG_SG_EEENS0_18inequality_wrapperINSA_8equal_toIsEEEEPmJS6_EEE10hipError_tPvRmT3_T4_T5_T6_T7_T9_mT8_P12ihipStream_tbDpT10_ENKUlT_T0_E_clISt17integral_constantIbLb1EES1D_EEDaS18_S19_EUlS18_E_NS1_11comp_targetILNS1_3genE9ELNS1_11target_archE1100ELNS1_3gpuE3ELNS1_3repE0EEENS1_30default_config_static_selectorELNS0_4arch9wavefront6targetE1EEEvT1_.has_recursion, 0
	.set _ZN7rocprim17ROCPRIM_400000_NS6detail17trampoline_kernelINS0_14default_configENS1_25partition_config_selectorILNS1_17partition_subalgoE8EsNS0_10empty_typeEbEEZZNS1_14partition_implILS5_8ELb0ES3_jN6thrust23THRUST_200600_302600_NS6detail15normal_iteratorINSA_10device_ptrIsEEEEPS6_PKS6_NS0_5tupleIJNSA_16discard_iteratorINSA_11use_defaultEEES6_EEENSJ_IJSG_SG_EEENS0_18inequality_wrapperINSA_8equal_toIsEEEEPmJS6_EEE10hipError_tPvRmT3_T4_T5_T6_T7_T9_mT8_P12ihipStream_tbDpT10_ENKUlT_T0_E_clISt17integral_constantIbLb1EES1D_EEDaS18_S19_EUlS18_E_NS1_11comp_targetILNS1_3genE9ELNS1_11target_archE1100ELNS1_3gpuE3ELNS1_3repE0EEENS1_30default_config_static_selectorELNS0_4arch9wavefront6targetE1EEEvT1_.has_indirect_call, 0
	.section	.AMDGPU.csdata,"",@progbits
; Kernel info:
; codeLenInByte = 0
; TotalNumSgprs: 4
; NumVgprs: 0
; ScratchSize: 0
; MemoryBound: 0
; FloatMode: 240
; IeeeMode: 1
; LDSByteSize: 0 bytes/workgroup (compile time only)
; SGPRBlocks: 0
; VGPRBlocks: 0
; NumSGPRsForWavesPerEU: 4
; NumVGPRsForWavesPerEU: 1
; Occupancy: 10
; WaveLimiterHint : 0
; COMPUTE_PGM_RSRC2:SCRATCH_EN: 0
; COMPUTE_PGM_RSRC2:USER_SGPR: 6
; COMPUTE_PGM_RSRC2:TRAP_HANDLER: 0
; COMPUTE_PGM_RSRC2:TGID_X_EN: 1
; COMPUTE_PGM_RSRC2:TGID_Y_EN: 0
; COMPUTE_PGM_RSRC2:TGID_Z_EN: 0
; COMPUTE_PGM_RSRC2:TIDIG_COMP_CNT: 0
	.section	.text._ZN7rocprim17ROCPRIM_400000_NS6detail17trampoline_kernelINS0_14default_configENS1_25partition_config_selectorILNS1_17partition_subalgoE8EsNS0_10empty_typeEbEEZZNS1_14partition_implILS5_8ELb0ES3_jN6thrust23THRUST_200600_302600_NS6detail15normal_iteratorINSA_10device_ptrIsEEEEPS6_PKS6_NS0_5tupleIJNSA_16discard_iteratorINSA_11use_defaultEEES6_EEENSJ_IJSG_SG_EEENS0_18inequality_wrapperINSA_8equal_toIsEEEEPmJS6_EEE10hipError_tPvRmT3_T4_T5_T6_T7_T9_mT8_P12ihipStream_tbDpT10_ENKUlT_T0_E_clISt17integral_constantIbLb1EES1D_EEDaS18_S19_EUlS18_E_NS1_11comp_targetILNS1_3genE8ELNS1_11target_archE1030ELNS1_3gpuE2ELNS1_3repE0EEENS1_30default_config_static_selectorELNS0_4arch9wavefront6targetE1EEEvT1_,"axG",@progbits,_ZN7rocprim17ROCPRIM_400000_NS6detail17trampoline_kernelINS0_14default_configENS1_25partition_config_selectorILNS1_17partition_subalgoE8EsNS0_10empty_typeEbEEZZNS1_14partition_implILS5_8ELb0ES3_jN6thrust23THRUST_200600_302600_NS6detail15normal_iteratorINSA_10device_ptrIsEEEEPS6_PKS6_NS0_5tupleIJNSA_16discard_iteratorINSA_11use_defaultEEES6_EEENSJ_IJSG_SG_EEENS0_18inequality_wrapperINSA_8equal_toIsEEEEPmJS6_EEE10hipError_tPvRmT3_T4_T5_T6_T7_T9_mT8_P12ihipStream_tbDpT10_ENKUlT_T0_E_clISt17integral_constantIbLb1EES1D_EEDaS18_S19_EUlS18_E_NS1_11comp_targetILNS1_3genE8ELNS1_11target_archE1030ELNS1_3gpuE2ELNS1_3repE0EEENS1_30default_config_static_selectorELNS0_4arch9wavefront6targetE1EEEvT1_,comdat
	.protected	_ZN7rocprim17ROCPRIM_400000_NS6detail17trampoline_kernelINS0_14default_configENS1_25partition_config_selectorILNS1_17partition_subalgoE8EsNS0_10empty_typeEbEEZZNS1_14partition_implILS5_8ELb0ES3_jN6thrust23THRUST_200600_302600_NS6detail15normal_iteratorINSA_10device_ptrIsEEEEPS6_PKS6_NS0_5tupleIJNSA_16discard_iteratorINSA_11use_defaultEEES6_EEENSJ_IJSG_SG_EEENS0_18inequality_wrapperINSA_8equal_toIsEEEEPmJS6_EEE10hipError_tPvRmT3_T4_T5_T6_T7_T9_mT8_P12ihipStream_tbDpT10_ENKUlT_T0_E_clISt17integral_constantIbLb1EES1D_EEDaS18_S19_EUlS18_E_NS1_11comp_targetILNS1_3genE8ELNS1_11target_archE1030ELNS1_3gpuE2ELNS1_3repE0EEENS1_30default_config_static_selectorELNS0_4arch9wavefront6targetE1EEEvT1_ ; -- Begin function _ZN7rocprim17ROCPRIM_400000_NS6detail17trampoline_kernelINS0_14default_configENS1_25partition_config_selectorILNS1_17partition_subalgoE8EsNS0_10empty_typeEbEEZZNS1_14partition_implILS5_8ELb0ES3_jN6thrust23THRUST_200600_302600_NS6detail15normal_iteratorINSA_10device_ptrIsEEEEPS6_PKS6_NS0_5tupleIJNSA_16discard_iteratorINSA_11use_defaultEEES6_EEENSJ_IJSG_SG_EEENS0_18inequality_wrapperINSA_8equal_toIsEEEEPmJS6_EEE10hipError_tPvRmT3_T4_T5_T6_T7_T9_mT8_P12ihipStream_tbDpT10_ENKUlT_T0_E_clISt17integral_constantIbLb1EES1D_EEDaS18_S19_EUlS18_E_NS1_11comp_targetILNS1_3genE8ELNS1_11target_archE1030ELNS1_3gpuE2ELNS1_3repE0EEENS1_30default_config_static_selectorELNS0_4arch9wavefront6targetE1EEEvT1_
	.globl	_ZN7rocprim17ROCPRIM_400000_NS6detail17trampoline_kernelINS0_14default_configENS1_25partition_config_selectorILNS1_17partition_subalgoE8EsNS0_10empty_typeEbEEZZNS1_14partition_implILS5_8ELb0ES3_jN6thrust23THRUST_200600_302600_NS6detail15normal_iteratorINSA_10device_ptrIsEEEEPS6_PKS6_NS0_5tupleIJNSA_16discard_iteratorINSA_11use_defaultEEES6_EEENSJ_IJSG_SG_EEENS0_18inequality_wrapperINSA_8equal_toIsEEEEPmJS6_EEE10hipError_tPvRmT3_T4_T5_T6_T7_T9_mT8_P12ihipStream_tbDpT10_ENKUlT_T0_E_clISt17integral_constantIbLb1EES1D_EEDaS18_S19_EUlS18_E_NS1_11comp_targetILNS1_3genE8ELNS1_11target_archE1030ELNS1_3gpuE2ELNS1_3repE0EEENS1_30default_config_static_selectorELNS0_4arch9wavefront6targetE1EEEvT1_
	.p2align	8
	.type	_ZN7rocprim17ROCPRIM_400000_NS6detail17trampoline_kernelINS0_14default_configENS1_25partition_config_selectorILNS1_17partition_subalgoE8EsNS0_10empty_typeEbEEZZNS1_14partition_implILS5_8ELb0ES3_jN6thrust23THRUST_200600_302600_NS6detail15normal_iteratorINSA_10device_ptrIsEEEEPS6_PKS6_NS0_5tupleIJNSA_16discard_iteratorINSA_11use_defaultEEES6_EEENSJ_IJSG_SG_EEENS0_18inequality_wrapperINSA_8equal_toIsEEEEPmJS6_EEE10hipError_tPvRmT3_T4_T5_T6_T7_T9_mT8_P12ihipStream_tbDpT10_ENKUlT_T0_E_clISt17integral_constantIbLb1EES1D_EEDaS18_S19_EUlS18_E_NS1_11comp_targetILNS1_3genE8ELNS1_11target_archE1030ELNS1_3gpuE2ELNS1_3repE0EEENS1_30default_config_static_selectorELNS0_4arch9wavefront6targetE1EEEvT1_,@function
_ZN7rocprim17ROCPRIM_400000_NS6detail17trampoline_kernelINS0_14default_configENS1_25partition_config_selectorILNS1_17partition_subalgoE8EsNS0_10empty_typeEbEEZZNS1_14partition_implILS5_8ELb0ES3_jN6thrust23THRUST_200600_302600_NS6detail15normal_iteratorINSA_10device_ptrIsEEEEPS6_PKS6_NS0_5tupleIJNSA_16discard_iteratorINSA_11use_defaultEEES6_EEENSJ_IJSG_SG_EEENS0_18inequality_wrapperINSA_8equal_toIsEEEEPmJS6_EEE10hipError_tPvRmT3_T4_T5_T6_T7_T9_mT8_P12ihipStream_tbDpT10_ENKUlT_T0_E_clISt17integral_constantIbLb1EES1D_EEDaS18_S19_EUlS18_E_NS1_11comp_targetILNS1_3genE8ELNS1_11target_archE1030ELNS1_3gpuE2ELNS1_3repE0EEENS1_30default_config_static_selectorELNS0_4arch9wavefront6targetE1EEEvT1_: ; @_ZN7rocprim17ROCPRIM_400000_NS6detail17trampoline_kernelINS0_14default_configENS1_25partition_config_selectorILNS1_17partition_subalgoE8EsNS0_10empty_typeEbEEZZNS1_14partition_implILS5_8ELb0ES3_jN6thrust23THRUST_200600_302600_NS6detail15normal_iteratorINSA_10device_ptrIsEEEEPS6_PKS6_NS0_5tupleIJNSA_16discard_iteratorINSA_11use_defaultEEES6_EEENSJ_IJSG_SG_EEENS0_18inequality_wrapperINSA_8equal_toIsEEEEPmJS6_EEE10hipError_tPvRmT3_T4_T5_T6_T7_T9_mT8_P12ihipStream_tbDpT10_ENKUlT_T0_E_clISt17integral_constantIbLb1EES1D_EEDaS18_S19_EUlS18_E_NS1_11comp_targetILNS1_3genE8ELNS1_11target_archE1030ELNS1_3gpuE2ELNS1_3repE0EEENS1_30default_config_static_selectorELNS0_4arch9wavefront6targetE1EEEvT1_
; %bb.0:
	.section	.rodata,"a",@progbits
	.p2align	6, 0x0
	.amdhsa_kernel _ZN7rocprim17ROCPRIM_400000_NS6detail17trampoline_kernelINS0_14default_configENS1_25partition_config_selectorILNS1_17partition_subalgoE8EsNS0_10empty_typeEbEEZZNS1_14partition_implILS5_8ELb0ES3_jN6thrust23THRUST_200600_302600_NS6detail15normal_iteratorINSA_10device_ptrIsEEEEPS6_PKS6_NS0_5tupleIJNSA_16discard_iteratorINSA_11use_defaultEEES6_EEENSJ_IJSG_SG_EEENS0_18inequality_wrapperINSA_8equal_toIsEEEEPmJS6_EEE10hipError_tPvRmT3_T4_T5_T6_T7_T9_mT8_P12ihipStream_tbDpT10_ENKUlT_T0_E_clISt17integral_constantIbLb1EES1D_EEDaS18_S19_EUlS18_E_NS1_11comp_targetILNS1_3genE8ELNS1_11target_archE1030ELNS1_3gpuE2ELNS1_3repE0EEENS1_30default_config_static_selectorELNS0_4arch9wavefront6targetE1EEEvT1_
		.amdhsa_group_segment_fixed_size 0
		.amdhsa_private_segment_fixed_size 0
		.amdhsa_kernarg_size 136
		.amdhsa_user_sgpr_count 6
		.amdhsa_user_sgpr_private_segment_buffer 1
		.amdhsa_user_sgpr_dispatch_ptr 0
		.amdhsa_user_sgpr_queue_ptr 0
		.amdhsa_user_sgpr_kernarg_segment_ptr 1
		.amdhsa_user_sgpr_dispatch_id 0
		.amdhsa_user_sgpr_flat_scratch_init 0
		.amdhsa_user_sgpr_private_segment_size 0
		.amdhsa_uses_dynamic_stack 0
		.amdhsa_system_sgpr_private_segment_wavefront_offset 0
		.amdhsa_system_sgpr_workgroup_id_x 1
		.amdhsa_system_sgpr_workgroup_id_y 0
		.amdhsa_system_sgpr_workgroup_id_z 0
		.amdhsa_system_sgpr_workgroup_info 0
		.amdhsa_system_vgpr_workitem_id 0
		.amdhsa_next_free_vgpr 1
		.amdhsa_next_free_sgpr 0
		.amdhsa_reserve_vcc 0
		.amdhsa_reserve_flat_scratch 0
		.amdhsa_float_round_mode_32 0
		.amdhsa_float_round_mode_16_64 0
		.amdhsa_float_denorm_mode_32 3
		.amdhsa_float_denorm_mode_16_64 3
		.amdhsa_dx10_clamp 1
		.amdhsa_ieee_mode 1
		.amdhsa_fp16_overflow 0
		.amdhsa_exception_fp_ieee_invalid_op 0
		.amdhsa_exception_fp_denorm_src 0
		.amdhsa_exception_fp_ieee_div_zero 0
		.amdhsa_exception_fp_ieee_overflow 0
		.amdhsa_exception_fp_ieee_underflow 0
		.amdhsa_exception_fp_ieee_inexact 0
		.amdhsa_exception_int_div_zero 0
	.end_amdhsa_kernel
	.section	.text._ZN7rocprim17ROCPRIM_400000_NS6detail17trampoline_kernelINS0_14default_configENS1_25partition_config_selectorILNS1_17partition_subalgoE8EsNS0_10empty_typeEbEEZZNS1_14partition_implILS5_8ELb0ES3_jN6thrust23THRUST_200600_302600_NS6detail15normal_iteratorINSA_10device_ptrIsEEEEPS6_PKS6_NS0_5tupleIJNSA_16discard_iteratorINSA_11use_defaultEEES6_EEENSJ_IJSG_SG_EEENS0_18inequality_wrapperINSA_8equal_toIsEEEEPmJS6_EEE10hipError_tPvRmT3_T4_T5_T6_T7_T9_mT8_P12ihipStream_tbDpT10_ENKUlT_T0_E_clISt17integral_constantIbLb1EES1D_EEDaS18_S19_EUlS18_E_NS1_11comp_targetILNS1_3genE8ELNS1_11target_archE1030ELNS1_3gpuE2ELNS1_3repE0EEENS1_30default_config_static_selectorELNS0_4arch9wavefront6targetE1EEEvT1_,"axG",@progbits,_ZN7rocprim17ROCPRIM_400000_NS6detail17trampoline_kernelINS0_14default_configENS1_25partition_config_selectorILNS1_17partition_subalgoE8EsNS0_10empty_typeEbEEZZNS1_14partition_implILS5_8ELb0ES3_jN6thrust23THRUST_200600_302600_NS6detail15normal_iteratorINSA_10device_ptrIsEEEEPS6_PKS6_NS0_5tupleIJNSA_16discard_iteratorINSA_11use_defaultEEES6_EEENSJ_IJSG_SG_EEENS0_18inequality_wrapperINSA_8equal_toIsEEEEPmJS6_EEE10hipError_tPvRmT3_T4_T5_T6_T7_T9_mT8_P12ihipStream_tbDpT10_ENKUlT_T0_E_clISt17integral_constantIbLb1EES1D_EEDaS18_S19_EUlS18_E_NS1_11comp_targetILNS1_3genE8ELNS1_11target_archE1030ELNS1_3gpuE2ELNS1_3repE0EEENS1_30default_config_static_selectorELNS0_4arch9wavefront6targetE1EEEvT1_,comdat
.Lfunc_end708:
	.size	_ZN7rocprim17ROCPRIM_400000_NS6detail17trampoline_kernelINS0_14default_configENS1_25partition_config_selectorILNS1_17partition_subalgoE8EsNS0_10empty_typeEbEEZZNS1_14partition_implILS5_8ELb0ES3_jN6thrust23THRUST_200600_302600_NS6detail15normal_iteratorINSA_10device_ptrIsEEEEPS6_PKS6_NS0_5tupleIJNSA_16discard_iteratorINSA_11use_defaultEEES6_EEENSJ_IJSG_SG_EEENS0_18inequality_wrapperINSA_8equal_toIsEEEEPmJS6_EEE10hipError_tPvRmT3_T4_T5_T6_T7_T9_mT8_P12ihipStream_tbDpT10_ENKUlT_T0_E_clISt17integral_constantIbLb1EES1D_EEDaS18_S19_EUlS18_E_NS1_11comp_targetILNS1_3genE8ELNS1_11target_archE1030ELNS1_3gpuE2ELNS1_3repE0EEENS1_30default_config_static_selectorELNS0_4arch9wavefront6targetE1EEEvT1_, .Lfunc_end708-_ZN7rocprim17ROCPRIM_400000_NS6detail17trampoline_kernelINS0_14default_configENS1_25partition_config_selectorILNS1_17partition_subalgoE8EsNS0_10empty_typeEbEEZZNS1_14partition_implILS5_8ELb0ES3_jN6thrust23THRUST_200600_302600_NS6detail15normal_iteratorINSA_10device_ptrIsEEEEPS6_PKS6_NS0_5tupleIJNSA_16discard_iteratorINSA_11use_defaultEEES6_EEENSJ_IJSG_SG_EEENS0_18inequality_wrapperINSA_8equal_toIsEEEEPmJS6_EEE10hipError_tPvRmT3_T4_T5_T6_T7_T9_mT8_P12ihipStream_tbDpT10_ENKUlT_T0_E_clISt17integral_constantIbLb1EES1D_EEDaS18_S19_EUlS18_E_NS1_11comp_targetILNS1_3genE8ELNS1_11target_archE1030ELNS1_3gpuE2ELNS1_3repE0EEENS1_30default_config_static_selectorELNS0_4arch9wavefront6targetE1EEEvT1_
                                        ; -- End function
	.set _ZN7rocprim17ROCPRIM_400000_NS6detail17trampoline_kernelINS0_14default_configENS1_25partition_config_selectorILNS1_17partition_subalgoE8EsNS0_10empty_typeEbEEZZNS1_14partition_implILS5_8ELb0ES3_jN6thrust23THRUST_200600_302600_NS6detail15normal_iteratorINSA_10device_ptrIsEEEEPS6_PKS6_NS0_5tupleIJNSA_16discard_iteratorINSA_11use_defaultEEES6_EEENSJ_IJSG_SG_EEENS0_18inequality_wrapperINSA_8equal_toIsEEEEPmJS6_EEE10hipError_tPvRmT3_T4_T5_T6_T7_T9_mT8_P12ihipStream_tbDpT10_ENKUlT_T0_E_clISt17integral_constantIbLb1EES1D_EEDaS18_S19_EUlS18_E_NS1_11comp_targetILNS1_3genE8ELNS1_11target_archE1030ELNS1_3gpuE2ELNS1_3repE0EEENS1_30default_config_static_selectorELNS0_4arch9wavefront6targetE1EEEvT1_.num_vgpr, 0
	.set _ZN7rocprim17ROCPRIM_400000_NS6detail17trampoline_kernelINS0_14default_configENS1_25partition_config_selectorILNS1_17partition_subalgoE8EsNS0_10empty_typeEbEEZZNS1_14partition_implILS5_8ELb0ES3_jN6thrust23THRUST_200600_302600_NS6detail15normal_iteratorINSA_10device_ptrIsEEEEPS6_PKS6_NS0_5tupleIJNSA_16discard_iteratorINSA_11use_defaultEEES6_EEENSJ_IJSG_SG_EEENS0_18inequality_wrapperINSA_8equal_toIsEEEEPmJS6_EEE10hipError_tPvRmT3_T4_T5_T6_T7_T9_mT8_P12ihipStream_tbDpT10_ENKUlT_T0_E_clISt17integral_constantIbLb1EES1D_EEDaS18_S19_EUlS18_E_NS1_11comp_targetILNS1_3genE8ELNS1_11target_archE1030ELNS1_3gpuE2ELNS1_3repE0EEENS1_30default_config_static_selectorELNS0_4arch9wavefront6targetE1EEEvT1_.num_agpr, 0
	.set _ZN7rocprim17ROCPRIM_400000_NS6detail17trampoline_kernelINS0_14default_configENS1_25partition_config_selectorILNS1_17partition_subalgoE8EsNS0_10empty_typeEbEEZZNS1_14partition_implILS5_8ELb0ES3_jN6thrust23THRUST_200600_302600_NS6detail15normal_iteratorINSA_10device_ptrIsEEEEPS6_PKS6_NS0_5tupleIJNSA_16discard_iteratorINSA_11use_defaultEEES6_EEENSJ_IJSG_SG_EEENS0_18inequality_wrapperINSA_8equal_toIsEEEEPmJS6_EEE10hipError_tPvRmT3_T4_T5_T6_T7_T9_mT8_P12ihipStream_tbDpT10_ENKUlT_T0_E_clISt17integral_constantIbLb1EES1D_EEDaS18_S19_EUlS18_E_NS1_11comp_targetILNS1_3genE8ELNS1_11target_archE1030ELNS1_3gpuE2ELNS1_3repE0EEENS1_30default_config_static_selectorELNS0_4arch9wavefront6targetE1EEEvT1_.numbered_sgpr, 0
	.set _ZN7rocprim17ROCPRIM_400000_NS6detail17trampoline_kernelINS0_14default_configENS1_25partition_config_selectorILNS1_17partition_subalgoE8EsNS0_10empty_typeEbEEZZNS1_14partition_implILS5_8ELb0ES3_jN6thrust23THRUST_200600_302600_NS6detail15normal_iteratorINSA_10device_ptrIsEEEEPS6_PKS6_NS0_5tupleIJNSA_16discard_iteratorINSA_11use_defaultEEES6_EEENSJ_IJSG_SG_EEENS0_18inequality_wrapperINSA_8equal_toIsEEEEPmJS6_EEE10hipError_tPvRmT3_T4_T5_T6_T7_T9_mT8_P12ihipStream_tbDpT10_ENKUlT_T0_E_clISt17integral_constantIbLb1EES1D_EEDaS18_S19_EUlS18_E_NS1_11comp_targetILNS1_3genE8ELNS1_11target_archE1030ELNS1_3gpuE2ELNS1_3repE0EEENS1_30default_config_static_selectorELNS0_4arch9wavefront6targetE1EEEvT1_.num_named_barrier, 0
	.set _ZN7rocprim17ROCPRIM_400000_NS6detail17trampoline_kernelINS0_14default_configENS1_25partition_config_selectorILNS1_17partition_subalgoE8EsNS0_10empty_typeEbEEZZNS1_14partition_implILS5_8ELb0ES3_jN6thrust23THRUST_200600_302600_NS6detail15normal_iteratorINSA_10device_ptrIsEEEEPS6_PKS6_NS0_5tupleIJNSA_16discard_iteratorINSA_11use_defaultEEES6_EEENSJ_IJSG_SG_EEENS0_18inequality_wrapperINSA_8equal_toIsEEEEPmJS6_EEE10hipError_tPvRmT3_T4_T5_T6_T7_T9_mT8_P12ihipStream_tbDpT10_ENKUlT_T0_E_clISt17integral_constantIbLb1EES1D_EEDaS18_S19_EUlS18_E_NS1_11comp_targetILNS1_3genE8ELNS1_11target_archE1030ELNS1_3gpuE2ELNS1_3repE0EEENS1_30default_config_static_selectorELNS0_4arch9wavefront6targetE1EEEvT1_.private_seg_size, 0
	.set _ZN7rocprim17ROCPRIM_400000_NS6detail17trampoline_kernelINS0_14default_configENS1_25partition_config_selectorILNS1_17partition_subalgoE8EsNS0_10empty_typeEbEEZZNS1_14partition_implILS5_8ELb0ES3_jN6thrust23THRUST_200600_302600_NS6detail15normal_iteratorINSA_10device_ptrIsEEEEPS6_PKS6_NS0_5tupleIJNSA_16discard_iteratorINSA_11use_defaultEEES6_EEENSJ_IJSG_SG_EEENS0_18inequality_wrapperINSA_8equal_toIsEEEEPmJS6_EEE10hipError_tPvRmT3_T4_T5_T6_T7_T9_mT8_P12ihipStream_tbDpT10_ENKUlT_T0_E_clISt17integral_constantIbLb1EES1D_EEDaS18_S19_EUlS18_E_NS1_11comp_targetILNS1_3genE8ELNS1_11target_archE1030ELNS1_3gpuE2ELNS1_3repE0EEENS1_30default_config_static_selectorELNS0_4arch9wavefront6targetE1EEEvT1_.uses_vcc, 0
	.set _ZN7rocprim17ROCPRIM_400000_NS6detail17trampoline_kernelINS0_14default_configENS1_25partition_config_selectorILNS1_17partition_subalgoE8EsNS0_10empty_typeEbEEZZNS1_14partition_implILS5_8ELb0ES3_jN6thrust23THRUST_200600_302600_NS6detail15normal_iteratorINSA_10device_ptrIsEEEEPS6_PKS6_NS0_5tupleIJNSA_16discard_iteratorINSA_11use_defaultEEES6_EEENSJ_IJSG_SG_EEENS0_18inequality_wrapperINSA_8equal_toIsEEEEPmJS6_EEE10hipError_tPvRmT3_T4_T5_T6_T7_T9_mT8_P12ihipStream_tbDpT10_ENKUlT_T0_E_clISt17integral_constantIbLb1EES1D_EEDaS18_S19_EUlS18_E_NS1_11comp_targetILNS1_3genE8ELNS1_11target_archE1030ELNS1_3gpuE2ELNS1_3repE0EEENS1_30default_config_static_selectorELNS0_4arch9wavefront6targetE1EEEvT1_.uses_flat_scratch, 0
	.set _ZN7rocprim17ROCPRIM_400000_NS6detail17trampoline_kernelINS0_14default_configENS1_25partition_config_selectorILNS1_17partition_subalgoE8EsNS0_10empty_typeEbEEZZNS1_14partition_implILS5_8ELb0ES3_jN6thrust23THRUST_200600_302600_NS6detail15normal_iteratorINSA_10device_ptrIsEEEEPS6_PKS6_NS0_5tupleIJNSA_16discard_iteratorINSA_11use_defaultEEES6_EEENSJ_IJSG_SG_EEENS0_18inequality_wrapperINSA_8equal_toIsEEEEPmJS6_EEE10hipError_tPvRmT3_T4_T5_T6_T7_T9_mT8_P12ihipStream_tbDpT10_ENKUlT_T0_E_clISt17integral_constantIbLb1EES1D_EEDaS18_S19_EUlS18_E_NS1_11comp_targetILNS1_3genE8ELNS1_11target_archE1030ELNS1_3gpuE2ELNS1_3repE0EEENS1_30default_config_static_selectorELNS0_4arch9wavefront6targetE1EEEvT1_.has_dyn_sized_stack, 0
	.set _ZN7rocprim17ROCPRIM_400000_NS6detail17trampoline_kernelINS0_14default_configENS1_25partition_config_selectorILNS1_17partition_subalgoE8EsNS0_10empty_typeEbEEZZNS1_14partition_implILS5_8ELb0ES3_jN6thrust23THRUST_200600_302600_NS6detail15normal_iteratorINSA_10device_ptrIsEEEEPS6_PKS6_NS0_5tupleIJNSA_16discard_iteratorINSA_11use_defaultEEES6_EEENSJ_IJSG_SG_EEENS0_18inequality_wrapperINSA_8equal_toIsEEEEPmJS6_EEE10hipError_tPvRmT3_T4_T5_T6_T7_T9_mT8_P12ihipStream_tbDpT10_ENKUlT_T0_E_clISt17integral_constantIbLb1EES1D_EEDaS18_S19_EUlS18_E_NS1_11comp_targetILNS1_3genE8ELNS1_11target_archE1030ELNS1_3gpuE2ELNS1_3repE0EEENS1_30default_config_static_selectorELNS0_4arch9wavefront6targetE1EEEvT1_.has_recursion, 0
	.set _ZN7rocprim17ROCPRIM_400000_NS6detail17trampoline_kernelINS0_14default_configENS1_25partition_config_selectorILNS1_17partition_subalgoE8EsNS0_10empty_typeEbEEZZNS1_14partition_implILS5_8ELb0ES3_jN6thrust23THRUST_200600_302600_NS6detail15normal_iteratorINSA_10device_ptrIsEEEEPS6_PKS6_NS0_5tupleIJNSA_16discard_iteratorINSA_11use_defaultEEES6_EEENSJ_IJSG_SG_EEENS0_18inequality_wrapperINSA_8equal_toIsEEEEPmJS6_EEE10hipError_tPvRmT3_T4_T5_T6_T7_T9_mT8_P12ihipStream_tbDpT10_ENKUlT_T0_E_clISt17integral_constantIbLb1EES1D_EEDaS18_S19_EUlS18_E_NS1_11comp_targetILNS1_3genE8ELNS1_11target_archE1030ELNS1_3gpuE2ELNS1_3repE0EEENS1_30default_config_static_selectorELNS0_4arch9wavefront6targetE1EEEvT1_.has_indirect_call, 0
	.section	.AMDGPU.csdata,"",@progbits
; Kernel info:
; codeLenInByte = 0
; TotalNumSgprs: 4
; NumVgprs: 0
; ScratchSize: 0
; MemoryBound: 0
; FloatMode: 240
; IeeeMode: 1
; LDSByteSize: 0 bytes/workgroup (compile time only)
; SGPRBlocks: 0
; VGPRBlocks: 0
; NumSGPRsForWavesPerEU: 4
; NumVGPRsForWavesPerEU: 1
; Occupancy: 10
; WaveLimiterHint : 0
; COMPUTE_PGM_RSRC2:SCRATCH_EN: 0
; COMPUTE_PGM_RSRC2:USER_SGPR: 6
; COMPUTE_PGM_RSRC2:TRAP_HANDLER: 0
; COMPUTE_PGM_RSRC2:TGID_X_EN: 1
; COMPUTE_PGM_RSRC2:TGID_Y_EN: 0
; COMPUTE_PGM_RSRC2:TGID_Z_EN: 0
; COMPUTE_PGM_RSRC2:TIDIG_COMP_CNT: 0
	.section	.text._ZN7rocprim17ROCPRIM_400000_NS6detail17trampoline_kernelINS0_14default_configENS1_25partition_config_selectorILNS1_17partition_subalgoE8EsNS0_10empty_typeEbEEZZNS1_14partition_implILS5_8ELb0ES3_jN6thrust23THRUST_200600_302600_NS6detail15normal_iteratorINSA_10device_ptrIsEEEEPS6_PKS6_NS0_5tupleIJNSA_16discard_iteratorINSA_11use_defaultEEES6_EEENSJ_IJSG_SG_EEENS0_18inequality_wrapperINSA_8equal_toIsEEEEPmJS6_EEE10hipError_tPvRmT3_T4_T5_T6_T7_T9_mT8_P12ihipStream_tbDpT10_ENKUlT_T0_E_clISt17integral_constantIbLb1EES1C_IbLb0EEEEDaS18_S19_EUlS18_E_NS1_11comp_targetILNS1_3genE0ELNS1_11target_archE4294967295ELNS1_3gpuE0ELNS1_3repE0EEENS1_30default_config_static_selectorELNS0_4arch9wavefront6targetE1EEEvT1_,"axG",@progbits,_ZN7rocprim17ROCPRIM_400000_NS6detail17trampoline_kernelINS0_14default_configENS1_25partition_config_selectorILNS1_17partition_subalgoE8EsNS0_10empty_typeEbEEZZNS1_14partition_implILS5_8ELb0ES3_jN6thrust23THRUST_200600_302600_NS6detail15normal_iteratorINSA_10device_ptrIsEEEEPS6_PKS6_NS0_5tupleIJNSA_16discard_iteratorINSA_11use_defaultEEES6_EEENSJ_IJSG_SG_EEENS0_18inequality_wrapperINSA_8equal_toIsEEEEPmJS6_EEE10hipError_tPvRmT3_T4_T5_T6_T7_T9_mT8_P12ihipStream_tbDpT10_ENKUlT_T0_E_clISt17integral_constantIbLb1EES1C_IbLb0EEEEDaS18_S19_EUlS18_E_NS1_11comp_targetILNS1_3genE0ELNS1_11target_archE4294967295ELNS1_3gpuE0ELNS1_3repE0EEENS1_30default_config_static_selectorELNS0_4arch9wavefront6targetE1EEEvT1_,comdat
	.protected	_ZN7rocprim17ROCPRIM_400000_NS6detail17trampoline_kernelINS0_14default_configENS1_25partition_config_selectorILNS1_17partition_subalgoE8EsNS0_10empty_typeEbEEZZNS1_14partition_implILS5_8ELb0ES3_jN6thrust23THRUST_200600_302600_NS6detail15normal_iteratorINSA_10device_ptrIsEEEEPS6_PKS6_NS0_5tupleIJNSA_16discard_iteratorINSA_11use_defaultEEES6_EEENSJ_IJSG_SG_EEENS0_18inequality_wrapperINSA_8equal_toIsEEEEPmJS6_EEE10hipError_tPvRmT3_T4_T5_T6_T7_T9_mT8_P12ihipStream_tbDpT10_ENKUlT_T0_E_clISt17integral_constantIbLb1EES1C_IbLb0EEEEDaS18_S19_EUlS18_E_NS1_11comp_targetILNS1_3genE0ELNS1_11target_archE4294967295ELNS1_3gpuE0ELNS1_3repE0EEENS1_30default_config_static_selectorELNS0_4arch9wavefront6targetE1EEEvT1_ ; -- Begin function _ZN7rocprim17ROCPRIM_400000_NS6detail17trampoline_kernelINS0_14default_configENS1_25partition_config_selectorILNS1_17partition_subalgoE8EsNS0_10empty_typeEbEEZZNS1_14partition_implILS5_8ELb0ES3_jN6thrust23THRUST_200600_302600_NS6detail15normal_iteratorINSA_10device_ptrIsEEEEPS6_PKS6_NS0_5tupleIJNSA_16discard_iteratorINSA_11use_defaultEEES6_EEENSJ_IJSG_SG_EEENS0_18inequality_wrapperINSA_8equal_toIsEEEEPmJS6_EEE10hipError_tPvRmT3_T4_T5_T6_T7_T9_mT8_P12ihipStream_tbDpT10_ENKUlT_T0_E_clISt17integral_constantIbLb1EES1C_IbLb0EEEEDaS18_S19_EUlS18_E_NS1_11comp_targetILNS1_3genE0ELNS1_11target_archE4294967295ELNS1_3gpuE0ELNS1_3repE0EEENS1_30default_config_static_selectorELNS0_4arch9wavefront6targetE1EEEvT1_
	.globl	_ZN7rocprim17ROCPRIM_400000_NS6detail17trampoline_kernelINS0_14default_configENS1_25partition_config_selectorILNS1_17partition_subalgoE8EsNS0_10empty_typeEbEEZZNS1_14partition_implILS5_8ELb0ES3_jN6thrust23THRUST_200600_302600_NS6detail15normal_iteratorINSA_10device_ptrIsEEEEPS6_PKS6_NS0_5tupleIJNSA_16discard_iteratorINSA_11use_defaultEEES6_EEENSJ_IJSG_SG_EEENS0_18inequality_wrapperINSA_8equal_toIsEEEEPmJS6_EEE10hipError_tPvRmT3_T4_T5_T6_T7_T9_mT8_P12ihipStream_tbDpT10_ENKUlT_T0_E_clISt17integral_constantIbLb1EES1C_IbLb0EEEEDaS18_S19_EUlS18_E_NS1_11comp_targetILNS1_3genE0ELNS1_11target_archE4294967295ELNS1_3gpuE0ELNS1_3repE0EEENS1_30default_config_static_selectorELNS0_4arch9wavefront6targetE1EEEvT1_
	.p2align	8
	.type	_ZN7rocprim17ROCPRIM_400000_NS6detail17trampoline_kernelINS0_14default_configENS1_25partition_config_selectorILNS1_17partition_subalgoE8EsNS0_10empty_typeEbEEZZNS1_14partition_implILS5_8ELb0ES3_jN6thrust23THRUST_200600_302600_NS6detail15normal_iteratorINSA_10device_ptrIsEEEEPS6_PKS6_NS0_5tupleIJNSA_16discard_iteratorINSA_11use_defaultEEES6_EEENSJ_IJSG_SG_EEENS0_18inequality_wrapperINSA_8equal_toIsEEEEPmJS6_EEE10hipError_tPvRmT3_T4_T5_T6_T7_T9_mT8_P12ihipStream_tbDpT10_ENKUlT_T0_E_clISt17integral_constantIbLb1EES1C_IbLb0EEEEDaS18_S19_EUlS18_E_NS1_11comp_targetILNS1_3genE0ELNS1_11target_archE4294967295ELNS1_3gpuE0ELNS1_3repE0EEENS1_30default_config_static_selectorELNS0_4arch9wavefront6targetE1EEEvT1_,@function
_ZN7rocprim17ROCPRIM_400000_NS6detail17trampoline_kernelINS0_14default_configENS1_25partition_config_selectorILNS1_17partition_subalgoE8EsNS0_10empty_typeEbEEZZNS1_14partition_implILS5_8ELb0ES3_jN6thrust23THRUST_200600_302600_NS6detail15normal_iteratorINSA_10device_ptrIsEEEEPS6_PKS6_NS0_5tupleIJNSA_16discard_iteratorINSA_11use_defaultEEES6_EEENSJ_IJSG_SG_EEENS0_18inequality_wrapperINSA_8equal_toIsEEEEPmJS6_EEE10hipError_tPvRmT3_T4_T5_T6_T7_T9_mT8_P12ihipStream_tbDpT10_ENKUlT_T0_E_clISt17integral_constantIbLb1EES1C_IbLb0EEEEDaS18_S19_EUlS18_E_NS1_11comp_targetILNS1_3genE0ELNS1_11target_archE4294967295ELNS1_3gpuE0ELNS1_3repE0EEENS1_30default_config_static_selectorELNS0_4arch9wavefront6targetE1EEEvT1_: ; @_ZN7rocprim17ROCPRIM_400000_NS6detail17trampoline_kernelINS0_14default_configENS1_25partition_config_selectorILNS1_17partition_subalgoE8EsNS0_10empty_typeEbEEZZNS1_14partition_implILS5_8ELb0ES3_jN6thrust23THRUST_200600_302600_NS6detail15normal_iteratorINSA_10device_ptrIsEEEEPS6_PKS6_NS0_5tupleIJNSA_16discard_iteratorINSA_11use_defaultEEES6_EEENSJ_IJSG_SG_EEENS0_18inequality_wrapperINSA_8equal_toIsEEEEPmJS6_EEE10hipError_tPvRmT3_T4_T5_T6_T7_T9_mT8_P12ihipStream_tbDpT10_ENKUlT_T0_E_clISt17integral_constantIbLb1EES1C_IbLb0EEEEDaS18_S19_EUlS18_E_NS1_11comp_targetILNS1_3genE0ELNS1_11target_archE4294967295ELNS1_3gpuE0ELNS1_3repE0EEENS1_30default_config_static_selectorELNS0_4arch9wavefront6targetE1EEEvT1_
; %bb.0:
	.section	.rodata,"a",@progbits
	.p2align	6, 0x0
	.amdhsa_kernel _ZN7rocprim17ROCPRIM_400000_NS6detail17trampoline_kernelINS0_14default_configENS1_25partition_config_selectorILNS1_17partition_subalgoE8EsNS0_10empty_typeEbEEZZNS1_14partition_implILS5_8ELb0ES3_jN6thrust23THRUST_200600_302600_NS6detail15normal_iteratorINSA_10device_ptrIsEEEEPS6_PKS6_NS0_5tupleIJNSA_16discard_iteratorINSA_11use_defaultEEES6_EEENSJ_IJSG_SG_EEENS0_18inequality_wrapperINSA_8equal_toIsEEEEPmJS6_EEE10hipError_tPvRmT3_T4_T5_T6_T7_T9_mT8_P12ihipStream_tbDpT10_ENKUlT_T0_E_clISt17integral_constantIbLb1EES1C_IbLb0EEEEDaS18_S19_EUlS18_E_NS1_11comp_targetILNS1_3genE0ELNS1_11target_archE4294967295ELNS1_3gpuE0ELNS1_3repE0EEENS1_30default_config_static_selectorELNS0_4arch9wavefront6targetE1EEEvT1_
		.amdhsa_group_segment_fixed_size 0
		.amdhsa_private_segment_fixed_size 0
		.amdhsa_kernarg_size 120
		.amdhsa_user_sgpr_count 6
		.amdhsa_user_sgpr_private_segment_buffer 1
		.amdhsa_user_sgpr_dispatch_ptr 0
		.amdhsa_user_sgpr_queue_ptr 0
		.amdhsa_user_sgpr_kernarg_segment_ptr 1
		.amdhsa_user_sgpr_dispatch_id 0
		.amdhsa_user_sgpr_flat_scratch_init 0
		.amdhsa_user_sgpr_private_segment_size 0
		.amdhsa_uses_dynamic_stack 0
		.amdhsa_system_sgpr_private_segment_wavefront_offset 0
		.amdhsa_system_sgpr_workgroup_id_x 1
		.amdhsa_system_sgpr_workgroup_id_y 0
		.amdhsa_system_sgpr_workgroup_id_z 0
		.amdhsa_system_sgpr_workgroup_info 0
		.amdhsa_system_vgpr_workitem_id 0
		.amdhsa_next_free_vgpr 1
		.amdhsa_next_free_sgpr 0
		.amdhsa_reserve_vcc 0
		.amdhsa_reserve_flat_scratch 0
		.amdhsa_float_round_mode_32 0
		.amdhsa_float_round_mode_16_64 0
		.amdhsa_float_denorm_mode_32 3
		.amdhsa_float_denorm_mode_16_64 3
		.amdhsa_dx10_clamp 1
		.amdhsa_ieee_mode 1
		.amdhsa_fp16_overflow 0
		.amdhsa_exception_fp_ieee_invalid_op 0
		.amdhsa_exception_fp_denorm_src 0
		.amdhsa_exception_fp_ieee_div_zero 0
		.amdhsa_exception_fp_ieee_overflow 0
		.amdhsa_exception_fp_ieee_underflow 0
		.amdhsa_exception_fp_ieee_inexact 0
		.amdhsa_exception_int_div_zero 0
	.end_amdhsa_kernel
	.section	.text._ZN7rocprim17ROCPRIM_400000_NS6detail17trampoline_kernelINS0_14default_configENS1_25partition_config_selectorILNS1_17partition_subalgoE8EsNS0_10empty_typeEbEEZZNS1_14partition_implILS5_8ELb0ES3_jN6thrust23THRUST_200600_302600_NS6detail15normal_iteratorINSA_10device_ptrIsEEEEPS6_PKS6_NS0_5tupleIJNSA_16discard_iteratorINSA_11use_defaultEEES6_EEENSJ_IJSG_SG_EEENS0_18inequality_wrapperINSA_8equal_toIsEEEEPmJS6_EEE10hipError_tPvRmT3_T4_T5_T6_T7_T9_mT8_P12ihipStream_tbDpT10_ENKUlT_T0_E_clISt17integral_constantIbLb1EES1C_IbLb0EEEEDaS18_S19_EUlS18_E_NS1_11comp_targetILNS1_3genE0ELNS1_11target_archE4294967295ELNS1_3gpuE0ELNS1_3repE0EEENS1_30default_config_static_selectorELNS0_4arch9wavefront6targetE1EEEvT1_,"axG",@progbits,_ZN7rocprim17ROCPRIM_400000_NS6detail17trampoline_kernelINS0_14default_configENS1_25partition_config_selectorILNS1_17partition_subalgoE8EsNS0_10empty_typeEbEEZZNS1_14partition_implILS5_8ELb0ES3_jN6thrust23THRUST_200600_302600_NS6detail15normal_iteratorINSA_10device_ptrIsEEEEPS6_PKS6_NS0_5tupleIJNSA_16discard_iteratorINSA_11use_defaultEEES6_EEENSJ_IJSG_SG_EEENS0_18inequality_wrapperINSA_8equal_toIsEEEEPmJS6_EEE10hipError_tPvRmT3_T4_T5_T6_T7_T9_mT8_P12ihipStream_tbDpT10_ENKUlT_T0_E_clISt17integral_constantIbLb1EES1C_IbLb0EEEEDaS18_S19_EUlS18_E_NS1_11comp_targetILNS1_3genE0ELNS1_11target_archE4294967295ELNS1_3gpuE0ELNS1_3repE0EEENS1_30default_config_static_selectorELNS0_4arch9wavefront6targetE1EEEvT1_,comdat
.Lfunc_end709:
	.size	_ZN7rocprim17ROCPRIM_400000_NS6detail17trampoline_kernelINS0_14default_configENS1_25partition_config_selectorILNS1_17partition_subalgoE8EsNS0_10empty_typeEbEEZZNS1_14partition_implILS5_8ELb0ES3_jN6thrust23THRUST_200600_302600_NS6detail15normal_iteratorINSA_10device_ptrIsEEEEPS6_PKS6_NS0_5tupleIJNSA_16discard_iteratorINSA_11use_defaultEEES6_EEENSJ_IJSG_SG_EEENS0_18inequality_wrapperINSA_8equal_toIsEEEEPmJS6_EEE10hipError_tPvRmT3_T4_T5_T6_T7_T9_mT8_P12ihipStream_tbDpT10_ENKUlT_T0_E_clISt17integral_constantIbLb1EES1C_IbLb0EEEEDaS18_S19_EUlS18_E_NS1_11comp_targetILNS1_3genE0ELNS1_11target_archE4294967295ELNS1_3gpuE0ELNS1_3repE0EEENS1_30default_config_static_selectorELNS0_4arch9wavefront6targetE1EEEvT1_, .Lfunc_end709-_ZN7rocprim17ROCPRIM_400000_NS6detail17trampoline_kernelINS0_14default_configENS1_25partition_config_selectorILNS1_17partition_subalgoE8EsNS0_10empty_typeEbEEZZNS1_14partition_implILS5_8ELb0ES3_jN6thrust23THRUST_200600_302600_NS6detail15normal_iteratorINSA_10device_ptrIsEEEEPS6_PKS6_NS0_5tupleIJNSA_16discard_iteratorINSA_11use_defaultEEES6_EEENSJ_IJSG_SG_EEENS0_18inequality_wrapperINSA_8equal_toIsEEEEPmJS6_EEE10hipError_tPvRmT3_T4_T5_T6_T7_T9_mT8_P12ihipStream_tbDpT10_ENKUlT_T0_E_clISt17integral_constantIbLb1EES1C_IbLb0EEEEDaS18_S19_EUlS18_E_NS1_11comp_targetILNS1_3genE0ELNS1_11target_archE4294967295ELNS1_3gpuE0ELNS1_3repE0EEENS1_30default_config_static_selectorELNS0_4arch9wavefront6targetE1EEEvT1_
                                        ; -- End function
	.set _ZN7rocprim17ROCPRIM_400000_NS6detail17trampoline_kernelINS0_14default_configENS1_25partition_config_selectorILNS1_17partition_subalgoE8EsNS0_10empty_typeEbEEZZNS1_14partition_implILS5_8ELb0ES3_jN6thrust23THRUST_200600_302600_NS6detail15normal_iteratorINSA_10device_ptrIsEEEEPS6_PKS6_NS0_5tupleIJNSA_16discard_iteratorINSA_11use_defaultEEES6_EEENSJ_IJSG_SG_EEENS0_18inequality_wrapperINSA_8equal_toIsEEEEPmJS6_EEE10hipError_tPvRmT3_T4_T5_T6_T7_T9_mT8_P12ihipStream_tbDpT10_ENKUlT_T0_E_clISt17integral_constantIbLb1EES1C_IbLb0EEEEDaS18_S19_EUlS18_E_NS1_11comp_targetILNS1_3genE0ELNS1_11target_archE4294967295ELNS1_3gpuE0ELNS1_3repE0EEENS1_30default_config_static_selectorELNS0_4arch9wavefront6targetE1EEEvT1_.num_vgpr, 0
	.set _ZN7rocprim17ROCPRIM_400000_NS6detail17trampoline_kernelINS0_14default_configENS1_25partition_config_selectorILNS1_17partition_subalgoE8EsNS0_10empty_typeEbEEZZNS1_14partition_implILS5_8ELb0ES3_jN6thrust23THRUST_200600_302600_NS6detail15normal_iteratorINSA_10device_ptrIsEEEEPS6_PKS6_NS0_5tupleIJNSA_16discard_iteratorINSA_11use_defaultEEES6_EEENSJ_IJSG_SG_EEENS0_18inequality_wrapperINSA_8equal_toIsEEEEPmJS6_EEE10hipError_tPvRmT3_T4_T5_T6_T7_T9_mT8_P12ihipStream_tbDpT10_ENKUlT_T0_E_clISt17integral_constantIbLb1EES1C_IbLb0EEEEDaS18_S19_EUlS18_E_NS1_11comp_targetILNS1_3genE0ELNS1_11target_archE4294967295ELNS1_3gpuE0ELNS1_3repE0EEENS1_30default_config_static_selectorELNS0_4arch9wavefront6targetE1EEEvT1_.num_agpr, 0
	.set _ZN7rocprim17ROCPRIM_400000_NS6detail17trampoline_kernelINS0_14default_configENS1_25partition_config_selectorILNS1_17partition_subalgoE8EsNS0_10empty_typeEbEEZZNS1_14partition_implILS5_8ELb0ES3_jN6thrust23THRUST_200600_302600_NS6detail15normal_iteratorINSA_10device_ptrIsEEEEPS6_PKS6_NS0_5tupleIJNSA_16discard_iteratorINSA_11use_defaultEEES6_EEENSJ_IJSG_SG_EEENS0_18inequality_wrapperINSA_8equal_toIsEEEEPmJS6_EEE10hipError_tPvRmT3_T4_T5_T6_T7_T9_mT8_P12ihipStream_tbDpT10_ENKUlT_T0_E_clISt17integral_constantIbLb1EES1C_IbLb0EEEEDaS18_S19_EUlS18_E_NS1_11comp_targetILNS1_3genE0ELNS1_11target_archE4294967295ELNS1_3gpuE0ELNS1_3repE0EEENS1_30default_config_static_selectorELNS0_4arch9wavefront6targetE1EEEvT1_.numbered_sgpr, 0
	.set _ZN7rocprim17ROCPRIM_400000_NS6detail17trampoline_kernelINS0_14default_configENS1_25partition_config_selectorILNS1_17partition_subalgoE8EsNS0_10empty_typeEbEEZZNS1_14partition_implILS5_8ELb0ES3_jN6thrust23THRUST_200600_302600_NS6detail15normal_iteratorINSA_10device_ptrIsEEEEPS6_PKS6_NS0_5tupleIJNSA_16discard_iteratorINSA_11use_defaultEEES6_EEENSJ_IJSG_SG_EEENS0_18inequality_wrapperINSA_8equal_toIsEEEEPmJS6_EEE10hipError_tPvRmT3_T4_T5_T6_T7_T9_mT8_P12ihipStream_tbDpT10_ENKUlT_T0_E_clISt17integral_constantIbLb1EES1C_IbLb0EEEEDaS18_S19_EUlS18_E_NS1_11comp_targetILNS1_3genE0ELNS1_11target_archE4294967295ELNS1_3gpuE0ELNS1_3repE0EEENS1_30default_config_static_selectorELNS0_4arch9wavefront6targetE1EEEvT1_.num_named_barrier, 0
	.set _ZN7rocprim17ROCPRIM_400000_NS6detail17trampoline_kernelINS0_14default_configENS1_25partition_config_selectorILNS1_17partition_subalgoE8EsNS0_10empty_typeEbEEZZNS1_14partition_implILS5_8ELb0ES3_jN6thrust23THRUST_200600_302600_NS6detail15normal_iteratorINSA_10device_ptrIsEEEEPS6_PKS6_NS0_5tupleIJNSA_16discard_iteratorINSA_11use_defaultEEES6_EEENSJ_IJSG_SG_EEENS0_18inequality_wrapperINSA_8equal_toIsEEEEPmJS6_EEE10hipError_tPvRmT3_T4_T5_T6_T7_T9_mT8_P12ihipStream_tbDpT10_ENKUlT_T0_E_clISt17integral_constantIbLb1EES1C_IbLb0EEEEDaS18_S19_EUlS18_E_NS1_11comp_targetILNS1_3genE0ELNS1_11target_archE4294967295ELNS1_3gpuE0ELNS1_3repE0EEENS1_30default_config_static_selectorELNS0_4arch9wavefront6targetE1EEEvT1_.private_seg_size, 0
	.set _ZN7rocprim17ROCPRIM_400000_NS6detail17trampoline_kernelINS0_14default_configENS1_25partition_config_selectorILNS1_17partition_subalgoE8EsNS0_10empty_typeEbEEZZNS1_14partition_implILS5_8ELb0ES3_jN6thrust23THRUST_200600_302600_NS6detail15normal_iteratorINSA_10device_ptrIsEEEEPS6_PKS6_NS0_5tupleIJNSA_16discard_iteratorINSA_11use_defaultEEES6_EEENSJ_IJSG_SG_EEENS0_18inequality_wrapperINSA_8equal_toIsEEEEPmJS6_EEE10hipError_tPvRmT3_T4_T5_T6_T7_T9_mT8_P12ihipStream_tbDpT10_ENKUlT_T0_E_clISt17integral_constantIbLb1EES1C_IbLb0EEEEDaS18_S19_EUlS18_E_NS1_11comp_targetILNS1_3genE0ELNS1_11target_archE4294967295ELNS1_3gpuE0ELNS1_3repE0EEENS1_30default_config_static_selectorELNS0_4arch9wavefront6targetE1EEEvT1_.uses_vcc, 0
	.set _ZN7rocprim17ROCPRIM_400000_NS6detail17trampoline_kernelINS0_14default_configENS1_25partition_config_selectorILNS1_17partition_subalgoE8EsNS0_10empty_typeEbEEZZNS1_14partition_implILS5_8ELb0ES3_jN6thrust23THRUST_200600_302600_NS6detail15normal_iteratorINSA_10device_ptrIsEEEEPS6_PKS6_NS0_5tupleIJNSA_16discard_iteratorINSA_11use_defaultEEES6_EEENSJ_IJSG_SG_EEENS0_18inequality_wrapperINSA_8equal_toIsEEEEPmJS6_EEE10hipError_tPvRmT3_T4_T5_T6_T7_T9_mT8_P12ihipStream_tbDpT10_ENKUlT_T0_E_clISt17integral_constantIbLb1EES1C_IbLb0EEEEDaS18_S19_EUlS18_E_NS1_11comp_targetILNS1_3genE0ELNS1_11target_archE4294967295ELNS1_3gpuE0ELNS1_3repE0EEENS1_30default_config_static_selectorELNS0_4arch9wavefront6targetE1EEEvT1_.uses_flat_scratch, 0
	.set _ZN7rocprim17ROCPRIM_400000_NS6detail17trampoline_kernelINS0_14default_configENS1_25partition_config_selectorILNS1_17partition_subalgoE8EsNS0_10empty_typeEbEEZZNS1_14partition_implILS5_8ELb0ES3_jN6thrust23THRUST_200600_302600_NS6detail15normal_iteratorINSA_10device_ptrIsEEEEPS6_PKS6_NS0_5tupleIJNSA_16discard_iteratorINSA_11use_defaultEEES6_EEENSJ_IJSG_SG_EEENS0_18inequality_wrapperINSA_8equal_toIsEEEEPmJS6_EEE10hipError_tPvRmT3_T4_T5_T6_T7_T9_mT8_P12ihipStream_tbDpT10_ENKUlT_T0_E_clISt17integral_constantIbLb1EES1C_IbLb0EEEEDaS18_S19_EUlS18_E_NS1_11comp_targetILNS1_3genE0ELNS1_11target_archE4294967295ELNS1_3gpuE0ELNS1_3repE0EEENS1_30default_config_static_selectorELNS0_4arch9wavefront6targetE1EEEvT1_.has_dyn_sized_stack, 0
	.set _ZN7rocprim17ROCPRIM_400000_NS6detail17trampoline_kernelINS0_14default_configENS1_25partition_config_selectorILNS1_17partition_subalgoE8EsNS0_10empty_typeEbEEZZNS1_14partition_implILS5_8ELb0ES3_jN6thrust23THRUST_200600_302600_NS6detail15normal_iteratorINSA_10device_ptrIsEEEEPS6_PKS6_NS0_5tupleIJNSA_16discard_iteratorINSA_11use_defaultEEES6_EEENSJ_IJSG_SG_EEENS0_18inequality_wrapperINSA_8equal_toIsEEEEPmJS6_EEE10hipError_tPvRmT3_T4_T5_T6_T7_T9_mT8_P12ihipStream_tbDpT10_ENKUlT_T0_E_clISt17integral_constantIbLb1EES1C_IbLb0EEEEDaS18_S19_EUlS18_E_NS1_11comp_targetILNS1_3genE0ELNS1_11target_archE4294967295ELNS1_3gpuE0ELNS1_3repE0EEENS1_30default_config_static_selectorELNS0_4arch9wavefront6targetE1EEEvT1_.has_recursion, 0
	.set _ZN7rocprim17ROCPRIM_400000_NS6detail17trampoline_kernelINS0_14default_configENS1_25partition_config_selectorILNS1_17partition_subalgoE8EsNS0_10empty_typeEbEEZZNS1_14partition_implILS5_8ELb0ES3_jN6thrust23THRUST_200600_302600_NS6detail15normal_iteratorINSA_10device_ptrIsEEEEPS6_PKS6_NS0_5tupleIJNSA_16discard_iteratorINSA_11use_defaultEEES6_EEENSJ_IJSG_SG_EEENS0_18inequality_wrapperINSA_8equal_toIsEEEEPmJS6_EEE10hipError_tPvRmT3_T4_T5_T6_T7_T9_mT8_P12ihipStream_tbDpT10_ENKUlT_T0_E_clISt17integral_constantIbLb1EES1C_IbLb0EEEEDaS18_S19_EUlS18_E_NS1_11comp_targetILNS1_3genE0ELNS1_11target_archE4294967295ELNS1_3gpuE0ELNS1_3repE0EEENS1_30default_config_static_selectorELNS0_4arch9wavefront6targetE1EEEvT1_.has_indirect_call, 0
	.section	.AMDGPU.csdata,"",@progbits
; Kernel info:
; codeLenInByte = 0
; TotalNumSgprs: 4
; NumVgprs: 0
; ScratchSize: 0
; MemoryBound: 0
; FloatMode: 240
; IeeeMode: 1
; LDSByteSize: 0 bytes/workgroup (compile time only)
; SGPRBlocks: 0
; VGPRBlocks: 0
; NumSGPRsForWavesPerEU: 4
; NumVGPRsForWavesPerEU: 1
; Occupancy: 10
; WaveLimiterHint : 0
; COMPUTE_PGM_RSRC2:SCRATCH_EN: 0
; COMPUTE_PGM_RSRC2:USER_SGPR: 6
; COMPUTE_PGM_RSRC2:TRAP_HANDLER: 0
; COMPUTE_PGM_RSRC2:TGID_X_EN: 1
; COMPUTE_PGM_RSRC2:TGID_Y_EN: 0
; COMPUTE_PGM_RSRC2:TGID_Z_EN: 0
; COMPUTE_PGM_RSRC2:TIDIG_COMP_CNT: 0
	.section	.text._ZN7rocprim17ROCPRIM_400000_NS6detail17trampoline_kernelINS0_14default_configENS1_25partition_config_selectorILNS1_17partition_subalgoE8EsNS0_10empty_typeEbEEZZNS1_14partition_implILS5_8ELb0ES3_jN6thrust23THRUST_200600_302600_NS6detail15normal_iteratorINSA_10device_ptrIsEEEEPS6_PKS6_NS0_5tupleIJNSA_16discard_iteratorINSA_11use_defaultEEES6_EEENSJ_IJSG_SG_EEENS0_18inequality_wrapperINSA_8equal_toIsEEEEPmJS6_EEE10hipError_tPvRmT3_T4_T5_T6_T7_T9_mT8_P12ihipStream_tbDpT10_ENKUlT_T0_E_clISt17integral_constantIbLb1EES1C_IbLb0EEEEDaS18_S19_EUlS18_E_NS1_11comp_targetILNS1_3genE5ELNS1_11target_archE942ELNS1_3gpuE9ELNS1_3repE0EEENS1_30default_config_static_selectorELNS0_4arch9wavefront6targetE1EEEvT1_,"axG",@progbits,_ZN7rocprim17ROCPRIM_400000_NS6detail17trampoline_kernelINS0_14default_configENS1_25partition_config_selectorILNS1_17partition_subalgoE8EsNS0_10empty_typeEbEEZZNS1_14partition_implILS5_8ELb0ES3_jN6thrust23THRUST_200600_302600_NS6detail15normal_iteratorINSA_10device_ptrIsEEEEPS6_PKS6_NS0_5tupleIJNSA_16discard_iteratorINSA_11use_defaultEEES6_EEENSJ_IJSG_SG_EEENS0_18inequality_wrapperINSA_8equal_toIsEEEEPmJS6_EEE10hipError_tPvRmT3_T4_T5_T6_T7_T9_mT8_P12ihipStream_tbDpT10_ENKUlT_T0_E_clISt17integral_constantIbLb1EES1C_IbLb0EEEEDaS18_S19_EUlS18_E_NS1_11comp_targetILNS1_3genE5ELNS1_11target_archE942ELNS1_3gpuE9ELNS1_3repE0EEENS1_30default_config_static_selectorELNS0_4arch9wavefront6targetE1EEEvT1_,comdat
	.protected	_ZN7rocprim17ROCPRIM_400000_NS6detail17trampoline_kernelINS0_14default_configENS1_25partition_config_selectorILNS1_17partition_subalgoE8EsNS0_10empty_typeEbEEZZNS1_14partition_implILS5_8ELb0ES3_jN6thrust23THRUST_200600_302600_NS6detail15normal_iteratorINSA_10device_ptrIsEEEEPS6_PKS6_NS0_5tupleIJNSA_16discard_iteratorINSA_11use_defaultEEES6_EEENSJ_IJSG_SG_EEENS0_18inequality_wrapperINSA_8equal_toIsEEEEPmJS6_EEE10hipError_tPvRmT3_T4_T5_T6_T7_T9_mT8_P12ihipStream_tbDpT10_ENKUlT_T0_E_clISt17integral_constantIbLb1EES1C_IbLb0EEEEDaS18_S19_EUlS18_E_NS1_11comp_targetILNS1_3genE5ELNS1_11target_archE942ELNS1_3gpuE9ELNS1_3repE0EEENS1_30default_config_static_selectorELNS0_4arch9wavefront6targetE1EEEvT1_ ; -- Begin function _ZN7rocprim17ROCPRIM_400000_NS6detail17trampoline_kernelINS0_14default_configENS1_25partition_config_selectorILNS1_17partition_subalgoE8EsNS0_10empty_typeEbEEZZNS1_14partition_implILS5_8ELb0ES3_jN6thrust23THRUST_200600_302600_NS6detail15normal_iteratorINSA_10device_ptrIsEEEEPS6_PKS6_NS0_5tupleIJNSA_16discard_iteratorINSA_11use_defaultEEES6_EEENSJ_IJSG_SG_EEENS0_18inequality_wrapperINSA_8equal_toIsEEEEPmJS6_EEE10hipError_tPvRmT3_T4_T5_T6_T7_T9_mT8_P12ihipStream_tbDpT10_ENKUlT_T0_E_clISt17integral_constantIbLb1EES1C_IbLb0EEEEDaS18_S19_EUlS18_E_NS1_11comp_targetILNS1_3genE5ELNS1_11target_archE942ELNS1_3gpuE9ELNS1_3repE0EEENS1_30default_config_static_selectorELNS0_4arch9wavefront6targetE1EEEvT1_
	.globl	_ZN7rocprim17ROCPRIM_400000_NS6detail17trampoline_kernelINS0_14default_configENS1_25partition_config_selectorILNS1_17partition_subalgoE8EsNS0_10empty_typeEbEEZZNS1_14partition_implILS5_8ELb0ES3_jN6thrust23THRUST_200600_302600_NS6detail15normal_iteratorINSA_10device_ptrIsEEEEPS6_PKS6_NS0_5tupleIJNSA_16discard_iteratorINSA_11use_defaultEEES6_EEENSJ_IJSG_SG_EEENS0_18inequality_wrapperINSA_8equal_toIsEEEEPmJS6_EEE10hipError_tPvRmT3_T4_T5_T6_T7_T9_mT8_P12ihipStream_tbDpT10_ENKUlT_T0_E_clISt17integral_constantIbLb1EES1C_IbLb0EEEEDaS18_S19_EUlS18_E_NS1_11comp_targetILNS1_3genE5ELNS1_11target_archE942ELNS1_3gpuE9ELNS1_3repE0EEENS1_30default_config_static_selectorELNS0_4arch9wavefront6targetE1EEEvT1_
	.p2align	8
	.type	_ZN7rocprim17ROCPRIM_400000_NS6detail17trampoline_kernelINS0_14default_configENS1_25partition_config_selectorILNS1_17partition_subalgoE8EsNS0_10empty_typeEbEEZZNS1_14partition_implILS5_8ELb0ES3_jN6thrust23THRUST_200600_302600_NS6detail15normal_iteratorINSA_10device_ptrIsEEEEPS6_PKS6_NS0_5tupleIJNSA_16discard_iteratorINSA_11use_defaultEEES6_EEENSJ_IJSG_SG_EEENS0_18inequality_wrapperINSA_8equal_toIsEEEEPmJS6_EEE10hipError_tPvRmT3_T4_T5_T6_T7_T9_mT8_P12ihipStream_tbDpT10_ENKUlT_T0_E_clISt17integral_constantIbLb1EES1C_IbLb0EEEEDaS18_S19_EUlS18_E_NS1_11comp_targetILNS1_3genE5ELNS1_11target_archE942ELNS1_3gpuE9ELNS1_3repE0EEENS1_30default_config_static_selectorELNS0_4arch9wavefront6targetE1EEEvT1_,@function
_ZN7rocprim17ROCPRIM_400000_NS6detail17trampoline_kernelINS0_14default_configENS1_25partition_config_selectorILNS1_17partition_subalgoE8EsNS0_10empty_typeEbEEZZNS1_14partition_implILS5_8ELb0ES3_jN6thrust23THRUST_200600_302600_NS6detail15normal_iteratorINSA_10device_ptrIsEEEEPS6_PKS6_NS0_5tupleIJNSA_16discard_iteratorINSA_11use_defaultEEES6_EEENSJ_IJSG_SG_EEENS0_18inequality_wrapperINSA_8equal_toIsEEEEPmJS6_EEE10hipError_tPvRmT3_T4_T5_T6_T7_T9_mT8_P12ihipStream_tbDpT10_ENKUlT_T0_E_clISt17integral_constantIbLb1EES1C_IbLb0EEEEDaS18_S19_EUlS18_E_NS1_11comp_targetILNS1_3genE5ELNS1_11target_archE942ELNS1_3gpuE9ELNS1_3repE0EEENS1_30default_config_static_selectorELNS0_4arch9wavefront6targetE1EEEvT1_: ; @_ZN7rocprim17ROCPRIM_400000_NS6detail17trampoline_kernelINS0_14default_configENS1_25partition_config_selectorILNS1_17partition_subalgoE8EsNS0_10empty_typeEbEEZZNS1_14partition_implILS5_8ELb0ES3_jN6thrust23THRUST_200600_302600_NS6detail15normal_iteratorINSA_10device_ptrIsEEEEPS6_PKS6_NS0_5tupleIJNSA_16discard_iteratorINSA_11use_defaultEEES6_EEENSJ_IJSG_SG_EEENS0_18inequality_wrapperINSA_8equal_toIsEEEEPmJS6_EEE10hipError_tPvRmT3_T4_T5_T6_T7_T9_mT8_P12ihipStream_tbDpT10_ENKUlT_T0_E_clISt17integral_constantIbLb1EES1C_IbLb0EEEEDaS18_S19_EUlS18_E_NS1_11comp_targetILNS1_3genE5ELNS1_11target_archE942ELNS1_3gpuE9ELNS1_3repE0EEENS1_30default_config_static_selectorELNS0_4arch9wavefront6targetE1EEEvT1_
; %bb.0:
	.section	.rodata,"a",@progbits
	.p2align	6, 0x0
	.amdhsa_kernel _ZN7rocprim17ROCPRIM_400000_NS6detail17trampoline_kernelINS0_14default_configENS1_25partition_config_selectorILNS1_17partition_subalgoE8EsNS0_10empty_typeEbEEZZNS1_14partition_implILS5_8ELb0ES3_jN6thrust23THRUST_200600_302600_NS6detail15normal_iteratorINSA_10device_ptrIsEEEEPS6_PKS6_NS0_5tupleIJNSA_16discard_iteratorINSA_11use_defaultEEES6_EEENSJ_IJSG_SG_EEENS0_18inequality_wrapperINSA_8equal_toIsEEEEPmJS6_EEE10hipError_tPvRmT3_T4_T5_T6_T7_T9_mT8_P12ihipStream_tbDpT10_ENKUlT_T0_E_clISt17integral_constantIbLb1EES1C_IbLb0EEEEDaS18_S19_EUlS18_E_NS1_11comp_targetILNS1_3genE5ELNS1_11target_archE942ELNS1_3gpuE9ELNS1_3repE0EEENS1_30default_config_static_selectorELNS0_4arch9wavefront6targetE1EEEvT1_
		.amdhsa_group_segment_fixed_size 0
		.amdhsa_private_segment_fixed_size 0
		.amdhsa_kernarg_size 120
		.amdhsa_user_sgpr_count 6
		.amdhsa_user_sgpr_private_segment_buffer 1
		.amdhsa_user_sgpr_dispatch_ptr 0
		.amdhsa_user_sgpr_queue_ptr 0
		.amdhsa_user_sgpr_kernarg_segment_ptr 1
		.amdhsa_user_sgpr_dispatch_id 0
		.amdhsa_user_sgpr_flat_scratch_init 0
		.amdhsa_user_sgpr_private_segment_size 0
		.amdhsa_uses_dynamic_stack 0
		.amdhsa_system_sgpr_private_segment_wavefront_offset 0
		.amdhsa_system_sgpr_workgroup_id_x 1
		.amdhsa_system_sgpr_workgroup_id_y 0
		.amdhsa_system_sgpr_workgroup_id_z 0
		.amdhsa_system_sgpr_workgroup_info 0
		.amdhsa_system_vgpr_workitem_id 0
		.amdhsa_next_free_vgpr 1
		.amdhsa_next_free_sgpr 0
		.amdhsa_reserve_vcc 0
		.amdhsa_reserve_flat_scratch 0
		.amdhsa_float_round_mode_32 0
		.amdhsa_float_round_mode_16_64 0
		.amdhsa_float_denorm_mode_32 3
		.amdhsa_float_denorm_mode_16_64 3
		.amdhsa_dx10_clamp 1
		.amdhsa_ieee_mode 1
		.amdhsa_fp16_overflow 0
		.amdhsa_exception_fp_ieee_invalid_op 0
		.amdhsa_exception_fp_denorm_src 0
		.amdhsa_exception_fp_ieee_div_zero 0
		.amdhsa_exception_fp_ieee_overflow 0
		.amdhsa_exception_fp_ieee_underflow 0
		.amdhsa_exception_fp_ieee_inexact 0
		.amdhsa_exception_int_div_zero 0
	.end_amdhsa_kernel
	.section	.text._ZN7rocprim17ROCPRIM_400000_NS6detail17trampoline_kernelINS0_14default_configENS1_25partition_config_selectorILNS1_17partition_subalgoE8EsNS0_10empty_typeEbEEZZNS1_14partition_implILS5_8ELb0ES3_jN6thrust23THRUST_200600_302600_NS6detail15normal_iteratorINSA_10device_ptrIsEEEEPS6_PKS6_NS0_5tupleIJNSA_16discard_iteratorINSA_11use_defaultEEES6_EEENSJ_IJSG_SG_EEENS0_18inequality_wrapperINSA_8equal_toIsEEEEPmJS6_EEE10hipError_tPvRmT3_T4_T5_T6_T7_T9_mT8_P12ihipStream_tbDpT10_ENKUlT_T0_E_clISt17integral_constantIbLb1EES1C_IbLb0EEEEDaS18_S19_EUlS18_E_NS1_11comp_targetILNS1_3genE5ELNS1_11target_archE942ELNS1_3gpuE9ELNS1_3repE0EEENS1_30default_config_static_selectorELNS0_4arch9wavefront6targetE1EEEvT1_,"axG",@progbits,_ZN7rocprim17ROCPRIM_400000_NS6detail17trampoline_kernelINS0_14default_configENS1_25partition_config_selectorILNS1_17partition_subalgoE8EsNS0_10empty_typeEbEEZZNS1_14partition_implILS5_8ELb0ES3_jN6thrust23THRUST_200600_302600_NS6detail15normal_iteratorINSA_10device_ptrIsEEEEPS6_PKS6_NS0_5tupleIJNSA_16discard_iteratorINSA_11use_defaultEEES6_EEENSJ_IJSG_SG_EEENS0_18inequality_wrapperINSA_8equal_toIsEEEEPmJS6_EEE10hipError_tPvRmT3_T4_T5_T6_T7_T9_mT8_P12ihipStream_tbDpT10_ENKUlT_T0_E_clISt17integral_constantIbLb1EES1C_IbLb0EEEEDaS18_S19_EUlS18_E_NS1_11comp_targetILNS1_3genE5ELNS1_11target_archE942ELNS1_3gpuE9ELNS1_3repE0EEENS1_30default_config_static_selectorELNS0_4arch9wavefront6targetE1EEEvT1_,comdat
.Lfunc_end710:
	.size	_ZN7rocprim17ROCPRIM_400000_NS6detail17trampoline_kernelINS0_14default_configENS1_25partition_config_selectorILNS1_17partition_subalgoE8EsNS0_10empty_typeEbEEZZNS1_14partition_implILS5_8ELb0ES3_jN6thrust23THRUST_200600_302600_NS6detail15normal_iteratorINSA_10device_ptrIsEEEEPS6_PKS6_NS0_5tupleIJNSA_16discard_iteratorINSA_11use_defaultEEES6_EEENSJ_IJSG_SG_EEENS0_18inequality_wrapperINSA_8equal_toIsEEEEPmJS6_EEE10hipError_tPvRmT3_T4_T5_T6_T7_T9_mT8_P12ihipStream_tbDpT10_ENKUlT_T0_E_clISt17integral_constantIbLb1EES1C_IbLb0EEEEDaS18_S19_EUlS18_E_NS1_11comp_targetILNS1_3genE5ELNS1_11target_archE942ELNS1_3gpuE9ELNS1_3repE0EEENS1_30default_config_static_selectorELNS0_4arch9wavefront6targetE1EEEvT1_, .Lfunc_end710-_ZN7rocprim17ROCPRIM_400000_NS6detail17trampoline_kernelINS0_14default_configENS1_25partition_config_selectorILNS1_17partition_subalgoE8EsNS0_10empty_typeEbEEZZNS1_14partition_implILS5_8ELb0ES3_jN6thrust23THRUST_200600_302600_NS6detail15normal_iteratorINSA_10device_ptrIsEEEEPS6_PKS6_NS0_5tupleIJNSA_16discard_iteratorINSA_11use_defaultEEES6_EEENSJ_IJSG_SG_EEENS0_18inequality_wrapperINSA_8equal_toIsEEEEPmJS6_EEE10hipError_tPvRmT3_T4_T5_T6_T7_T9_mT8_P12ihipStream_tbDpT10_ENKUlT_T0_E_clISt17integral_constantIbLb1EES1C_IbLb0EEEEDaS18_S19_EUlS18_E_NS1_11comp_targetILNS1_3genE5ELNS1_11target_archE942ELNS1_3gpuE9ELNS1_3repE0EEENS1_30default_config_static_selectorELNS0_4arch9wavefront6targetE1EEEvT1_
                                        ; -- End function
	.set _ZN7rocprim17ROCPRIM_400000_NS6detail17trampoline_kernelINS0_14default_configENS1_25partition_config_selectorILNS1_17partition_subalgoE8EsNS0_10empty_typeEbEEZZNS1_14partition_implILS5_8ELb0ES3_jN6thrust23THRUST_200600_302600_NS6detail15normal_iteratorINSA_10device_ptrIsEEEEPS6_PKS6_NS0_5tupleIJNSA_16discard_iteratorINSA_11use_defaultEEES6_EEENSJ_IJSG_SG_EEENS0_18inequality_wrapperINSA_8equal_toIsEEEEPmJS6_EEE10hipError_tPvRmT3_T4_T5_T6_T7_T9_mT8_P12ihipStream_tbDpT10_ENKUlT_T0_E_clISt17integral_constantIbLb1EES1C_IbLb0EEEEDaS18_S19_EUlS18_E_NS1_11comp_targetILNS1_3genE5ELNS1_11target_archE942ELNS1_3gpuE9ELNS1_3repE0EEENS1_30default_config_static_selectorELNS0_4arch9wavefront6targetE1EEEvT1_.num_vgpr, 0
	.set _ZN7rocprim17ROCPRIM_400000_NS6detail17trampoline_kernelINS0_14default_configENS1_25partition_config_selectorILNS1_17partition_subalgoE8EsNS0_10empty_typeEbEEZZNS1_14partition_implILS5_8ELb0ES3_jN6thrust23THRUST_200600_302600_NS6detail15normal_iteratorINSA_10device_ptrIsEEEEPS6_PKS6_NS0_5tupleIJNSA_16discard_iteratorINSA_11use_defaultEEES6_EEENSJ_IJSG_SG_EEENS0_18inequality_wrapperINSA_8equal_toIsEEEEPmJS6_EEE10hipError_tPvRmT3_T4_T5_T6_T7_T9_mT8_P12ihipStream_tbDpT10_ENKUlT_T0_E_clISt17integral_constantIbLb1EES1C_IbLb0EEEEDaS18_S19_EUlS18_E_NS1_11comp_targetILNS1_3genE5ELNS1_11target_archE942ELNS1_3gpuE9ELNS1_3repE0EEENS1_30default_config_static_selectorELNS0_4arch9wavefront6targetE1EEEvT1_.num_agpr, 0
	.set _ZN7rocprim17ROCPRIM_400000_NS6detail17trampoline_kernelINS0_14default_configENS1_25partition_config_selectorILNS1_17partition_subalgoE8EsNS0_10empty_typeEbEEZZNS1_14partition_implILS5_8ELb0ES3_jN6thrust23THRUST_200600_302600_NS6detail15normal_iteratorINSA_10device_ptrIsEEEEPS6_PKS6_NS0_5tupleIJNSA_16discard_iteratorINSA_11use_defaultEEES6_EEENSJ_IJSG_SG_EEENS0_18inequality_wrapperINSA_8equal_toIsEEEEPmJS6_EEE10hipError_tPvRmT3_T4_T5_T6_T7_T9_mT8_P12ihipStream_tbDpT10_ENKUlT_T0_E_clISt17integral_constantIbLb1EES1C_IbLb0EEEEDaS18_S19_EUlS18_E_NS1_11comp_targetILNS1_3genE5ELNS1_11target_archE942ELNS1_3gpuE9ELNS1_3repE0EEENS1_30default_config_static_selectorELNS0_4arch9wavefront6targetE1EEEvT1_.numbered_sgpr, 0
	.set _ZN7rocprim17ROCPRIM_400000_NS6detail17trampoline_kernelINS0_14default_configENS1_25partition_config_selectorILNS1_17partition_subalgoE8EsNS0_10empty_typeEbEEZZNS1_14partition_implILS5_8ELb0ES3_jN6thrust23THRUST_200600_302600_NS6detail15normal_iteratorINSA_10device_ptrIsEEEEPS6_PKS6_NS0_5tupleIJNSA_16discard_iteratorINSA_11use_defaultEEES6_EEENSJ_IJSG_SG_EEENS0_18inequality_wrapperINSA_8equal_toIsEEEEPmJS6_EEE10hipError_tPvRmT3_T4_T5_T6_T7_T9_mT8_P12ihipStream_tbDpT10_ENKUlT_T0_E_clISt17integral_constantIbLb1EES1C_IbLb0EEEEDaS18_S19_EUlS18_E_NS1_11comp_targetILNS1_3genE5ELNS1_11target_archE942ELNS1_3gpuE9ELNS1_3repE0EEENS1_30default_config_static_selectorELNS0_4arch9wavefront6targetE1EEEvT1_.num_named_barrier, 0
	.set _ZN7rocprim17ROCPRIM_400000_NS6detail17trampoline_kernelINS0_14default_configENS1_25partition_config_selectorILNS1_17partition_subalgoE8EsNS0_10empty_typeEbEEZZNS1_14partition_implILS5_8ELb0ES3_jN6thrust23THRUST_200600_302600_NS6detail15normal_iteratorINSA_10device_ptrIsEEEEPS6_PKS6_NS0_5tupleIJNSA_16discard_iteratorINSA_11use_defaultEEES6_EEENSJ_IJSG_SG_EEENS0_18inequality_wrapperINSA_8equal_toIsEEEEPmJS6_EEE10hipError_tPvRmT3_T4_T5_T6_T7_T9_mT8_P12ihipStream_tbDpT10_ENKUlT_T0_E_clISt17integral_constantIbLb1EES1C_IbLb0EEEEDaS18_S19_EUlS18_E_NS1_11comp_targetILNS1_3genE5ELNS1_11target_archE942ELNS1_3gpuE9ELNS1_3repE0EEENS1_30default_config_static_selectorELNS0_4arch9wavefront6targetE1EEEvT1_.private_seg_size, 0
	.set _ZN7rocprim17ROCPRIM_400000_NS6detail17trampoline_kernelINS0_14default_configENS1_25partition_config_selectorILNS1_17partition_subalgoE8EsNS0_10empty_typeEbEEZZNS1_14partition_implILS5_8ELb0ES3_jN6thrust23THRUST_200600_302600_NS6detail15normal_iteratorINSA_10device_ptrIsEEEEPS6_PKS6_NS0_5tupleIJNSA_16discard_iteratorINSA_11use_defaultEEES6_EEENSJ_IJSG_SG_EEENS0_18inequality_wrapperINSA_8equal_toIsEEEEPmJS6_EEE10hipError_tPvRmT3_T4_T5_T6_T7_T9_mT8_P12ihipStream_tbDpT10_ENKUlT_T0_E_clISt17integral_constantIbLb1EES1C_IbLb0EEEEDaS18_S19_EUlS18_E_NS1_11comp_targetILNS1_3genE5ELNS1_11target_archE942ELNS1_3gpuE9ELNS1_3repE0EEENS1_30default_config_static_selectorELNS0_4arch9wavefront6targetE1EEEvT1_.uses_vcc, 0
	.set _ZN7rocprim17ROCPRIM_400000_NS6detail17trampoline_kernelINS0_14default_configENS1_25partition_config_selectorILNS1_17partition_subalgoE8EsNS0_10empty_typeEbEEZZNS1_14partition_implILS5_8ELb0ES3_jN6thrust23THRUST_200600_302600_NS6detail15normal_iteratorINSA_10device_ptrIsEEEEPS6_PKS6_NS0_5tupleIJNSA_16discard_iteratorINSA_11use_defaultEEES6_EEENSJ_IJSG_SG_EEENS0_18inequality_wrapperINSA_8equal_toIsEEEEPmJS6_EEE10hipError_tPvRmT3_T4_T5_T6_T7_T9_mT8_P12ihipStream_tbDpT10_ENKUlT_T0_E_clISt17integral_constantIbLb1EES1C_IbLb0EEEEDaS18_S19_EUlS18_E_NS1_11comp_targetILNS1_3genE5ELNS1_11target_archE942ELNS1_3gpuE9ELNS1_3repE0EEENS1_30default_config_static_selectorELNS0_4arch9wavefront6targetE1EEEvT1_.uses_flat_scratch, 0
	.set _ZN7rocprim17ROCPRIM_400000_NS6detail17trampoline_kernelINS0_14default_configENS1_25partition_config_selectorILNS1_17partition_subalgoE8EsNS0_10empty_typeEbEEZZNS1_14partition_implILS5_8ELb0ES3_jN6thrust23THRUST_200600_302600_NS6detail15normal_iteratorINSA_10device_ptrIsEEEEPS6_PKS6_NS0_5tupleIJNSA_16discard_iteratorINSA_11use_defaultEEES6_EEENSJ_IJSG_SG_EEENS0_18inequality_wrapperINSA_8equal_toIsEEEEPmJS6_EEE10hipError_tPvRmT3_T4_T5_T6_T7_T9_mT8_P12ihipStream_tbDpT10_ENKUlT_T0_E_clISt17integral_constantIbLb1EES1C_IbLb0EEEEDaS18_S19_EUlS18_E_NS1_11comp_targetILNS1_3genE5ELNS1_11target_archE942ELNS1_3gpuE9ELNS1_3repE0EEENS1_30default_config_static_selectorELNS0_4arch9wavefront6targetE1EEEvT1_.has_dyn_sized_stack, 0
	.set _ZN7rocprim17ROCPRIM_400000_NS6detail17trampoline_kernelINS0_14default_configENS1_25partition_config_selectorILNS1_17partition_subalgoE8EsNS0_10empty_typeEbEEZZNS1_14partition_implILS5_8ELb0ES3_jN6thrust23THRUST_200600_302600_NS6detail15normal_iteratorINSA_10device_ptrIsEEEEPS6_PKS6_NS0_5tupleIJNSA_16discard_iteratorINSA_11use_defaultEEES6_EEENSJ_IJSG_SG_EEENS0_18inequality_wrapperINSA_8equal_toIsEEEEPmJS6_EEE10hipError_tPvRmT3_T4_T5_T6_T7_T9_mT8_P12ihipStream_tbDpT10_ENKUlT_T0_E_clISt17integral_constantIbLb1EES1C_IbLb0EEEEDaS18_S19_EUlS18_E_NS1_11comp_targetILNS1_3genE5ELNS1_11target_archE942ELNS1_3gpuE9ELNS1_3repE0EEENS1_30default_config_static_selectorELNS0_4arch9wavefront6targetE1EEEvT1_.has_recursion, 0
	.set _ZN7rocprim17ROCPRIM_400000_NS6detail17trampoline_kernelINS0_14default_configENS1_25partition_config_selectorILNS1_17partition_subalgoE8EsNS0_10empty_typeEbEEZZNS1_14partition_implILS5_8ELb0ES3_jN6thrust23THRUST_200600_302600_NS6detail15normal_iteratorINSA_10device_ptrIsEEEEPS6_PKS6_NS0_5tupleIJNSA_16discard_iteratorINSA_11use_defaultEEES6_EEENSJ_IJSG_SG_EEENS0_18inequality_wrapperINSA_8equal_toIsEEEEPmJS6_EEE10hipError_tPvRmT3_T4_T5_T6_T7_T9_mT8_P12ihipStream_tbDpT10_ENKUlT_T0_E_clISt17integral_constantIbLb1EES1C_IbLb0EEEEDaS18_S19_EUlS18_E_NS1_11comp_targetILNS1_3genE5ELNS1_11target_archE942ELNS1_3gpuE9ELNS1_3repE0EEENS1_30default_config_static_selectorELNS0_4arch9wavefront6targetE1EEEvT1_.has_indirect_call, 0
	.section	.AMDGPU.csdata,"",@progbits
; Kernel info:
; codeLenInByte = 0
; TotalNumSgprs: 4
; NumVgprs: 0
; ScratchSize: 0
; MemoryBound: 0
; FloatMode: 240
; IeeeMode: 1
; LDSByteSize: 0 bytes/workgroup (compile time only)
; SGPRBlocks: 0
; VGPRBlocks: 0
; NumSGPRsForWavesPerEU: 4
; NumVGPRsForWavesPerEU: 1
; Occupancy: 10
; WaveLimiterHint : 0
; COMPUTE_PGM_RSRC2:SCRATCH_EN: 0
; COMPUTE_PGM_RSRC2:USER_SGPR: 6
; COMPUTE_PGM_RSRC2:TRAP_HANDLER: 0
; COMPUTE_PGM_RSRC2:TGID_X_EN: 1
; COMPUTE_PGM_RSRC2:TGID_Y_EN: 0
; COMPUTE_PGM_RSRC2:TGID_Z_EN: 0
; COMPUTE_PGM_RSRC2:TIDIG_COMP_CNT: 0
	.section	.text._ZN7rocprim17ROCPRIM_400000_NS6detail17trampoline_kernelINS0_14default_configENS1_25partition_config_selectorILNS1_17partition_subalgoE8EsNS0_10empty_typeEbEEZZNS1_14partition_implILS5_8ELb0ES3_jN6thrust23THRUST_200600_302600_NS6detail15normal_iteratorINSA_10device_ptrIsEEEEPS6_PKS6_NS0_5tupleIJNSA_16discard_iteratorINSA_11use_defaultEEES6_EEENSJ_IJSG_SG_EEENS0_18inequality_wrapperINSA_8equal_toIsEEEEPmJS6_EEE10hipError_tPvRmT3_T4_T5_T6_T7_T9_mT8_P12ihipStream_tbDpT10_ENKUlT_T0_E_clISt17integral_constantIbLb1EES1C_IbLb0EEEEDaS18_S19_EUlS18_E_NS1_11comp_targetILNS1_3genE4ELNS1_11target_archE910ELNS1_3gpuE8ELNS1_3repE0EEENS1_30default_config_static_selectorELNS0_4arch9wavefront6targetE1EEEvT1_,"axG",@progbits,_ZN7rocprim17ROCPRIM_400000_NS6detail17trampoline_kernelINS0_14default_configENS1_25partition_config_selectorILNS1_17partition_subalgoE8EsNS0_10empty_typeEbEEZZNS1_14partition_implILS5_8ELb0ES3_jN6thrust23THRUST_200600_302600_NS6detail15normal_iteratorINSA_10device_ptrIsEEEEPS6_PKS6_NS0_5tupleIJNSA_16discard_iteratorINSA_11use_defaultEEES6_EEENSJ_IJSG_SG_EEENS0_18inequality_wrapperINSA_8equal_toIsEEEEPmJS6_EEE10hipError_tPvRmT3_T4_T5_T6_T7_T9_mT8_P12ihipStream_tbDpT10_ENKUlT_T0_E_clISt17integral_constantIbLb1EES1C_IbLb0EEEEDaS18_S19_EUlS18_E_NS1_11comp_targetILNS1_3genE4ELNS1_11target_archE910ELNS1_3gpuE8ELNS1_3repE0EEENS1_30default_config_static_selectorELNS0_4arch9wavefront6targetE1EEEvT1_,comdat
	.protected	_ZN7rocprim17ROCPRIM_400000_NS6detail17trampoline_kernelINS0_14default_configENS1_25partition_config_selectorILNS1_17partition_subalgoE8EsNS0_10empty_typeEbEEZZNS1_14partition_implILS5_8ELb0ES3_jN6thrust23THRUST_200600_302600_NS6detail15normal_iteratorINSA_10device_ptrIsEEEEPS6_PKS6_NS0_5tupleIJNSA_16discard_iteratorINSA_11use_defaultEEES6_EEENSJ_IJSG_SG_EEENS0_18inequality_wrapperINSA_8equal_toIsEEEEPmJS6_EEE10hipError_tPvRmT3_T4_T5_T6_T7_T9_mT8_P12ihipStream_tbDpT10_ENKUlT_T0_E_clISt17integral_constantIbLb1EES1C_IbLb0EEEEDaS18_S19_EUlS18_E_NS1_11comp_targetILNS1_3genE4ELNS1_11target_archE910ELNS1_3gpuE8ELNS1_3repE0EEENS1_30default_config_static_selectorELNS0_4arch9wavefront6targetE1EEEvT1_ ; -- Begin function _ZN7rocprim17ROCPRIM_400000_NS6detail17trampoline_kernelINS0_14default_configENS1_25partition_config_selectorILNS1_17partition_subalgoE8EsNS0_10empty_typeEbEEZZNS1_14partition_implILS5_8ELb0ES3_jN6thrust23THRUST_200600_302600_NS6detail15normal_iteratorINSA_10device_ptrIsEEEEPS6_PKS6_NS0_5tupleIJNSA_16discard_iteratorINSA_11use_defaultEEES6_EEENSJ_IJSG_SG_EEENS0_18inequality_wrapperINSA_8equal_toIsEEEEPmJS6_EEE10hipError_tPvRmT3_T4_T5_T6_T7_T9_mT8_P12ihipStream_tbDpT10_ENKUlT_T0_E_clISt17integral_constantIbLb1EES1C_IbLb0EEEEDaS18_S19_EUlS18_E_NS1_11comp_targetILNS1_3genE4ELNS1_11target_archE910ELNS1_3gpuE8ELNS1_3repE0EEENS1_30default_config_static_selectorELNS0_4arch9wavefront6targetE1EEEvT1_
	.globl	_ZN7rocprim17ROCPRIM_400000_NS6detail17trampoline_kernelINS0_14default_configENS1_25partition_config_selectorILNS1_17partition_subalgoE8EsNS0_10empty_typeEbEEZZNS1_14partition_implILS5_8ELb0ES3_jN6thrust23THRUST_200600_302600_NS6detail15normal_iteratorINSA_10device_ptrIsEEEEPS6_PKS6_NS0_5tupleIJNSA_16discard_iteratorINSA_11use_defaultEEES6_EEENSJ_IJSG_SG_EEENS0_18inequality_wrapperINSA_8equal_toIsEEEEPmJS6_EEE10hipError_tPvRmT3_T4_T5_T6_T7_T9_mT8_P12ihipStream_tbDpT10_ENKUlT_T0_E_clISt17integral_constantIbLb1EES1C_IbLb0EEEEDaS18_S19_EUlS18_E_NS1_11comp_targetILNS1_3genE4ELNS1_11target_archE910ELNS1_3gpuE8ELNS1_3repE0EEENS1_30default_config_static_selectorELNS0_4arch9wavefront6targetE1EEEvT1_
	.p2align	8
	.type	_ZN7rocprim17ROCPRIM_400000_NS6detail17trampoline_kernelINS0_14default_configENS1_25partition_config_selectorILNS1_17partition_subalgoE8EsNS0_10empty_typeEbEEZZNS1_14partition_implILS5_8ELb0ES3_jN6thrust23THRUST_200600_302600_NS6detail15normal_iteratorINSA_10device_ptrIsEEEEPS6_PKS6_NS0_5tupleIJNSA_16discard_iteratorINSA_11use_defaultEEES6_EEENSJ_IJSG_SG_EEENS0_18inequality_wrapperINSA_8equal_toIsEEEEPmJS6_EEE10hipError_tPvRmT3_T4_T5_T6_T7_T9_mT8_P12ihipStream_tbDpT10_ENKUlT_T0_E_clISt17integral_constantIbLb1EES1C_IbLb0EEEEDaS18_S19_EUlS18_E_NS1_11comp_targetILNS1_3genE4ELNS1_11target_archE910ELNS1_3gpuE8ELNS1_3repE0EEENS1_30default_config_static_selectorELNS0_4arch9wavefront6targetE1EEEvT1_,@function
_ZN7rocprim17ROCPRIM_400000_NS6detail17trampoline_kernelINS0_14default_configENS1_25partition_config_selectorILNS1_17partition_subalgoE8EsNS0_10empty_typeEbEEZZNS1_14partition_implILS5_8ELb0ES3_jN6thrust23THRUST_200600_302600_NS6detail15normal_iteratorINSA_10device_ptrIsEEEEPS6_PKS6_NS0_5tupleIJNSA_16discard_iteratorINSA_11use_defaultEEES6_EEENSJ_IJSG_SG_EEENS0_18inequality_wrapperINSA_8equal_toIsEEEEPmJS6_EEE10hipError_tPvRmT3_T4_T5_T6_T7_T9_mT8_P12ihipStream_tbDpT10_ENKUlT_T0_E_clISt17integral_constantIbLb1EES1C_IbLb0EEEEDaS18_S19_EUlS18_E_NS1_11comp_targetILNS1_3genE4ELNS1_11target_archE910ELNS1_3gpuE8ELNS1_3repE0EEENS1_30default_config_static_selectorELNS0_4arch9wavefront6targetE1EEEvT1_: ; @_ZN7rocprim17ROCPRIM_400000_NS6detail17trampoline_kernelINS0_14default_configENS1_25partition_config_selectorILNS1_17partition_subalgoE8EsNS0_10empty_typeEbEEZZNS1_14partition_implILS5_8ELb0ES3_jN6thrust23THRUST_200600_302600_NS6detail15normal_iteratorINSA_10device_ptrIsEEEEPS6_PKS6_NS0_5tupleIJNSA_16discard_iteratorINSA_11use_defaultEEES6_EEENSJ_IJSG_SG_EEENS0_18inequality_wrapperINSA_8equal_toIsEEEEPmJS6_EEE10hipError_tPvRmT3_T4_T5_T6_T7_T9_mT8_P12ihipStream_tbDpT10_ENKUlT_T0_E_clISt17integral_constantIbLb1EES1C_IbLb0EEEEDaS18_S19_EUlS18_E_NS1_11comp_targetILNS1_3genE4ELNS1_11target_archE910ELNS1_3gpuE8ELNS1_3repE0EEENS1_30default_config_static_selectorELNS0_4arch9wavefront6targetE1EEEvT1_
; %bb.0:
	.section	.rodata,"a",@progbits
	.p2align	6, 0x0
	.amdhsa_kernel _ZN7rocprim17ROCPRIM_400000_NS6detail17trampoline_kernelINS0_14default_configENS1_25partition_config_selectorILNS1_17partition_subalgoE8EsNS0_10empty_typeEbEEZZNS1_14partition_implILS5_8ELb0ES3_jN6thrust23THRUST_200600_302600_NS6detail15normal_iteratorINSA_10device_ptrIsEEEEPS6_PKS6_NS0_5tupleIJNSA_16discard_iteratorINSA_11use_defaultEEES6_EEENSJ_IJSG_SG_EEENS0_18inequality_wrapperINSA_8equal_toIsEEEEPmJS6_EEE10hipError_tPvRmT3_T4_T5_T6_T7_T9_mT8_P12ihipStream_tbDpT10_ENKUlT_T0_E_clISt17integral_constantIbLb1EES1C_IbLb0EEEEDaS18_S19_EUlS18_E_NS1_11comp_targetILNS1_3genE4ELNS1_11target_archE910ELNS1_3gpuE8ELNS1_3repE0EEENS1_30default_config_static_selectorELNS0_4arch9wavefront6targetE1EEEvT1_
		.amdhsa_group_segment_fixed_size 0
		.amdhsa_private_segment_fixed_size 0
		.amdhsa_kernarg_size 120
		.amdhsa_user_sgpr_count 6
		.amdhsa_user_sgpr_private_segment_buffer 1
		.amdhsa_user_sgpr_dispatch_ptr 0
		.amdhsa_user_sgpr_queue_ptr 0
		.amdhsa_user_sgpr_kernarg_segment_ptr 1
		.amdhsa_user_sgpr_dispatch_id 0
		.amdhsa_user_sgpr_flat_scratch_init 0
		.amdhsa_user_sgpr_private_segment_size 0
		.amdhsa_uses_dynamic_stack 0
		.amdhsa_system_sgpr_private_segment_wavefront_offset 0
		.amdhsa_system_sgpr_workgroup_id_x 1
		.amdhsa_system_sgpr_workgroup_id_y 0
		.amdhsa_system_sgpr_workgroup_id_z 0
		.amdhsa_system_sgpr_workgroup_info 0
		.amdhsa_system_vgpr_workitem_id 0
		.amdhsa_next_free_vgpr 1
		.amdhsa_next_free_sgpr 0
		.amdhsa_reserve_vcc 0
		.amdhsa_reserve_flat_scratch 0
		.amdhsa_float_round_mode_32 0
		.amdhsa_float_round_mode_16_64 0
		.amdhsa_float_denorm_mode_32 3
		.amdhsa_float_denorm_mode_16_64 3
		.amdhsa_dx10_clamp 1
		.amdhsa_ieee_mode 1
		.amdhsa_fp16_overflow 0
		.amdhsa_exception_fp_ieee_invalid_op 0
		.amdhsa_exception_fp_denorm_src 0
		.amdhsa_exception_fp_ieee_div_zero 0
		.amdhsa_exception_fp_ieee_overflow 0
		.amdhsa_exception_fp_ieee_underflow 0
		.amdhsa_exception_fp_ieee_inexact 0
		.amdhsa_exception_int_div_zero 0
	.end_amdhsa_kernel
	.section	.text._ZN7rocprim17ROCPRIM_400000_NS6detail17trampoline_kernelINS0_14default_configENS1_25partition_config_selectorILNS1_17partition_subalgoE8EsNS0_10empty_typeEbEEZZNS1_14partition_implILS5_8ELb0ES3_jN6thrust23THRUST_200600_302600_NS6detail15normal_iteratorINSA_10device_ptrIsEEEEPS6_PKS6_NS0_5tupleIJNSA_16discard_iteratorINSA_11use_defaultEEES6_EEENSJ_IJSG_SG_EEENS0_18inequality_wrapperINSA_8equal_toIsEEEEPmJS6_EEE10hipError_tPvRmT3_T4_T5_T6_T7_T9_mT8_P12ihipStream_tbDpT10_ENKUlT_T0_E_clISt17integral_constantIbLb1EES1C_IbLb0EEEEDaS18_S19_EUlS18_E_NS1_11comp_targetILNS1_3genE4ELNS1_11target_archE910ELNS1_3gpuE8ELNS1_3repE0EEENS1_30default_config_static_selectorELNS0_4arch9wavefront6targetE1EEEvT1_,"axG",@progbits,_ZN7rocprim17ROCPRIM_400000_NS6detail17trampoline_kernelINS0_14default_configENS1_25partition_config_selectorILNS1_17partition_subalgoE8EsNS0_10empty_typeEbEEZZNS1_14partition_implILS5_8ELb0ES3_jN6thrust23THRUST_200600_302600_NS6detail15normal_iteratorINSA_10device_ptrIsEEEEPS6_PKS6_NS0_5tupleIJNSA_16discard_iteratorINSA_11use_defaultEEES6_EEENSJ_IJSG_SG_EEENS0_18inequality_wrapperINSA_8equal_toIsEEEEPmJS6_EEE10hipError_tPvRmT3_T4_T5_T6_T7_T9_mT8_P12ihipStream_tbDpT10_ENKUlT_T0_E_clISt17integral_constantIbLb1EES1C_IbLb0EEEEDaS18_S19_EUlS18_E_NS1_11comp_targetILNS1_3genE4ELNS1_11target_archE910ELNS1_3gpuE8ELNS1_3repE0EEENS1_30default_config_static_selectorELNS0_4arch9wavefront6targetE1EEEvT1_,comdat
.Lfunc_end711:
	.size	_ZN7rocprim17ROCPRIM_400000_NS6detail17trampoline_kernelINS0_14default_configENS1_25partition_config_selectorILNS1_17partition_subalgoE8EsNS0_10empty_typeEbEEZZNS1_14partition_implILS5_8ELb0ES3_jN6thrust23THRUST_200600_302600_NS6detail15normal_iteratorINSA_10device_ptrIsEEEEPS6_PKS6_NS0_5tupleIJNSA_16discard_iteratorINSA_11use_defaultEEES6_EEENSJ_IJSG_SG_EEENS0_18inequality_wrapperINSA_8equal_toIsEEEEPmJS6_EEE10hipError_tPvRmT3_T4_T5_T6_T7_T9_mT8_P12ihipStream_tbDpT10_ENKUlT_T0_E_clISt17integral_constantIbLb1EES1C_IbLb0EEEEDaS18_S19_EUlS18_E_NS1_11comp_targetILNS1_3genE4ELNS1_11target_archE910ELNS1_3gpuE8ELNS1_3repE0EEENS1_30default_config_static_selectorELNS0_4arch9wavefront6targetE1EEEvT1_, .Lfunc_end711-_ZN7rocprim17ROCPRIM_400000_NS6detail17trampoline_kernelINS0_14default_configENS1_25partition_config_selectorILNS1_17partition_subalgoE8EsNS0_10empty_typeEbEEZZNS1_14partition_implILS5_8ELb0ES3_jN6thrust23THRUST_200600_302600_NS6detail15normal_iteratorINSA_10device_ptrIsEEEEPS6_PKS6_NS0_5tupleIJNSA_16discard_iteratorINSA_11use_defaultEEES6_EEENSJ_IJSG_SG_EEENS0_18inequality_wrapperINSA_8equal_toIsEEEEPmJS6_EEE10hipError_tPvRmT3_T4_T5_T6_T7_T9_mT8_P12ihipStream_tbDpT10_ENKUlT_T0_E_clISt17integral_constantIbLb1EES1C_IbLb0EEEEDaS18_S19_EUlS18_E_NS1_11comp_targetILNS1_3genE4ELNS1_11target_archE910ELNS1_3gpuE8ELNS1_3repE0EEENS1_30default_config_static_selectorELNS0_4arch9wavefront6targetE1EEEvT1_
                                        ; -- End function
	.set _ZN7rocprim17ROCPRIM_400000_NS6detail17trampoline_kernelINS0_14default_configENS1_25partition_config_selectorILNS1_17partition_subalgoE8EsNS0_10empty_typeEbEEZZNS1_14partition_implILS5_8ELb0ES3_jN6thrust23THRUST_200600_302600_NS6detail15normal_iteratorINSA_10device_ptrIsEEEEPS6_PKS6_NS0_5tupleIJNSA_16discard_iteratorINSA_11use_defaultEEES6_EEENSJ_IJSG_SG_EEENS0_18inequality_wrapperINSA_8equal_toIsEEEEPmJS6_EEE10hipError_tPvRmT3_T4_T5_T6_T7_T9_mT8_P12ihipStream_tbDpT10_ENKUlT_T0_E_clISt17integral_constantIbLb1EES1C_IbLb0EEEEDaS18_S19_EUlS18_E_NS1_11comp_targetILNS1_3genE4ELNS1_11target_archE910ELNS1_3gpuE8ELNS1_3repE0EEENS1_30default_config_static_selectorELNS0_4arch9wavefront6targetE1EEEvT1_.num_vgpr, 0
	.set _ZN7rocprim17ROCPRIM_400000_NS6detail17trampoline_kernelINS0_14default_configENS1_25partition_config_selectorILNS1_17partition_subalgoE8EsNS0_10empty_typeEbEEZZNS1_14partition_implILS5_8ELb0ES3_jN6thrust23THRUST_200600_302600_NS6detail15normal_iteratorINSA_10device_ptrIsEEEEPS6_PKS6_NS0_5tupleIJNSA_16discard_iteratorINSA_11use_defaultEEES6_EEENSJ_IJSG_SG_EEENS0_18inequality_wrapperINSA_8equal_toIsEEEEPmJS6_EEE10hipError_tPvRmT3_T4_T5_T6_T7_T9_mT8_P12ihipStream_tbDpT10_ENKUlT_T0_E_clISt17integral_constantIbLb1EES1C_IbLb0EEEEDaS18_S19_EUlS18_E_NS1_11comp_targetILNS1_3genE4ELNS1_11target_archE910ELNS1_3gpuE8ELNS1_3repE0EEENS1_30default_config_static_selectorELNS0_4arch9wavefront6targetE1EEEvT1_.num_agpr, 0
	.set _ZN7rocprim17ROCPRIM_400000_NS6detail17trampoline_kernelINS0_14default_configENS1_25partition_config_selectorILNS1_17partition_subalgoE8EsNS0_10empty_typeEbEEZZNS1_14partition_implILS5_8ELb0ES3_jN6thrust23THRUST_200600_302600_NS6detail15normal_iteratorINSA_10device_ptrIsEEEEPS6_PKS6_NS0_5tupleIJNSA_16discard_iteratorINSA_11use_defaultEEES6_EEENSJ_IJSG_SG_EEENS0_18inequality_wrapperINSA_8equal_toIsEEEEPmJS6_EEE10hipError_tPvRmT3_T4_T5_T6_T7_T9_mT8_P12ihipStream_tbDpT10_ENKUlT_T0_E_clISt17integral_constantIbLb1EES1C_IbLb0EEEEDaS18_S19_EUlS18_E_NS1_11comp_targetILNS1_3genE4ELNS1_11target_archE910ELNS1_3gpuE8ELNS1_3repE0EEENS1_30default_config_static_selectorELNS0_4arch9wavefront6targetE1EEEvT1_.numbered_sgpr, 0
	.set _ZN7rocprim17ROCPRIM_400000_NS6detail17trampoline_kernelINS0_14default_configENS1_25partition_config_selectorILNS1_17partition_subalgoE8EsNS0_10empty_typeEbEEZZNS1_14partition_implILS5_8ELb0ES3_jN6thrust23THRUST_200600_302600_NS6detail15normal_iteratorINSA_10device_ptrIsEEEEPS6_PKS6_NS0_5tupleIJNSA_16discard_iteratorINSA_11use_defaultEEES6_EEENSJ_IJSG_SG_EEENS0_18inequality_wrapperINSA_8equal_toIsEEEEPmJS6_EEE10hipError_tPvRmT3_T4_T5_T6_T7_T9_mT8_P12ihipStream_tbDpT10_ENKUlT_T0_E_clISt17integral_constantIbLb1EES1C_IbLb0EEEEDaS18_S19_EUlS18_E_NS1_11comp_targetILNS1_3genE4ELNS1_11target_archE910ELNS1_3gpuE8ELNS1_3repE0EEENS1_30default_config_static_selectorELNS0_4arch9wavefront6targetE1EEEvT1_.num_named_barrier, 0
	.set _ZN7rocprim17ROCPRIM_400000_NS6detail17trampoline_kernelINS0_14default_configENS1_25partition_config_selectorILNS1_17partition_subalgoE8EsNS0_10empty_typeEbEEZZNS1_14partition_implILS5_8ELb0ES3_jN6thrust23THRUST_200600_302600_NS6detail15normal_iteratorINSA_10device_ptrIsEEEEPS6_PKS6_NS0_5tupleIJNSA_16discard_iteratorINSA_11use_defaultEEES6_EEENSJ_IJSG_SG_EEENS0_18inequality_wrapperINSA_8equal_toIsEEEEPmJS6_EEE10hipError_tPvRmT3_T4_T5_T6_T7_T9_mT8_P12ihipStream_tbDpT10_ENKUlT_T0_E_clISt17integral_constantIbLb1EES1C_IbLb0EEEEDaS18_S19_EUlS18_E_NS1_11comp_targetILNS1_3genE4ELNS1_11target_archE910ELNS1_3gpuE8ELNS1_3repE0EEENS1_30default_config_static_selectorELNS0_4arch9wavefront6targetE1EEEvT1_.private_seg_size, 0
	.set _ZN7rocprim17ROCPRIM_400000_NS6detail17trampoline_kernelINS0_14default_configENS1_25partition_config_selectorILNS1_17partition_subalgoE8EsNS0_10empty_typeEbEEZZNS1_14partition_implILS5_8ELb0ES3_jN6thrust23THRUST_200600_302600_NS6detail15normal_iteratorINSA_10device_ptrIsEEEEPS6_PKS6_NS0_5tupleIJNSA_16discard_iteratorINSA_11use_defaultEEES6_EEENSJ_IJSG_SG_EEENS0_18inequality_wrapperINSA_8equal_toIsEEEEPmJS6_EEE10hipError_tPvRmT3_T4_T5_T6_T7_T9_mT8_P12ihipStream_tbDpT10_ENKUlT_T0_E_clISt17integral_constantIbLb1EES1C_IbLb0EEEEDaS18_S19_EUlS18_E_NS1_11comp_targetILNS1_3genE4ELNS1_11target_archE910ELNS1_3gpuE8ELNS1_3repE0EEENS1_30default_config_static_selectorELNS0_4arch9wavefront6targetE1EEEvT1_.uses_vcc, 0
	.set _ZN7rocprim17ROCPRIM_400000_NS6detail17trampoline_kernelINS0_14default_configENS1_25partition_config_selectorILNS1_17partition_subalgoE8EsNS0_10empty_typeEbEEZZNS1_14partition_implILS5_8ELb0ES3_jN6thrust23THRUST_200600_302600_NS6detail15normal_iteratorINSA_10device_ptrIsEEEEPS6_PKS6_NS0_5tupleIJNSA_16discard_iteratorINSA_11use_defaultEEES6_EEENSJ_IJSG_SG_EEENS0_18inequality_wrapperINSA_8equal_toIsEEEEPmJS6_EEE10hipError_tPvRmT3_T4_T5_T6_T7_T9_mT8_P12ihipStream_tbDpT10_ENKUlT_T0_E_clISt17integral_constantIbLb1EES1C_IbLb0EEEEDaS18_S19_EUlS18_E_NS1_11comp_targetILNS1_3genE4ELNS1_11target_archE910ELNS1_3gpuE8ELNS1_3repE0EEENS1_30default_config_static_selectorELNS0_4arch9wavefront6targetE1EEEvT1_.uses_flat_scratch, 0
	.set _ZN7rocprim17ROCPRIM_400000_NS6detail17trampoline_kernelINS0_14default_configENS1_25partition_config_selectorILNS1_17partition_subalgoE8EsNS0_10empty_typeEbEEZZNS1_14partition_implILS5_8ELb0ES3_jN6thrust23THRUST_200600_302600_NS6detail15normal_iteratorINSA_10device_ptrIsEEEEPS6_PKS6_NS0_5tupleIJNSA_16discard_iteratorINSA_11use_defaultEEES6_EEENSJ_IJSG_SG_EEENS0_18inequality_wrapperINSA_8equal_toIsEEEEPmJS6_EEE10hipError_tPvRmT3_T4_T5_T6_T7_T9_mT8_P12ihipStream_tbDpT10_ENKUlT_T0_E_clISt17integral_constantIbLb1EES1C_IbLb0EEEEDaS18_S19_EUlS18_E_NS1_11comp_targetILNS1_3genE4ELNS1_11target_archE910ELNS1_3gpuE8ELNS1_3repE0EEENS1_30default_config_static_selectorELNS0_4arch9wavefront6targetE1EEEvT1_.has_dyn_sized_stack, 0
	.set _ZN7rocprim17ROCPRIM_400000_NS6detail17trampoline_kernelINS0_14default_configENS1_25partition_config_selectorILNS1_17partition_subalgoE8EsNS0_10empty_typeEbEEZZNS1_14partition_implILS5_8ELb0ES3_jN6thrust23THRUST_200600_302600_NS6detail15normal_iteratorINSA_10device_ptrIsEEEEPS6_PKS6_NS0_5tupleIJNSA_16discard_iteratorINSA_11use_defaultEEES6_EEENSJ_IJSG_SG_EEENS0_18inequality_wrapperINSA_8equal_toIsEEEEPmJS6_EEE10hipError_tPvRmT3_T4_T5_T6_T7_T9_mT8_P12ihipStream_tbDpT10_ENKUlT_T0_E_clISt17integral_constantIbLb1EES1C_IbLb0EEEEDaS18_S19_EUlS18_E_NS1_11comp_targetILNS1_3genE4ELNS1_11target_archE910ELNS1_3gpuE8ELNS1_3repE0EEENS1_30default_config_static_selectorELNS0_4arch9wavefront6targetE1EEEvT1_.has_recursion, 0
	.set _ZN7rocprim17ROCPRIM_400000_NS6detail17trampoline_kernelINS0_14default_configENS1_25partition_config_selectorILNS1_17partition_subalgoE8EsNS0_10empty_typeEbEEZZNS1_14partition_implILS5_8ELb0ES3_jN6thrust23THRUST_200600_302600_NS6detail15normal_iteratorINSA_10device_ptrIsEEEEPS6_PKS6_NS0_5tupleIJNSA_16discard_iteratorINSA_11use_defaultEEES6_EEENSJ_IJSG_SG_EEENS0_18inequality_wrapperINSA_8equal_toIsEEEEPmJS6_EEE10hipError_tPvRmT3_T4_T5_T6_T7_T9_mT8_P12ihipStream_tbDpT10_ENKUlT_T0_E_clISt17integral_constantIbLb1EES1C_IbLb0EEEEDaS18_S19_EUlS18_E_NS1_11comp_targetILNS1_3genE4ELNS1_11target_archE910ELNS1_3gpuE8ELNS1_3repE0EEENS1_30default_config_static_selectorELNS0_4arch9wavefront6targetE1EEEvT1_.has_indirect_call, 0
	.section	.AMDGPU.csdata,"",@progbits
; Kernel info:
; codeLenInByte = 0
; TotalNumSgprs: 4
; NumVgprs: 0
; ScratchSize: 0
; MemoryBound: 0
; FloatMode: 240
; IeeeMode: 1
; LDSByteSize: 0 bytes/workgroup (compile time only)
; SGPRBlocks: 0
; VGPRBlocks: 0
; NumSGPRsForWavesPerEU: 4
; NumVGPRsForWavesPerEU: 1
; Occupancy: 10
; WaveLimiterHint : 0
; COMPUTE_PGM_RSRC2:SCRATCH_EN: 0
; COMPUTE_PGM_RSRC2:USER_SGPR: 6
; COMPUTE_PGM_RSRC2:TRAP_HANDLER: 0
; COMPUTE_PGM_RSRC2:TGID_X_EN: 1
; COMPUTE_PGM_RSRC2:TGID_Y_EN: 0
; COMPUTE_PGM_RSRC2:TGID_Z_EN: 0
; COMPUTE_PGM_RSRC2:TIDIG_COMP_CNT: 0
	.section	.text._ZN7rocprim17ROCPRIM_400000_NS6detail17trampoline_kernelINS0_14default_configENS1_25partition_config_selectorILNS1_17partition_subalgoE8EsNS0_10empty_typeEbEEZZNS1_14partition_implILS5_8ELb0ES3_jN6thrust23THRUST_200600_302600_NS6detail15normal_iteratorINSA_10device_ptrIsEEEEPS6_PKS6_NS0_5tupleIJNSA_16discard_iteratorINSA_11use_defaultEEES6_EEENSJ_IJSG_SG_EEENS0_18inequality_wrapperINSA_8equal_toIsEEEEPmJS6_EEE10hipError_tPvRmT3_T4_T5_T6_T7_T9_mT8_P12ihipStream_tbDpT10_ENKUlT_T0_E_clISt17integral_constantIbLb1EES1C_IbLb0EEEEDaS18_S19_EUlS18_E_NS1_11comp_targetILNS1_3genE3ELNS1_11target_archE908ELNS1_3gpuE7ELNS1_3repE0EEENS1_30default_config_static_selectorELNS0_4arch9wavefront6targetE1EEEvT1_,"axG",@progbits,_ZN7rocprim17ROCPRIM_400000_NS6detail17trampoline_kernelINS0_14default_configENS1_25partition_config_selectorILNS1_17partition_subalgoE8EsNS0_10empty_typeEbEEZZNS1_14partition_implILS5_8ELb0ES3_jN6thrust23THRUST_200600_302600_NS6detail15normal_iteratorINSA_10device_ptrIsEEEEPS6_PKS6_NS0_5tupleIJNSA_16discard_iteratorINSA_11use_defaultEEES6_EEENSJ_IJSG_SG_EEENS0_18inequality_wrapperINSA_8equal_toIsEEEEPmJS6_EEE10hipError_tPvRmT3_T4_T5_T6_T7_T9_mT8_P12ihipStream_tbDpT10_ENKUlT_T0_E_clISt17integral_constantIbLb1EES1C_IbLb0EEEEDaS18_S19_EUlS18_E_NS1_11comp_targetILNS1_3genE3ELNS1_11target_archE908ELNS1_3gpuE7ELNS1_3repE0EEENS1_30default_config_static_selectorELNS0_4arch9wavefront6targetE1EEEvT1_,comdat
	.protected	_ZN7rocprim17ROCPRIM_400000_NS6detail17trampoline_kernelINS0_14default_configENS1_25partition_config_selectorILNS1_17partition_subalgoE8EsNS0_10empty_typeEbEEZZNS1_14partition_implILS5_8ELb0ES3_jN6thrust23THRUST_200600_302600_NS6detail15normal_iteratorINSA_10device_ptrIsEEEEPS6_PKS6_NS0_5tupleIJNSA_16discard_iteratorINSA_11use_defaultEEES6_EEENSJ_IJSG_SG_EEENS0_18inequality_wrapperINSA_8equal_toIsEEEEPmJS6_EEE10hipError_tPvRmT3_T4_T5_T6_T7_T9_mT8_P12ihipStream_tbDpT10_ENKUlT_T0_E_clISt17integral_constantIbLb1EES1C_IbLb0EEEEDaS18_S19_EUlS18_E_NS1_11comp_targetILNS1_3genE3ELNS1_11target_archE908ELNS1_3gpuE7ELNS1_3repE0EEENS1_30default_config_static_selectorELNS0_4arch9wavefront6targetE1EEEvT1_ ; -- Begin function _ZN7rocprim17ROCPRIM_400000_NS6detail17trampoline_kernelINS0_14default_configENS1_25partition_config_selectorILNS1_17partition_subalgoE8EsNS0_10empty_typeEbEEZZNS1_14partition_implILS5_8ELb0ES3_jN6thrust23THRUST_200600_302600_NS6detail15normal_iteratorINSA_10device_ptrIsEEEEPS6_PKS6_NS0_5tupleIJNSA_16discard_iteratorINSA_11use_defaultEEES6_EEENSJ_IJSG_SG_EEENS0_18inequality_wrapperINSA_8equal_toIsEEEEPmJS6_EEE10hipError_tPvRmT3_T4_T5_T6_T7_T9_mT8_P12ihipStream_tbDpT10_ENKUlT_T0_E_clISt17integral_constantIbLb1EES1C_IbLb0EEEEDaS18_S19_EUlS18_E_NS1_11comp_targetILNS1_3genE3ELNS1_11target_archE908ELNS1_3gpuE7ELNS1_3repE0EEENS1_30default_config_static_selectorELNS0_4arch9wavefront6targetE1EEEvT1_
	.globl	_ZN7rocprim17ROCPRIM_400000_NS6detail17trampoline_kernelINS0_14default_configENS1_25partition_config_selectorILNS1_17partition_subalgoE8EsNS0_10empty_typeEbEEZZNS1_14partition_implILS5_8ELb0ES3_jN6thrust23THRUST_200600_302600_NS6detail15normal_iteratorINSA_10device_ptrIsEEEEPS6_PKS6_NS0_5tupleIJNSA_16discard_iteratorINSA_11use_defaultEEES6_EEENSJ_IJSG_SG_EEENS0_18inequality_wrapperINSA_8equal_toIsEEEEPmJS6_EEE10hipError_tPvRmT3_T4_T5_T6_T7_T9_mT8_P12ihipStream_tbDpT10_ENKUlT_T0_E_clISt17integral_constantIbLb1EES1C_IbLb0EEEEDaS18_S19_EUlS18_E_NS1_11comp_targetILNS1_3genE3ELNS1_11target_archE908ELNS1_3gpuE7ELNS1_3repE0EEENS1_30default_config_static_selectorELNS0_4arch9wavefront6targetE1EEEvT1_
	.p2align	8
	.type	_ZN7rocprim17ROCPRIM_400000_NS6detail17trampoline_kernelINS0_14default_configENS1_25partition_config_selectorILNS1_17partition_subalgoE8EsNS0_10empty_typeEbEEZZNS1_14partition_implILS5_8ELb0ES3_jN6thrust23THRUST_200600_302600_NS6detail15normal_iteratorINSA_10device_ptrIsEEEEPS6_PKS6_NS0_5tupleIJNSA_16discard_iteratorINSA_11use_defaultEEES6_EEENSJ_IJSG_SG_EEENS0_18inequality_wrapperINSA_8equal_toIsEEEEPmJS6_EEE10hipError_tPvRmT3_T4_T5_T6_T7_T9_mT8_P12ihipStream_tbDpT10_ENKUlT_T0_E_clISt17integral_constantIbLb1EES1C_IbLb0EEEEDaS18_S19_EUlS18_E_NS1_11comp_targetILNS1_3genE3ELNS1_11target_archE908ELNS1_3gpuE7ELNS1_3repE0EEENS1_30default_config_static_selectorELNS0_4arch9wavefront6targetE1EEEvT1_,@function
_ZN7rocprim17ROCPRIM_400000_NS6detail17trampoline_kernelINS0_14default_configENS1_25partition_config_selectorILNS1_17partition_subalgoE8EsNS0_10empty_typeEbEEZZNS1_14partition_implILS5_8ELb0ES3_jN6thrust23THRUST_200600_302600_NS6detail15normal_iteratorINSA_10device_ptrIsEEEEPS6_PKS6_NS0_5tupleIJNSA_16discard_iteratorINSA_11use_defaultEEES6_EEENSJ_IJSG_SG_EEENS0_18inequality_wrapperINSA_8equal_toIsEEEEPmJS6_EEE10hipError_tPvRmT3_T4_T5_T6_T7_T9_mT8_P12ihipStream_tbDpT10_ENKUlT_T0_E_clISt17integral_constantIbLb1EES1C_IbLb0EEEEDaS18_S19_EUlS18_E_NS1_11comp_targetILNS1_3genE3ELNS1_11target_archE908ELNS1_3gpuE7ELNS1_3repE0EEENS1_30default_config_static_selectorELNS0_4arch9wavefront6targetE1EEEvT1_: ; @_ZN7rocprim17ROCPRIM_400000_NS6detail17trampoline_kernelINS0_14default_configENS1_25partition_config_selectorILNS1_17partition_subalgoE8EsNS0_10empty_typeEbEEZZNS1_14partition_implILS5_8ELb0ES3_jN6thrust23THRUST_200600_302600_NS6detail15normal_iteratorINSA_10device_ptrIsEEEEPS6_PKS6_NS0_5tupleIJNSA_16discard_iteratorINSA_11use_defaultEEES6_EEENSJ_IJSG_SG_EEENS0_18inequality_wrapperINSA_8equal_toIsEEEEPmJS6_EEE10hipError_tPvRmT3_T4_T5_T6_T7_T9_mT8_P12ihipStream_tbDpT10_ENKUlT_T0_E_clISt17integral_constantIbLb1EES1C_IbLb0EEEEDaS18_S19_EUlS18_E_NS1_11comp_targetILNS1_3genE3ELNS1_11target_archE908ELNS1_3gpuE7ELNS1_3repE0EEENS1_30default_config_static_selectorELNS0_4arch9wavefront6targetE1EEEvT1_
; %bb.0:
	.section	.rodata,"a",@progbits
	.p2align	6, 0x0
	.amdhsa_kernel _ZN7rocprim17ROCPRIM_400000_NS6detail17trampoline_kernelINS0_14default_configENS1_25partition_config_selectorILNS1_17partition_subalgoE8EsNS0_10empty_typeEbEEZZNS1_14partition_implILS5_8ELb0ES3_jN6thrust23THRUST_200600_302600_NS6detail15normal_iteratorINSA_10device_ptrIsEEEEPS6_PKS6_NS0_5tupleIJNSA_16discard_iteratorINSA_11use_defaultEEES6_EEENSJ_IJSG_SG_EEENS0_18inequality_wrapperINSA_8equal_toIsEEEEPmJS6_EEE10hipError_tPvRmT3_T4_T5_T6_T7_T9_mT8_P12ihipStream_tbDpT10_ENKUlT_T0_E_clISt17integral_constantIbLb1EES1C_IbLb0EEEEDaS18_S19_EUlS18_E_NS1_11comp_targetILNS1_3genE3ELNS1_11target_archE908ELNS1_3gpuE7ELNS1_3repE0EEENS1_30default_config_static_selectorELNS0_4arch9wavefront6targetE1EEEvT1_
		.amdhsa_group_segment_fixed_size 0
		.amdhsa_private_segment_fixed_size 0
		.amdhsa_kernarg_size 120
		.amdhsa_user_sgpr_count 6
		.amdhsa_user_sgpr_private_segment_buffer 1
		.amdhsa_user_sgpr_dispatch_ptr 0
		.amdhsa_user_sgpr_queue_ptr 0
		.amdhsa_user_sgpr_kernarg_segment_ptr 1
		.amdhsa_user_sgpr_dispatch_id 0
		.amdhsa_user_sgpr_flat_scratch_init 0
		.amdhsa_user_sgpr_private_segment_size 0
		.amdhsa_uses_dynamic_stack 0
		.amdhsa_system_sgpr_private_segment_wavefront_offset 0
		.amdhsa_system_sgpr_workgroup_id_x 1
		.amdhsa_system_sgpr_workgroup_id_y 0
		.amdhsa_system_sgpr_workgroup_id_z 0
		.amdhsa_system_sgpr_workgroup_info 0
		.amdhsa_system_vgpr_workitem_id 0
		.amdhsa_next_free_vgpr 1
		.amdhsa_next_free_sgpr 0
		.amdhsa_reserve_vcc 0
		.amdhsa_reserve_flat_scratch 0
		.amdhsa_float_round_mode_32 0
		.amdhsa_float_round_mode_16_64 0
		.amdhsa_float_denorm_mode_32 3
		.amdhsa_float_denorm_mode_16_64 3
		.amdhsa_dx10_clamp 1
		.amdhsa_ieee_mode 1
		.amdhsa_fp16_overflow 0
		.amdhsa_exception_fp_ieee_invalid_op 0
		.amdhsa_exception_fp_denorm_src 0
		.amdhsa_exception_fp_ieee_div_zero 0
		.amdhsa_exception_fp_ieee_overflow 0
		.amdhsa_exception_fp_ieee_underflow 0
		.amdhsa_exception_fp_ieee_inexact 0
		.amdhsa_exception_int_div_zero 0
	.end_amdhsa_kernel
	.section	.text._ZN7rocprim17ROCPRIM_400000_NS6detail17trampoline_kernelINS0_14default_configENS1_25partition_config_selectorILNS1_17partition_subalgoE8EsNS0_10empty_typeEbEEZZNS1_14partition_implILS5_8ELb0ES3_jN6thrust23THRUST_200600_302600_NS6detail15normal_iteratorINSA_10device_ptrIsEEEEPS6_PKS6_NS0_5tupleIJNSA_16discard_iteratorINSA_11use_defaultEEES6_EEENSJ_IJSG_SG_EEENS0_18inequality_wrapperINSA_8equal_toIsEEEEPmJS6_EEE10hipError_tPvRmT3_T4_T5_T6_T7_T9_mT8_P12ihipStream_tbDpT10_ENKUlT_T0_E_clISt17integral_constantIbLb1EES1C_IbLb0EEEEDaS18_S19_EUlS18_E_NS1_11comp_targetILNS1_3genE3ELNS1_11target_archE908ELNS1_3gpuE7ELNS1_3repE0EEENS1_30default_config_static_selectorELNS0_4arch9wavefront6targetE1EEEvT1_,"axG",@progbits,_ZN7rocprim17ROCPRIM_400000_NS6detail17trampoline_kernelINS0_14default_configENS1_25partition_config_selectorILNS1_17partition_subalgoE8EsNS0_10empty_typeEbEEZZNS1_14partition_implILS5_8ELb0ES3_jN6thrust23THRUST_200600_302600_NS6detail15normal_iteratorINSA_10device_ptrIsEEEEPS6_PKS6_NS0_5tupleIJNSA_16discard_iteratorINSA_11use_defaultEEES6_EEENSJ_IJSG_SG_EEENS0_18inequality_wrapperINSA_8equal_toIsEEEEPmJS6_EEE10hipError_tPvRmT3_T4_T5_T6_T7_T9_mT8_P12ihipStream_tbDpT10_ENKUlT_T0_E_clISt17integral_constantIbLb1EES1C_IbLb0EEEEDaS18_S19_EUlS18_E_NS1_11comp_targetILNS1_3genE3ELNS1_11target_archE908ELNS1_3gpuE7ELNS1_3repE0EEENS1_30default_config_static_selectorELNS0_4arch9wavefront6targetE1EEEvT1_,comdat
.Lfunc_end712:
	.size	_ZN7rocprim17ROCPRIM_400000_NS6detail17trampoline_kernelINS0_14default_configENS1_25partition_config_selectorILNS1_17partition_subalgoE8EsNS0_10empty_typeEbEEZZNS1_14partition_implILS5_8ELb0ES3_jN6thrust23THRUST_200600_302600_NS6detail15normal_iteratorINSA_10device_ptrIsEEEEPS6_PKS6_NS0_5tupleIJNSA_16discard_iteratorINSA_11use_defaultEEES6_EEENSJ_IJSG_SG_EEENS0_18inequality_wrapperINSA_8equal_toIsEEEEPmJS6_EEE10hipError_tPvRmT3_T4_T5_T6_T7_T9_mT8_P12ihipStream_tbDpT10_ENKUlT_T0_E_clISt17integral_constantIbLb1EES1C_IbLb0EEEEDaS18_S19_EUlS18_E_NS1_11comp_targetILNS1_3genE3ELNS1_11target_archE908ELNS1_3gpuE7ELNS1_3repE0EEENS1_30default_config_static_selectorELNS0_4arch9wavefront6targetE1EEEvT1_, .Lfunc_end712-_ZN7rocprim17ROCPRIM_400000_NS6detail17trampoline_kernelINS0_14default_configENS1_25partition_config_selectorILNS1_17partition_subalgoE8EsNS0_10empty_typeEbEEZZNS1_14partition_implILS5_8ELb0ES3_jN6thrust23THRUST_200600_302600_NS6detail15normal_iteratorINSA_10device_ptrIsEEEEPS6_PKS6_NS0_5tupleIJNSA_16discard_iteratorINSA_11use_defaultEEES6_EEENSJ_IJSG_SG_EEENS0_18inequality_wrapperINSA_8equal_toIsEEEEPmJS6_EEE10hipError_tPvRmT3_T4_T5_T6_T7_T9_mT8_P12ihipStream_tbDpT10_ENKUlT_T0_E_clISt17integral_constantIbLb1EES1C_IbLb0EEEEDaS18_S19_EUlS18_E_NS1_11comp_targetILNS1_3genE3ELNS1_11target_archE908ELNS1_3gpuE7ELNS1_3repE0EEENS1_30default_config_static_selectorELNS0_4arch9wavefront6targetE1EEEvT1_
                                        ; -- End function
	.set _ZN7rocprim17ROCPRIM_400000_NS6detail17trampoline_kernelINS0_14default_configENS1_25partition_config_selectorILNS1_17partition_subalgoE8EsNS0_10empty_typeEbEEZZNS1_14partition_implILS5_8ELb0ES3_jN6thrust23THRUST_200600_302600_NS6detail15normal_iteratorINSA_10device_ptrIsEEEEPS6_PKS6_NS0_5tupleIJNSA_16discard_iteratorINSA_11use_defaultEEES6_EEENSJ_IJSG_SG_EEENS0_18inequality_wrapperINSA_8equal_toIsEEEEPmJS6_EEE10hipError_tPvRmT3_T4_T5_T6_T7_T9_mT8_P12ihipStream_tbDpT10_ENKUlT_T0_E_clISt17integral_constantIbLb1EES1C_IbLb0EEEEDaS18_S19_EUlS18_E_NS1_11comp_targetILNS1_3genE3ELNS1_11target_archE908ELNS1_3gpuE7ELNS1_3repE0EEENS1_30default_config_static_selectorELNS0_4arch9wavefront6targetE1EEEvT1_.num_vgpr, 0
	.set _ZN7rocprim17ROCPRIM_400000_NS6detail17trampoline_kernelINS0_14default_configENS1_25partition_config_selectorILNS1_17partition_subalgoE8EsNS0_10empty_typeEbEEZZNS1_14partition_implILS5_8ELb0ES3_jN6thrust23THRUST_200600_302600_NS6detail15normal_iteratorINSA_10device_ptrIsEEEEPS6_PKS6_NS0_5tupleIJNSA_16discard_iteratorINSA_11use_defaultEEES6_EEENSJ_IJSG_SG_EEENS0_18inequality_wrapperINSA_8equal_toIsEEEEPmJS6_EEE10hipError_tPvRmT3_T4_T5_T6_T7_T9_mT8_P12ihipStream_tbDpT10_ENKUlT_T0_E_clISt17integral_constantIbLb1EES1C_IbLb0EEEEDaS18_S19_EUlS18_E_NS1_11comp_targetILNS1_3genE3ELNS1_11target_archE908ELNS1_3gpuE7ELNS1_3repE0EEENS1_30default_config_static_selectorELNS0_4arch9wavefront6targetE1EEEvT1_.num_agpr, 0
	.set _ZN7rocprim17ROCPRIM_400000_NS6detail17trampoline_kernelINS0_14default_configENS1_25partition_config_selectorILNS1_17partition_subalgoE8EsNS0_10empty_typeEbEEZZNS1_14partition_implILS5_8ELb0ES3_jN6thrust23THRUST_200600_302600_NS6detail15normal_iteratorINSA_10device_ptrIsEEEEPS6_PKS6_NS0_5tupleIJNSA_16discard_iteratorINSA_11use_defaultEEES6_EEENSJ_IJSG_SG_EEENS0_18inequality_wrapperINSA_8equal_toIsEEEEPmJS6_EEE10hipError_tPvRmT3_T4_T5_T6_T7_T9_mT8_P12ihipStream_tbDpT10_ENKUlT_T0_E_clISt17integral_constantIbLb1EES1C_IbLb0EEEEDaS18_S19_EUlS18_E_NS1_11comp_targetILNS1_3genE3ELNS1_11target_archE908ELNS1_3gpuE7ELNS1_3repE0EEENS1_30default_config_static_selectorELNS0_4arch9wavefront6targetE1EEEvT1_.numbered_sgpr, 0
	.set _ZN7rocprim17ROCPRIM_400000_NS6detail17trampoline_kernelINS0_14default_configENS1_25partition_config_selectorILNS1_17partition_subalgoE8EsNS0_10empty_typeEbEEZZNS1_14partition_implILS5_8ELb0ES3_jN6thrust23THRUST_200600_302600_NS6detail15normal_iteratorINSA_10device_ptrIsEEEEPS6_PKS6_NS0_5tupleIJNSA_16discard_iteratorINSA_11use_defaultEEES6_EEENSJ_IJSG_SG_EEENS0_18inequality_wrapperINSA_8equal_toIsEEEEPmJS6_EEE10hipError_tPvRmT3_T4_T5_T6_T7_T9_mT8_P12ihipStream_tbDpT10_ENKUlT_T0_E_clISt17integral_constantIbLb1EES1C_IbLb0EEEEDaS18_S19_EUlS18_E_NS1_11comp_targetILNS1_3genE3ELNS1_11target_archE908ELNS1_3gpuE7ELNS1_3repE0EEENS1_30default_config_static_selectorELNS0_4arch9wavefront6targetE1EEEvT1_.num_named_barrier, 0
	.set _ZN7rocprim17ROCPRIM_400000_NS6detail17trampoline_kernelINS0_14default_configENS1_25partition_config_selectorILNS1_17partition_subalgoE8EsNS0_10empty_typeEbEEZZNS1_14partition_implILS5_8ELb0ES3_jN6thrust23THRUST_200600_302600_NS6detail15normal_iteratorINSA_10device_ptrIsEEEEPS6_PKS6_NS0_5tupleIJNSA_16discard_iteratorINSA_11use_defaultEEES6_EEENSJ_IJSG_SG_EEENS0_18inequality_wrapperINSA_8equal_toIsEEEEPmJS6_EEE10hipError_tPvRmT3_T4_T5_T6_T7_T9_mT8_P12ihipStream_tbDpT10_ENKUlT_T0_E_clISt17integral_constantIbLb1EES1C_IbLb0EEEEDaS18_S19_EUlS18_E_NS1_11comp_targetILNS1_3genE3ELNS1_11target_archE908ELNS1_3gpuE7ELNS1_3repE0EEENS1_30default_config_static_selectorELNS0_4arch9wavefront6targetE1EEEvT1_.private_seg_size, 0
	.set _ZN7rocprim17ROCPRIM_400000_NS6detail17trampoline_kernelINS0_14default_configENS1_25partition_config_selectorILNS1_17partition_subalgoE8EsNS0_10empty_typeEbEEZZNS1_14partition_implILS5_8ELb0ES3_jN6thrust23THRUST_200600_302600_NS6detail15normal_iteratorINSA_10device_ptrIsEEEEPS6_PKS6_NS0_5tupleIJNSA_16discard_iteratorINSA_11use_defaultEEES6_EEENSJ_IJSG_SG_EEENS0_18inequality_wrapperINSA_8equal_toIsEEEEPmJS6_EEE10hipError_tPvRmT3_T4_T5_T6_T7_T9_mT8_P12ihipStream_tbDpT10_ENKUlT_T0_E_clISt17integral_constantIbLb1EES1C_IbLb0EEEEDaS18_S19_EUlS18_E_NS1_11comp_targetILNS1_3genE3ELNS1_11target_archE908ELNS1_3gpuE7ELNS1_3repE0EEENS1_30default_config_static_selectorELNS0_4arch9wavefront6targetE1EEEvT1_.uses_vcc, 0
	.set _ZN7rocprim17ROCPRIM_400000_NS6detail17trampoline_kernelINS0_14default_configENS1_25partition_config_selectorILNS1_17partition_subalgoE8EsNS0_10empty_typeEbEEZZNS1_14partition_implILS5_8ELb0ES3_jN6thrust23THRUST_200600_302600_NS6detail15normal_iteratorINSA_10device_ptrIsEEEEPS6_PKS6_NS0_5tupleIJNSA_16discard_iteratorINSA_11use_defaultEEES6_EEENSJ_IJSG_SG_EEENS0_18inequality_wrapperINSA_8equal_toIsEEEEPmJS6_EEE10hipError_tPvRmT3_T4_T5_T6_T7_T9_mT8_P12ihipStream_tbDpT10_ENKUlT_T0_E_clISt17integral_constantIbLb1EES1C_IbLb0EEEEDaS18_S19_EUlS18_E_NS1_11comp_targetILNS1_3genE3ELNS1_11target_archE908ELNS1_3gpuE7ELNS1_3repE0EEENS1_30default_config_static_selectorELNS0_4arch9wavefront6targetE1EEEvT1_.uses_flat_scratch, 0
	.set _ZN7rocprim17ROCPRIM_400000_NS6detail17trampoline_kernelINS0_14default_configENS1_25partition_config_selectorILNS1_17partition_subalgoE8EsNS0_10empty_typeEbEEZZNS1_14partition_implILS5_8ELb0ES3_jN6thrust23THRUST_200600_302600_NS6detail15normal_iteratorINSA_10device_ptrIsEEEEPS6_PKS6_NS0_5tupleIJNSA_16discard_iteratorINSA_11use_defaultEEES6_EEENSJ_IJSG_SG_EEENS0_18inequality_wrapperINSA_8equal_toIsEEEEPmJS6_EEE10hipError_tPvRmT3_T4_T5_T6_T7_T9_mT8_P12ihipStream_tbDpT10_ENKUlT_T0_E_clISt17integral_constantIbLb1EES1C_IbLb0EEEEDaS18_S19_EUlS18_E_NS1_11comp_targetILNS1_3genE3ELNS1_11target_archE908ELNS1_3gpuE7ELNS1_3repE0EEENS1_30default_config_static_selectorELNS0_4arch9wavefront6targetE1EEEvT1_.has_dyn_sized_stack, 0
	.set _ZN7rocprim17ROCPRIM_400000_NS6detail17trampoline_kernelINS0_14default_configENS1_25partition_config_selectorILNS1_17partition_subalgoE8EsNS0_10empty_typeEbEEZZNS1_14partition_implILS5_8ELb0ES3_jN6thrust23THRUST_200600_302600_NS6detail15normal_iteratorINSA_10device_ptrIsEEEEPS6_PKS6_NS0_5tupleIJNSA_16discard_iteratorINSA_11use_defaultEEES6_EEENSJ_IJSG_SG_EEENS0_18inequality_wrapperINSA_8equal_toIsEEEEPmJS6_EEE10hipError_tPvRmT3_T4_T5_T6_T7_T9_mT8_P12ihipStream_tbDpT10_ENKUlT_T0_E_clISt17integral_constantIbLb1EES1C_IbLb0EEEEDaS18_S19_EUlS18_E_NS1_11comp_targetILNS1_3genE3ELNS1_11target_archE908ELNS1_3gpuE7ELNS1_3repE0EEENS1_30default_config_static_selectorELNS0_4arch9wavefront6targetE1EEEvT1_.has_recursion, 0
	.set _ZN7rocprim17ROCPRIM_400000_NS6detail17trampoline_kernelINS0_14default_configENS1_25partition_config_selectorILNS1_17partition_subalgoE8EsNS0_10empty_typeEbEEZZNS1_14partition_implILS5_8ELb0ES3_jN6thrust23THRUST_200600_302600_NS6detail15normal_iteratorINSA_10device_ptrIsEEEEPS6_PKS6_NS0_5tupleIJNSA_16discard_iteratorINSA_11use_defaultEEES6_EEENSJ_IJSG_SG_EEENS0_18inequality_wrapperINSA_8equal_toIsEEEEPmJS6_EEE10hipError_tPvRmT3_T4_T5_T6_T7_T9_mT8_P12ihipStream_tbDpT10_ENKUlT_T0_E_clISt17integral_constantIbLb1EES1C_IbLb0EEEEDaS18_S19_EUlS18_E_NS1_11comp_targetILNS1_3genE3ELNS1_11target_archE908ELNS1_3gpuE7ELNS1_3repE0EEENS1_30default_config_static_selectorELNS0_4arch9wavefront6targetE1EEEvT1_.has_indirect_call, 0
	.section	.AMDGPU.csdata,"",@progbits
; Kernel info:
; codeLenInByte = 0
; TotalNumSgprs: 4
; NumVgprs: 0
; ScratchSize: 0
; MemoryBound: 0
; FloatMode: 240
; IeeeMode: 1
; LDSByteSize: 0 bytes/workgroup (compile time only)
; SGPRBlocks: 0
; VGPRBlocks: 0
; NumSGPRsForWavesPerEU: 4
; NumVGPRsForWavesPerEU: 1
; Occupancy: 10
; WaveLimiterHint : 0
; COMPUTE_PGM_RSRC2:SCRATCH_EN: 0
; COMPUTE_PGM_RSRC2:USER_SGPR: 6
; COMPUTE_PGM_RSRC2:TRAP_HANDLER: 0
; COMPUTE_PGM_RSRC2:TGID_X_EN: 1
; COMPUTE_PGM_RSRC2:TGID_Y_EN: 0
; COMPUTE_PGM_RSRC2:TGID_Z_EN: 0
; COMPUTE_PGM_RSRC2:TIDIG_COMP_CNT: 0
	.section	.text._ZN7rocprim17ROCPRIM_400000_NS6detail17trampoline_kernelINS0_14default_configENS1_25partition_config_selectorILNS1_17partition_subalgoE8EsNS0_10empty_typeEbEEZZNS1_14partition_implILS5_8ELb0ES3_jN6thrust23THRUST_200600_302600_NS6detail15normal_iteratorINSA_10device_ptrIsEEEEPS6_PKS6_NS0_5tupleIJNSA_16discard_iteratorINSA_11use_defaultEEES6_EEENSJ_IJSG_SG_EEENS0_18inequality_wrapperINSA_8equal_toIsEEEEPmJS6_EEE10hipError_tPvRmT3_T4_T5_T6_T7_T9_mT8_P12ihipStream_tbDpT10_ENKUlT_T0_E_clISt17integral_constantIbLb1EES1C_IbLb0EEEEDaS18_S19_EUlS18_E_NS1_11comp_targetILNS1_3genE2ELNS1_11target_archE906ELNS1_3gpuE6ELNS1_3repE0EEENS1_30default_config_static_selectorELNS0_4arch9wavefront6targetE1EEEvT1_,"axG",@progbits,_ZN7rocprim17ROCPRIM_400000_NS6detail17trampoline_kernelINS0_14default_configENS1_25partition_config_selectorILNS1_17partition_subalgoE8EsNS0_10empty_typeEbEEZZNS1_14partition_implILS5_8ELb0ES3_jN6thrust23THRUST_200600_302600_NS6detail15normal_iteratorINSA_10device_ptrIsEEEEPS6_PKS6_NS0_5tupleIJNSA_16discard_iteratorINSA_11use_defaultEEES6_EEENSJ_IJSG_SG_EEENS0_18inequality_wrapperINSA_8equal_toIsEEEEPmJS6_EEE10hipError_tPvRmT3_T4_T5_T6_T7_T9_mT8_P12ihipStream_tbDpT10_ENKUlT_T0_E_clISt17integral_constantIbLb1EES1C_IbLb0EEEEDaS18_S19_EUlS18_E_NS1_11comp_targetILNS1_3genE2ELNS1_11target_archE906ELNS1_3gpuE6ELNS1_3repE0EEENS1_30default_config_static_selectorELNS0_4arch9wavefront6targetE1EEEvT1_,comdat
	.protected	_ZN7rocprim17ROCPRIM_400000_NS6detail17trampoline_kernelINS0_14default_configENS1_25partition_config_selectorILNS1_17partition_subalgoE8EsNS0_10empty_typeEbEEZZNS1_14partition_implILS5_8ELb0ES3_jN6thrust23THRUST_200600_302600_NS6detail15normal_iteratorINSA_10device_ptrIsEEEEPS6_PKS6_NS0_5tupleIJNSA_16discard_iteratorINSA_11use_defaultEEES6_EEENSJ_IJSG_SG_EEENS0_18inequality_wrapperINSA_8equal_toIsEEEEPmJS6_EEE10hipError_tPvRmT3_T4_T5_T6_T7_T9_mT8_P12ihipStream_tbDpT10_ENKUlT_T0_E_clISt17integral_constantIbLb1EES1C_IbLb0EEEEDaS18_S19_EUlS18_E_NS1_11comp_targetILNS1_3genE2ELNS1_11target_archE906ELNS1_3gpuE6ELNS1_3repE0EEENS1_30default_config_static_selectorELNS0_4arch9wavefront6targetE1EEEvT1_ ; -- Begin function _ZN7rocprim17ROCPRIM_400000_NS6detail17trampoline_kernelINS0_14default_configENS1_25partition_config_selectorILNS1_17partition_subalgoE8EsNS0_10empty_typeEbEEZZNS1_14partition_implILS5_8ELb0ES3_jN6thrust23THRUST_200600_302600_NS6detail15normal_iteratorINSA_10device_ptrIsEEEEPS6_PKS6_NS0_5tupleIJNSA_16discard_iteratorINSA_11use_defaultEEES6_EEENSJ_IJSG_SG_EEENS0_18inequality_wrapperINSA_8equal_toIsEEEEPmJS6_EEE10hipError_tPvRmT3_T4_T5_T6_T7_T9_mT8_P12ihipStream_tbDpT10_ENKUlT_T0_E_clISt17integral_constantIbLb1EES1C_IbLb0EEEEDaS18_S19_EUlS18_E_NS1_11comp_targetILNS1_3genE2ELNS1_11target_archE906ELNS1_3gpuE6ELNS1_3repE0EEENS1_30default_config_static_selectorELNS0_4arch9wavefront6targetE1EEEvT1_
	.globl	_ZN7rocprim17ROCPRIM_400000_NS6detail17trampoline_kernelINS0_14default_configENS1_25partition_config_selectorILNS1_17partition_subalgoE8EsNS0_10empty_typeEbEEZZNS1_14partition_implILS5_8ELb0ES3_jN6thrust23THRUST_200600_302600_NS6detail15normal_iteratorINSA_10device_ptrIsEEEEPS6_PKS6_NS0_5tupleIJNSA_16discard_iteratorINSA_11use_defaultEEES6_EEENSJ_IJSG_SG_EEENS0_18inequality_wrapperINSA_8equal_toIsEEEEPmJS6_EEE10hipError_tPvRmT3_T4_T5_T6_T7_T9_mT8_P12ihipStream_tbDpT10_ENKUlT_T0_E_clISt17integral_constantIbLb1EES1C_IbLb0EEEEDaS18_S19_EUlS18_E_NS1_11comp_targetILNS1_3genE2ELNS1_11target_archE906ELNS1_3gpuE6ELNS1_3repE0EEENS1_30default_config_static_selectorELNS0_4arch9wavefront6targetE1EEEvT1_
	.p2align	8
	.type	_ZN7rocprim17ROCPRIM_400000_NS6detail17trampoline_kernelINS0_14default_configENS1_25partition_config_selectorILNS1_17partition_subalgoE8EsNS0_10empty_typeEbEEZZNS1_14partition_implILS5_8ELb0ES3_jN6thrust23THRUST_200600_302600_NS6detail15normal_iteratorINSA_10device_ptrIsEEEEPS6_PKS6_NS0_5tupleIJNSA_16discard_iteratorINSA_11use_defaultEEES6_EEENSJ_IJSG_SG_EEENS0_18inequality_wrapperINSA_8equal_toIsEEEEPmJS6_EEE10hipError_tPvRmT3_T4_T5_T6_T7_T9_mT8_P12ihipStream_tbDpT10_ENKUlT_T0_E_clISt17integral_constantIbLb1EES1C_IbLb0EEEEDaS18_S19_EUlS18_E_NS1_11comp_targetILNS1_3genE2ELNS1_11target_archE906ELNS1_3gpuE6ELNS1_3repE0EEENS1_30default_config_static_selectorELNS0_4arch9wavefront6targetE1EEEvT1_,@function
_ZN7rocprim17ROCPRIM_400000_NS6detail17trampoline_kernelINS0_14default_configENS1_25partition_config_selectorILNS1_17partition_subalgoE8EsNS0_10empty_typeEbEEZZNS1_14partition_implILS5_8ELb0ES3_jN6thrust23THRUST_200600_302600_NS6detail15normal_iteratorINSA_10device_ptrIsEEEEPS6_PKS6_NS0_5tupleIJNSA_16discard_iteratorINSA_11use_defaultEEES6_EEENSJ_IJSG_SG_EEENS0_18inequality_wrapperINSA_8equal_toIsEEEEPmJS6_EEE10hipError_tPvRmT3_T4_T5_T6_T7_T9_mT8_P12ihipStream_tbDpT10_ENKUlT_T0_E_clISt17integral_constantIbLb1EES1C_IbLb0EEEEDaS18_S19_EUlS18_E_NS1_11comp_targetILNS1_3genE2ELNS1_11target_archE906ELNS1_3gpuE6ELNS1_3repE0EEENS1_30default_config_static_selectorELNS0_4arch9wavefront6targetE1EEEvT1_: ; @_ZN7rocprim17ROCPRIM_400000_NS6detail17trampoline_kernelINS0_14default_configENS1_25partition_config_selectorILNS1_17partition_subalgoE8EsNS0_10empty_typeEbEEZZNS1_14partition_implILS5_8ELb0ES3_jN6thrust23THRUST_200600_302600_NS6detail15normal_iteratorINSA_10device_ptrIsEEEEPS6_PKS6_NS0_5tupleIJNSA_16discard_iteratorINSA_11use_defaultEEES6_EEENSJ_IJSG_SG_EEENS0_18inequality_wrapperINSA_8equal_toIsEEEEPmJS6_EEE10hipError_tPvRmT3_T4_T5_T6_T7_T9_mT8_P12ihipStream_tbDpT10_ENKUlT_T0_E_clISt17integral_constantIbLb1EES1C_IbLb0EEEEDaS18_S19_EUlS18_E_NS1_11comp_targetILNS1_3genE2ELNS1_11target_archE906ELNS1_3gpuE6ELNS1_3repE0EEENS1_30default_config_static_selectorELNS0_4arch9wavefront6targetE1EEEvT1_
; %bb.0:
	s_endpgm
	.section	.rodata,"a",@progbits
	.p2align	6, 0x0
	.amdhsa_kernel _ZN7rocprim17ROCPRIM_400000_NS6detail17trampoline_kernelINS0_14default_configENS1_25partition_config_selectorILNS1_17partition_subalgoE8EsNS0_10empty_typeEbEEZZNS1_14partition_implILS5_8ELb0ES3_jN6thrust23THRUST_200600_302600_NS6detail15normal_iteratorINSA_10device_ptrIsEEEEPS6_PKS6_NS0_5tupleIJNSA_16discard_iteratorINSA_11use_defaultEEES6_EEENSJ_IJSG_SG_EEENS0_18inequality_wrapperINSA_8equal_toIsEEEEPmJS6_EEE10hipError_tPvRmT3_T4_T5_T6_T7_T9_mT8_P12ihipStream_tbDpT10_ENKUlT_T0_E_clISt17integral_constantIbLb1EES1C_IbLb0EEEEDaS18_S19_EUlS18_E_NS1_11comp_targetILNS1_3genE2ELNS1_11target_archE906ELNS1_3gpuE6ELNS1_3repE0EEENS1_30default_config_static_selectorELNS0_4arch9wavefront6targetE1EEEvT1_
		.amdhsa_group_segment_fixed_size 0
		.amdhsa_private_segment_fixed_size 0
		.amdhsa_kernarg_size 120
		.amdhsa_user_sgpr_count 6
		.amdhsa_user_sgpr_private_segment_buffer 1
		.amdhsa_user_sgpr_dispatch_ptr 0
		.amdhsa_user_sgpr_queue_ptr 0
		.amdhsa_user_sgpr_kernarg_segment_ptr 1
		.amdhsa_user_sgpr_dispatch_id 0
		.amdhsa_user_sgpr_flat_scratch_init 0
		.amdhsa_user_sgpr_private_segment_size 0
		.amdhsa_uses_dynamic_stack 0
		.amdhsa_system_sgpr_private_segment_wavefront_offset 0
		.amdhsa_system_sgpr_workgroup_id_x 1
		.amdhsa_system_sgpr_workgroup_id_y 0
		.amdhsa_system_sgpr_workgroup_id_z 0
		.amdhsa_system_sgpr_workgroup_info 0
		.amdhsa_system_vgpr_workitem_id 0
		.amdhsa_next_free_vgpr 1
		.amdhsa_next_free_sgpr 0
		.amdhsa_reserve_vcc 0
		.amdhsa_reserve_flat_scratch 0
		.amdhsa_float_round_mode_32 0
		.amdhsa_float_round_mode_16_64 0
		.amdhsa_float_denorm_mode_32 3
		.amdhsa_float_denorm_mode_16_64 3
		.amdhsa_dx10_clamp 1
		.amdhsa_ieee_mode 1
		.amdhsa_fp16_overflow 0
		.amdhsa_exception_fp_ieee_invalid_op 0
		.amdhsa_exception_fp_denorm_src 0
		.amdhsa_exception_fp_ieee_div_zero 0
		.amdhsa_exception_fp_ieee_overflow 0
		.amdhsa_exception_fp_ieee_underflow 0
		.amdhsa_exception_fp_ieee_inexact 0
		.amdhsa_exception_int_div_zero 0
	.end_amdhsa_kernel
	.section	.text._ZN7rocprim17ROCPRIM_400000_NS6detail17trampoline_kernelINS0_14default_configENS1_25partition_config_selectorILNS1_17partition_subalgoE8EsNS0_10empty_typeEbEEZZNS1_14partition_implILS5_8ELb0ES3_jN6thrust23THRUST_200600_302600_NS6detail15normal_iteratorINSA_10device_ptrIsEEEEPS6_PKS6_NS0_5tupleIJNSA_16discard_iteratorINSA_11use_defaultEEES6_EEENSJ_IJSG_SG_EEENS0_18inequality_wrapperINSA_8equal_toIsEEEEPmJS6_EEE10hipError_tPvRmT3_T4_T5_T6_T7_T9_mT8_P12ihipStream_tbDpT10_ENKUlT_T0_E_clISt17integral_constantIbLb1EES1C_IbLb0EEEEDaS18_S19_EUlS18_E_NS1_11comp_targetILNS1_3genE2ELNS1_11target_archE906ELNS1_3gpuE6ELNS1_3repE0EEENS1_30default_config_static_selectorELNS0_4arch9wavefront6targetE1EEEvT1_,"axG",@progbits,_ZN7rocprim17ROCPRIM_400000_NS6detail17trampoline_kernelINS0_14default_configENS1_25partition_config_selectorILNS1_17partition_subalgoE8EsNS0_10empty_typeEbEEZZNS1_14partition_implILS5_8ELb0ES3_jN6thrust23THRUST_200600_302600_NS6detail15normal_iteratorINSA_10device_ptrIsEEEEPS6_PKS6_NS0_5tupleIJNSA_16discard_iteratorINSA_11use_defaultEEES6_EEENSJ_IJSG_SG_EEENS0_18inequality_wrapperINSA_8equal_toIsEEEEPmJS6_EEE10hipError_tPvRmT3_T4_T5_T6_T7_T9_mT8_P12ihipStream_tbDpT10_ENKUlT_T0_E_clISt17integral_constantIbLb1EES1C_IbLb0EEEEDaS18_S19_EUlS18_E_NS1_11comp_targetILNS1_3genE2ELNS1_11target_archE906ELNS1_3gpuE6ELNS1_3repE0EEENS1_30default_config_static_selectorELNS0_4arch9wavefront6targetE1EEEvT1_,comdat
.Lfunc_end713:
	.size	_ZN7rocprim17ROCPRIM_400000_NS6detail17trampoline_kernelINS0_14default_configENS1_25partition_config_selectorILNS1_17partition_subalgoE8EsNS0_10empty_typeEbEEZZNS1_14partition_implILS5_8ELb0ES3_jN6thrust23THRUST_200600_302600_NS6detail15normal_iteratorINSA_10device_ptrIsEEEEPS6_PKS6_NS0_5tupleIJNSA_16discard_iteratorINSA_11use_defaultEEES6_EEENSJ_IJSG_SG_EEENS0_18inequality_wrapperINSA_8equal_toIsEEEEPmJS6_EEE10hipError_tPvRmT3_T4_T5_T6_T7_T9_mT8_P12ihipStream_tbDpT10_ENKUlT_T0_E_clISt17integral_constantIbLb1EES1C_IbLb0EEEEDaS18_S19_EUlS18_E_NS1_11comp_targetILNS1_3genE2ELNS1_11target_archE906ELNS1_3gpuE6ELNS1_3repE0EEENS1_30default_config_static_selectorELNS0_4arch9wavefront6targetE1EEEvT1_, .Lfunc_end713-_ZN7rocprim17ROCPRIM_400000_NS6detail17trampoline_kernelINS0_14default_configENS1_25partition_config_selectorILNS1_17partition_subalgoE8EsNS0_10empty_typeEbEEZZNS1_14partition_implILS5_8ELb0ES3_jN6thrust23THRUST_200600_302600_NS6detail15normal_iteratorINSA_10device_ptrIsEEEEPS6_PKS6_NS0_5tupleIJNSA_16discard_iteratorINSA_11use_defaultEEES6_EEENSJ_IJSG_SG_EEENS0_18inequality_wrapperINSA_8equal_toIsEEEEPmJS6_EEE10hipError_tPvRmT3_T4_T5_T6_T7_T9_mT8_P12ihipStream_tbDpT10_ENKUlT_T0_E_clISt17integral_constantIbLb1EES1C_IbLb0EEEEDaS18_S19_EUlS18_E_NS1_11comp_targetILNS1_3genE2ELNS1_11target_archE906ELNS1_3gpuE6ELNS1_3repE0EEENS1_30default_config_static_selectorELNS0_4arch9wavefront6targetE1EEEvT1_
                                        ; -- End function
	.set _ZN7rocprim17ROCPRIM_400000_NS6detail17trampoline_kernelINS0_14default_configENS1_25partition_config_selectorILNS1_17partition_subalgoE8EsNS0_10empty_typeEbEEZZNS1_14partition_implILS5_8ELb0ES3_jN6thrust23THRUST_200600_302600_NS6detail15normal_iteratorINSA_10device_ptrIsEEEEPS6_PKS6_NS0_5tupleIJNSA_16discard_iteratorINSA_11use_defaultEEES6_EEENSJ_IJSG_SG_EEENS0_18inequality_wrapperINSA_8equal_toIsEEEEPmJS6_EEE10hipError_tPvRmT3_T4_T5_T6_T7_T9_mT8_P12ihipStream_tbDpT10_ENKUlT_T0_E_clISt17integral_constantIbLb1EES1C_IbLb0EEEEDaS18_S19_EUlS18_E_NS1_11comp_targetILNS1_3genE2ELNS1_11target_archE906ELNS1_3gpuE6ELNS1_3repE0EEENS1_30default_config_static_selectorELNS0_4arch9wavefront6targetE1EEEvT1_.num_vgpr, 0
	.set _ZN7rocprim17ROCPRIM_400000_NS6detail17trampoline_kernelINS0_14default_configENS1_25partition_config_selectorILNS1_17partition_subalgoE8EsNS0_10empty_typeEbEEZZNS1_14partition_implILS5_8ELb0ES3_jN6thrust23THRUST_200600_302600_NS6detail15normal_iteratorINSA_10device_ptrIsEEEEPS6_PKS6_NS0_5tupleIJNSA_16discard_iteratorINSA_11use_defaultEEES6_EEENSJ_IJSG_SG_EEENS0_18inequality_wrapperINSA_8equal_toIsEEEEPmJS6_EEE10hipError_tPvRmT3_T4_T5_T6_T7_T9_mT8_P12ihipStream_tbDpT10_ENKUlT_T0_E_clISt17integral_constantIbLb1EES1C_IbLb0EEEEDaS18_S19_EUlS18_E_NS1_11comp_targetILNS1_3genE2ELNS1_11target_archE906ELNS1_3gpuE6ELNS1_3repE0EEENS1_30default_config_static_selectorELNS0_4arch9wavefront6targetE1EEEvT1_.num_agpr, 0
	.set _ZN7rocprim17ROCPRIM_400000_NS6detail17trampoline_kernelINS0_14default_configENS1_25partition_config_selectorILNS1_17partition_subalgoE8EsNS0_10empty_typeEbEEZZNS1_14partition_implILS5_8ELb0ES3_jN6thrust23THRUST_200600_302600_NS6detail15normal_iteratorINSA_10device_ptrIsEEEEPS6_PKS6_NS0_5tupleIJNSA_16discard_iteratorINSA_11use_defaultEEES6_EEENSJ_IJSG_SG_EEENS0_18inequality_wrapperINSA_8equal_toIsEEEEPmJS6_EEE10hipError_tPvRmT3_T4_T5_T6_T7_T9_mT8_P12ihipStream_tbDpT10_ENKUlT_T0_E_clISt17integral_constantIbLb1EES1C_IbLb0EEEEDaS18_S19_EUlS18_E_NS1_11comp_targetILNS1_3genE2ELNS1_11target_archE906ELNS1_3gpuE6ELNS1_3repE0EEENS1_30default_config_static_selectorELNS0_4arch9wavefront6targetE1EEEvT1_.numbered_sgpr, 0
	.set _ZN7rocprim17ROCPRIM_400000_NS6detail17trampoline_kernelINS0_14default_configENS1_25partition_config_selectorILNS1_17partition_subalgoE8EsNS0_10empty_typeEbEEZZNS1_14partition_implILS5_8ELb0ES3_jN6thrust23THRUST_200600_302600_NS6detail15normal_iteratorINSA_10device_ptrIsEEEEPS6_PKS6_NS0_5tupleIJNSA_16discard_iteratorINSA_11use_defaultEEES6_EEENSJ_IJSG_SG_EEENS0_18inequality_wrapperINSA_8equal_toIsEEEEPmJS6_EEE10hipError_tPvRmT3_T4_T5_T6_T7_T9_mT8_P12ihipStream_tbDpT10_ENKUlT_T0_E_clISt17integral_constantIbLb1EES1C_IbLb0EEEEDaS18_S19_EUlS18_E_NS1_11comp_targetILNS1_3genE2ELNS1_11target_archE906ELNS1_3gpuE6ELNS1_3repE0EEENS1_30default_config_static_selectorELNS0_4arch9wavefront6targetE1EEEvT1_.num_named_barrier, 0
	.set _ZN7rocprim17ROCPRIM_400000_NS6detail17trampoline_kernelINS0_14default_configENS1_25partition_config_selectorILNS1_17partition_subalgoE8EsNS0_10empty_typeEbEEZZNS1_14partition_implILS5_8ELb0ES3_jN6thrust23THRUST_200600_302600_NS6detail15normal_iteratorINSA_10device_ptrIsEEEEPS6_PKS6_NS0_5tupleIJNSA_16discard_iteratorINSA_11use_defaultEEES6_EEENSJ_IJSG_SG_EEENS0_18inequality_wrapperINSA_8equal_toIsEEEEPmJS6_EEE10hipError_tPvRmT3_T4_T5_T6_T7_T9_mT8_P12ihipStream_tbDpT10_ENKUlT_T0_E_clISt17integral_constantIbLb1EES1C_IbLb0EEEEDaS18_S19_EUlS18_E_NS1_11comp_targetILNS1_3genE2ELNS1_11target_archE906ELNS1_3gpuE6ELNS1_3repE0EEENS1_30default_config_static_selectorELNS0_4arch9wavefront6targetE1EEEvT1_.private_seg_size, 0
	.set _ZN7rocprim17ROCPRIM_400000_NS6detail17trampoline_kernelINS0_14default_configENS1_25partition_config_selectorILNS1_17partition_subalgoE8EsNS0_10empty_typeEbEEZZNS1_14partition_implILS5_8ELb0ES3_jN6thrust23THRUST_200600_302600_NS6detail15normal_iteratorINSA_10device_ptrIsEEEEPS6_PKS6_NS0_5tupleIJNSA_16discard_iteratorINSA_11use_defaultEEES6_EEENSJ_IJSG_SG_EEENS0_18inequality_wrapperINSA_8equal_toIsEEEEPmJS6_EEE10hipError_tPvRmT3_T4_T5_T6_T7_T9_mT8_P12ihipStream_tbDpT10_ENKUlT_T0_E_clISt17integral_constantIbLb1EES1C_IbLb0EEEEDaS18_S19_EUlS18_E_NS1_11comp_targetILNS1_3genE2ELNS1_11target_archE906ELNS1_3gpuE6ELNS1_3repE0EEENS1_30default_config_static_selectorELNS0_4arch9wavefront6targetE1EEEvT1_.uses_vcc, 0
	.set _ZN7rocprim17ROCPRIM_400000_NS6detail17trampoline_kernelINS0_14default_configENS1_25partition_config_selectorILNS1_17partition_subalgoE8EsNS0_10empty_typeEbEEZZNS1_14partition_implILS5_8ELb0ES3_jN6thrust23THRUST_200600_302600_NS6detail15normal_iteratorINSA_10device_ptrIsEEEEPS6_PKS6_NS0_5tupleIJNSA_16discard_iteratorINSA_11use_defaultEEES6_EEENSJ_IJSG_SG_EEENS0_18inequality_wrapperINSA_8equal_toIsEEEEPmJS6_EEE10hipError_tPvRmT3_T4_T5_T6_T7_T9_mT8_P12ihipStream_tbDpT10_ENKUlT_T0_E_clISt17integral_constantIbLb1EES1C_IbLb0EEEEDaS18_S19_EUlS18_E_NS1_11comp_targetILNS1_3genE2ELNS1_11target_archE906ELNS1_3gpuE6ELNS1_3repE0EEENS1_30default_config_static_selectorELNS0_4arch9wavefront6targetE1EEEvT1_.uses_flat_scratch, 0
	.set _ZN7rocprim17ROCPRIM_400000_NS6detail17trampoline_kernelINS0_14default_configENS1_25partition_config_selectorILNS1_17partition_subalgoE8EsNS0_10empty_typeEbEEZZNS1_14partition_implILS5_8ELb0ES3_jN6thrust23THRUST_200600_302600_NS6detail15normal_iteratorINSA_10device_ptrIsEEEEPS6_PKS6_NS0_5tupleIJNSA_16discard_iteratorINSA_11use_defaultEEES6_EEENSJ_IJSG_SG_EEENS0_18inequality_wrapperINSA_8equal_toIsEEEEPmJS6_EEE10hipError_tPvRmT3_T4_T5_T6_T7_T9_mT8_P12ihipStream_tbDpT10_ENKUlT_T0_E_clISt17integral_constantIbLb1EES1C_IbLb0EEEEDaS18_S19_EUlS18_E_NS1_11comp_targetILNS1_3genE2ELNS1_11target_archE906ELNS1_3gpuE6ELNS1_3repE0EEENS1_30default_config_static_selectorELNS0_4arch9wavefront6targetE1EEEvT1_.has_dyn_sized_stack, 0
	.set _ZN7rocprim17ROCPRIM_400000_NS6detail17trampoline_kernelINS0_14default_configENS1_25partition_config_selectorILNS1_17partition_subalgoE8EsNS0_10empty_typeEbEEZZNS1_14partition_implILS5_8ELb0ES3_jN6thrust23THRUST_200600_302600_NS6detail15normal_iteratorINSA_10device_ptrIsEEEEPS6_PKS6_NS0_5tupleIJNSA_16discard_iteratorINSA_11use_defaultEEES6_EEENSJ_IJSG_SG_EEENS0_18inequality_wrapperINSA_8equal_toIsEEEEPmJS6_EEE10hipError_tPvRmT3_T4_T5_T6_T7_T9_mT8_P12ihipStream_tbDpT10_ENKUlT_T0_E_clISt17integral_constantIbLb1EES1C_IbLb0EEEEDaS18_S19_EUlS18_E_NS1_11comp_targetILNS1_3genE2ELNS1_11target_archE906ELNS1_3gpuE6ELNS1_3repE0EEENS1_30default_config_static_selectorELNS0_4arch9wavefront6targetE1EEEvT1_.has_recursion, 0
	.set _ZN7rocprim17ROCPRIM_400000_NS6detail17trampoline_kernelINS0_14default_configENS1_25partition_config_selectorILNS1_17partition_subalgoE8EsNS0_10empty_typeEbEEZZNS1_14partition_implILS5_8ELb0ES3_jN6thrust23THRUST_200600_302600_NS6detail15normal_iteratorINSA_10device_ptrIsEEEEPS6_PKS6_NS0_5tupleIJNSA_16discard_iteratorINSA_11use_defaultEEES6_EEENSJ_IJSG_SG_EEENS0_18inequality_wrapperINSA_8equal_toIsEEEEPmJS6_EEE10hipError_tPvRmT3_T4_T5_T6_T7_T9_mT8_P12ihipStream_tbDpT10_ENKUlT_T0_E_clISt17integral_constantIbLb1EES1C_IbLb0EEEEDaS18_S19_EUlS18_E_NS1_11comp_targetILNS1_3genE2ELNS1_11target_archE906ELNS1_3gpuE6ELNS1_3repE0EEENS1_30default_config_static_selectorELNS0_4arch9wavefront6targetE1EEEvT1_.has_indirect_call, 0
	.section	.AMDGPU.csdata,"",@progbits
; Kernel info:
; codeLenInByte = 4
; TotalNumSgprs: 4
; NumVgprs: 0
; ScratchSize: 0
; MemoryBound: 0
; FloatMode: 240
; IeeeMode: 1
; LDSByteSize: 0 bytes/workgroup (compile time only)
; SGPRBlocks: 0
; VGPRBlocks: 0
; NumSGPRsForWavesPerEU: 4
; NumVGPRsForWavesPerEU: 1
; Occupancy: 10
; WaveLimiterHint : 0
; COMPUTE_PGM_RSRC2:SCRATCH_EN: 0
; COMPUTE_PGM_RSRC2:USER_SGPR: 6
; COMPUTE_PGM_RSRC2:TRAP_HANDLER: 0
; COMPUTE_PGM_RSRC2:TGID_X_EN: 1
; COMPUTE_PGM_RSRC2:TGID_Y_EN: 0
; COMPUTE_PGM_RSRC2:TGID_Z_EN: 0
; COMPUTE_PGM_RSRC2:TIDIG_COMP_CNT: 0
	.section	.text._ZN7rocprim17ROCPRIM_400000_NS6detail17trampoline_kernelINS0_14default_configENS1_25partition_config_selectorILNS1_17partition_subalgoE8EsNS0_10empty_typeEbEEZZNS1_14partition_implILS5_8ELb0ES3_jN6thrust23THRUST_200600_302600_NS6detail15normal_iteratorINSA_10device_ptrIsEEEEPS6_PKS6_NS0_5tupleIJNSA_16discard_iteratorINSA_11use_defaultEEES6_EEENSJ_IJSG_SG_EEENS0_18inequality_wrapperINSA_8equal_toIsEEEEPmJS6_EEE10hipError_tPvRmT3_T4_T5_T6_T7_T9_mT8_P12ihipStream_tbDpT10_ENKUlT_T0_E_clISt17integral_constantIbLb1EES1C_IbLb0EEEEDaS18_S19_EUlS18_E_NS1_11comp_targetILNS1_3genE10ELNS1_11target_archE1200ELNS1_3gpuE4ELNS1_3repE0EEENS1_30default_config_static_selectorELNS0_4arch9wavefront6targetE1EEEvT1_,"axG",@progbits,_ZN7rocprim17ROCPRIM_400000_NS6detail17trampoline_kernelINS0_14default_configENS1_25partition_config_selectorILNS1_17partition_subalgoE8EsNS0_10empty_typeEbEEZZNS1_14partition_implILS5_8ELb0ES3_jN6thrust23THRUST_200600_302600_NS6detail15normal_iteratorINSA_10device_ptrIsEEEEPS6_PKS6_NS0_5tupleIJNSA_16discard_iteratorINSA_11use_defaultEEES6_EEENSJ_IJSG_SG_EEENS0_18inequality_wrapperINSA_8equal_toIsEEEEPmJS6_EEE10hipError_tPvRmT3_T4_T5_T6_T7_T9_mT8_P12ihipStream_tbDpT10_ENKUlT_T0_E_clISt17integral_constantIbLb1EES1C_IbLb0EEEEDaS18_S19_EUlS18_E_NS1_11comp_targetILNS1_3genE10ELNS1_11target_archE1200ELNS1_3gpuE4ELNS1_3repE0EEENS1_30default_config_static_selectorELNS0_4arch9wavefront6targetE1EEEvT1_,comdat
	.protected	_ZN7rocprim17ROCPRIM_400000_NS6detail17trampoline_kernelINS0_14default_configENS1_25partition_config_selectorILNS1_17partition_subalgoE8EsNS0_10empty_typeEbEEZZNS1_14partition_implILS5_8ELb0ES3_jN6thrust23THRUST_200600_302600_NS6detail15normal_iteratorINSA_10device_ptrIsEEEEPS6_PKS6_NS0_5tupleIJNSA_16discard_iteratorINSA_11use_defaultEEES6_EEENSJ_IJSG_SG_EEENS0_18inequality_wrapperINSA_8equal_toIsEEEEPmJS6_EEE10hipError_tPvRmT3_T4_T5_T6_T7_T9_mT8_P12ihipStream_tbDpT10_ENKUlT_T0_E_clISt17integral_constantIbLb1EES1C_IbLb0EEEEDaS18_S19_EUlS18_E_NS1_11comp_targetILNS1_3genE10ELNS1_11target_archE1200ELNS1_3gpuE4ELNS1_3repE0EEENS1_30default_config_static_selectorELNS0_4arch9wavefront6targetE1EEEvT1_ ; -- Begin function _ZN7rocprim17ROCPRIM_400000_NS6detail17trampoline_kernelINS0_14default_configENS1_25partition_config_selectorILNS1_17partition_subalgoE8EsNS0_10empty_typeEbEEZZNS1_14partition_implILS5_8ELb0ES3_jN6thrust23THRUST_200600_302600_NS6detail15normal_iteratorINSA_10device_ptrIsEEEEPS6_PKS6_NS0_5tupleIJNSA_16discard_iteratorINSA_11use_defaultEEES6_EEENSJ_IJSG_SG_EEENS0_18inequality_wrapperINSA_8equal_toIsEEEEPmJS6_EEE10hipError_tPvRmT3_T4_T5_T6_T7_T9_mT8_P12ihipStream_tbDpT10_ENKUlT_T0_E_clISt17integral_constantIbLb1EES1C_IbLb0EEEEDaS18_S19_EUlS18_E_NS1_11comp_targetILNS1_3genE10ELNS1_11target_archE1200ELNS1_3gpuE4ELNS1_3repE0EEENS1_30default_config_static_selectorELNS0_4arch9wavefront6targetE1EEEvT1_
	.globl	_ZN7rocprim17ROCPRIM_400000_NS6detail17trampoline_kernelINS0_14default_configENS1_25partition_config_selectorILNS1_17partition_subalgoE8EsNS0_10empty_typeEbEEZZNS1_14partition_implILS5_8ELb0ES3_jN6thrust23THRUST_200600_302600_NS6detail15normal_iteratorINSA_10device_ptrIsEEEEPS6_PKS6_NS0_5tupleIJNSA_16discard_iteratorINSA_11use_defaultEEES6_EEENSJ_IJSG_SG_EEENS0_18inequality_wrapperINSA_8equal_toIsEEEEPmJS6_EEE10hipError_tPvRmT3_T4_T5_T6_T7_T9_mT8_P12ihipStream_tbDpT10_ENKUlT_T0_E_clISt17integral_constantIbLb1EES1C_IbLb0EEEEDaS18_S19_EUlS18_E_NS1_11comp_targetILNS1_3genE10ELNS1_11target_archE1200ELNS1_3gpuE4ELNS1_3repE0EEENS1_30default_config_static_selectorELNS0_4arch9wavefront6targetE1EEEvT1_
	.p2align	8
	.type	_ZN7rocprim17ROCPRIM_400000_NS6detail17trampoline_kernelINS0_14default_configENS1_25partition_config_selectorILNS1_17partition_subalgoE8EsNS0_10empty_typeEbEEZZNS1_14partition_implILS5_8ELb0ES3_jN6thrust23THRUST_200600_302600_NS6detail15normal_iteratorINSA_10device_ptrIsEEEEPS6_PKS6_NS0_5tupleIJNSA_16discard_iteratorINSA_11use_defaultEEES6_EEENSJ_IJSG_SG_EEENS0_18inequality_wrapperINSA_8equal_toIsEEEEPmJS6_EEE10hipError_tPvRmT3_T4_T5_T6_T7_T9_mT8_P12ihipStream_tbDpT10_ENKUlT_T0_E_clISt17integral_constantIbLb1EES1C_IbLb0EEEEDaS18_S19_EUlS18_E_NS1_11comp_targetILNS1_3genE10ELNS1_11target_archE1200ELNS1_3gpuE4ELNS1_3repE0EEENS1_30default_config_static_selectorELNS0_4arch9wavefront6targetE1EEEvT1_,@function
_ZN7rocprim17ROCPRIM_400000_NS6detail17trampoline_kernelINS0_14default_configENS1_25partition_config_selectorILNS1_17partition_subalgoE8EsNS0_10empty_typeEbEEZZNS1_14partition_implILS5_8ELb0ES3_jN6thrust23THRUST_200600_302600_NS6detail15normal_iteratorINSA_10device_ptrIsEEEEPS6_PKS6_NS0_5tupleIJNSA_16discard_iteratorINSA_11use_defaultEEES6_EEENSJ_IJSG_SG_EEENS0_18inequality_wrapperINSA_8equal_toIsEEEEPmJS6_EEE10hipError_tPvRmT3_T4_T5_T6_T7_T9_mT8_P12ihipStream_tbDpT10_ENKUlT_T0_E_clISt17integral_constantIbLb1EES1C_IbLb0EEEEDaS18_S19_EUlS18_E_NS1_11comp_targetILNS1_3genE10ELNS1_11target_archE1200ELNS1_3gpuE4ELNS1_3repE0EEENS1_30default_config_static_selectorELNS0_4arch9wavefront6targetE1EEEvT1_: ; @_ZN7rocprim17ROCPRIM_400000_NS6detail17trampoline_kernelINS0_14default_configENS1_25partition_config_selectorILNS1_17partition_subalgoE8EsNS0_10empty_typeEbEEZZNS1_14partition_implILS5_8ELb0ES3_jN6thrust23THRUST_200600_302600_NS6detail15normal_iteratorINSA_10device_ptrIsEEEEPS6_PKS6_NS0_5tupleIJNSA_16discard_iteratorINSA_11use_defaultEEES6_EEENSJ_IJSG_SG_EEENS0_18inequality_wrapperINSA_8equal_toIsEEEEPmJS6_EEE10hipError_tPvRmT3_T4_T5_T6_T7_T9_mT8_P12ihipStream_tbDpT10_ENKUlT_T0_E_clISt17integral_constantIbLb1EES1C_IbLb0EEEEDaS18_S19_EUlS18_E_NS1_11comp_targetILNS1_3genE10ELNS1_11target_archE1200ELNS1_3gpuE4ELNS1_3repE0EEENS1_30default_config_static_selectorELNS0_4arch9wavefront6targetE1EEEvT1_
; %bb.0:
	.section	.rodata,"a",@progbits
	.p2align	6, 0x0
	.amdhsa_kernel _ZN7rocprim17ROCPRIM_400000_NS6detail17trampoline_kernelINS0_14default_configENS1_25partition_config_selectorILNS1_17partition_subalgoE8EsNS0_10empty_typeEbEEZZNS1_14partition_implILS5_8ELb0ES3_jN6thrust23THRUST_200600_302600_NS6detail15normal_iteratorINSA_10device_ptrIsEEEEPS6_PKS6_NS0_5tupleIJNSA_16discard_iteratorINSA_11use_defaultEEES6_EEENSJ_IJSG_SG_EEENS0_18inequality_wrapperINSA_8equal_toIsEEEEPmJS6_EEE10hipError_tPvRmT3_T4_T5_T6_T7_T9_mT8_P12ihipStream_tbDpT10_ENKUlT_T0_E_clISt17integral_constantIbLb1EES1C_IbLb0EEEEDaS18_S19_EUlS18_E_NS1_11comp_targetILNS1_3genE10ELNS1_11target_archE1200ELNS1_3gpuE4ELNS1_3repE0EEENS1_30default_config_static_selectorELNS0_4arch9wavefront6targetE1EEEvT1_
		.amdhsa_group_segment_fixed_size 0
		.amdhsa_private_segment_fixed_size 0
		.amdhsa_kernarg_size 120
		.amdhsa_user_sgpr_count 6
		.amdhsa_user_sgpr_private_segment_buffer 1
		.amdhsa_user_sgpr_dispatch_ptr 0
		.amdhsa_user_sgpr_queue_ptr 0
		.amdhsa_user_sgpr_kernarg_segment_ptr 1
		.amdhsa_user_sgpr_dispatch_id 0
		.amdhsa_user_sgpr_flat_scratch_init 0
		.amdhsa_user_sgpr_private_segment_size 0
		.amdhsa_uses_dynamic_stack 0
		.amdhsa_system_sgpr_private_segment_wavefront_offset 0
		.amdhsa_system_sgpr_workgroup_id_x 1
		.amdhsa_system_sgpr_workgroup_id_y 0
		.amdhsa_system_sgpr_workgroup_id_z 0
		.amdhsa_system_sgpr_workgroup_info 0
		.amdhsa_system_vgpr_workitem_id 0
		.amdhsa_next_free_vgpr 1
		.amdhsa_next_free_sgpr 0
		.amdhsa_reserve_vcc 0
		.amdhsa_reserve_flat_scratch 0
		.amdhsa_float_round_mode_32 0
		.amdhsa_float_round_mode_16_64 0
		.amdhsa_float_denorm_mode_32 3
		.amdhsa_float_denorm_mode_16_64 3
		.amdhsa_dx10_clamp 1
		.amdhsa_ieee_mode 1
		.amdhsa_fp16_overflow 0
		.amdhsa_exception_fp_ieee_invalid_op 0
		.amdhsa_exception_fp_denorm_src 0
		.amdhsa_exception_fp_ieee_div_zero 0
		.amdhsa_exception_fp_ieee_overflow 0
		.amdhsa_exception_fp_ieee_underflow 0
		.amdhsa_exception_fp_ieee_inexact 0
		.amdhsa_exception_int_div_zero 0
	.end_amdhsa_kernel
	.section	.text._ZN7rocprim17ROCPRIM_400000_NS6detail17trampoline_kernelINS0_14default_configENS1_25partition_config_selectorILNS1_17partition_subalgoE8EsNS0_10empty_typeEbEEZZNS1_14partition_implILS5_8ELb0ES3_jN6thrust23THRUST_200600_302600_NS6detail15normal_iteratorINSA_10device_ptrIsEEEEPS6_PKS6_NS0_5tupleIJNSA_16discard_iteratorINSA_11use_defaultEEES6_EEENSJ_IJSG_SG_EEENS0_18inequality_wrapperINSA_8equal_toIsEEEEPmJS6_EEE10hipError_tPvRmT3_T4_T5_T6_T7_T9_mT8_P12ihipStream_tbDpT10_ENKUlT_T0_E_clISt17integral_constantIbLb1EES1C_IbLb0EEEEDaS18_S19_EUlS18_E_NS1_11comp_targetILNS1_3genE10ELNS1_11target_archE1200ELNS1_3gpuE4ELNS1_3repE0EEENS1_30default_config_static_selectorELNS0_4arch9wavefront6targetE1EEEvT1_,"axG",@progbits,_ZN7rocprim17ROCPRIM_400000_NS6detail17trampoline_kernelINS0_14default_configENS1_25partition_config_selectorILNS1_17partition_subalgoE8EsNS0_10empty_typeEbEEZZNS1_14partition_implILS5_8ELb0ES3_jN6thrust23THRUST_200600_302600_NS6detail15normal_iteratorINSA_10device_ptrIsEEEEPS6_PKS6_NS0_5tupleIJNSA_16discard_iteratorINSA_11use_defaultEEES6_EEENSJ_IJSG_SG_EEENS0_18inequality_wrapperINSA_8equal_toIsEEEEPmJS6_EEE10hipError_tPvRmT3_T4_T5_T6_T7_T9_mT8_P12ihipStream_tbDpT10_ENKUlT_T0_E_clISt17integral_constantIbLb1EES1C_IbLb0EEEEDaS18_S19_EUlS18_E_NS1_11comp_targetILNS1_3genE10ELNS1_11target_archE1200ELNS1_3gpuE4ELNS1_3repE0EEENS1_30default_config_static_selectorELNS0_4arch9wavefront6targetE1EEEvT1_,comdat
.Lfunc_end714:
	.size	_ZN7rocprim17ROCPRIM_400000_NS6detail17trampoline_kernelINS0_14default_configENS1_25partition_config_selectorILNS1_17partition_subalgoE8EsNS0_10empty_typeEbEEZZNS1_14partition_implILS5_8ELb0ES3_jN6thrust23THRUST_200600_302600_NS6detail15normal_iteratorINSA_10device_ptrIsEEEEPS6_PKS6_NS0_5tupleIJNSA_16discard_iteratorINSA_11use_defaultEEES6_EEENSJ_IJSG_SG_EEENS0_18inequality_wrapperINSA_8equal_toIsEEEEPmJS6_EEE10hipError_tPvRmT3_T4_T5_T6_T7_T9_mT8_P12ihipStream_tbDpT10_ENKUlT_T0_E_clISt17integral_constantIbLb1EES1C_IbLb0EEEEDaS18_S19_EUlS18_E_NS1_11comp_targetILNS1_3genE10ELNS1_11target_archE1200ELNS1_3gpuE4ELNS1_3repE0EEENS1_30default_config_static_selectorELNS0_4arch9wavefront6targetE1EEEvT1_, .Lfunc_end714-_ZN7rocprim17ROCPRIM_400000_NS6detail17trampoline_kernelINS0_14default_configENS1_25partition_config_selectorILNS1_17partition_subalgoE8EsNS0_10empty_typeEbEEZZNS1_14partition_implILS5_8ELb0ES3_jN6thrust23THRUST_200600_302600_NS6detail15normal_iteratorINSA_10device_ptrIsEEEEPS6_PKS6_NS0_5tupleIJNSA_16discard_iteratorINSA_11use_defaultEEES6_EEENSJ_IJSG_SG_EEENS0_18inequality_wrapperINSA_8equal_toIsEEEEPmJS6_EEE10hipError_tPvRmT3_T4_T5_T6_T7_T9_mT8_P12ihipStream_tbDpT10_ENKUlT_T0_E_clISt17integral_constantIbLb1EES1C_IbLb0EEEEDaS18_S19_EUlS18_E_NS1_11comp_targetILNS1_3genE10ELNS1_11target_archE1200ELNS1_3gpuE4ELNS1_3repE0EEENS1_30default_config_static_selectorELNS0_4arch9wavefront6targetE1EEEvT1_
                                        ; -- End function
	.set _ZN7rocprim17ROCPRIM_400000_NS6detail17trampoline_kernelINS0_14default_configENS1_25partition_config_selectorILNS1_17partition_subalgoE8EsNS0_10empty_typeEbEEZZNS1_14partition_implILS5_8ELb0ES3_jN6thrust23THRUST_200600_302600_NS6detail15normal_iteratorINSA_10device_ptrIsEEEEPS6_PKS6_NS0_5tupleIJNSA_16discard_iteratorINSA_11use_defaultEEES6_EEENSJ_IJSG_SG_EEENS0_18inequality_wrapperINSA_8equal_toIsEEEEPmJS6_EEE10hipError_tPvRmT3_T4_T5_T6_T7_T9_mT8_P12ihipStream_tbDpT10_ENKUlT_T0_E_clISt17integral_constantIbLb1EES1C_IbLb0EEEEDaS18_S19_EUlS18_E_NS1_11comp_targetILNS1_3genE10ELNS1_11target_archE1200ELNS1_3gpuE4ELNS1_3repE0EEENS1_30default_config_static_selectorELNS0_4arch9wavefront6targetE1EEEvT1_.num_vgpr, 0
	.set _ZN7rocprim17ROCPRIM_400000_NS6detail17trampoline_kernelINS0_14default_configENS1_25partition_config_selectorILNS1_17partition_subalgoE8EsNS0_10empty_typeEbEEZZNS1_14partition_implILS5_8ELb0ES3_jN6thrust23THRUST_200600_302600_NS6detail15normal_iteratorINSA_10device_ptrIsEEEEPS6_PKS6_NS0_5tupleIJNSA_16discard_iteratorINSA_11use_defaultEEES6_EEENSJ_IJSG_SG_EEENS0_18inequality_wrapperINSA_8equal_toIsEEEEPmJS6_EEE10hipError_tPvRmT3_T4_T5_T6_T7_T9_mT8_P12ihipStream_tbDpT10_ENKUlT_T0_E_clISt17integral_constantIbLb1EES1C_IbLb0EEEEDaS18_S19_EUlS18_E_NS1_11comp_targetILNS1_3genE10ELNS1_11target_archE1200ELNS1_3gpuE4ELNS1_3repE0EEENS1_30default_config_static_selectorELNS0_4arch9wavefront6targetE1EEEvT1_.num_agpr, 0
	.set _ZN7rocprim17ROCPRIM_400000_NS6detail17trampoline_kernelINS0_14default_configENS1_25partition_config_selectorILNS1_17partition_subalgoE8EsNS0_10empty_typeEbEEZZNS1_14partition_implILS5_8ELb0ES3_jN6thrust23THRUST_200600_302600_NS6detail15normal_iteratorINSA_10device_ptrIsEEEEPS6_PKS6_NS0_5tupleIJNSA_16discard_iteratorINSA_11use_defaultEEES6_EEENSJ_IJSG_SG_EEENS0_18inequality_wrapperINSA_8equal_toIsEEEEPmJS6_EEE10hipError_tPvRmT3_T4_T5_T6_T7_T9_mT8_P12ihipStream_tbDpT10_ENKUlT_T0_E_clISt17integral_constantIbLb1EES1C_IbLb0EEEEDaS18_S19_EUlS18_E_NS1_11comp_targetILNS1_3genE10ELNS1_11target_archE1200ELNS1_3gpuE4ELNS1_3repE0EEENS1_30default_config_static_selectorELNS0_4arch9wavefront6targetE1EEEvT1_.numbered_sgpr, 0
	.set _ZN7rocprim17ROCPRIM_400000_NS6detail17trampoline_kernelINS0_14default_configENS1_25partition_config_selectorILNS1_17partition_subalgoE8EsNS0_10empty_typeEbEEZZNS1_14partition_implILS5_8ELb0ES3_jN6thrust23THRUST_200600_302600_NS6detail15normal_iteratorINSA_10device_ptrIsEEEEPS6_PKS6_NS0_5tupleIJNSA_16discard_iteratorINSA_11use_defaultEEES6_EEENSJ_IJSG_SG_EEENS0_18inequality_wrapperINSA_8equal_toIsEEEEPmJS6_EEE10hipError_tPvRmT3_T4_T5_T6_T7_T9_mT8_P12ihipStream_tbDpT10_ENKUlT_T0_E_clISt17integral_constantIbLb1EES1C_IbLb0EEEEDaS18_S19_EUlS18_E_NS1_11comp_targetILNS1_3genE10ELNS1_11target_archE1200ELNS1_3gpuE4ELNS1_3repE0EEENS1_30default_config_static_selectorELNS0_4arch9wavefront6targetE1EEEvT1_.num_named_barrier, 0
	.set _ZN7rocprim17ROCPRIM_400000_NS6detail17trampoline_kernelINS0_14default_configENS1_25partition_config_selectorILNS1_17partition_subalgoE8EsNS0_10empty_typeEbEEZZNS1_14partition_implILS5_8ELb0ES3_jN6thrust23THRUST_200600_302600_NS6detail15normal_iteratorINSA_10device_ptrIsEEEEPS6_PKS6_NS0_5tupleIJNSA_16discard_iteratorINSA_11use_defaultEEES6_EEENSJ_IJSG_SG_EEENS0_18inequality_wrapperINSA_8equal_toIsEEEEPmJS6_EEE10hipError_tPvRmT3_T4_T5_T6_T7_T9_mT8_P12ihipStream_tbDpT10_ENKUlT_T0_E_clISt17integral_constantIbLb1EES1C_IbLb0EEEEDaS18_S19_EUlS18_E_NS1_11comp_targetILNS1_3genE10ELNS1_11target_archE1200ELNS1_3gpuE4ELNS1_3repE0EEENS1_30default_config_static_selectorELNS0_4arch9wavefront6targetE1EEEvT1_.private_seg_size, 0
	.set _ZN7rocprim17ROCPRIM_400000_NS6detail17trampoline_kernelINS0_14default_configENS1_25partition_config_selectorILNS1_17partition_subalgoE8EsNS0_10empty_typeEbEEZZNS1_14partition_implILS5_8ELb0ES3_jN6thrust23THRUST_200600_302600_NS6detail15normal_iteratorINSA_10device_ptrIsEEEEPS6_PKS6_NS0_5tupleIJNSA_16discard_iteratorINSA_11use_defaultEEES6_EEENSJ_IJSG_SG_EEENS0_18inequality_wrapperINSA_8equal_toIsEEEEPmJS6_EEE10hipError_tPvRmT3_T4_T5_T6_T7_T9_mT8_P12ihipStream_tbDpT10_ENKUlT_T0_E_clISt17integral_constantIbLb1EES1C_IbLb0EEEEDaS18_S19_EUlS18_E_NS1_11comp_targetILNS1_3genE10ELNS1_11target_archE1200ELNS1_3gpuE4ELNS1_3repE0EEENS1_30default_config_static_selectorELNS0_4arch9wavefront6targetE1EEEvT1_.uses_vcc, 0
	.set _ZN7rocprim17ROCPRIM_400000_NS6detail17trampoline_kernelINS0_14default_configENS1_25partition_config_selectorILNS1_17partition_subalgoE8EsNS0_10empty_typeEbEEZZNS1_14partition_implILS5_8ELb0ES3_jN6thrust23THRUST_200600_302600_NS6detail15normal_iteratorINSA_10device_ptrIsEEEEPS6_PKS6_NS0_5tupleIJNSA_16discard_iteratorINSA_11use_defaultEEES6_EEENSJ_IJSG_SG_EEENS0_18inequality_wrapperINSA_8equal_toIsEEEEPmJS6_EEE10hipError_tPvRmT3_T4_T5_T6_T7_T9_mT8_P12ihipStream_tbDpT10_ENKUlT_T0_E_clISt17integral_constantIbLb1EES1C_IbLb0EEEEDaS18_S19_EUlS18_E_NS1_11comp_targetILNS1_3genE10ELNS1_11target_archE1200ELNS1_3gpuE4ELNS1_3repE0EEENS1_30default_config_static_selectorELNS0_4arch9wavefront6targetE1EEEvT1_.uses_flat_scratch, 0
	.set _ZN7rocprim17ROCPRIM_400000_NS6detail17trampoline_kernelINS0_14default_configENS1_25partition_config_selectorILNS1_17partition_subalgoE8EsNS0_10empty_typeEbEEZZNS1_14partition_implILS5_8ELb0ES3_jN6thrust23THRUST_200600_302600_NS6detail15normal_iteratorINSA_10device_ptrIsEEEEPS6_PKS6_NS0_5tupleIJNSA_16discard_iteratorINSA_11use_defaultEEES6_EEENSJ_IJSG_SG_EEENS0_18inequality_wrapperINSA_8equal_toIsEEEEPmJS6_EEE10hipError_tPvRmT3_T4_T5_T6_T7_T9_mT8_P12ihipStream_tbDpT10_ENKUlT_T0_E_clISt17integral_constantIbLb1EES1C_IbLb0EEEEDaS18_S19_EUlS18_E_NS1_11comp_targetILNS1_3genE10ELNS1_11target_archE1200ELNS1_3gpuE4ELNS1_3repE0EEENS1_30default_config_static_selectorELNS0_4arch9wavefront6targetE1EEEvT1_.has_dyn_sized_stack, 0
	.set _ZN7rocprim17ROCPRIM_400000_NS6detail17trampoline_kernelINS0_14default_configENS1_25partition_config_selectorILNS1_17partition_subalgoE8EsNS0_10empty_typeEbEEZZNS1_14partition_implILS5_8ELb0ES3_jN6thrust23THRUST_200600_302600_NS6detail15normal_iteratorINSA_10device_ptrIsEEEEPS6_PKS6_NS0_5tupleIJNSA_16discard_iteratorINSA_11use_defaultEEES6_EEENSJ_IJSG_SG_EEENS0_18inequality_wrapperINSA_8equal_toIsEEEEPmJS6_EEE10hipError_tPvRmT3_T4_T5_T6_T7_T9_mT8_P12ihipStream_tbDpT10_ENKUlT_T0_E_clISt17integral_constantIbLb1EES1C_IbLb0EEEEDaS18_S19_EUlS18_E_NS1_11comp_targetILNS1_3genE10ELNS1_11target_archE1200ELNS1_3gpuE4ELNS1_3repE0EEENS1_30default_config_static_selectorELNS0_4arch9wavefront6targetE1EEEvT1_.has_recursion, 0
	.set _ZN7rocprim17ROCPRIM_400000_NS6detail17trampoline_kernelINS0_14default_configENS1_25partition_config_selectorILNS1_17partition_subalgoE8EsNS0_10empty_typeEbEEZZNS1_14partition_implILS5_8ELb0ES3_jN6thrust23THRUST_200600_302600_NS6detail15normal_iteratorINSA_10device_ptrIsEEEEPS6_PKS6_NS0_5tupleIJNSA_16discard_iteratorINSA_11use_defaultEEES6_EEENSJ_IJSG_SG_EEENS0_18inequality_wrapperINSA_8equal_toIsEEEEPmJS6_EEE10hipError_tPvRmT3_T4_T5_T6_T7_T9_mT8_P12ihipStream_tbDpT10_ENKUlT_T0_E_clISt17integral_constantIbLb1EES1C_IbLb0EEEEDaS18_S19_EUlS18_E_NS1_11comp_targetILNS1_3genE10ELNS1_11target_archE1200ELNS1_3gpuE4ELNS1_3repE0EEENS1_30default_config_static_selectorELNS0_4arch9wavefront6targetE1EEEvT1_.has_indirect_call, 0
	.section	.AMDGPU.csdata,"",@progbits
; Kernel info:
; codeLenInByte = 0
; TotalNumSgprs: 4
; NumVgprs: 0
; ScratchSize: 0
; MemoryBound: 0
; FloatMode: 240
; IeeeMode: 1
; LDSByteSize: 0 bytes/workgroup (compile time only)
; SGPRBlocks: 0
; VGPRBlocks: 0
; NumSGPRsForWavesPerEU: 4
; NumVGPRsForWavesPerEU: 1
; Occupancy: 10
; WaveLimiterHint : 0
; COMPUTE_PGM_RSRC2:SCRATCH_EN: 0
; COMPUTE_PGM_RSRC2:USER_SGPR: 6
; COMPUTE_PGM_RSRC2:TRAP_HANDLER: 0
; COMPUTE_PGM_RSRC2:TGID_X_EN: 1
; COMPUTE_PGM_RSRC2:TGID_Y_EN: 0
; COMPUTE_PGM_RSRC2:TGID_Z_EN: 0
; COMPUTE_PGM_RSRC2:TIDIG_COMP_CNT: 0
	.section	.text._ZN7rocprim17ROCPRIM_400000_NS6detail17trampoline_kernelINS0_14default_configENS1_25partition_config_selectorILNS1_17partition_subalgoE8EsNS0_10empty_typeEbEEZZNS1_14partition_implILS5_8ELb0ES3_jN6thrust23THRUST_200600_302600_NS6detail15normal_iteratorINSA_10device_ptrIsEEEEPS6_PKS6_NS0_5tupleIJNSA_16discard_iteratorINSA_11use_defaultEEES6_EEENSJ_IJSG_SG_EEENS0_18inequality_wrapperINSA_8equal_toIsEEEEPmJS6_EEE10hipError_tPvRmT3_T4_T5_T6_T7_T9_mT8_P12ihipStream_tbDpT10_ENKUlT_T0_E_clISt17integral_constantIbLb1EES1C_IbLb0EEEEDaS18_S19_EUlS18_E_NS1_11comp_targetILNS1_3genE9ELNS1_11target_archE1100ELNS1_3gpuE3ELNS1_3repE0EEENS1_30default_config_static_selectorELNS0_4arch9wavefront6targetE1EEEvT1_,"axG",@progbits,_ZN7rocprim17ROCPRIM_400000_NS6detail17trampoline_kernelINS0_14default_configENS1_25partition_config_selectorILNS1_17partition_subalgoE8EsNS0_10empty_typeEbEEZZNS1_14partition_implILS5_8ELb0ES3_jN6thrust23THRUST_200600_302600_NS6detail15normal_iteratorINSA_10device_ptrIsEEEEPS6_PKS6_NS0_5tupleIJNSA_16discard_iteratorINSA_11use_defaultEEES6_EEENSJ_IJSG_SG_EEENS0_18inequality_wrapperINSA_8equal_toIsEEEEPmJS6_EEE10hipError_tPvRmT3_T4_T5_T6_T7_T9_mT8_P12ihipStream_tbDpT10_ENKUlT_T0_E_clISt17integral_constantIbLb1EES1C_IbLb0EEEEDaS18_S19_EUlS18_E_NS1_11comp_targetILNS1_3genE9ELNS1_11target_archE1100ELNS1_3gpuE3ELNS1_3repE0EEENS1_30default_config_static_selectorELNS0_4arch9wavefront6targetE1EEEvT1_,comdat
	.protected	_ZN7rocprim17ROCPRIM_400000_NS6detail17trampoline_kernelINS0_14default_configENS1_25partition_config_selectorILNS1_17partition_subalgoE8EsNS0_10empty_typeEbEEZZNS1_14partition_implILS5_8ELb0ES3_jN6thrust23THRUST_200600_302600_NS6detail15normal_iteratorINSA_10device_ptrIsEEEEPS6_PKS6_NS0_5tupleIJNSA_16discard_iteratorINSA_11use_defaultEEES6_EEENSJ_IJSG_SG_EEENS0_18inequality_wrapperINSA_8equal_toIsEEEEPmJS6_EEE10hipError_tPvRmT3_T4_T5_T6_T7_T9_mT8_P12ihipStream_tbDpT10_ENKUlT_T0_E_clISt17integral_constantIbLb1EES1C_IbLb0EEEEDaS18_S19_EUlS18_E_NS1_11comp_targetILNS1_3genE9ELNS1_11target_archE1100ELNS1_3gpuE3ELNS1_3repE0EEENS1_30default_config_static_selectorELNS0_4arch9wavefront6targetE1EEEvT1_ ; -- Begin function _ZN7rocprim17ROCPRIM_400000_NS6detail17trampoline_kernelINS0_14default_configENS1_25partition_config_selectorILNS1_17partition_subalgoE8EsNS0_10empty_typeEbEEZZNS1_14partition_implILS5_8ELb0ES3_jN6thrust23THRUST_200600_302600_NS6detail15normal_iteratorINSA_10device_ptrIsEEEEPS6_PKS6_NS0_5tupleIJNSA_16discard_iteratorINSA_11use_defaultEEES6_EEENSJ_IJSG_SG_EEENS0_18inequality_wrapperINSA_8equal_toIsEEEEPmJS6_EEE10hipError_tPvRmT3_T4_T5_T6_T7_T9_mT8_P12ihipStream_tbDpT10_ENKUlT_T0_E_clISt17integral_constantIbLb1EES1C_IbLb0EEEEDaS18_S19_EUlS18_E_NS1_11comp_targetILNS1_3genE9ELNS1_11target_archE1100ELNS1_3gpuE3ELNS1_3repE0EEENS1_30default_config_static_selectorELNS0_4arch9wavefront6targetE1EEEvT1_
	.globl	_ZN7rocprim17ROCPRIM_400000_NS6detail17trampoline_kernelINS0_14default_configENS1_25partition_config_selectorILNS1_17partition_subalgoE8EsNS0_10empty_typeEbEEZZNS1_14partition_implILS5_8ELb0ES3_jN6thrust23THRUST_200600_302600_NS6detail15normal_iteratorINSA_10device_ptrIsEEEEPS6_PKS6_NS0_5tupleIJNSA_16discard_iteratorINSA_11use_defaultEEES6_EEENSJ_IJSG_SG_EEENS0_18inequality_wrapperINSA_8equal_toIsEEEEPmJS6_EEE10hipError_tPvRmT3_T4_T5_T6_T7_T9_mT8_P12ihipStream_tbDpT10_ENKUlT_T0_E_clISt17integral_constantIbLb1EES1C_IbLb0EEEEDaS18_S19_EUlS18_E_NS1_11comp_targetILNS1_3genE9ELNS1_11target_archE1100ELNS1_3gpuE3ELNS1_3repE0EEENS1_30default_config_static_selectorELNS0_4arch9wavefront6targetE1EEEvT1_
	.p2align	8
	.type	_ZN7rocprim17ROCPRIM_400000_NS6detail17trampoline_kernelINS0_14default_configENS1_25partition_config_selectorILNS1_17partition_subalgoE8EsNS0_10empty_typeEbEEZZNS1_14partition_implILS5_8ELb0ES3_jN6thrust23THRUST_200600_302600_NS6detail15normal_iteratorINSA_10device_ptrIsEEEEPS6_PKS6_NS0_5tupleIJNSA_16discard_iteratorINSA_11use_defaultEEES6_EEENSJ_IJSG_SG_EEENS0_18inequality_wrapperINSA_8equal_toIsEEEEPmJS6_EEE10hipError_tPvRmT3_T4_T5_T6_T7_T9_mT8_P12ihipStream_tbDpT10_ENKUlT_T0_E_clISt17integral_constantIbLb1EES1C_IbLb0EEEEDaS18_S19_EUlS18_E_NS1_11comp_targetILNS1_3genE9ELNS1_11target_archE1100ELNS1_3gpuE3ELNS1_3repE0EEENS1_30default_config_static_selectorELNS0_4arch9wavefront6targetE1EEEvT1_,@function
_ZN7rocprim17ROCPRIM_400000_NS6detail17trampoline_kernelINS0_14default_configENS1_25partition_config_selectorILNS1_17partition_subalgoE8EsNS0_10empty_typeEbEEZZNS1_14partition_implILS5_8ELb0ES3_jN6thrust23THRUST_200600_302600_NS6detail15normal_iteratorINSA_10device_ptrIsEEEEPS6_PKS6_NS0_5tupleIJNSA_16discard_iteratorINSA_11use_defaultEEES6_EEENSJ_IJSG_SG_EEENS0_18inequality_wrapperINSA_8equal_toIsEEEEPmJS6_EEE10hipError_tPvRmT3_T4_T5_T6_T7_T9_mT8_P12ihipStream_tbDpT10_ENKUlT_T0_E_clISt17integral_constantIbLb1EES1C_IbLb0EEEEDaS18_S19_EUlS18_E_NS1_11comp_targetILNS1_3genE9ELNS1_11target_archE1100ELNS1_3gpuE3ELNS1_3repE0EEENS1_30default_config_static_selectorELNS0_4arch9wavefront6targetE1EEEvT1_: ; @_ZN7rocprim17ROCPRIM_400000_NS6detail17trampoline_kernelINS0_14default_configENS1_25partition_config_selectorILNS1_17partition_subalgoE8EsNS0_10empty_typeEbEEZZNS1_14partition_implILS5_8ELb0ES3_jN6thrust23THRUST_200600_302600_NS6detail15normal_iteratorINSA_10device_ptrIsEEEEPS6_PKS6_NS0_5tupleIJNSA_16discard_iteratorINSA_11use_defaultEEES6_EEENSJ_IJSG_SG_EEENS0_18inequality_wrapperINSA_8equal_toIsEEEEPmJS6_EEE10hipError_tPvRmT3_T4_T5_T6_T7_T9_mT8_P12ihipStream_tbDpT10_ENKUlT_T0_E_clISt17integral_constantIbLb1EES1C_IbLb0EEEEDaS18_S19_EUlS18_E_NS1_11comp_targetILNS1_3genE9ELNS1_11target_archE1100ELNS1_3gpuE3ELNS1_3repE0EEENS1_30default_config_static_selectorELNS0_4arch9wavefront6targetE1EEEvT1_
; %bb.0:
	.section	.rodata,"a",@progbits
	.p2align	6, 0x0
	.amdhsa_kernel _ZN7rocprim17ROCPRIM_400000_NS6detail17trampoline_kernelINS0_14default_configENS1_25partition_config_selectorILNS1_17partition_subalgoE8EsNS0_10empty_typeEbEEZZNS1_14partition_implILS5_8ELb0ES3_jN6thrust23THRUST_200600_302600_NS6detail15normal_iteratorINSA_10device_ptrIsEEEEPS6_PKS6_NS0_5tupleIJNSA_16discard_iteratorINSA_11use_defaultEEES6_EEENSJ_IJSG_SG_EEENS0_18inequality_wrapperINSA_8equal_toIsEEEEPmJS6_EEE10hipError_tPvRmT3_T4_T5_T6_T7_T9_mT8_P12ihipStream_tbDpT10_ENKUlT_T0_E_clISt17integral_constantIbLb1EES1C_IbLb0EEEEDaS18_S19_EUlS18_E_NS1_11comp_targetILNS1_3genE9ELNS1_11target_archE1100ELNS1_3gpuE3ELNS1_3repE0EEENS1_30default_config_static_selectorELNS0_4arch9wavefront6targetE1EEEvT1_
		.amdhsa_group_segment_fixed_size 0
		.amdhsa_private_segment_fixed_size 0
		.amdhsa_kernarg_size 120
		.amdhsa_user_sgpr_count 6
		.amdhsa_user_sgpr_private_segment_buffer 1
		.amdhsa_user_sgpr_dispatch_ptr 0
		.amdhsa_user_sgpr_queue_ptr 0
		.amdhsa_user_sgpr_kernarg_segment_ptr 1
		.amdhsa_user_sgpr_dispatch_id 0
		.amdhsa_user_sgpr_flat_scratch_init 0
		.amdhsa_user_sgpr_private_segment_size 0
		.amdhsa_uses_dynamic_stack 0
		.amdhsa_system_sgpr_private_segment_wavefront_offset 0
		.amdhsa_system_sgpr_workgroup_id_x 1
		.amdhsa_system_sgpr_workgroup_id_y 0
		.amdhsa_system_sgpr_workgroup_id_z 0
		.amdhsa_system_sgpr_workgroup_info 0
		.amdhsa_system_vgpr_workitem_id 0
		.amdhsa_next_free_vgpr 1
		.amdhsa_next_free_sgpr 0
		.amdhsa_reserve_vcc 0
		.amdhsa_reserve_flat_scratch 0
		.amdhsa_float_round_mode_32 0
		.amdhsa_float_round_mode_16_64 0
		.amdhsa_float_denorm_mode_32 3
		.amdhsa_float_denorm_mode_16_64 3
		.amdhsa_dx10_clamp 1
		.amdhsa_ieee_mode 1
		.amdhsa_fp16_overflow 0
		.amdhsa_exception_fp_ieee_invalid_op 0
		.amdhsa_exception_fp_denorm_src 0
		.amdhsa_exception_fp_ieee_div_zero 0
		.amdhsa_exception_fp_ieee_overflow 0
		.amdhsa_exception_fp_ieee_underflow 0
		.amdhsa_exception_fp_ieee_inexact 0
		.amdhsa_exception_int_div_zero 0
	.end_amdhsa_kernel
	.section	.text._ZN7rocprim17ROCPRIM_400000_NS6detail17trampoline_kernelINS0_14default_configENS1_25partition_config_selectorILNS1_17partition_subalgoE8EsNS0_10empty_typeEbEEZZNS1_14partition_implILS5_8ELb0ES3_jN6thrust23THRUST_200600_302600_NS6detail15normal_iteratorINSA_10device_ptrIsEEEEPS6_PKS6_NS0_5tupleIJNSA_16discard_iteratorINSA_11use_defaultEEES6_EEENSJ_IJSG_SG_EEENS0_18inequality_wrapperINSA_8equal_toIsEEEEPmJS6_EEE10hipError_tPvRmT3_T4_T5_T6_T7_T9_mT8_P12ihipStream_tbDpT10_ENKUlT_T0_E_clISt17integral_constantIbLb1EES1C_IbLb0EEEEDaS18_S19_EUlS18_E_NS1_11comp_targetILNS1_3genE9ELNS1_11target_archE1100ELNS1_3gpuE3ELNS1_3repE0EEENS1_30default_config_static_selectorELNS0_4arch9wavefront6targetE1EEEvT1_,"axG",@progbits,_ZN7rocprim17ROCPRIM_400000_NS6detail17trampoline_kernelINS0_14default_configENS1_25partition_config_selectorILNS1_17partition_subalgoE8EsNS0_10empty_typeEbEEZZNS1_14partition_implILS5_8ELb0ES3_jN6thrust23THRUST_200600_302600_NS6detail15normal_iteratorINSA_10device_ptrIsEEEEPS6_PKS6_NS0_5tupleIJNSA_16discard_iteratorINSA_11use_defaultEEES6_EEENSJ_IJSG_SG_EEENS0_18inequality_wrapperINSA_8equal_toIsEEEEPmJS6_EEE10hipError_tPvRmT3_T4_T5_T6_T7_T9_mT8_P12ihipStream_tbDpT10_ENKUlT_T0_E_clISt17integral_constantIbLb1EES1C_IbLb0EEEEDaS18_S19_EUlS18_E_NS1_11comp_targetILNS1_3genE9ELNS1_11target_archE1100ELNS1_3gpuE3ELNS1_3repE0EEENS1_30default_config_static_selectorELNS0_4arch9wavefront6targetE1EEEvT1_,comdat
.Lfunc_end715:
	.size	_ZN7rocprim17ROCPRIM_400000_NS6detail17trampoline_kernelINS0_14default_configENS1_25partition_config_selectorILNS1_17partition_subalgoE8EsNS0_10empty_typeEbEEZZNS1_14partition_implILS5_8ELb0ES3_jN6thrust23THRUST_200600_302600_NS6detail15normal_iteratorINSA_10device_ptrIsEEEEPS6_PKS6_NS0_5tupleIJNSA_16discard_iteratorINSA_11use_defaultEEES6_EEENSJ_IJSG_SG_EEENS0_18inequality_wrapperINSA_8equal_toIsEEEEPmJS6_EEE10hipError_tPvRmT3_T4_T5_T6_T7_T9_mT8_P12ihipStream_tbDpT10_ENKUlT_T0_E_clISt17integral_constantIbLb1EES1C_IbLb0EEEEDaS18_S19_EUlS18_E_NS1_11comp_targetILNS1_3genE9ELNS1_11target_archE1100ELNS1_3gpuE3ELNS1_3repE0EEENS1_30default_config_static_selectorELNS0_4arch9wavefront6targetE1EEEvT1_, .Lfunc_end715-_ZN7rocprim17ROCPRIM_400000_NS6detail17trampoline_kernelINS0_14default_configENS1_25partition_config_selectorILNS1_17partition_subalgoE8EsNS0_10empty_typeEbEEZZNS1_14partition_implILS5_8ELb0ES3_jN6thrust23THRUST_200600_302600_NS6detail15normal_iteratorINSA_10device_ptrIsEEEEPS6_PKS6_NS0_5tupleIJNSA_16discard_iteratorINSA_11use_defaultEEES6_EEENSJ_IJSG_SG_EEENS0_18inequality_wrapperINSA_8equal_toIsEEEEPmJS6_EEE10hipError_tPvRmT3_T4_T5_T6_T7_T9_mT8_P12ihipStream_tbDpT10_ENKUlT_T0_E_clISt17integral_constantIbLb1EES1C_IbLb0EEEEDaS18_S19_EUlS18_E_NS1_11comp_targetILNS1_3genE9ELNS1_11target_archE1100ELNS1_3gpuE3ELNS1_3repE0EEENS1_30default_config_static_selectorELNS0_4arch9wavefront6targetE1EEEvT1_
                                        ; -- End function
	.set _ZN7rocprim17ROCPRIM_400000_NS6detail17trampoline_kernelINS0_14default_configENS1_25partition_config_selectorILNS1_17partition_subalgoE8EsNS0_10empty_typeEbEEZZNS1_14partition_implILS5_8ELb0ES3_jN6thrust23THRUST_200600_302600_NS6detail15normal_iteratorINSA_10device_ptrIsEEEEPS6_PKS6_NS0_5tupleIJNSA_16discard_iteratorINSA_11use_defaultEEES6_EEENSJ_IJSG_SG_EEENS0_18inequality_wrapperINSA_8equal_toIsEEEEPmJS6_EEE10hipError_tPvRmT3_T4_T5_T6_T7_T9_mT8_P12ihipStream_tbDpT10_ENKUlT_T0_E_clISt17integral_constantIbLb1EES1C_IbLb0EEEEDaS18_S19_EUlS18_E_NS1_11comp_targetILNS1_3genE9ELNS1_11target_archE1100ELNS1_3gpuE3ELNS1_3repE0EEENS1_30default_config_static_selectorELNS0_4arch9wavefront6targetE1EEEvT1_.num_vgpr, 0
	.set _ZN7rocprim17ROCPRIM_400000_NS6detail17trampoline_kernelINS0_14default_configENS1_25partition_config_selectorILNS1_17partition_subalgoE8EsNS0_10empty_typeEbEEZZNS1_14partition_implILS5_8ELb0ES3_jN6thrust23THRUST_200600_302600_NS6detail15normal_iteratorINSA_10device_ptrIsEEEEPS6_PKS6_NS0_5tupleIJNSA_16discard_iteratorINSA_11use_defaultEEES6_EEENSJ_IJSG_SG_EEENS0_18inequality_wrapperINSA_8equal_toIsEEEEPmJS6_EEE10hipError_tPvRmT3_T4_T5_T6_T7_T9_mT8_P12ihipStream_tbDpT10_ENKUlT_T0_E_clISt17integral_constantIbLb1EES1C_IbLb0EEEEDaS18_S19_EUlS18_E_NS1_11comp_targetILNS1_3genE9ELNS1_11target_archE1100ELNS1_3gpuE3ELNS1_3repE0EEENS1_30default_config_static_selectorELNS0_4arch9wavefront6targetE1EEEvT1_.num_agpr, 0
	.set _ZN7rocprim17ROCPRIM_400000_NS6detail17trampoline_kernelINS0_14default_configENS1_25partition_config_selectorILNS1_17partition_subalgoE8EsNS0_10empty_typeEbEEZZNS1_14partition_implILS5_8ELb0ES3_jN6thrust23THRUST_200600_302600_NS6detail15normal_iteratorINSA_10device_ptrIsEEEEPS6_PKS6_NS0_5tupleIJNSA_16discard_iteratorINSA_11use_defaultEEES6_EEENSJ_IJSG_SG_EEENS0_18inequality_wrapperINSA_8equal_toIsEEEEPmJS6_EEE10hipError_tPvRmT3_T4_T5_T6_T7_T9_mT8_P12ihipStream_tbDpT10_ENKUlT_T0_E_clISt17integral_constantIbLb1EES1C_IbLb0EEEEDaS18_S19_EUlS18_E_NS1_11comp_targetILNS1_3genE9ELNS1_11target_archE1100ELNS1_3gpuE3ELNS1_3repE0EEENS1_30default_config_static_selectorELNS0_4arch9wavefront6targetE1EEEvT1_.numbered_sgpr, 0
	.set _ZN7rocprim17ROCPRIM_400000_NS6detail17trampoline_kernelINS0_14default_configENS1_25partition_config_selectorILNS1_17partition_subalgoE8EsNS0_10empty_typeEbEEZZNS1_14partition_implILS5_8ELb0ES3_jN6thrust23THRUST_200600_302600_NS6detail15normal_iteratorINSA_10device_ptrIsEEEEPS6_PKS6_NS0_5tupleIJNSA_16discard_iteratorINSA_11use_defaultEEES6_EEENSJ_IJSG_SG_EEENS0_18inequality_wrapperINSA_8equal_toIsEEEEPmJS6_EEE10hipError_tPvRmT3_T4_T5_T6_T7_T9_mT8_P12ihipStream_tbDpT10_ENKUlT_T0_E_clISt17integral_constantIbLb1EES1C_IbLb0EEEEDaS18_S19_EUlS18_E_NS1_11comp_targetILNS1_3genE9ELNS1_11target_archE1100ELNS1_3gpuE3ELNS1_3repE0EEENS1_30default_config_static_selectorELNS0_4arch9wavefront6targetE1EEEvT1_.num_named_barrier, 0
	.set _ZN7rocprim17ROCPRIM_400000_NS6detail17trampoline_kernelINS0_14default_configENS1_25partition_config_selectorILNS1_17partition_subalgoE8EsNS0_10empty_typeEbEEZZNS1_14partition_implILS5_8ELb0ES3_jN6thrust23THRUST_200600_302600_NS6detail15normal_iteratorINSA_10device_ptrIsEEEEPS6_PKS6_NS0_5tupleIJNSA_16discard_iteratorINSA_11use_defaultEEES6_EEENSJ_IJSG_SG_EEENS0_18inequality_wrapperINSA_8equal_toIsEEEEPmJS6_EEE10hipError_tPvRmT3_T4_T5_T6_T7_T9_mT8_P12ihipStream_tbDpT10_ENKUlT_T0_E_clISt17integral_constantIbLb1EES1C_IbLb0EEEEDaS18_S19_EUlS18_E_NS1_11comp_targetILNS1_3genE9ELNS1_11target_archE1100ELNS1_3gpuE3ELNS1_3repE0EEENS1_30default_config_static_selectorELNS0_4arch9wavefront6targetE1EEEvT1_.private_seg_size, 0
	.set _ZN7rocprim17ROCPRIM_400000_NS6detail17trampoline_kernelINS0_14default_configENS1_25partition_config_selectorILNS1_17partition_subalgoE8EsNS0_10empty_typeEbEEZZNS1_14partition_implILS5_8ELb0ES3_jN6thrust23THRUST_200600_302600_NS6detail15normal_iteratorINSA_10device_ptrIsEEEEPS6_PKS6_NS0_5tupleIJNSA_16discard_iteratorINSA_11use_defaultEEES6_EEENSJ_IJSG_SG_EEENS0_18inequality_wrapperINSA_8equal_toIsEEEEPmJS6_EEE10hipError_tPvRmT3_T4_T5_T6_T7_T9_mT8_P12ihipStream_tbDpT10_ENKUlT_T0_E_clISt17integral_constantIbLb1EES1C_IbLb0EEEEDaS18_S19_EUlS18_E_NS1_11comp_targetILNS1_3genE9ELNS1_11target_archE1100ELNS1_3gpuE3ELNS1_3repE0EEENS1_30default_config_static_selectorELNS0_4arch9wavefront6targetE1EEEvT1_.uses_vcc, 0
	.set _ZN7rocprim17ROCPRIM_400000_NS6detail17trampoline_kernelINS0_14default_configENS1_25partition_config_selectorILNS1_17partition_subalgoE8EsNS0_10empty_typeEbEEZZNS1_14partition_implILS5_8ELb0ES3_jN6thrust23THRUST_200600_302600_NS6detail15normal_iteratorINSA_10device_ptrIsEEEEPS6_PKS6_NS0_5tupleIJNSA_16discard_iteratorINSA_11use_defaultEEES6_EEENSJ_IJSG_SG_EEENS0_18inequality_wrapperINSA_8equal_toIsEEEEPmJS6_EEE10hipError_tPvRmT3_T4_T5_T6_T7_T9_mT8_P12ihipStream_tbDpT10_ENKUlT_T0_E_clISt17integral_constantIbLb1EES1C_IbLb0EEEEDaS18_S19_EUlS18_E_NS1_11comp_targetILNS1_3genE9ELNS1_11target_archE1100ELNS1_3gpuE3ELNS1_3repE0EEENS1_30default_config_static_selectorELNS0_4arch9wavefront6targetE1EEEvT1_.uses_flat_scratch, 0
	.set _ZN7rocprim17ROCPRIM_400000_NS6detail17trampoline_kernelINS0_14default_configENS1_25partition_config_selectorILNS1_17partition_subalgoE8EsNS0_10empty_typeEbEEZZNS1_14partition_implILS5_8ELb0ES3_jN6thrust23THRUST_200600_302600_NS6detail15normal_iteratorINSA_10device_ptrIsEEEEPS6_PKS6_NS0_5tupleIJNSA_16discard_iteratorINSA_11use_defaultEEES6_EEENSJ_IJSG_SG_EEENS0_18inequality_wrapperINSA_8equal_toIsEEEEPmJS6_EEE10hipError_tPvRmT3_T4_T5_T6_T7_T9_mT8_P12ihipStream_tbDpT10_ENKUlT_T0_E_clISt17integral_constantIbLb1EES1C_IbLb0EEEEDaS18_S19_EUlS18_E_NS1_11comp_targetILNS1_3genE9ELNS1_11target_archE1100ELNS1_3gpuE3ELNS1_3repE0EEENS1_30default_config_static_selectorELNS0_4arch9wavefront6targetE1EEEvT1_.has_dyn_sized_stack, 0
	.set _ZN7rocprim17ROCPRIM_400000_NS6detail17trampoline_kernelINS0_14default_configENS1_25partition_config_selectorILNS1_17partition_subalgoE8EsNS0_10empty_typeEbEEZZNS1_14partition_implILS5_8ELb0ES3_jN6thrust23THRUST_200600_302600_NS6detail15normal_iteratorINSA_10device_ptrIsEEEEPS6_PKS6_NS0_5tupleIJNSA_16discard_iteratorINSA_11use_defaultEEES6_EEENSJ_IJSG_SG_EEENS0_18inequality_wrapperINSA_8equal_toIsEEEEPmJS6_EEE10hipError_tPvRmT3_T4_T5_T6_T7_T9_mT8_P12ihipStream_tbDpT10_ENKUlT_T0_E_clISt17integral_constantIbLb1EES1C_IbLb0EEEEDaS18_S19_EUlS18_E_NS1_11comp_targetILNS1_3genE9ELNS1_11target_archE1100ELNS1_3gpuE3ELNS1_3repE0EEENS1_30default_config_static_selectorELNS0_4arch9wavefront6targetE1EEEvT1_.has_recursion, 0
	.set _ZN7rocprim17ROCPRIM_400000_NS6detail17trampoline_kernelINS0_14default_configENS1_25partition_config_selectorILNS1_17partition_subalgoE8EsNS0_10empty_typeEbEEZZNS1_14partition_implILS5_8ELb0ES3_jN6thrust23THRUST_200600_302600_NS6detail15normal_iteratorINSA_10device_ptrIsEEEEPS6_PKS6_NS0_5tupleIJNSA_16discard_iteratorINSA_11use_defaultEEES6_EEENSJ_IJSG_SG_EEENS0_18inequality_wrapperINSA_8equal_toIsEEEEPmJS6_EEE10hipError_tPvRmT3_T4_T5_T6_T7_T9_mT8_P12ihipStream_tbDpT10_ENKUlT_T0_E_clISt17integral_constantIbLb1EES1C_IbLb0EEEEDaS18_S19_EUlS18_E_NS1_11comp_targetILNS1_3genE9ELNS1_11target_archE1100ELNS1_3gpuE3ELNS1_3repE0EEENS1_30default_config_static_selectorELNS0_4arch9wavefront6targetE1EEEvT1_.has_indirect_call, 0
	.section	.AMDGPU.csdata,"",@progbits
; Kernel info:
; codeLenInByte = 0
; TotalNumSgprs: 4
; NumVgprs: 0
; ScratchSize: 0
; MemoryBound: 0
; FloatMode: 240
; IeeeMode: 1
; LDSByteSize: 0 bytes/workgroup (compile time only)
; SGPRBlocks: 0
; VGPRBlocks: 0
; NumSGPRsForWavesPerEU: 4
; NumVGPRsForWavesPerEU: 1
; Occupancy: 10
; WaveLimiterHint : 0
; COMPUTE_PGM_RSRC2:SCRATCH_EN: 0
; COMPUTE_PGM_RSRC2:USER_SGPR: 6
; COMPUTE_PGM_RSRC2:TRAP_HANDLER: 0
; COMPUTE_PGM_RSRC2:TGID_X_EN: 1
; COMPUTE_PGM_RSRC2:TGID_Y_EN: 0
; COMPUTE_PGM_RSRC2:TGID_Z_EN: 0
; COMPUTE_PGM_RSRC2:TIDIG_COMP_CNT: 0
	.section	.text._ZN7rocprim17ROCPRIM_400000_NS6detail17trampoline_kernelINS0_14default_configENS1_25partition_config_selectorILNS1_17partition_subalgoE8EsNS0_10empty_typeEbEEZZNS1_14partition_implILS5_8ELb0ES3_jN6thrust23THRUST_200600_302600_NS6detail15normal_iteratorINSA_10device_ptrIsEEEEPS6_PKS6_NS0_5tupleIJNSA_16discard_iteratorINSA_11use_defaultEEES6_EEENSJ_IJSG_SG_EEENS0_18inequality_wrapperINSA_8equal_toIsEEEEPmJS6_EEE10hipError_tPvRmT3_T4_T5_T6_T7_T9_mT8_P12ihipStream_tbDpT10_ENKUlT_T0_E_clISt17integral_constantIbLb1EES1C_IbLb0EEEEDaS18_S19_EUlS18_E_NS1_11comp_targetILNS1_3genE8ELNS1_11target_archE1030ELNS1_3gpuE2ELNS1_3repE0EEENS1_30default_config_static_selectorELNS0_4arch9wavefront6targetE1EEEvT1_,"axG",@progbits,_ZN7rocprim17ROCPRIM_400000_NS6detail17trampoline_kernelINS0_14default_configENS1_25partition_config_selectorILNS1_17partition_subalgoE8EsNS0_10empty_typeEbEEZZNS1_14partition_implILS5_8ELb0ES3_jN6thrust23THRUST_200600_302600_NS6detail15normal_iteratorINSA_10device_ptrIsEEEEPS6_PKS6_NS0_5tupleIJNSA_16discard_iteratorINSA_11use_defaultEEES6_EEENSJ_IJSG_SG_EEENS0_18inequality_wrapperINSA_8equal_toIsEEEEPmJS6_EEE10hipError_tPvRmT3_T4_T5_T6_T7_T9_mT8_P12ihipStream_tbDpT10_ENKUlT_T0_E_clISt17integral_constantIbLb1EES1C_IbLb0EEEEDaS18_S19_EUlS18_E_NS1_11comp_targetILNS1_3genE8ELNS1_11target_archE1030ELNS1_3gpuE2ELNS1_3repE0EEENS1_30default_config_static_selectorELNS0_4arch9wavefront6targetE1EEEvT1_,comdat
	.protected	_ZN7rocprim17ROCPRIM_400000_NS6detail17trampoline_kernelINS0_14default_configENS1_25partition_config_selectorILNS1_17partition_subalgoE8EsNS0_10empty_typeEbEEZZNS1_14partition_implILS5_8ELb0ES3_jN6thrust23THRUST_200600_302600_NS6detail15normal_iteratorINSA_10device_ptrIsEEEEPS6_PKS6_NS0_5tupleIJNSA_16discard_iteratorINSA_11use_defaultEEES6_EEENSJ_IJSG_SG_EEENS0_18inequality_wrapperINSA_8equal_toIsEEEEPmJS6_EEE10hipError_tPvRmT3_T4_T5_T6_T7_T9_mT8_P12ihipStream_tbDpT10_ENKUlT_T0_E_clISt17integral_constantIbLb1EES1C_IbLb0EEEEDaS18_S19_EUlS18_E_NS1_11comp_targetILNS1_3genE8ELNS1_11target_archE1030ELNS1_3gpuE2ELNS1_3repE0EEENS1_30default_config_static_selectorELNS0_4arch9wavefront6targetE1EEEvT1_ ; -- Begin function _ZN7rocprim17ROCPRIM_400000_NS6detail17trampoline_kernelINS0_14default_configENS1_25partition_config_selectorILNS1_17partition_subalgoE8EsNS0_10empty_typeEbEEZZNS1_14partition_implILS5_8ELb0ES3_jN6thrust23THRUST_200600_302600_NS6detail15normal_iteratorINSA_10device_ptrIsEEEEPS6_PKS6_NS0_5tupleIJNSA_16discard_iteratorINSA_11use_defaultEEES6_EEENSJ_IJSG_SG_EEENS0_18inequality_wrapperINSA_8equal_toIsEEEEPmJS6_EEE10hipError_tPvRmT3_T4_T5_T6_T7_T9_mT8_P12ihipStream_tbDpT10_ENKUlT_T0_E_clISt17integral_constantIbLb1EES1C_IbLb0EEEEDaS18_S19_EUlS18_E_NS1_11comp_targetILNS1_3genE8ELNS1_11target_archE1030ELNS1_3gpuE2ELNS1_3repE0EEENS1_30default_config_static_selectorELNS0_4arch9wavefront6targetE1EEEvT1_
	.globl	_ZN7rocprim17ROCPRIM_400000_NS6detail17trampoline_kernelINS0_14default_configENS1_25partition_config_selectorILNS1_17partition_subalgoE8EsNS0_10empty_typeEbEEZZNS1_14partition_implILS5_8ELb0ES3_jN6thrust23THRUST_200600_302600_NS6detail15normal_iteratorINSA_10device_ptrIsEEEEPS6_PKS6_NS0_5tupleIJNSA_16discard_iteratorINSA_11use_defaultEEES6_EEENSJ_IJSG_SG_EEENS0_18inequality_wrapperINSA_8equal_toIsEEEEPmJS6_EEE10hipError_tPvRmT3_T4_T5_T6_T7_T9_mT8_P12ihipStream_tbDpT10_ENKUlT_T0_E_clISt17integral_constantIbLb1EES1C_IbLb0EEEEDaS18_S19_EUlS18_E_NS1_11comp_targetILNS1_3genE8ELNS1_11target_archE1030ELNS1_3gpuE2ELNS1_3repE0EEENS1_30default_config_static_selectorELNS0_4arch9wavefront6targetE1EEEvT1_
	.p2align	8
	.type	_ZN7rocprim17ROCPRIM_400000_NS6detail17trampoline_kernelINS0_14default_configENS1_25partition_config_selectorILNS1_17partition_subalgoE8EsNS0_10empty_typeEbEEZZNS1_14partition_implILS5_8ELb0ES3_jN6thrust23THRUST_200600_302600_NS6detail15normal_iteratorINSA_10device_ptrIsEEEEPS6_PKS6_NS0_5tupleIJNSA_16discard_iteratorINSA_11use_defaultEEES6_EEENSJ_IJSG_SG_EEENS0_18inequality_wrapperINSA_8equal_toIsEEEEPmJS6_EEE10hipError_tPvRmT3_T4_T5_T6_T7_T9_mT8_P12ihipStream_tbDpT10_ENKUlT_T0_E_clISt17integral_constantIbLb1EES1C_IbLb0EEEEDaS18_S19_EUlS18_E_NS1_11comp_targetILNS1_3genE8ELNS1_11target_archE1030ELNS1_3gpuE2ELNS1_3repE0EEENS1_30default_config_static_selectorELNS0_4arch9wavefront6targetE1EEEvT1_,@function
_ZN7rocprim17ROCPRIM_400000_NS6detail17trampoline_kernelINS0_14default_configENS1_25partition_config_selectorILNS1_17partition_subalgoE8EsNS0_10empty_typeEbEEZZNS1_14partition_implILS5_8ELb0ES3_jN6thrust23THRUST_200600_302600_NS6detail15normal_iteratorINSA_10device_ptrIsEEEEPS6_PKS6_NS0_5tupleIJNSA_16discard_iteratorINSA_11use_defaultEEES6_EEENSJ_IJSG_SG_EEENS0_18inequality_wrapperINSA_8equal_toIsEEEEPmJS6_EEE10hipError_tPvRmT3_T4_T5_T6_T7_T9_mT8_P12ihipStream_tbDpT10_ENKUlT_T0_E_clISt17integral_constantIbLb1EES1C_IbLb0EEEEDaS18_S19_EUlS18_E_NS1_11comp_targetILNS1_3genE8ELNS1_11target_archE1030ELNS1_3gpuE2ELNS1_3repE0EEENS1_30default_config_static_selectorELNS0_4arch9wavefront6targetE1EEEvT1_: ; @_ZN7rocprim17ROCPRIM_400000_NS6detail17trampoline_kernelINS0_14default_configENS1_25partition_config_selectorILNS1_17partition_subalgoE8EsNS0_10empty_typeEbEEZZNS1_14partition_implILS5_8ELb0ES3_jN6thrust23THRUST_200600_302600_NS6detail15normal_iteratorINSA_10device_ptrIsEEEEPS6_PKS6_NS0_5tupleIJNSA_16discard_iteratorINSA_11use_defaultEEES6_EEENSJ_IJSG_SG_EEENS0_18inequality_wrapperINSA_8equal_toIsEEEEPmJS6_EEE10hipError_tPvRmT3_T4_T5_T6_T7_T9_mT8_P12ihipStream_tbDpT10_ENKUlT_T0_E_clISt17integral_constantIbLb1EES1C_IbLb0EEEEDaS18_S19_EUlS18_E_NS1_11comp_targetILNS1_3genE8ELNS1_11target_archE1030ELNS1_3gpuE2ELNS1_3repE0EEENS1_30default_config_static_selectorELNS0_4arch9wavefront6targetE1EEEvT1_
; %bb.0:
	.section	.rodata,"a",@progbits
	.p2align	6, 0x0
	.amdhsa_kernel _ZN7rocprim17ROCPRIM_400000_NS6detail17trampoline_kernelINS0_14default_configENS1_25partition_config_selectorILNS1_17partition_subalgoE8EsNS0_10empty_typeEbEEZZNS1_14partition_implILS5_8ELb0ES3_jN6thrust23THRUST_200600_302600_NS6detail15normal_iteratorINSA_10device_ptrIsEEEEPS6_PKS6_NS0_5tupleIJNSA_16discard_iteratorINSA_11use_defaultEEES6_EEENSJ_IJSG_SG_EEENS0_18inequality_wrapperINSA_8equal_toIsEEEEPmJS6_EEE10hipError_tPvRmT3_T4_T5_T6_T7_T9_mT8_P12ihipStream_tbDpT10_ENKUlT_T0_E_clISt17integral_constantIbLb1EES1C_IbLb0EEEEDaS18_S19_EUlS18_E_NS1_11comp_targetILNS1_3genE8ELNS1_11target_archE1030ELNS1_3gpuE2ELNS1_3repE0EEENS1_30default_config_static_selectorELNS0_4arch9wavefront6targetE1EEEvT1_
		.amdhsa_group_segment_fixed_size 0
		.amdhsa_private_segment_fixed_size 0
		.amdhsa_kernarg_size 120
		.amdhsa_user_sgpr_count 6
		.amdhsa_user_sgpr_private_segment_buffer 1
		.amdhsa_user_sgpr_dispatch_ptr 0
		.amdhsa_user_sgpr_queue_ptr 0
		.amdhsa_user_sgpr_kernarg_segment_ptr 1
		.amdhsa_user_sgpr_dispatch_id 0
		.amdhsa_user_sgpr_flat_scratch_init 0
		.amdhsa_user_sgpr_private_segment_size 0
		.amdhsa_uses_dynamic_stack 0
		.amdhsa_system_sgpr_private_segment_wavefront_offset 0
		.amdhsa_system_sgpr_workgroup_id_x 1
		.amdhsa_system_sgpr_workgroup_id_y 0
		.amdhsa_system_sgpr_workgroup_id_z 0
		.amdhsa_system_sgpr_workgroup_info 0
		.amdhsa_system_vgpr_workitem_id 0
		.amdhsa_next_free_vgpr 1
		.amdhsa_next_free_sgpr 0
		.amdhsa_reserve_vcc 0
		.amdhsa_reserve_flat_scratch 0
		.amdhsa_float_round_mode_32 0
		.amdhsa_float_round_mode_16_64 0
		.amdhsa_float_denorm_mode_32 3
		.amdhsa_float_denorm_mode_16_64 3
		.amdhsa_dx10_clamp 1
		.amdhsa_ieee_mode 1
		.amdhsa_fp16_overflow 0
		.amdhsa_exception_fp_ieee_invalid_op 0
		.amdhsa_exception_fp_denorm_src 0
		.amdhsa_exception_fp_ieee_div_zero 0
		.amdhsa_exception_fp_ieee_overflow 0
		.amdhsa_exception_fp_ieee_underflow 0
		.amdhsa_exception_fp_ieee_inexact 0
		.amdhsa_exception_int_div_zero 0
	.end_amdhsa_kernel
	.section	.text._ZN7rocprim17ROCPRIM_400000_NS6detail17trampoline_kernelINS0_14default_configENS1_25partition_config_selectorILNS1_17partition_subalgoE8EsNS0_10empty_typeEbEEZZNS1_14partition_implILS5_8ELb0ES3_jN6thrust23THRUST_200600_302600_NS6detail15normal_iteratorINSA_10device_ptrIsEEEEPS6_PKS6_NS0_5tupleIJNSA_16discard_iteratorINSA_11use_defaultEEES6_EEENSJ_IJSG_SG_EEENS0_18inequality_wrapperINSA_8equal_toIsEEEEPmJS6_EEE10hipError_tPvRmT3_T4_T5_T6_T7_T9_mT8_P12ihipStream_tbDpT10_ENKUlT_T0_E_clISt17integral_constantIbLb1EES1C_IbLb0EEEEDaS18_S19_EUlS18_E_NS1_11comp_targetILNS1_3genE8ELNS1_11target_archE1030ELNS1_3gpuE2ELNS1_3repE0EEENS1_30default_config_static_selectorELNS0_4arch9wavefront6targetE1EEEvT1_,"axG",@progbits,_ZN7rocprim17ROCPRIM_400000_NS6detail17trampoline_kernelINS0_14default_configENS1_25partition_config_selectorILNS1_17partition_subalgoE8EsNS0_10empty_typeEbEEZZNS1_14partition_implILS5_8ELb0ES3_jN6thrust23THRUST_200600_302600_NS6detail15normal_iteratorINSA_10device_ptrIsEEEEPS6_PKS6_NS0_5tupleIJNSA_16discard_iteratorINSA_11use_defaultEEES6_EEENSJ_IJSG_SG_EEENS0_18inequality_wrapperINSA_8equal_toIsEEEEPmJS6_EEE10hipError_tPvRmT3_T4_T5_T6_T7_T9_mT8_P12ihipStream_tbDpT10_ENKUlT_T0_E_clISt17integral_constantIbLb1EES1C_IbLb0EEEEDaS18_S19_EUlS18_E_NS1_11comp_targetILNS1_3genE8ELNS1_11target_archE1030ELNS1_3gpuE2ELNS1_3repE0EEENS1_30default_config_static_selectorELNS0_4arch9wavefront6targetE1EEEvT1_,comdat
.Lfunc_end716:
	.size	_ZN7rocprim17ROCPRIM_400000_NS6detail17trampoline_kernelINS0_14default_configENS1_25partition_config_selectorILNS1_17partition_subalgoE8EsNS0_10empty_typeEbEEZZNS1_14partition_implILS5_8ELb0ES3_jN6thrust23THRUST_200600_302600_NS6detail15normal_iteratorINSA_10device_ptrIsEEEEPS6_PKS6_NS0_5tupleIJNSA_16discard_iteratorINSA_11use_defaultEEES6_EEENSJ_IJSG_SG_EEENS0_18inequality_wrapperINSA_8equal_toIsEEEEPmJS6_EEE10hipError_tPvRmT3_T4_T5_T6_T7_T9_mT8_P12ihipStream_tbDpT10_ENKUlT_T0_E_clISt17integral_constantIbLb1EES1C_IbLb0EEEEDaS18_S19_EUlS18_E_NS1_11comp_targetILNS1_3genE8ELNS1_11target_archE1030ELNS1_3gpuE2ELNS1_3repE0EEENS1_30default_config_static_selectorELNS0_4arch9wavefront6targetE1EEEvT1_, .Lfunc_end716-_ZN7rocprim17ROCPRIM_400000_NS6detail17trampoline_kernelINS0_14default_configENS1_25partition_config_selectorILNS1_17partition_subalgoE8EsNS0_10empty_typeEbEEZZNS1_14partition_implILS5_8ELb0ES3_jN6thrust23THRUST_200600_302600_NS6detail15normal_iteratorINSA_10device_ptrIsEEEEPS6_PKS6_NS0_5tupleIJNSA_16discard_iteratorINSA_11use_defaultEEES6_EEENSJ_IJSG_SG_EEENS0_18inequality_wrapperINSA_8equal_toIsEEEEPmJS6_EEE10hipError_tPvRmT3_T4_T5_T6_T7_T9_mT8_P12ihipStream_tbDpT10_ENKUlT_T0_E_clISt17integral_constantIbLb1EES1C_IbLb0EEEEDaS18_S19_EUlS18_E_NS1_11comp_targetILNS1_3genE8ELNS1_11target_archE1030ELNS1_3gpuE2ELNS1_3repE0EEENS1_30default_config_static_selectorELNS0_4arch9wavefront6targetE1EEEvT1_
                                        ; -- End function
	.set _ZN7rocprim17ROCPRIM_400000_NS6detail17trampoline_kernelINS0_14default_configENS1_25partition_config_selectorILNS1_17partition_subalgoE8EsNS0_10empty_typeEbEEZZNS1_14partition_implILS5_8ELb0ES3_jN6thrust23THRUST_200600_302600_NS6detail15normal_iteratorINSA_10device_ptrIsEEEEPS6_PKS6_NS0_5tupleIJNSA_16discard_iteratorINSA_11use_defaultEEES6_EEENSJ_IJSG_SG_EEENS0_18inequality_wrapperINSA_8equal_toIsEEEEPmJS6_EEE10hipError_tPvRmT3_T4_T5_T6_T7_T9_mT8_P12ihipStream_tbDpT10_ENKUlT_T0_E_clISt17integral_constantIbLb1EES1C_IbLb0EEEEDaS18_S19_EUlS18_E_NS1_11comp_targetILNS1_3genE8ELNS1_11target_archE1030ELNS1_3gpuE2ELNS1_3repE0EEENS1_30default_config_static_selectorELNS0_4arch9wavefront6targetE1EEEvT1_.num_vgpr, 0
	.set _ZN7rocprim17ROCPRIM_400000_NS6detail17trampoline_kernelINS0_14default_configENS1_25partition_config_selectorILNS1_17partition_subalgoE8EsNS0_10empty_typeEbEEZZNS1_14partition_implILS5_8ELb0ES3_jN6thrust23THRUST_200600_302600_NS6detail15normal_iteratorINSA_10device_ptrIsEEEEPS6_PKS6_NS0_5tupleIJNSA_16discard_iteratorINSA_11use_defaultEEES6_EEENSJ_IJSG_SG_EEENS0_18inequality_wrapperINSA_8equal_toIsEEEEPmJS6_EEE10hipError_tPvRmT3_T4_T5_T6_T7_T9_mT8_P12ihipStream_tbDpT10_ENKUlT_T0_E_clISt17integral_constantIbLb1EES1C_IbLb0EEEEDaS18_S19_EUlS18_E_NS1_11comp_targetILNS1_3genE8ELNS1_11target_archE1030ELNS1_3gpuE2ELNS1_3repE0EEENS1_30default_config_static_selectorELNS0_4arch9wavefront6targetE1EEEvT1_.num_agpr, 0
	.set _ZN7rocprim17ROCPRIM_400000_NS6detail17trampoline_kernelINS0_14default_configENS1_25partition_config_selectorILNS1_17partition_subalgoE8EsNS0_10empty_typeEbEEZZNS1_14partition_implILS5_8ELb0ES3_jN6thrust23THRUST_200600_302600_NS6detail15normal_iteratorINSA_10device_ptrIsEEEEPS6_PKS6_NS0_5tupleIJNSA_16discard_iteratorINSA_11use_defaultEEES6_EEENSJ_IJSG_SG_EEENS0_18inequality_wrapperINSA_8equal_toIsEEEEPmJS6_EEE10hipError_tPvRmT3_T4_T5_T6_T7_T9_mT8_P12ihipStream_tbDpT10_ENKUlT_T0_E_clISt17integral_constantIbLb1EES1C_IbLb0EEEEDaS18_S19_EUlS18_E_NS1_11comp_targetILNS1_3genE8ELNS1_11target_archE1030ELNS1_3gpuE2ELNS1_3repE0EEENS1_30default_config_static_selectorELNS0_4arch9wavefront6targetE1EEEvT1_.numbered_sgpr, 0
	.set _ZN7rocprim17ROCPRIM_400000_NS6detail17trampoline_kernelINS0_14default_configENS1_25partition_config_selectorILNS1_17partition_subalgoE8EsNS0_10empty_typeEbEEZZNS1_14partition_implILS5_8ELb0ES3_jN6thrust23THRUST_200600_302600_NS6detail15normal_iteratorINSA_10device_ptrIsEEEEPS6_PKS6_NS0_5tupleIJNSA_16discard_iteratorINSA_11use_defaultEEES6_EEENSJ_IJSG_SG_EEENS0_18inequality_wrapperINSA_8equal_toIsEEEEPmJS6_EEE10hipError_tPvRmT3_T4_T5_T6_T7_T9_mT8_P12ihipStream_tbDpT10_ENKUlT_T0_E_clISt17integral_constantIbLb1EES1C_IbLb0EEEEDaS18_S19_EUlS18_E_NS1_11comp_targetILNS1_3genE8ELNS1_11target_archE1030ELNS1_3gpuE2ELNS1_3repE0EEENS1_30default_config_static_selectorELNS0_4arch9wavefront6targetE1EEEvT1_.num_named_barrier, 0
	.set _ZN7rocprim17ROCPRIM_400000_NS6detail17trampoline_kernelINS0_14default_configENS1_25partition_config_selectorILNS1_17partition_subalgoE8EsNS0_10empty_typeEbEEZZNS1_14partition_implILS5_8ELb0ES3_jN6thrust23THRUST_200600_302600_NS6detail15normal_iteratorINSA_10device_ptrIsEEEEPS6_PKS6_NS0_5tupleIJNSA_16discard_iteratorINSA_11use_defaultEEES6_EEENSJ_IJSG_SG_EEENS0_18inequality_wrapperINSA_8equal_toIsEEEEPmJS6_EEE10hipError_tPvRmT3_T4_T5_T6_T7_T9_mT8_P12ihipStream_tbDpT10_ENKUlT_T0_E_clISt17integral_constantIbLb1EES1C_IbLb0EEEEDaS18_S19_EUlS18_E_NS1_11comp_targetILNS1_3genE8ELNS1_11target_archE1030ELNS1_3gpuE2ELNS1_3repE0EEENS1_30default_config_static_selectorELNS0_4arch9wavefront6targetE1EEEvT1_.private_seg_size, 0
	.set _ZN7rocprim17ROCPRIM_400000_NS6detail17trampoline_kernelINS0_14default_configENS1_25partition_config_selectorILNS1_17partition_subalgoE8EsNS0_10empty_typeEbEEZZNS1_14partition_implILS5_8ELb0ES3_jN6thrust23THRUST_200600_302600_NS6detail15normal_iteratorINSA_10device_ptrIsEEEEPS6_PKS6_NS0_5tupleIJNSA_16discard_iteratorINSA_11use_defaultEEES6_EEENSJ_IJSG_SG_EEENS0_18inequality_wrapperINSA_8equal_toIsEEEEPmJS6_EEE10hipError_tPvRmT3_T4_T5_T6_T7_T9_mT8_P12ihipStream_tbDpT10_ENKUlT_T0_E_clISt17integral_constantIbLb1EES1C_IbLb0EEEEDaS18_S19_EUlS18_E_NS1_11comp_targetILNS1_3genE8ELNS1_11target_archE1030ELNS1_3gpuE2ELNS1_3repE0EEENS1_30default_config_static_selectorELNS0_4arch9wavefront6targetE1EEEvT1_.uses_vcc, 0
	.set _ZN7rocprim17ROCPRIM_400000_NS6detail17trampoline_kernelINS0_14default_configENS1_25partition_config_selectorILNS1_17partition_subalgoE8EsNS0_10empty_typeEbEEZZNS1_14partition_implILS5_8ELb0ES3_jN6thrust23THRUST_200600_302600_NS6detail15normal_iteratorINSA_10device_ptrIsEEEEPS6_PKS6_NS0_5tupleIJNSA_16discard_iteratorINSA_11use_defaultEEES6_EEENSJ_IJSG_SG_EEENS0_18inequality_wrapperINSA_8equal_toIsEEEEPmJS6_EEE10hipError_tPvRmT3_T4_T5_T6_T7_T9_mT8_P12ihipStream_tbDpT10_ENKUlT_T0_E_clISt17integral_constantIbLb1EES1C_IbLb0EEEEDaS18_S19_EUlS18_E_NS1_11comp_targetILNS1_3genE8ELNS1_11target_archE1030ELNS1_3gpuE2ELNS1_3repE0EEENS1_30default_config_static_selectorELNS0_4arch9wavefront6targetE1EEEvT1_.uses_flat_scratch, 0
	.set _ZN7rocprim17ROCPRIM_400000_NS6detail17trampoline_kernelINS0_14default_configENS1_25partition_config_selectorILNS1_17partition_subalgoE8EsNS0_10empty_typeEbEEZZNS1_14partition_implILS5_8ELb0ES3_jN6thrust23THRUST_200600_302600_NS6detail15normal_iteratorINSA_10device_ptrIsEEEEPS6_PKS6_NS0_5tupleIJNSA_16discard_iteratorINSA_11use_defaultEEES6_EEENSJ_IJSG_SG_EEENS0_18inequality_wrapperINSA_8equal_toIsEEEEPmJS6_EEE10hipError_tPvRmT3_T4_T5_T6_T7_T9_mT8_P12ihipStream_tbDpT10_ENKUlT_T0_E_clISt17integral_constantIbLb1EES1C_IbLb0EEEEDaS18_S19_EUlS18_E_NS1_11comp_targetILNS1_3genE8ELNS1_11target_archE1030ELNS1_3gpuE2ELNS1_3repE0EEENS1_30default_config_static_selectorELNS0_4arch9wavefront6targetE1EEEvT1_.has_dyn_sized_stack, 0
	.set _ZN7rocprim17ROCPRIM_400000_NS6detail17trampoline_kernelINS0_14default_configENS1_25partition_config_selectorILNS1_17partition_subalgoE8EsNS0_10empty_typeEbEEZZNS1_14partition_implILS5_8ELb0ES3_jN6thrust23THRUST_200600_302600_NS6detail15normal_iteratorINSA_10device_ptrIsEEEEPS6_PKS6_NS0_5tupleIJNSA_16discard_iteratorINSA_11use_defaultEEES6_EEENSJ_IJSG_SG_EEENS0_18inequality_wrapperINSA_8equal_toIsEEEEPmJS6_EEE10hipError_tPvRmT3_T4_T5_T6_T7_T9_mT8_P12ihipStream_tbDpT10_ENKUlT_T0_E_clISt17integral_constantIbLb1EES1C_IbLb0EEEEDaS18_S19_EUlS18_E_NS1_11comp_targetILNS1_3genE8ELNS1_11target_archE1030ELNS1_3gpuE2ELNS1_3repE0EEENS1_30default_config_static_selectorELNS0_4arch9wavefront6targetE1EEEvT1_.has_recursion, 0
	.set _ZN7rocprim17ROCPRIM_400000_NS6detail17trampoline_kernelINS0_14default_configENS1_25partition_config_selectorILNS1_17partition_subalgoE8EsNS0_10empty_typeEbEEZZNS1_14partition_implILS5_8ELb0ES3_jN6thrust23THRUST_200600_302600_NS6detail15normal_iteratorINSA_10device_ptrIsEEEEPS6_PKS6_NS0_5tupleIJNSA_16discard_iteratorINSA_11use_defaultEEES6_EEENSJ_IJSG_SG_EEENS0_18inequality_wrapperINSA_8equal_toIsEEEEPmJS6_EEE10hipError_tPvRmT3_T4_T5_T6_T7_T9_mT8_P12ihipStream_tbDpT10_ENKUlT_T0_E_clISt17integral_constantIbLb1EES1C_IbLb0EEEEDaS18_S19_EUlS18_E_NS1_11comp_targetILNS1_3genE8ELNS1_11target_archE1030ELNS1_3gpuE2ELNS1_3repE0EEENS1_30default_config_static_selectorELNS0_4arch9wavefront6targetE1EEEvT1_.has_indirect_call, 0
	.section	.AMDGPU.csdata,"",@progbits
; Kernel info:
; codeLenInByte = 0
; TotalNumSgprs: 4
; NumVgprs: 0
; ScratchSize: 0
; MemoryBound: 0
; FloatMode: 240
; IeeeMode: 1
; LDSByteSize: 0 bytes/workgroup (compile time only)
; SGPRBlocks: 0
; VGPRBlocks: 0
; NumSGPRsForWavesPerEU: 4
; NumVGPRsForWavesPerEU: 1
; Occupancy: 10
; WaveLimiterHint : 0
; COMPUTE_PGM_RSRC2:SCRATCH_EN: 0
; COMPUTE_PGM_RSRC2:USER_SGPR: 6
; COMPUTE_PGM_RSRC2:TRAP_HANDLER: 0
; COMPUTE_PGM_RSRC2:TGID_X_EN: 1
; COMPUTE_PGM_RSRC2:TGID_Y_EN: 0
; COMPUTE_PGM_RSRC2:TGID_Z_EN: 0
; COMPUTE_PGM_RSRC2:TIDIG_COMP_CNT: 0
	.section	.text._ZN7rocprim17ROCPRIM_400000_NS6detail17trampoline_kernelINS0_14default_configENS1_25partition_config_selectorILNS1_17partition_subalgoE8EsNS0_10empty_typeEbEEZZNS1_14partition_implILS5_8ELb0ES3_jN6thrust23THRUST_200600_302600_NS6detail15normal_iteratorINSA_10device_ptrIsEEEEPS6_PKS6_NS0_5tupleIJNSA_16discard_iteratorINSA_11use_defaultEEES6_EEENSJ_IJSG_SG_EEENS0_18inequality_wrapperINSA_8equal_toIsEEEEPmJS6_EEE10hipError_tPvRmT3_T4_T5_T6_T7_T9_mT8_P12ihipStream_tbDpT10_ENKUlT_T0_E_clISt17integral_constantIbLb0EES1C_IbLb1EEEEDaS18_S19_EUlS18_E_NS1_11comp_targetILNS1_3genE0ELNS1_11target_archE4294967295ELNS1_3gpuE0ELNS1_3repE0EEENS1_30default_config_static_selectorELNS0_4arch9wavefront6targetE1EEEvT1_,"axG",@progbits,_ZN7rocprim17ROCPRIM_400000_NS6detail17trampoline_kernelINS0_14default_configENS1_25partition_config_selectorILNS1_17partition_subalgoE8EsNS0_10empty_typeEbEEZZNS1_14partition_implILS5_8ELb0ES3_jN6thrust23THRUST_200600_302600_NS6detail15normal_iteratorINSA_10device_ptrIsEEEEPS6_PKS6_NS0_5tupleIJNSA_16discard_iteratorINSA_11use_defaultEEES6_EEENSJ_IJSG_SG_EEENS0_18inequality_wrapperINSA_8equal_toIsEEEEPmJS6_EEE10hipError_tPvRmT3_T4_T5_T6_T7_T9_mT8_P12ihipStream_tbDpT10_ENKUlT_T0_E_clISt17integral_constantIbLb0EES1C_IbLb1EEEEDaS18_S19_EUlS18_E_NS1_11comp_targetILNS1_3genE0ELNS1_11target_archE4294967295ELNS1_3gpuE0ELNS1_3repE0EEENS1_30default_config_static_selectorELNS0_4arch9wavefront6targetE1EEEvT1_,comdat
	.protected	_ZN7rocprim17ROCPRIM_400000_NS6detail17trampoline_kernelINS0_14default_configENS1_25partition_config_selectorILNS1_17partition_subalgoE8EsNS0_10empty_typeEbEEZZNS1_14partition_implILS5_8ELb0ES3_jN6thrust23THRUST_200600_302600_NS6detail15normal_iteratorINSA_10device_ptrIsEEEEPS6_PKS6_NS0_5tupleIJNSA_16discard_iteratorINSA_11use_defaultEEES6_EEENSJ_IJSG_SG_EEENS0_18inequality_wrapperINSA_8equal_toIsEEEEPmJS6_EEE10hipError_tPvRmT3_T4_T5_T6_T7_T9_mT8_P12ihipStream_tbDpT10_ENKUlT_T0_E_clISt17integral_constantIbLb0EES1C_IbLb1EEEEDaS18_S19_EUlS18_E_NS1_11comp_targetILNS1_3genE0ELNS1_11target_archE4294967295ELNS1_3gpuE0ELNS1_3repE0EEENS1_30default_config_static_selectorELNS0_4arch9wavefront6targetE1EEEvT1_ ; -- Begin function _ZN7rocprim17ROCPRIM_400000_NS6detail17trampoline_kernelINS0_14default_configENS1_25partition_config_selectorILNS1_17partition_subalgoE8EsNS0_10empty_typeEbEEZZNS1_14partition_implILS5_8ELb0ES3_jN6thrust23THRUST_200600_302600_NS6detail15normal_iteratorINSA_10device_ptrIsEEEEPS6_PKS6_NS0_5tupleIJNSA_16discard_iteratorINSA_11use_defaultEEES6_EEENSJ_IJSG_SG_EEENS0_18inequality_wrapperINSA_8equal_toIsEEEEPmJS6_EEE10hipError_tPvRmT3_T4_T5_T6_T7_T9_mT8_P12ihipStream_tbDpT10_ENKUlT_T0_E_clISt17integral_constantIbLb0EES1C_IbLb1EEEEDaS18_S19_EUlS18_E_NS1_11comp_targetILNS1_3genE0ELNS1_11target_archE4294967295ELNS1_3gpuE0ELNS1_3repE0EEENS1_30default_config_static_selectorELNS0_4arch9wavefront6targetE1EEEvT1_
	.globl	_ZN7rocprim17ROCPRIM_400000_NS6detail17trampoline_kernelINS0_14default_configENS1_25partition_config_selectorILNS1_17partition_subalgoE8EsNS0_10empty_typeEbEEZZNS1_14partition_implILS5_8ELb0ES3_jN6thrust23THRUST_200600_302600_NS6detail15normal_iteratorINSA_10device_ptrIsEEEEPS6_PKS6_NS0_5tupleIJNSA_16discard_iteratorINSA_11use_defaultEEES6_EEENSJ_IJSG_SG_EEENS0_18inequality_wrapperINSA_8equal_toIsEEEEPmJS6_EEE10hipError_tPvRmT3_T4_T5_T6_T7_T9_mT8_P12ihipStream_tbDpT10_ENKUlT_T0_E_clISt17integral_constantIbLb0EES1C_IbLb1EEEEDaS18_S19_EUlS18_E_NS1_11comp_targetILNS1_3genE0ELNS1_11target_archE4294967295ELNS1_3gpuE0ELNS1_3repE0EEENS1_30default_config_static_selectorELNS0_4arch9wavefront6targetE1EEEvT1_
	.p2align	8
	.type	_ZN7rocprim17ROCPRIM_400000_NS6detail17trampoline_kernelINS0_14default_configENS1_25partition_config_selectorILNS1_17partition_subalgoE8EsNS0_10empty_typeEbEEZZNS1_14partition_implILS5_8ELb0ES3_jN6thrust23THRUST_200600_302600_NS6detail15normal_iteratorINSA_10device_ptrIsEEEEPS6_PKS6_NS0_5tupleIJNSA_16discard_iteratorINSA_11use_defaultEEES6_EEENSJ_IJSG_SG_EEENS0_18inequality_wrapperINSA_8equal_toIsEEEEPmJS6_EEE10hipError_tPvRmT3_T4_T5_T6_T7_T9_mT8_P12ihipStream_tbDpT10_ENKUlT_T0_E_clISt17integral_constantIbLb0EES1C_IbLb1EEEEDaS18_S19_EUlS18_E_NS1_11comp_targetILNS1_3genE0ELNS1_11target_archE4294967295ELNS1_3gpuE0ELNS1_3repE0EEENS1_30default_config_static_selectorELNS0_4arch9wavefront6targetE1EEEvT1_,@function
_ZN7rocprim17ROCPRIM_400000_NS6detail17trampoline_kernelINS0_14default_configENS1_25partition_config_selectorILNS1_17partition_subalgoE8EsNS0_10empty_typeEbEEZZNS1_14partition_implILS5_8ELb0ES3_jN6thrust23THRUST_200600_302600_NS6detail15normal_iteratorINSA_10device_ptrIsEEEEPS6_PKS6_NS0_5tupleIJNSA_16discard_iteratorINSA_11use_defaultEEES6_EEENSJ_IJSG_SG_EEENS0_18inequality_wrapperINSA_8equal_toIsEEEEPmJS6_EEE10hipError_tPvRmT3_T4_T5_T6_T7_T9_mT8_P12ihipStream_tbDpT10_ENKUlT_T0_E_clISt17integral_constantIbLb0EES1C_IbLb1EEEEDaS18_S19_EUlS18_E_NS1_11comp_targetILNS1_3genE0ELNS1_11target_archE4294967295ELNS1_3gpuE0ELNS1_3repE0EEENS1_30default_config_static_selectorELNS0_4arch9wavefront6targetE1EEEvT1_: ; @_ZN7rocprim17ROCPRIM_400000_NS6detail17trampoline_kernelINS0_14default_configENS1_25partition_config_selectorILNS1_17partition_subalgoE8EsNS0_10empty_typeEbEEZZNS1_14partition_implILS5_8ELb0ES3_jN6thrust23THRUST_200600_302600_NS6detail15normal_iteratorINSA_10device_ptrIsEEEEPS6_PKS6_NS0_5tupleIJNSA_16discard_iteratorINSA_11use_defaultEEES6_EEENSJ_IJSG_SG_EEENS0_18inequality_wrapperINSA_8equal_toIsEEEEPmJS6_EEE10hipError_tPvRmT3_T4_T5_T6_T7_T9_mT8_P12ihipStream_tbDpT10_ENKUlT_T0_E_clISt17integral_constantIbLb0EES1C_IbLb1EEEEDaS18_S19_EUlS18_E_NS1_11comp_targetILNS1_3genE0ELNS1_11target_archE4294967295ELNS1_3gpuE0ELNS1_3repE0EEENS1_30default_config_static_selectorELNS0_4arch9wavefront6targetE1EEEvT1_
; %bb.0:
	.section	.rodata,"a",@progbits
	.p2align	6, 0x0
	.amdhsa_kernel _ZN7rocprim17ROCPRIM_400000_NS6detail17trampoline_kernelINS0_14default_configENS1_25partition_config_selectorILNS1_17partition_subalgoE8EsNS0_10empty_typeEbEEZZNS1_14partition_implILS5_8ELb0ES3_jN6thrust23THRUST_200600_302600_NS6detail15normal_iteratorINSA_10device_ptrIsEEEEPS6_PKS6_NS0_5tupleIJNSA_16discard_iteratorINSA_11use_defaultEEES6_EEENSJ_IJSG_SG_EEENS0_18inequality_wrapperINSA_8equal_toIsEEEEPmJS6_EEE10hipError_tPvRmT3_T4_T5_T6_T7_T9_mT8_P12ihipStream_tbDpT10_ENKUlT_T0_E_clISt17integral_constantIbLb0EES1C_IbLb1EEEEDaS18_S19_EUlS18_E_NS1_11comp_targetILNS1_3genE0ELNS1_11target_archE4294967295ELNS1_3gpuE0ELNS1_3repE0EEENS1_30default_config_static_selectorELNS0_4arch9wavefront6targetE1EEEvT1_
		.amdhsa_group_segment_fixed_size 0
		.amdhsa_private_segment_fixed_size 0
		.amdhsa_kernarg_size 136
		.amdhsa_user_sgpr_count 6
		.amdhsa_user_sgpr_private_segment_buffer 1
		.amdhsa_user_sgpr_dispatch_ptr 0
		.amdhsa_user_sgpr_queue_ptr 0
		.amdhsa_user_sgpr_kernarg_segment_ptr 1
		.amdhsa_user_sgpr_dispatch_id 0
		.amdhsa_user_sgpr_flat_scratch_init 0
		.amdhsa_user_sgpr_private_segment_size 0
		.amdhsa_uses_dynamic_stack 0
		.amdhsa_system_sgpr_private_segment_wavefront_offset 0
		.amdhsa_system_sgpr_workgroup_id_x 1
		.amdhsa_system_sgpr_workgroup_id_y 0
		.amdhsa_system_sgpr_workgroup_id_z 0
		.amdhsa_system_sgpr_workgroup_info 0
		.amdhsa_system_vgpr_workitem_id 0
		.amdhsa_next_free_vgpr 1
		.amdhsa_next_free_sgpr 0
		.amdhsa_reserve_vcc 0
		.amdhsa_reserve_flat_scratch 0
		.amdhsa_float_round_mode_32 0
		.amdhsa_float_round_mode_16_64 0
		.amdhsa_float_denorm_mode_32 3
		.amdhsa_float_denorm_mode_16_64 3
		.amdhsa_dx10_clamp 1
		.amdhsa_ieee_mode 1
		.amdhsa_fp16_overflow 0
		.amdhsa_exception_fp_ieee_invalid_op 0
		.amdhsa_exception_fp_denorm_src 0
		.amdhsa_exception_fp_ieee_div_zero 0
		.amdhsa_exception_fp_ieee_overflow 0
		.amdhsa_exception_fp_ieee_underflow 0
		.amdhsa_exception_fp_ieee_inexact 0
		.amdhsa_exception_int_div_zero 0
	.end_amdhsa_kernel
	.section	.text._ZN7rocprim17ROCPRIM_400000_NS6detail17trampoline_kernelINS0_14default_configENS1_25partition_config_selectorILNS1_17partition_subalgoE8EsNS0_10empty_typeEbEEZZNS1_14partition_implILS5_8ELb0ES3_jN6thrust23THRUST_200600_302600_NS6detail15normal_iteratorINSA_10device_ptrIsEEEEPS6_PKS6_NS0_5tupleIJNSA_16discard_iteratorINSA_11use_defaultEEES6_EEENSJ_IJSG_SG_EEENS0_18inequality_wrapperINSA_8equal_toIsEEEEPmJS6_EEE10hipError_tPvRmT3_T4_T5_T6_T7_T9_mT8_P12ihipStream_tbDpT10_ENKUlT_T0_E_clISt17integral_constantIbLb0EES1C_IbLb1EEEEDaS18_S19_EUlS18_E_NS1_11comp_targetILNS1_3genE0ELNS1_11target_archE4294967295ELNS1_3gpuE0ELNS1_3repE0EEENS1_30default_config_static_selectorELNS0_4arch9wavefront6targetE1EEEvT1_,"axG",@progbits,_ZN7rocprim17ROCPRIM_400000_NS6detail17trampoline_kernelINS0_14default_configENS1_25partition_config_selectorILNS1_17partition_subalgoE8EsNS0_10empty_typeEbEEZZNS1_14partition_implILS5_8ELb0ES3_jN6thrust23THRUST_200600_302600_NS6detail15normal_iteratorINSA_10device_ptrIsEEEEPS6_PKS6_NS0_5tupleIJNSA_16discard_iteratorINSA_11use_defaultEEES6_EEENSJ_IJSG_SG_EEENS0_18inequality_wrapperINSA_8equal_toIsEEEEPmJS6_EEE10hipError_tPvRmT3_T4_T5_T6_T7_T9_mT8_P12ihipStream_tbDpT10_ENKUlT_T0_E_clISt17integral_constantIbLb0EES1C_IbLb1EEEEDaS18_S19_EUlS18_E_NS1_11comp_targetILNS1_3genE0ELNS1_11target_archE4294967295ELNS1_3gpuE0ELNS1_3repE0EEENS1_30default_config_static_selectorELNS0_4arch9wavefront6targetE1EEEvT1_,comdat
.Lfunc_end717:
	.size	_ZN7rocprim17ROCPRIM_400000_NS6detail17trampoline_kernelINS0_14default_configENS1_25partition_config_selectorILNS1_17partition_subalgoE8EsNS0_10empty_typeEbEEZZNS1_14partition_implILS5_8ELb0ES3_jN6thrust23THRUST_200600_302600_NS6detail15normal_iteratorINSA_10device_ptrIsEEEEPS6_PKS6_NS0_5tupleIJNSA_16discard_iteratorINSA_11use_defaultEEES6_EEENSJ_IJSG_SG_EEENS0_18inequality_wrapperINSA_8equal_toIsEEEEPmJS6_EEE10hipError_tPvRmT3_T4_T5_T6_T7_T9_mT8_P12ihipStream_tbDpT10_ENKUlT_T0_E_clISt17integral_constantIbLb0EES1C_IbLb1EEEEDaS18_S19_EUlS18_E_NS1_11comp_targetILNS1_3genE0ELNS1_11target_archE4294967295ELNS1_3gpuE0ELNS1_3repE0EEENS1_30default_config_static_selectorELNS0_4arch9wavefront6targetE1EEEvT1_, .Lfunc_end717-_ZN7rocprim17ROCPRIM_400000_NS6detail17trampoline_kernelINS0_14default_configENS1_25partition_config_selectorILNS1_17partition_subalgoE8EsNS0_10empty_typeEbEEZZNS1_14partition_implILS5_8ELb0ES3_jN6thrust23THRUST_200600_302600_NS6detail15normal_iteratorINSA_10device_ptrIsEEEEPS6_PKS6_NS0_5tupleIJNSA_16discard_iteratorINSA_11use_defaultEEES6_EEENSJ_IJSG_SG_EEENS0_18inequality_wrapperINSA_8equal_toIsEEEEPmJS6_EEE10hipError_tPvRmT3_T4_T5_T6_T7_T9_mT8_P12ihipStream_tbDpT10_ENKUlT_T0_E_clISt17integral_constantIbLb0EES1C_IbLb1EEEEDaS18_S19_EUlS18_E_NS1_11comp_targetILNS1_3genE0ELNS1_11target_archE4294967295ELNS1_3gpuE0ELNS1_3repE0EEENS1_30default_config_static_selectorELNS0_4arch9wavefront6targetE1EEEvT1_
                                        ; -- End function
	.set _ZN7rocprim17ROCPRIM_400000_NS6detail17trampoline_kernelINS0_14default_configENS1_25partition_config_selectorILNS1_17partition_subalgoE8EsNS0_10empty_typeEbEEZZNS1_14partition_implILS5_8ELb0ES3_jN6thrust23THRUST_200600_302600_NS6detail15normal_iteratorINSA_10device_ptrIsEEEEPS6_PKS6_NS0_5tupleIJNSA_16discard_iteratorINSA_11use_defaultEEES6_EEENSJ_IJSG_SG_EEENS0_18inequality_wrapperINSA_8equal_toIsEEEEPmJS6_EEE10hipError_tPvRmT3_T4_T5_T6_T7_T9_mT8_P12ihipStream_tbDpT10_ENKUlT_T0_E_clISt17integral_constantIbLb0EES1C_IbLb1EEEEDaS18_S19_EUlS18_E_NS1_11comp_targetILNS1_3genE0ELNS1_11target_archE4294967295ELNS1_3gpuE0ELNS1_3repE0EEENS1_30default_config_static_selectorELNS0_4arch9wavefront6targetE1EEEvT1_.num_vgpr, 0
	.set _ZN7rocprim17ROCPRIM_400000_NS6detail17trampoline_kernelINS0_14default_configENS1_25partition_config_selectorILNS1_17partition_subalgoE8EsNS0_10empty_typeEbEEZZNS1_14partition_implILS5_8ELb0ES3_jN6thrust23THRUST_200600_302600_NS6detail15normal_iteratorINSA_10device_ptrIsEEEEPS6_PKS6_NS0_5tupleIJNSA_16discard_iteratorINSA_11use_defaultEEES6_EEENSJ_IJSG_SG_EEENS0_18inequality_wrapperINSA_8equal_toIsEEEEPmJS6_EEE10hipError_tPvRmT3_T4_T5_T6_T7_T9_mT8_P12ihipStream_tbDpT10_ENKUlT_T0_E_clISt17integral_constantIbLb0EES1C_IbLb1EEEEDaS18_S19_EUlS18_E_NS1_11comp_targetILNS1_3genE0ELNS1_11target_archE4294967295ELNS1_3gpuE0ELNS1_3repE0EEENS1_30default_config_static_selectorELNS0_4arch9wavefront6targetE1EEEvT1_.num_agpr, 0
	.set _ZN7rocprim17ROCPRIM_400000_NS6detail17trampoline_kernelINS0_14default_configENS1_25partition_config_selectorILNS1_17partition_subalgoE8EsNS0_10empty_typeEbEEZZNS1_14partition_implILS5_8ELb0ES3_jN6thrust23THRUST_200600_302600_NS6detail15normal_iteratorINSA_10device_ptrIsEEEEPS6_PKS6_NS0_5tupleIJNSA_16discard_iteratorINSA_11use_defaultEEES6_EEENSJ_IJSG_SG_EEENS0_18inequality_wrapperINSA_8equal_toIsEEEEPmJS6_EEE10hipError_tPvRmT3_T4_T5_T6_T7_T9_mT8_P12ihipStream_tbDpT10_ENKUlT_T0_E_clISt17integral_constantIbLb0EES1C_IbLb1EEEEDaS18_S19_EUlS18_E_NS1_11comp_targetILNS1_3genE0ELNS1_11target_archE4294967295ELNS1_3gpuE0ELNS1_3repE0EEENS1_30default_config_static_selectorELNS0_4arch9wavefront6targetE1EEEvT1_.numbered_sgpr, 0
	.set _ZN7rocprim17ROCPRIM_400000_NS6detail17trampoline_kernelINS0_14default_configENS1_25partition_config_selectorILNS1_17partition_subalgoE8EsNS0_10empty_typeEbEEZZNS1_14partition_implILS5_8ELb0ES3_jN6thrust23THRUST_200600_302600_NS6detail15normal_iteratorINSA_10device_ptrIsEEEEPS6_PKS6_NS0_5tupleIJNSA_16discard_iteratorINSA_11use_defaultEEES6_EEENSJ_IJSG_SG_EEENS0_18inequality_wrapperINSA_8equal_toIsEEEEPmJS6_EEE10hipError_tPvRmT3_T4_T5_T6_T7_T9_mT8_P12ihipStream_tbDpT10_ENKUlT_T0_E_clISt17integral_constantIbLb0EES1C_IbLb1EEEEDaS18_S19_EUlS18_E_NS1_11comp_targetILNS1_3genE0ELNS1_11target_archE4294967295ELNS1_3gpuE0ELNS1_3repE0EEENS1_30default_config_static_selectorELNS0_4arch9wavefront6targetE1EEEvT1_.num_named_barrier, 0
	.set _ZN7rocprim17ROCPRIM_400000_NS6detail17trampoline_kernelINS0_14default_configENS1_25partition_config_selectorILNS1_17partition_subalgoE8EsNS0_10empty_typeEbEEZZNS1_14partition_implILS5_8ELb0ES3_jN6thrust23THRUST_200600_302600_NS6detail15normal_iteratorINSA_10device_ptrIsEEEEPS6_PKS6_NS0_5tupleIJNSA_16discard_iteratorINSA_11use_defaultEEES6_EEENSJ_IJSG_SG_EEENS0_18inequality_wrapperINSA_8equal_toIsEEEEPmJS6_EEE10hipError_tPvRmT3_T4_T5_T6_T7_T9_mT8_P12ihipStream_tbDpT10_ENKUlT_T0_E_clISt17integral_constantIbLb0EES1C_IbLb1EEEEDaS18_S19_EUlS18_E_NS1_11comp_targetILNS1_3genE0ELNS1_11target_archE4294967295ELNS1_3gpuE0ELNS1_3repE0EEENS1_30default_config_static_selectorELNS0_4arch9wavefront6targetE1EEEvT1_.private_seg_size, 0
	.set _ZN7rocprim17ROCPRIM_400000_NS6detail17trampoline_kernelINS0_14default_configENS1_25partition_config_selectorILNS1_17partition_subalgoE8EsNS0_10empty_typeEbEEZZNS1_14partition_implILS5_8ELb0ES3_jN6thrust23THRUST_200600_302600_NS6detail15normal_iteratorINSA_10device_ptrIsEEEEPS6_PKS6_NS0_5tupleIJNSA_16discard_iteratorINSA_11use_defaultEEES6_EEENSJ_IJSG_SG_EEENS0_18inequality_wrapperINSA_8equal_toIsEEEEPmJS6_EEE10hipError_tPvRmT3_T4_T5_T6_T7_T9_mT8_P12ihipStream_tbDpT10_ENKUlT_T0_E_clISt17integral_constantIbLb0EES1C_IbLb1EEEEDaS18_S19_EUlS18_E_NS1_11comp_targetILNS1_3genE0ELNS1_11target_archE4294967295ELNS1_3gpuE0ELNS1_3repE0EEENS1_30default_config_static_selectorELNS0_4arch9wavefront6targetE1EEEvT1_.uses_vcc, 0
	.set _ZN7rocprim17ROCPRIM_400000_NS6detail17trampoline_kernelINS0_14default_configENS1_25partition_config_selectorILNS1_17partition_subalgoE8EsNS0_10empty_typeEbEEZZNS1_14partition_implILS5_8ELb0ES3_jN6thrust23THRUST_200600_302600_NS6detail15normal_iteratorINSA_10device_ptrIsEEEEPS6_PKS6_NS0_5tupleIJNSA_16discard_iteratorINSA_11use_defaultEEES6_EEENSJ_IJSG_SG_EEENS0_18inequality_wrapperINSA_8equal_toIsEEEEPmJS6_EEE10hipError_tPvRmT3_T4_T5_T6_T7_T9_mT8_P12ihipStream_tbDpT10_ENKUlT_T0_E_clISt17integral_constantIbLb0EES1C_IbLb1EEEEDaS18_S19_EUlS18_E_NS1_11comp_targetILNS1_3genE0ELNS1_11target_archE4294967295ELNS1_3gpuE0ELNS1_3repE0EEENS1_30default_config_static_selectorELNS0_4arch9wavefront6targetE1EEEvT1_.uses_flat_scratch, 0
	.set _ZN7rocprim17ROCPRIM_400000_NS6detail17trampoline_kernelINS0_14default_configENS1_25partition_config_selectorILNS1_17partition_subalgoE8EsNS0_10empty_typeEbEEZZNS1_14partition_implILS5_8ELb0ES3_jN6thrust23THRUST_200600_302600_NS6detail15normal_iteratorINSA_10device_ptrIsEEEEPS6_PKS6_NS0_5tupleIJNSA_16discard_iteratorINSA_11use_defaultEEES6_EEENSJ_IJSG_SG_EEENS0_18inequality_wrapperINSA_8equal_toIsEEEEPmJS6_EEE10hipError_tPvRmT3_T4_T5_T6_T7_T9_mT8_P12ihipStream_tbDpT10_ENKUlT_T0_E_clISt17integral_constantIbLb0EES1C_IbLb1EEEEDaS18_S19_EUlS18_E_NS1_11comp_targetILNS1_3genE0ELNS1_11target_archE4294967295ELNS1_3gpuE0ELNS1_3repE0EEENS1_30default_config_static_selectorELNS0_4arch9wavefront6targetE1EEEvT1_.has_dyn_sized_stack, 0
	.set _ZN7rocprim17ROCPRIM_400000_NS6detail17trampoline_kernelINS0_14default_configENS1_25partition_config_selectorILNS1_17partition_subalgoE8EsNS0_10empty_typeEbEEZZNS1_14partition_implILS5_8ELb0ES3_jN6thrust23THRUST_200600_302600_NS6detail15normal_iteratorINSA_10device_ptrIsEEEEPS6_PKS6_NS0_5tupleIJNSA_16discard_iteratorINSA_11use_defaultEEES6_EEENSJ_IJSG_SG_EEENS0_18inequality_wrapperINSA_8equal_toIsEEEEPmJS6_EEE10hipError_tPvRmT3_T4_T5_T6_T7_T9_mT8_P12ihipStream_tbDpT10_ENKUlT_T0_E_clISt17integral_constantIbLb0EES1C_IbLb1EEEEDaS18_S19_EUlS18_E_NS1_11comp_targetILNS1_3genE0ELNS1_11target_archE4294967295ELNS1_3gpuE0ELNS1_3repE0EEENS1_30default_config_static_selectorELNS0_4arch9wavefront6targetE1EEEvT1_.has_recursion, 0
	.set _ZN7rocprim17ROCPRIM_400000_NS6detail17trampoline_kernelINS0_14default_configENS1_25partition_config_selectorILNS1_17partition_subalgoE8EsNS0_10empty_typeEbEEZZNS1_14partition_implILS5_8ELb0ES3_jN6thrust23THRUST_200600_302600_NS6detail15normal_iteratorINSA_10device_ptrIsEEEEPS6_PKS6_NS0_5tupleIJNSA_16discard_iteratorINSA_11use_defaultEEES6_EEENSJ_IJSG_SG_EEENS0_18inequality_wrapperINSA_8equal_toIsEEEEPmJS6_EEE10hipError_tPvRmT3_T4_T5_T6_T7_T9_mT8_P12ihipStream_tbDpT10_ENKUlT_T0_E_clISt17integral_constantIbLb0EES1C_IbLb1EEEEDaS18_S19_EUlS18_E_NS1_11comp_targetILNS1_3genE0ELNS1_11target_archE4294967295ELNS1_3gpuE0ELNS1_3repE0EEENS1_30default_config_static_selectorELNS0_4arch9wavefront6targetE1EEEvT1_.has_indirect_call, 0
	.section	.AMDGPU.csdata,"",@progbits
; Kernel info:
; codeLenInByte = 0
; TotalNumSgprs: 4
; NumVgprs: 0
; ScratchSize: 0
; MemoryBound: 0
; FloatMode: 240
; IeeeMode: 1
; LDSByteSize: 0 bytes/workgroup (compile time only)
; SGPRBlocks: 0
; VGPRBlocks: 0
; NumSGPRsForWavesPerEU: 4
; NumVGPRsForWavesPerEU: 1
; Occupancy: 10
; WaveLimiterHint : 0
; COMPUTE_PGM_RSRC2:SCRATCH_EN: 0
; COMPUTE_PGM_RSRC2:USER_SGPR: 6
; COMPUTE_PGM_RSRC2:TRAP_HANDLER: 0
; COMPUTE_PGM_RSRC2:TGID_X_EN: 1
; COMPUTE_PGM_RSRC2:TGID_Y_EN: 0
; COMPUTE_PGM_RSRC2:TGID_Z_EN: 0
; COMPUTE_PGM_RSRC2:TIDIG_COMP_CNT: 0
	.section	.text._ZN7rocprim17ROCPRIM_400000_NS6detail17trampoline_kernelINS0_14default_configENS1_25partition_config_selectorILNS1_17partition_subalgoE8EsNS0_10empty_typeEbEEZZNS1_14partition_implILS5_8ELb0ES3_jN6thrust23THRUST_200600_302600_NS6detail15normal_iteratorINSA_10device_ptrIsEEEEPS6_PKS6_NS0_5tupleIJNSA_16discard_iteratorINSA_11use_defaultEEES6_EEENSJ_IJSG_SG_EEENS0_18inequality_wrapperINSA_8equal_toIsEEEEPmJS6_EEE10hipError_tPvRmT3_T4_T5_T6_T7_T9_mT8_P12ihipStream_tbDpT10_ENKUlT_T0_E_clISt17integral_constantIbLb0EES1C_IbLb1EEEEDaS18_S19_EUlS18_E_NS1_11comp_targetILNS1_3genE5ELNS1_11target_archE942ELNS1_3gpuE9ELNS1_3repE0EEENS1_30default_config_static_selectorELNS0_4arch9wavefront6targetE1EEEvT1_,"axG",@progbits,_ZN7rocprim17ROCPRIM_400000_NS6detail17trampoline_kernelINS0_14default_configENS1_25partition_config_selectorILNS1_17partition_subalgoE8EsNS0_10empty_typeEbEEZZNS1_14partition_implILS5_8ELb0ES3_jN6thrust23THRUST_200600_302600_NS6detail15normal_iteratorINSA_10device_ptrIsEEEEPS6_PKS6_NS0_5tupleIJNSA_16discard_iteratorINSA_11use_defaultEEES6_EEENSJ_IJSG_SG_EEENS0_18inequality_wrapperINSA_8equal_toIsEEEEPmJS6_EEE10hipError_tPvRmT3_T4_T5_T6_T7_T9_mT8_P12ihipStream_tbDpT10_ENKUlT_T0_E_clISt17integral_constantIbLb0EES1C_IbLb1EEEEDaS18_S19_EUlS18_E_NS1_11comp_targetILNS1_3genE5ELNS1_11target_archE942ELNS1_3gpuE9ELNS1_3repE0EEENS1_30default_config_static_selectorELNS0_4arch9wavefront6targetE1EEEvT1_,comdat
	.protected	_ZN7rocprim17ROCPRIM_400000_NS6detail17trampoline_kernelINS0_14default_configENS1_25partition_config_selectorILNS1_17partition_subalgoE8EsNS0_10empty_typeEbEEZZNS1_14partition_implILS5_8ELb0ES3_jN6thrust23THRUST_200600_302600_NS6detail15normal_iteratorINSA_10device_ptrIsEEEEPS6_PKS6_NS0_5tupleIJNSA_16discard_iteratorINSA_11use_defaultEEES6_EEENSJ_IJSG_SG_EEENS0_18inequality_wrapperINSA_8equal_toIsEEEEPmJS6_EEE10hipError_tPvRmT3_T4_T5_T6_T7_T9_mT8_P12ihipStream_tbDpT10_ENKUlT_T0_E_clISt17integral_constantIbLb0EES1C_IbLb1EEEEDaS18_S19_EUlS18_E_NS1_11comp_targetILNS1_3genE5ELNS1_11target_archE942ELNS1_3gpuE9ELNS1_3repE0EEENS1_30default_config_static_selectorELNS0_4arch9wavefront6targetE1EEEvT1_ ; -- Begin function _ZN7rocprim17ROCPRIM_400000_NS6detail17trampoline_kernelINS0_14default_configENS1_25partition_config_selectorILNS1_17partition_subalgoE8EsNS0_10empty_typeEbEEZZNS1_14partition_implILS5_8ELb0ES3_jN6thrust23THRUST_200600_302600_NS6detail15normal_iteratorINSA_10device_ptrIsEEEEPS6_PKS6_NS0_5tupleIJNSA_16discard_iteratorINSA_11use_defaultEEES6_EEENSJ_IJSG_SG_EEENS0_18inequality_wrapperINSA_8equal_toIsEEEEPmJS6_EEE10hipError_tPvRmT3_T4_T5_T6_T7_T9_mT8_P12ihipStream_tbDpT10_ENKUlT_T0_E_clISt17integral_constantIbLb0EES1C_IbLb1EEEEDaS18_S19_EUlS18_E_NS1_11comp_targetILNS1_3genE5ELNS1_11target_archE942ELNS1_3gpuE9ELNS1_3repE0EEENS1_30default_config_static_selectorELNS0_4arch9wavefront6targetE1EEEvT1_
	.globl	_ZN7rocprim17ROCPRIM_400000_NS6detail17trampoline_kernelINS0_14default_configENS1_25partition_config_selectorILNS1_17partition_subalgoE8EsNS0_10empty_typeEbEEZZNS1_14partition_implILS5_8ELb0ES3_jN6thrust23THRUST_200600_302600_NS6detail15normal_iteratorINSA_10device_ptrIsEEEEPS6_PKS6_NS0_5tupleIJNSA_16discard_iteratorINSA_11use_defaultEEES6_EEENSJ_IJSG_SG_EEENS0_18inequality_wrapperINSA_8equal_toIsEEEEPmJS6_EEE10hipError_tPvRmT3_T4_T5_T6_T7_T9_mT8_P12ihipStream_tbDpT10_ENKUlT_T0_E_clISt17integral_constantIbLb0EES1C_IbLb1EEEEDaS18_S19_EUlS18_E_NS1_11comp_targetILNS1_3genE5ELNS1_11target_archE942ELNS1_3gpuE9ELNS1_3repE0EEENS1_30default_config_static_selectorELNS0_4arch9wavefront6targetE1EEEvT1_
	.p2align	8
	.type	_ZN7rocprim17ROCPRIM_400000_NS6detail17trampoline_kernelINS0_14default_configENS1_25partition_config_selectorILNS1_17partition_subalgoE8EsNS0_10empty_typeEbEEZZNS1_14partition_implILS5_8ELb0ES3_jN6thrust23THRUST_200600_302600_NS6detail15normal_iteratorINSA_10device_ptrIsEEEEPS6_PKS6_NS0_5tupleIJNSA_16discard_iteratorINSA_11use_defaultEEES6_EEENSJ_IJSG_SG_EEENS0_18inequality_wrapperINSA_8equal_toIsEEEEPmJS6_EEE10hipError_tPvRmT3_T4_T5_T6_T7_T9_mT8_P12ihipStream_tbDpT10_ENKUlT_T0_E_clISt17integral_constantIbLb0EES1C_IbLb1EEEEDaS18_S19_EUlS18_E_NS1_11comp_targetILNS1_3genE5ELNS1_11target_archE942ELNS1_3gpuE9ELNS1_3repE0EEENS1_30default_config_static_selectorELNS0_4arch9wavefront6targetE1EEEvT1_,@function
_ZN7rocprim17ROCPRIM_400000_NS6detail17trampoline_kernelINS0_14default_configENS1_25partition_config_selectorILNS1_17partition_subalgoE8EsNS0_10empty_typeEbEEZZNS1_14partition_implILS5_8ELb0ES3_jN6thrust23THRUST_200600_302600_NS6detail15normal_iteratorINSA_10device_ptrIsEEEEPS6_PKS6_NS0_5tupleIJNSA_16discard_iteratorINSA_11use_defaultEEES6_EEENSJ_IJSG_SG_EEENS0_18inequality_wrapperINSA_8equal_toIsEEEEPmJS6_EEE10hipError_tPvRmT3_T4_T5_T6_T7_T9_mT8_P12ihipStream_tbDpT10_ENKUlT_T0_E_clISt17integral_constantIbLb0EES1C_IbLb1EEEEDaS18_S19_EUlS18_E_NS1_11comp_targetILNS1_3genE5ELNS1_11target_archE942ELNS1_3gpuE9ELNS1_3repE0EEENS1_30default_config_static_selectorELNS0_4arch9wavefront6targetE1EEEvT1_: ; @_ZN7rocprim17ROCPRIM_400000_NS6detail17trampoline_kernelINS0_14default_configENS1_25partition_config_selectorILNS1_17partition_subalgoE8EsNS0_10empty_typeEbEEZZNS1_14partition_implILS5_8ELb0ES3_jN6thrust23THRUST_200600_302600_NS6detail15normal_iteratorINSA_10device_ptrIsEEEEPS6_PKS6_NS0_5tupleIJNSA_16discard_iteratorINSA_11use_defaultEEES6_EEENSJ_IJSG_SG_EEENS0_18inequality_wrapperINSA_8equal_toIsEEEEPmJS6_EEE10hipError_tPvRmT3_T4_T5_T6_T7_T9_mT8_P12ihipStream_tbDpT10_ENKUlT_T0_E_clISt17integral_constantIbLb0EES1C_IbLb1EEEEDaS18_S19_EUlS18_E_NS1_11comp_targetILNS1_3genE5ELNS1_11target_archE942ELNS1_3gpuE9ELNS1_3repE0EEENS1_30default_config_static_selectorELNS0_4arch9wavefront6targetE1EEEvT1_
; %bb.0:
	.section	.rodata,"a",@progbits
	.p2align	6, 0x0
	.amdhsa_kernel _ZN7rocprim17ROCPRIM_400000_NS6detail17trampoline_kernelINS0_14default_configENS1_25partition_config_selectorILNS1_17partition_subalgoE8EsNS0_10empty_typeEbEEZZNS1_14partition_implILS5_8ELb0ES3_jN6thrust23THRUST_200600_302600_NS6detail15normal_iteratorINSA_10device_ptrIsEEEEPS6_PKS6_NS0_5tupleIJNSA_16discard_iteratorINSA_11use_defaultEEES6_EEENSJ_IJSG_SG_EEENS0_18inequality_wrapperINSA_8equal_toIsEEEEPmJS6_EEE10hipError_tPvRmT3_T4_T5_T6_T7_T9_mT8_P12ihipStream_tbDpT10_ENKUlT_T0_E_clISt17integral_constantIbLb0EES1C_IbLb1EEEEDaS18_S19_EUlS18_E_NS1_11comp_targetILNS1_3genE5ELNS1_11target_archE942ELNS1_3gpuE9ELNS1_3repE0EEENS1_30default_config_static_selectorELNS0_4arch9wavefront6targetE1EEEvT1_
		.amdhsa_group_segment_fixed_size 0
		.amdhsa_private_segment_fixed_size 0
		.amdhsa_kernarg_size 136
		.amdhsa_user_sgpr_count 6
		.amdhsa_user_sgpr_private_segment_buffer 1
		.amdhsa_user_sgpr_dispatch_ptr 0
		.amdhsa_user_sgpr_queue_ptr 0
		.amdhsa_user_sgpr_kernarg_segment_ptr 1
		.amdhsa_user_sgpr_dispatch_id 0
		.amdhsa_user_sgpr_flat_scratch_init 0
		.amdhsa_user_sgpr_private_segment_size 0
		.amdhsa_uses_dynamic_stack 0
		.amdhsa_system_sgpr_private_segment_wavefront_offset 0
		.amdhsa_system_sgpr_workgroup_id_x 1
		.amdhsa_system_sgpr_workgroup_id_y 0
		.amdhsa_system_sgpr_workgroup_id_z 0
		.amdhsa_system_sgpr_workgroup_info 0
		.amdhsa_system_vgpr_workitem_id 0
		.amdhsa_next_free_vgpr 1
		.amdhsa_next_free_sgpr 0
		.amdhsa_reserve_vcc 0
		.amdhsa_reserve_flat_scratch 0
		.amdhsa_float_round_mode_32 0
		.amdhsa_float_round_mode_16_64 0
		.amdhsa_float_denorm_mode_32 3
		.amdhsa_float_denorm_mode_16_64 3
		.amdhsa_dx10_clamp 1
		.amdhsa_ieee_mode 1
		.amdhsa_fp16_overflow 0
		.amdhsa_exception_fp_ieee_invalid_op 0
		.amdhsa_exception_fp_denorm_src 0
		.amdhsa_exception_fp_ieee_div_zero 0
		.amdhsa_exception_fp_ieee_overflow 0
		.amdhsa_exception_fp_ieee_underflow 0
		.amdhsa_exception_fp_ieee_inexact 0
		.amdhsa_exception_int_div_zero 0
	.end_amdhsa_kernel
	.section	.text._ZN7rocprim17ROCPRIM_400000_NS6detail17trampoline_kernelINS0_14default_configENS1_25partition_config_selectorILNS1_17partition_subalgoE8EsNS0_10empty_typeEbEEZZNS1_14partition_implILS5_8ELb0ES3_jN6thrust23THRUST_200600_302600_NS6detail15normal_iteratorINSA_10device_ptrIsEEEEPS6_PKS6_NS0_5tupleIJNSA_16discard_iteratorINSA_11use_defaultEEES6_EEENSJ_IJSG_SG_EEENS0_18inequality_wrapperINSA_8equal_toIsEEEEPmJS6_EEE10hipError_tPvRmT3_T4_T5_T6_T7_T9_mT8_P12ihipStream_tbDpT10_ENKUlT_T0_E_clISt17integral_constantIbLb0EES1C_IbLb1EEEEDaS18_S19_EUlS18_E_NS1_11comp_targetILNS1_3genE5ELNS1_11target_archE942ELNS1_3gpuE9ELNS1_3repE0EEENS1_30default_config_static_selectorELNS0_4arch9wavefront6targetE1EEEvT1_,"axG",@progbits,_ZN7rocprim17ROCPRIM_400000_NS6detail17trampoline_kernelINS0_14default_configENS1_25partition_config_selectorILNS1_17partition_subalgoE8EsNS0_10empty_typeEbEEZZNS1_14partition_implILS5_8ELb0ES3_jN6thrust23THRUST_200600_302600_NS6detail15normal_iteratorINSA_10device_ptrIsEEEEPS6_PKS6_NS0_5tupleIJNSA_16discard_iteratorINSA_11use_defaultEEES6_EEENSJ_IJSG_SG_EEENS0_18inequality_wrapperINSA_8equal_toIsEEEEPmJS6_EEE10hipError_tPvRmT3_T4_T5_T6_T7_T9_mT8_P12ihipStream_tbDpT10_ENKUlT_T0_E_clISt17integral_constantIbLb0EES1C_IbLb1EEEEDaS18_S19_EUlS18_E_NS1_11comp_targetILNS1_3genE5ELNS1_11target_archE942ELNS1_3gpuE9ELNS1_3repE0EEENS1_30default_config_static_selectorELNS0_4arch9wavefront6targetE1EEEvT1_,comdat
.Lfunc_end718:
	.size	_ZN7rocprim17ROCPRIM_400000_NS6detail17trampoline_kernelINS0_14default_configENS1_25partition_config_selectorILNS1_17partition_subalgoE8EsNS0_10empty_typeEbEEZZNS1_14partition_implILS5_8ELb0ES3_jN6thrust23THRUST_200600_302600_NS6detail15normal_iteratorINSA_10device_ptrIsEEEEPS6_PKS6_NS0_5tupleIJNSA_16discard_iteratorINSA_11use_defaultEEES6_EEENSJ_IJSG_SG_EEENS0_18inequality_wrapperINSA_8equal_toIsEEEEPmJS6_EEE10hipError_tPvRmT3_T4_T5_T6_T7_T9_mT8_P12ihipStream_tbDpT10_ENKUlT_T0_E_clISt17integral_constantIbLb0EES1C_IbLb1EEEEDaS18_S19_EUlS18_E_NS1_11comp_targetILNS1_3genE5ELNS1_11target_archE942ELNS1_3gpuE9ELNS1_3repE0EEENS1_30default_config_static_selectorELNS0_4arch9wavefront6targetE1EEEvT1_, .Lfunc_end718-_ZN7rocprim17ROCPRIM_400000_NS6detail17trampoline_kernelINS0_14default_configENS1_25partition_config_selectorILNS1_17partition_subalgoE8EsNS0_10empty_typeEbEEZZNS1_14partition_implILS5_8ELb0ES3_jN6thrust23THRUST_200600_302600_NS6detail15normal_iteratorINSA_10device_ptrIsEEEEPS6_PKS6_NS0_5tupleIJNSA_16discard_iteratorINSA_11use_defaultEEES6_EEENSJ_IJSG_SG_EEENS0_18inequality_wrapperINSA_8equal_toIsEEEEPmJS6_EEE10hipError_tPvRmT3_T4_T5_T6_T7_T9_mT8_P12ihipStream_tbDpT10_ENKUlT_T0_E_clISt17integral_constantIbLb0EES1C_IbLb1EEEEDaS18_S19_EUlS18_E_NS1_11comp_targetILNS1_3genE5ELNS1_11target_archE942ELNS1_3gpuE9ELNS1_3repE0EEENS1_30default_config_static_selectorELNS0_4arch9wavefront6targetE1EEEvT1_
                                        ; -- End function
	.set _ZN7rocprim17ROCPRIM_400000_NS6detail17trampoline_kernelINS0_14default_configENS1_25partition_config_selectorILNS1_17partition_subalgoE8EsNS0_10empty_typeEbEEZZNS1_14partition_implILS5_8ELb0ES3_jN6thrust23THRUST_200600_302600_NS6detail15normal_iteratorINSA_10device_ptrIsEEEEPS6_PKS6_NS0_5tupleIJNSA_16discard_iteratorINSA_11use_defaultEEES6_EEENSJ_IJSG_SG_EEENS0_18inequality_wrapperINSA_8equal_toIsEEEEPmJS6_EEE10hipError_tPvRmT3_T4_T5_T6_T7_T9_mT8_P12ihipStream_tbDpT10_ENKUlT_T0_E_clISt17integral_constantIbLb0EES1C_IbLb1EEEEDaS18_S19_EUlS18_E_NS1_11comp_targetILNS1_3genE5ELNS1_11target_archE942ELNS1_3gpuE9ELNS1_3repE0EEENS1_30default_config_static_selectorELNS0_4arch9wavefront6targetE1EEEvT1_.num_vgpr, 0
	.set _ZN7rocprim17ROCPRIM_400000_NS6detail17trampoline_kernelINS0_14default_configENS1_25partition_config_selectorILNS1_17partition_subalgoE8EsNS0_10empty_typeEbEEZZNS1_14partition_implILS5_8ELb0ES3_jN6thrust23THRUST_200600_302600_NS6detail15normal_iteratorINSA_10device_ptrIsEEEEPS6_PKS6_NS0_5tupleIJNSA_16discard_iteratorINSA_11use_defaultEEES6_EEENSJ_IJSG_SG_EEENS0_18inequality_wrapperINSA_8equal_toIsEEEEPmJS6_EEE10hipError_tPvRmT3_T4_T5_T6_T7_T9_mT8_P12ihipStream_tbDpT10_ENKUlT_T0_E_clISt17integral_constantIbLb0EES1C_IbLb1EEEEDaS18_S19_EUlS18_E_NS1_11comp_targetILNS1_3genE5ELNS1_11target_archE942ELNS1_3gpuE9ELNS1_3repE0EEENS1_30default_config_static_selectorELNS0_4arch9wavefront6targetE1EEEvT1_.num_agpr, 0
	.set _ZN7rocprim17ROCPRIM_400000_NS6detail17trampoline_kernelINS0_14default_configENS1_25partition_config_selectorILNS1_17partition_subalgoE8EsNS0_10empty_typeEbEEZZNS1_14partition_implILS5_8ELb0ES3_jN6thrust23THRUST_200600_302600_NS6detail15normal_iteratorINSA_10device_ptrIsEEEEPS6_PKS6_NS0_5tupleIJNSA_16discard_iteratorINSA_11use_defaultEEES6_EEENSJ_IJSG_SG_EEENS0_18inequality_wrapperINSA_8equal_toIsEEEEPmJS6_EEE10hipError_tPvRmT3_T4_T5_T6_T7_T9_mT8_P12ihipStream_tbDpT10_ENKUlT_T0_E_clISt17integral_constantIbLb0EES1C_IbLb1EEEEDaS18_S19_EUlS18_E_NS1_11comp_targetILNS1_3genE5ELNS1_11target_archE942ELNS1_3gpuE9ELNS1_3repE0EEENS1_30default_config_static_selectorELNS0_4arch9wavefront6targetE1EEEvT1_.numbered_sgpr, 0
	.set _ZN7rocprim17ROCPRIM_400000_NS6detail17trampoline_kernelINS0_14default_configENS1_25partition_config_selectorILNS1_17partition_subalgoE8EsNS0_10empty_typeEbEEZZNS1_14partition_implILS5_8ELb0ES3_jN6thrust23THRUST_200600_302600_NS6detail15normal_iteratorINSA_10device_ptrIsEEEEPS6_PKS6_NS0_5tupleIJNSA_16discard_iteratorINSA_11use_defaultEEES6_EEENSJ_IJSG_SG_EEENS0_18inequality_wrapperINSA_8equal_toIsEEEEPmJS6_EEE10hipError_tPvRmT3_T4_T5_T6_T7_T9_mT8_P12ihipStream_tbDpT10_ENKUlT_T0_E_clISt17integral_constantIbLb0EES1C_IbLb1EEEEDaS18_S19_EUlS18_E_NS1_11comp_targetILNS1_3genE5ELNS1_11target_archE942ELNS1_3gpuE9ELNS1_3repE0EEENS1_30default_config_static_selectorELNS0_4arch9wavefront6targetE1EEEvT1_.num_named_barrier, 0
	.set _ZN7rocprim17ROCPRIM_400000_NS6detail17trampoline_kernelINS0_14default_configENS1_25partition_config_selectorILNS1_17partition_subalgoE8EsNS0_10empty_typeEbEEZZNS1_14partition_implILS5_8ELb0ES3_jN6thrust23THRUST_200600_302600_NS6detail15normal_iteratorINSA_10device_ptrIsEEEEPS6_PKS6_NS0_5tupleIJNSA_16discard_iteratorINSA_11use_defaultEEES6_EEENSJ_IJSG_SG_EEENS0_18inequality_wrapperINSA_8equal_toIsEEEEPmJS6_EEE10hipError_tPvRmT3_T4_T5_T6_T7_T9_mT8_P12ihipStream_tbDpT10_ENKUlT_T0_E_clISt17integral_constantIbLb0EES1C_IbLb1EEEEDaS18_S19_EUlS18_E_NS1_11comp_targetILNS1_3genE5ELNS1_11target_archE942ELNS1_3gpuE9ELNS1_3repE0EEENS1_30default_config_static_selectorELNS0_4arch9wavefront6targetE1EEEvT1_.private_seg_size, 0
	.set _ZN7rocprim17ROCPRIM_400000_NS6detail17trampoline_kernelINS0_14default_configENS1_25partition_config_selectorILNS1_17partition_subalgoE8EsNS0_10empty_typeEbEEZZNS1_14partition_implILS5_8ELb0ES3_jN6thrust23THRUST_200600_302600_NS6detail15normal_iteratorINSA_10device_ptrIsEEEEPS6_PKS6_NS0_5tupleIJNSA_16discard_iteratorINSA_11use_defaultEEES6_EEENSJ_IJSG_SG_EEENS0_18inequality_wrapperINSA_8equal_toIsEEEEPmJS6_EEE10hipError_tPvRmT3_T4_T5_T6_T7_T9_mT8_P12ihipStream_tbDpT10_ENKUlT_T0_E_clISt17integral_constantIbLb0EES1C_IbLb1EEEEDaS18_S19_EUlS18_E_NS1_11comp_targetILNS1_3genE5ELNS1_11target_archE942ELNS1_3gpuE9ELNS1_3repE0EEENS1_30default_config_static_selectorELNS0_4arch9wavefront6targetE1EEEvT1_.uses_vcc, 0
	.set _ZN7rocprim17ROCPRIM_400000_NS6detail17trampoline_kernelINS0_14default_configENS1_25partition_config_selectorILNS1_17partition_subalgoE8EsNS0_10empty_typeEbEEZZNS1_14partition_implILS5_8ELb0ES3_jN6thrust23THRUST_200600_302600_NS6detail15normal_iteratorINSA_10device_ptrIsEEEEPS6_PKS6_NS0_5tupleIJNSA_16discard_iteratorINSA_11use_defaultEEES6_EEENSJ_IJSG_SG_EEENS0_18inequality_wrapperINSA_8equal_toIsEEEEPmJS6_EEE10hipError_tPvRmT3_T4_T5_T6_T7_T9_mT8_P12ihipStream_tbDpT10_ENKUlT_T0_E_clISt17integral_constantIbLb0EES1C_IbLb1EEEEDaS18_S19_EUlS18_E_NS1_11comp_targetILNS1_3genE5ELNS1_11target_archE942ELNS1_3gpuE9ELNS1_3repE0EEENS1_30default_config_static_selectorELNS0_4arch9wavefront6targetE1EEEvT1_.uses_flat_scratch, 0
	.set _ZN7rocprim17ROCPRIM_400000_NS6detail17trampoline_kernelINS0_14default_configENS1_25partition_config_selectorILNS1_17partition_subalgoE8EsNS0_10empty_typeEbEEZZNS1_14partition_implILS5_8ELb0ES3_jN6thrust23THRUST_200600_302600_NS6detail15normal_iteratorINSA_10device_ptrIsEEEEPS6_PKS6_NS0_5tupleIJNSA_16discard_iteratorINSA_11use_defaultEEES6_EEENSJ_IJSG_SG_EEENS0_18inequality_wrapperINSA_8equal_toIsEEEEPmJS6_EEE10hipError_tPvRmT3_T4_T5_T6_T7_T9_mT8_P12ihipStream_tbDpT10_ENKUlT_T0_E_clISt17integral_constantIbLb0EES1C_IbLb1EEEEDaS18_S19_EUlS18_E_NS1_11comp_targetILNS1_3genE5ELNS1_11target_archE942ELNS1_3gpuE9ELNS1_3repE0EEENS1_30default_config_static_selectorELNS0_4arch9wavefront6targetE1EEEvT1_.has_dyn_sized_stack, 0
	.set _ZN7rocprim17ROCPRIM_400000_NS6detail17trampoline_kernelINS0_14default_configENS1_25partition_config_selectorILNS1_17partition_subalgoE8EsNS0_10empty_typeEbEEZZNS1_14partition_implILS5_8ELb0ES3_jN6thrust23THRUST_200600_302600_NS6detail15normal_iteratorINSA_10device_ptrIsEEEEPS6_PKS6_NS0_5tupleIJNSA_16discard_iteratorINSA_11use_defaultEEES6_EEENSJ_IJSG_SG_EEENS0_18inequality_wrapperINSA_8equal_toIsEEEEPmJS6_EEE10hipError_tPvRmT3_T4_T5_T6_T7_T9_mT8_P12ihipStream_tbDpT10_ENKUlT_T0_E_clISt17integral_constantIbLb0EES1C_IbLb1EEEEDaS18_S19_EUlS18_E_NS1_11comp_targetILNS1_3genE5ELNS1_11target_archE942ELNS1_3gpuE9ELNS1_3repE0EEENS1_30default_config_static_selectorELNS0_4arch9wavefront6targetE1EEEvT1_.has_recursion, 0
	.set _ZN7rocprim17ROCPRIM_400000_NS6detail17trampoline_kernelINS0_14default_configENS1_25partition_config_selectorILNS1_17partition_subalgoE8EsNS0_10empty_typeEbEEZZNS1_14partition_implILS5_8ELb0ES3_jN6thrust23THRUST_200600_302600_NS6detail15normal_iteratorINSA_10device_ptrIsEEEEPS6_PKS6_NS0_5tupleIJNSA_16discard_iteratorINSA_11use_defaultEEES6_EEENSJ_IJSG_SG_EEENS0_18inequality_wrapperINSA_8equal_toIsEEEEPmJS6_EEE10hipError_tPvRmT3_T4_T5_T6_T7_T9_mT8_P12ihipStream_tbDpT10_ENKUlT_T0_E_clISt17integral_constantIbLb0EES1C_IbLb1EEEEDaS18_S19_EUlS18_E_NS1_11comp_targetILNS1_3genE5ELNS1_11target_archE942ELNS1_3gpuE9ELNS1_3repE0EEENS1_30default_config_static_selectorELNS0_4arch9wavefront6targetE1EEEvT1_.has_indirect_call, 0
	.section	.AMDGPU.csdata,"",@progbits
; Kernel info:
; codeLenInByte = 0
; TotalNumSgprs: 4
; NumVgprs: 0
; ScratchSize: 0
; MemoryBound: 0
; FloatMode: 240
; IeeeMode: 1
; LDSByteSize: 0 bytes/workgroup (compile time only)
; SGPRBlocks: 0
; VGPRBlocks: 0
; NumSGPRsForWavesPerEU: 4
; NumVGPRsForWavesPerEU: 1
; Occupancy: 10
; WaveLimiterHint : 0
; COMPUTE_PGM_RSRC2:SCRATCH_EN: 0
; COMPUTE_PGM_RSRC2:USER_SGPR: 6
; COMPUTE_PGM_RSRC2:TRAP_HANDLER: 0
; COMPUTE_PGM_RSRC2:TGID_X_EN: 1
; COMPUTE_PGM_RSRC2:TGID_Y_EN: 0
; COMPUTE_PGM_RSRC2:TGID_Z_EN: 0
; COMPUTE_PGM_RSRC2:TIDIG_COMP_CNT: 0
	.section	.text._ZN7rocprim17ROCPRIM_400000_NS6detail17trampoline_kernelINS0_14default_configENS1_25partition_config_selectorILNS1_17partition_subalgoE8EsNS0_10empty_typeEbEEZZNS1_14partition_implILS5_8ELb0ES3_jN6thrust23THRUST_200600_302600_NS6detail15normal_iteratorINSA_10device_ptrIsEEEEPS6_PKS6_NS0_5tupleIJNSA_16discard_iteratorINSA_11use_defaultEEES6_EEENSJ_IJSG_SG_EEENS0_18inequality_wrapperINSA_8equal_toIsEEEEPmJS6_EEE10hipError_tPvRmT3_T4_T5_T6_T7_T9_mT8_P12ihipStream_tbDpT10_ENKUlT_T0_E_clISt17integral_constantIbLb0EES1C_IbLb1EEEEDaS18_S19_EUlS18_E_NS1_11comp_targetILNS1_3genE4ELNS1_11target_archE910ELNS1_3gpuE8ELNS1_3repE0EEENS1_30default_config_static_selectorELNS0_4arch9wavefront6targetE1EEEvT1_,"axG",@progbits,_ZN7rocprim17ROCPRIM_400000_NS6detail17trampoline_kernelINS0_14default_configENS1_25partition_config_selectorILNS1_17partition_subalgoE8EsNS0_10empty_typeEbEEZZNS1_14partition_implILS5_8ELb0ES3_jN6thrust23THRUST_200600_302600_NS6detail15normal_iteratorINSA_10device_ptrIsEEEEPS6_PKS6_NS0_5tupleIJNSA_16discard_iteratorINSA_11use_defaultEEES6_EEENSJ_IJSG_SG_EEENS0_18inequality_wrapperINSA_8equal_toIsEEEEPmJS6_EEE10hipError_tPvRmT3_T4_T5_T6_T7_T9_mT8_P12ihipStream_tbDpT10_ENKUlT_T0_E_clISt17integral_constantIbLb0EES1C_IbLb1EEEEDaS18_S19_EUlS18_E_NS1_11comp_targetILNS1_3genE4ELNS1_11target_archE910ELNS1_3gpuE8ELNS1_3repE0EEENS1_30default_config_static_selectorELNS0_4arch9wavefront6targetE1EEEvT1_,comdat
	.protected	_ZN7rocprim17ROCPRIM_400000_NS6detail17trampoline_kernelINS0_14default_configENS1_25partition_config_selectorILNS1_17partition_subalgoE8EsNS0_10empty_typeEbEEZZNS1_14partition_implILS5_8ELb0ES3_jN6thrust23THRUST_200600_302600_NS6detail15normal_iteratorINSA_10device_ptrIsEEEEPS6_PKS6_NS0_5tupleIJNSA_16discard_iteratorINSA_11use_defaultEEES6_EEENSJ_IJSG_SG_EEENS0_18inequality_wrapperINSA_8equal_toIsEEEEPmJS6_EEE10hipError_tPvRmT3_T4_T5_T6_T7_T9_mT8_P12ihipStream_tbDpT10_ENKUlT_T0_E_clISt17integral_constantIbLb0EES1C_IbLb1EEEEDaS18_S19_EUlS18_E_NS1_11comp_targetILNS1_3genE4ELNS1_11target_archE910ELNS1_3gpuE8ELNS1_3repE0EEENS1_30default_config_static_selectorELNS0_4arch9wavefront6targetE1EEEvT1_ ; -- Begin function _ZN7rocprim17ROCPRIM_400000_NS6detail17trampoline_kernelINS0_14default_configENS1_25partition_config_selectorILNS1_17partition_subalgoE8EsNS0_10empty_typeEbEEZZNS1_14partition_implILS5_8ELb0ES3_jN6thrust23THRUST_200600_302600_NS6detail15normal_iteratorINSA_10device_ptrIsEEEEPS6_PKS6_NS0_5tupleIJNSA_16discard_iteratorINSA_11use_defaultEEES6_EEENSJ_IJSG_SG_EEENS0_18inequality_wrapperINSA_8equal_toIsEEEEPmJS6_EEE10hipError_tPvRmT3_T4_T5_T6_T7_T9_mT8_P12ihipStream_tbDpT10_ENKUlT_T0_E_clISt17integral_constantIbLb0EES1C_IbLb1EEEEDaS18_S19_EUlS18_E_NS1_11comp_targetILNS1_3genE4ELNS1_11target_archE910ELNS1_3gpuE8ELNS1_3repE0EEENS1_30default_config_static_selectorELNS0_4arch9wavefront6targetE1EEEvT1_
	.globl	_ZN7rocprim17ROCPRIM_400000_NS6detail17trampoline_kernelINS0_14default_configENS1_25partition_config_selectorILNS1_17partition_subalgoE8EsNS0_10empty_typeEbEEZZNS1_14partition_implILS5_8ELb0ES3_jN6thrust23THRUST_200600_302600_NS6detail15normal_iteratorINSA_10device_ptrIsEEEEPS6_PKS6_NS0_5tupleIJNSA_16discard_iteratorINSA_11use_defaultEEES6_EEENSJ_IJSG_SG_EEENS0_18inequality_wrapperINSA_8equal_toIsEEEEPmJS6_EEE10hipError_tPvRmT3_T4_T5_T6_T7_T9_mT8_P12ihipStream_tbDpT10_ENKUlT_T0_E_clISt17integral_constantIbLb0EES1C_IbLb1EEEEDaS18_S19_EUlS18_E_NS1_11comp_targetILNS1_3genE4ELNS1_11target_archE910ELNS1_3gpuE8ELNS1_3repE0EEENS1_30default_config_static_selectorELNS0_4arch9wavefront6targetE1EEEvT1_
	.p2align	8
	.type	_ZN7rocprim17ROCPRIM_400000_NS6detail17trampoline_kernelINS0_14default_configENS1_25partition_config_selectorILNS1_17partition_subalgoE8EsNS0_10empty_typeEbEEZZNS1_14partition_implILS5_8ELb0ES3_jN6thrust23THRUST_200600_302600_NS6detail15normal_iteratorINSA_10device_ptrIsEEEEPS6_PKS6_NS0_5tupleIJNSA_16discard_iteratorINSA_11use_defaultEEES6_EEENSJ_IJSG_SG_EEENS0_18inequality_wrapperINSA_8equal_toIsEEEEPmJS6_EEE10hipError_tPvRmT3_T4_T5_T6_T7_T9_mT8_P12ihipStream_tbDpT10_ENKUlT_T0_E_clISt17integral_constantIbLb0EES1C_IbLb1EEEEDaS18_S19_EUlS18_E_NS1_11comp_targetILNS1_3genE4ELNS1_11target_archE910ELNS1_3gpuE8ELNS1_3repE0EEENS1_30default_config_static_selectorELNS0_4arch9wavefront6targetE1EEEvT1_,@function
_ZN7rocprim17ROCPRIM_400000_NS6detail17trampoline_kernelINS0_14default_configENS1_25partition_config_selectorILNS1_17partition_subalgoE8EsNS0_10empty_typeEbEEZZNS1_14partition_implILS5_8ELb0ES3_jN6thrust23THRUST_200600_302600_NS6detail15normal_iteratorINSA_10device_ptrIsEEEEPS6_PKS6_NS0_5tupleIJNSA_16discard_iteratorINSA_11use_defaultEEES6_EEENSJ_IJSG_SG_EEENS0_18inequality_wrapperINSA_8equal_toIsEEEEPmJS6_EEE10hipError_tPvRmT3_T4_T5_T6_T7_T9_mT8_P12ihipStream_tbDpT10_ENKUlT_T0_E_clISt17integral_constantIbLb0EES1C_IbLb1EEEEDaS18_S19_EUlS18_E_NS1_11comp_targetILNS1_3genE4ELNS1_11target_archE910ELNS1_3gpuE8ELNS1_3repE0EEENS1_30default_config_static_selectorELNS0_4arch9wavefront6targetE1EEEvT1_: ; @_ZN7rocprim17ROCPRIM_400000_NS6detail17trampoline_kernelINS0_14default_configENS1_25partition_config_selectorILNS1_17partition_subalgoE8EsNS0_10empty_typeEbEEZZNS1_14partition_implILS5_8ELb0ES3_jN6thrust23THRUST_200600_302600_NS6detail15normal_iteratorINSA_10device_ptrIsEEEEPS6_PKS6_NS0_5tupleIJNSA_16discard_iteratorINSA_11use_defaultEEES6_EEENSJ_IJSG_SG_EEENS0_18inequality_wrapperINSA_8equal_toIsEEEEPmJS6_EEE10hipError_tPvRmT3_T4_T5_T6_T7_T9_mT8_P12ihipStream_tbDpT10_ENKUlT_T0_E_clISt17integral_constantIbLb0EES1C_IbLb1EEEEDaS18_S19_EUlS18_E_NS1_11comp_targetILNS1_3genE4ELNS1_11target_archE910ELNS1_3gpuE8ELNS1_3repE0EEENS1_30default_config_static_selectorELNS0_4arch9wavefront6targetE1EEEvT1_
; %bb.0:
	.section	.rodata,"a",@progbits
	.p2align	6, 0x0
	.amdhsa_kernel _ZN7rocprim17ROCPRIM_400000_NS6detail17trampoline_kernelINS0_14default_configENS1_25partition_config_selectorILNS1_17partition_subalgoE8EsNS0_10empty_typeEbEEZZNS1_14partition_implILS5_8ELb0ES3_jN6thrust23THRUST_200600_302600_NS6detail15normal_iteratorINSA_10device_ptrIsEEEEPS6_PKS6_NS0_5tupleIJNSA_16discard_iteratorINSA_11use_defaultEEES6_EEENSJ_IJSG_SG_EEENS0_18inequality_wrapperINSA_8equal_toIsEEEEPmJS6_EEE10hipError_tPvRmT3_T4_T5_T6_T7_T9_mT8_P12ihipStream_tbDpT10_ENKUlT_T0_E_clISt17integral_constantIbLb0EES1C_IbLb1EEEEDaS18_S19_EUlS18_E_NS1_11comp_targetILNS1_3genE4ELNS1_11target_archE910ELNS1_3gpuE8ELNS1_3repE0EEENS1_30default_config_static_selectorELNS0_4arch9wavefront6targetE1EEEvT1_
		.amdhsa_group_segment_fixed_size 0
		.amdhsa_private_segment_fixed_size 0
		.amdhsa_kernarg_size 136
		.amdhsa_user_sgpr_count 6
		.amdhsa_user_sgpr_private_segment_buffer 1
		.amdhsa_user_sgpr_dispatch_ptr 0
		.amdhsa_user_sgpr_queue_ptr 0
		.amdhsa_user_sgpr_kernarg_segment_ptr 1
		.amdhsa_user_sgpr_dispatch_id 0
		.amdhsa_user_sgpr_flat_scratch_init 0
		.amdhsa_user_sgpr_private_segment_size 0
		.amdhsa_uses_dynamic_stack 0
		.amdhsa_system_sgpr_private_segment_wavefront_offset 0
		.amdhsa_system_sgpr_workgroup_id_x 1
		.amdhsa_system_sgpr_workgroup_id_y 0
		.amdhsa_system_sgpr_workgroup_id_z 0
		.amdhsa_system_sgpr_workgroup_info 0
		.amdhsa_system_vgpr_workitem_id 0
		.amdhsa_next_free_vgpr 1
		.amdhsa_next_free_sgpr 0
		.amdhsa_reserve_vcc 0
		.amdhsa_reserve_flat_scratch 0
		.amdhsa_float_round_mode_32 0
		.amdhsa_float_round_mode_16_64 0
		.amdhsa_float_denorm_mode_32 3
		.amdhsa_float_denorm_mode_16_64 3
		.amdhsa_dx10_clamp 1
		.amdhsa_ieee_mode 1
		.amdhsa_fp16_overflow 0
		.amdhsa_exception_fp_ieee_invalid_op 0
		.amdhsa_exception_fp_denorm_src 0
		.amdhsa_exception_fp_ieee_div_zero 0
		.amdhsa_exception_fp_ieee_overflow 0
		.amdhsa_exception_fp_ieee_underflow 0
		.amdhsa_exception_fp_ieee_inexact 0
		.amdhsa_exception_int_div_zero 0
	.end_amdhsa_kernel
	.section	.text._ZN7rocprim17ROCPRIM_400000_NS6detail17trampoline_kernelINS0_14default_configENS1_25partition_config_selectorILNS1_17partition_subalgoE8EsNS0_10empty_typeEbEEZZNS1_14partition_implILS5_8ELb0ES3_jN6thrust23THRUST_200600_302600_NS6detail15normal_iteratorINSA_10device_ptrIsEEEEPS6_PKS6_NS0_5tupleIJNSA_16discard_iteratorINSA_11use_defaultEEES6_EEENSJ_IJSG_SG_EEENS0_18inequality_wrapperINSA_8equal_toIsEEEEPmJS6_EEE10hipError_tPvRmT3_T4_T5_T6_T7_T9_mT8_P12ihipStream_tbDpT10_ENKUlT_T0_E_clISt17integral_constantIbLb0EES1C_IbLb1EEEEDaS18_S19_EUlS18_E_NS1_11comp_targetILNS1_3genE4ELNS1_11target_archE910ELNS1_3gpuE8ELNS1_3repE0EEENS1_30default_config_static_selectorELNS0_4arch9wavefront6targetE1EEEvT1_,"axG",@progbits,_ZN7rocprim17ROCPRIM_400000_NS6detail17trampoline_kernelINS0_14default_configENS1_25partition_config_selectorILNS1_17partition_subalgoE8EsNS0_10empty_typeEbEEZZNS1_14partition_implILS5_8ELb0ES3_jN6thrust23THRUST_200600_302600_NS6detail15normal_iteratorINSA_10device_ptrIsEEEEPS6_PKS6_NS0_5tupleIJNSA_16discard_iteratorINSA_11use_defaultEEES6_EEENSJ_IJSG_SG_EEENS0_18inequality_wrapperINSA_8equal_toIsEEEEPmJS6_EEE10hipError_tPvRmT3_T4_T5_T6_T7_T9_mT8_P12ihipStream_tbDpT10_ENKUlT_T0_E_clISt17integral_constantIbLb0EES1C_IbLb1EEEEDaS18_S19_EUlS18_E_NS1_11comp_targetILNS1_3genE4ELNS1_11target_archE910ELNS1_3gpuE8ELNS1_3repE0EEENS1_30default_config_static_selectorELNS0_4arch9wavefront6targetE1EEEvT1_,comdat
.Lfunc_end719:
	.size	_ZN7rocprim17ROCPRIM_400000_NS6detail17trampoline_kernelINS0_14default_configENS1_25partition_config_selectorILNS1_17partition_subalgoE8EsNS0_10empty_typeEbEEZZNS1_14partition_implILS5_8ELb0ES3_jN6thrust23THRUST_200600_302600_NS6detail15normal_iteratorINSA_10device_ptrIsEEEEPS6_PKS6_NS0_5tupleIJNSA_16discard_iteratorINSA_11use_defaultEEES6_EEENSJ_IJSG_SG_EEENS0_18inequality_wrapperINSA_8equal_toIsEEEEPmJS6_EEE10hipError_tPvRmT3_T4_T5_T6_T7_T9_mT8_P12ihipStream_tbDpT10_ENKUlT_T0_E_clISt17integral_constantIbLb0EES1C_IbLb1EEEEDaS18_S19_EUlS18_E_NS1_11comp_targetILNS1_3genE4ELNS1_11target_archE910ELNS1_3gpuE8ELNS1_3repE0EEENS1_30default_config_static_selectorELNS0_4arch9wavefront6targetE1EEEvT1_, .Lfunc_end719-_ZN7rocprim17ROCPRIM_400000_NS6detail17trampoline_kernelINS0_14default_configENS1_25partition_config_selectorILNS1_17partition_subalgoE8EsNS0_10empty_typeEbEEZZNS1_14partition_implILS5_8ELb0ES3_jN6thrust23THRUST_200600_302600_NS6detail15normal_iteratorINSA_10device_ptrIsEEEEPS6_PKS6_NS0_5tupleIJNSA_16discard_iteratorINSA_11use_defaultEEES6_EEENSJ_IJSG_SG_EEENS0_18inequality_wrapperINSA_8equal_toIsEEEEPmJS6_EEE10hipError_tPvRmT3_T4_T5_T6_T7_T9_mT8_P12ihipStream_tbDpT10_ENKUlT_T0_E_clISt17integral_constantIbLb0EES1C_IbLb1EEEEDaS18_S19_EUlS18_E_NS1_11comp_targetILNS1_3genE4ELNS1_11target_archE910ELNS1_3gpuE8ELNS1_3repE0EEENS1_30default_config_static_selectorELNS0_4arch9wavefront6targetE1EEEvT1_
                                        ; -- End function
	.set _ZN7rocprim17ROCPRIM_400000_NS6detail17trampoline_kernelINS0_14default_configENS1_25partition_config_selectorILNS1_17partition_subalgoE8EsNS0_10empty_typeEbEEZZNS1_14partition_implILS5_8ELb0ES3_jN6thrust23THRUST_200600_302600_NS6detail15normal_iteratorINSA_10device_ptrIsEEEEPS6_PKS6_NS0_5tupleIJNSA_16discard_iteratorINSA_11use_defaultEEES6_EEENSJ_IJSG_SG_EEENS0_18inequality_wrapperINSA_8equal_toIsEEEEPmJS6_EEE10hipError_tPvRmT3_T4_T5_T6_T7_T9_mT8_P12ihipStream_tbDpT10_ENKUlT_T0_E_clISt17integral_constantIbLb0EES1C_IbLb1EEEEDaS18_S19_EUlS18_E_NS1_11comp_targetILNS1_3genE4ELNS1_11target_archE910ELNS1_3gpuE8ELNS1_3repE0EEENS1_30default_config_static_selectorELNS0_4arch9wavefront6targetE1EEEvT1_.num_vgpr, 0
	.set _ZN7rocprim17ROCPRIM_400000_NS6detail17trampoline_kernelINS0_14default_configENS1_25partition_config_selectorILNS1_17partition_subalgoE8EsNS0_10empty_typeEbEEZZNS1_14partition_implILS5_8ELb0ES3_jN6thrust23THRUST_200600_302600_NS6detail15normal_iteratorINSA_10device_ptrIsEEEEPS6_PKS6_NS0_5tupleIJNSA_16discard_iteratorINSA_11use_defaultEEES6_EEENSJ_IJSG_SG_EEENS0_18inequality_wrapperINSA_8equal_toIsEEEEPmJS6_EEE10hipError_tPvRmT3_T4_T5_T6_T7_T9_mT8_P12ihipStream_tbDpT10_ENKUlT_T0_E_clISt17integral_constantIbLb0EES1C_IbLb1EEEEDaS18_S19_EUlS18_E_NS1_11comp_targetILNS1_3genE4ELNS1_11target_archE910ELNS1_3gpuE8ELNS1_3repE0EEENS1_30default_config_static_selectorELNS0_4arch9wavefront6targetE1EEEvT1_.num_agpr, 0
	.set _ZN7rocprim17ROCPRIM_400000_NS6detail17trampoline_kernelINS0_14default_configENS1_25partition_config_selectorILNS1_17partition_subalgoE8EsNS0_10empty_typeEbEEZZNS1_14partition_implILS5_8ELb0ES3_jN6thrust23THRUST_200600_302600_NS6detail15normal_iteratorINSA_10device_ptrIsEEEEPS6_PKS6_NS0_5tupleIJNSA_16discard_iteratorINSA_11use_defaultEEES6_EEENSJ_IJSG_SG_EEENS0_18inequality_wrapperINSA_8equal_toIsEEEEPmJS6_EEE10hipError_tPvRmT3_T4_T5_T6_T7_T9_mT8_P12ihipStream_tbDpT10_ENKUlT_T0_E_clISt17integral_constantIbLb0EES1C_IbLb1EEEEDaS18_S19_EUlS18_E_NS1_11comp_targetILNS1_3genE4ELNS1_11target_archE910ELNS1_3gpuE8ELNS1_3repE0EEENS1_30default_config_static_selectorELNS0_4arch9wavefront6targetE1EEEvT1_.numbered_sgpr, 0
	.set _ZN7rocprim17ROCPRIM_400000_NS6detail17trampoline_kernelINS0_14default_configENS1_25partition_config_selectorILNS1_17partition_subalgoE8EsNS0_10empty_typeEbEEZZNS1_14partition_implILS5_8ELb0ES3_jN6thrust23THRUST_200600_302600_NS6detail15normal_iteratorINSA_10device_ptrIsEEEEPS6_PKS6_NS0_5tupleIJNSA_16discard_iteratorINSA_11use_defaultEEES6_EEENSJ_IJSG_SG_EEENS0_18inequality_wrapperINSA_8equal_toIsEEEEPmJS6_EEE10hipError_tPvRmT3_T4_T5_T6_T7_T9_mT8_P12ihipStream_tbDpT10_ENKUlT_T0_E_clISt17integral_constantIbLb0EES1C_IbLb1EEEEDaS18_S19_EUlS18_E_NS1_11comp_targetILNS1_3genE4ELNS1_11target_archE910ELNS1_3gpuE8ELNS1_3repE0EEENS1_30default_config_static_selectorELNS0_4arch9wavefront6targetE1EEEvT1_.num_named_barrier, 0
	.set _ZN7rocprim17ROCPRIM_400000_NS6detail17trampoline_kernelINS0_14default_configENS1_25partition_config_selectorILNS1_17partition_subalgoE8EsNS0_10empty_typeEbEEZZNS1_14partition_implILS5_8ELb0ES3_jN6thrust23THRUST_200600_302600_NS6detail15normal_iteratorINSA_10device_ptrIsEEEEPS6_PKS6_NS0_5tupleIJNSA_16discard_iteratorINSA_11use_defaultEEES6_EEENSJ_IJSG_SG_EEENS0_18inequality_wrapperINSA_8equal_toIsEEEEPmJS6_EEE10hipError_tPvRmT3_T4_T5_T6_T7_T9_mT8_P12ihipStream_tbDpT10_ENKUlT_T0_E_clISt17integral_constantIbLb0EES1C_IbLb1EEEEDaS18_S19_EUlS18_E_NS1_11comp_targetILNS1_3genE4ELNS1_11target_archE910ELNS1_3gpuE8ELNS1_3repE0EEENS1_30default_config_static_selectorELNS0_4arch9wavefront6targetE1EEEvT1_.private_seg_size, 0
	.set _ZN7rocprim17ROCPRIM_400000_NS6detail17trampoline_kernelINS0_14default_configENS1_25partition_config_selectorILNS1_17partition_subalgoE8EsNS0_10empty_typeEbEEZZNS1_14partition_implILS5_8ELb0ES3_jN6thrust23THRUST_200600_302600_NS6detail15normal_iteratorINSA_10device_ptrIsEEEEPS6_PKS6_NS0_5tupleIJNSA_16discard_iteratorINSA_11use_defaultEEES6_EEENSJ_IJSG_SG_EEENS0_18inequality_wrapperINSA_8equal_toIsEEEEPmJS6_EEE10hipError_tPvRmT3_T4_T5_T6_T7_T9_mT8_P12ihipStream_tbDpT10_ENKUlT_T0_E_clISt17integral_constantIbLb0EES1C_IbLb1EEEEDaS18_S19_EUlS18_E_NS1_11comp_targetILNS1_3genE4ELNS1_11target_archE910ELNS1_3gpuE8ELNS1_3repE0EEENS1_30default_config_static_selectorELNS0_4arch9wavefront6targetE1EEEvT1_.uses_vcc, 0
	.set _ZN7rocprim17ROCPRIM_400000_NS6detail17trampoline_kernelINS0_14default_configENS1_25partition_config_selectorILNS1_17partition_subalgoE8EsNS0_10empty_typeEbEEZZNS1_14partition_implILS5_8ELb0ES3_jN6thrust23THRUST_200600_302600_NS6detail15normal_iteratorINSA_10device_ptrIsEEEEPS6_PKS6_NS0_5tupleIJNSA_16discard_iteratorINSA_11use_defaultEEES6_EEENSJ_IJSG_SG_EEENS0_18inequality_wrapperINSA_8equal_toIsEEEEPmJS6_EEE10hipError_tPvRmT3_T4_T5_T6_T7_T9_mT8_P12ihipStream_tbDpT10_ENKUlT_T0_E_clISt17integral_constantIbLb0EES1C_IbLb1EEEEDaS18_S19_EUlS18_E_NS1_11comp_targetILNS1_3genE4ELNS1_11target_archE910ELNS1_3gpuE8ELNS1_3repE0EEENS1_30default_config_static_selectorELNS0_4arch9wavefront6targetE1EEEvT1_.uses_flat_scratch, 0
	.set _ZN7rocprim17ROCPRIM_400000_NS6detail17trampoline_kernelINS0_14default_configENS1_25partition_config_selectorILNS1_17partition_subalgoE8EsNS0_10empty_typeEbEEZZNS1_14partition_implILS5_8ELb0ES3_jN6thrust23THRUST_200600_302600_NS6detail15normal_iteratorINSA_10device_ptrIsEEEEPS6_PKS6_NS0_5tupleIJNSA_16discard_iteratorINSA_11use_defaultEEES6_EEENSJ_IJSG_SG_EEENS0_18inequality_wrapperINSA_8equal_toIsEEEEPmJS6_EEE10hipError_tPvRmT3_T4_T5_T6_T7_T9_mT8_P12ihipStream_tbDpT10_ENKUlT_T0_E_clISt17integral_constantIbLb0EES1C_IbLb1EEEEDaS18_S19_EUlS18_E_NS1_11comp_targetILNS1_3genE4ELNS1_11target_archE910ELNS1_3gpuE8ELNS1_3repE0EEENS1_30default_config_static_selectorELNS0_4arch9wavefront6targetE1EEEvT1_.has_dyn_sized_stack, 0
	.set _ZN7rocprim17ROCPRIM_400000_NS6detail17trampoline_kernelINS0_14default_configENS1_25partition_config_selectorILNS1_17partition_subalgoE8EsNS0_10empty_typeEbEEZZNS1_14partition_implILS5_8ELb0ES3_jN6thrust23THRUST_200600_302600_NS6detail15normal_iteratorINSA_10device_ptrIsEEEEPS6_PKS6_NS0_5tupleIJNSA_16discard_iteratorINSA_11use_defaultEEES6_EEENSJ_IJSG_SG_EEENS0_18inequality_wrapperINSA_8equal_toIsEEEEPmJS6_EEE10hipError_tPvRmT3_T4_T5_T6_T7_T9_mT8_P12ihipStream_tbDpT10_ENKUlT_T0_E_clISt17integral_constantIbLb0EES1C_IbLb1EEEEDaS18_S19_EUlS18_E_NS1_11comp_targetILNS1_3genE4ELNS1_11target_archE910ELNS1_3gpuE8ELNS1_3repE0EEENS1_30default_config_static_selectorELNS0_4arch9wavefront6targetE1EEEvT1_.has_recursion, 0
	.set _ZN7rocprim17ROCPRIM_400000_NS6detail17trampoline_kernelINS0_14default_configENS1_25partition_config_selectorILNS1_17partition_subalgoE8EsNS0_10empty_typeEbEEZZNS1_14partition_implILS5_8ELb0ES3_jN6thrust23THRUST_200600_302600_NS6detail15normal_iteratorINSA_10device_ptrIsEEEEPS6_PKS6_NS0_5tupleIJNSA_16discard_iteratorINSA_11use_defaultEEES6_EEENSJ_IJSG_SG_EEENS0_18inequality_wrapperINSA_8equal_toIsEEEEPmJS6_EEE10hipError_tPvRmT3_T4_T5_T6_T7_T9_mT8_P12ihipStream_tbDpT10_ENKUlT_T0_E_clISt17integral_constantIbLb0EES1C_IbLb1EEEEDaS18_S19_EUlS18_E_NS1_11comp_targetILNS1_3genE4ELNS1_11target_archE910ELNS1_3gpuE8ELNS1_3repE0EEENS1_30default_config_static_selectorELNS0_4arch9wavefront6targetE1EEEvT1_.has_indirect_call, 0
	.section	.AMDGPU.csdata,"",@progbits
; Kernel info:
; codeLenInByte = 0
; TotalNumSgprs: 4
; NumVgprs: 0
; ScratchSize: 0
; MemoryBound: 0
; FloatMode: 240
; IeeeMode: 1
; LDSByteSize: 0 bytes/workgroup (compile time only)
; SGPRBlocks: 0
; VGPRBlocks: 0
; NumSGPRsForWavesPerEU: 4
; NumVGPRsForWavesPerEU: 1
; Occupancy: 10
; WaveLimiterHint : 0
; COMPUTE_PGM_RSRC2:SCRATCH_EN: 0
; COMPUTE_PGM_RSRC2:USER_SGPR: 6
; COMPUTE_PGM_RSRC2:TRAP_HANDLER: 0
; COMPUTE_PGM_RSRC2:TGID_X_EN: 1
; COMPUTE_PGM_RSRC2:TGID_Y_EN: 0
; COMPUTE_PGM_RSRC2:TGID_Z_EN: 0
; COMPUTE_PGM_RSRC2:TIDIG_COMP_CNT: 0
	.section	.text._ZN7rocprim17ROCPRIM_400000_NS6detail17trampoline_kernelINS0_14default_configENS1_25partition_config_selectorILNS1_17partition_subalgoE8EsNS0_10empty_typeEbEEZZNS1_14partition_implILS5_8ELb0ES3_jN6thrust23THRUST_200600_302600_NS6detail15normal_iteratorINSA_10device_ptrIsEEEEPS6_PKS6_NS0_5tupleIJNSA_16discard_iteratorINSA_11use_defaultEEES6_EEENSJ_IJSG_SG_EEENS0_18inequality_wrapperINSA_8equal_toIsEEEEPmJS6_EEE10hipError_tPvRmT3_T4_T5_T6_T7_T9_mT8_P12ihipStream_tbDpT10_ENKUlT_T0_E_clISt17integral_constantIbLb0EES1C_IbLb1EEEEDaS18_S19_EUlS18_E_NS1_11comp_targetILNS1_3genE3ELNS1_11target_archE908ELNS1_3gpuE7ELNS1_3repE0EEENS1_30default_config_static_selectorELNS0_4arch9wavefront6targetE1EEEvT1_,"axG",@progbits,_ZN7rocprim17ROCPRIM_400000_NS6detail17trampoline_kernelINS0_14default_configENS1_25partition_config_selectorILNS1_17partition_subalgoE8EsNS0_10empty_typeEbEEZZNS1_14partition_implILS5_8ELb0ES3_jN6thrust23THRUST_200600_302600_NS6detail15normal_iteratorINSA_10device_ptrIsEEEEPS6_PKS6_NS0_5tupleIJNSA_16discard_iteratorINSA_11use_defaultEEES6_EEENSJ_IJSG_SG_EEENS0_18inequality_wrapperINSA_8equal_toIsEEEEPmJS6_EEE10hipError_tPvRmT3_T4_T5_T6_T7_T9_mT8_P12ihipStream_tbDpT10_ENKUlT_T0_E_clISt17integral_constantIbLb0EES1C_IbLb1EEEEDaS18_S19_EUlS18_E_NS1_11comp_targetILNS1_3genE3ELNS1_11target_archE908ELNS1_3gpuE7ELNS1_3repE0EEENS1_30default_config_static_selectorELNS0_4arch9wavefront6targetE1EEEvT1_,comdat
	.protected	_ZN7rocprim17ROCPRIM_400000_NS6detail17trampoline_kernelINS0_14default_configENS1_25partition_config_selectorILNS1_17partition_subalgoE8EsNS0_10empty_typeEbEEZZNS1_14partition_implILS5_8ELb0ES3_jN6thrust23THRUST_200600_302600_NS6detail15normal_iteratorINSA_10device_ptrIsEEEEPS6_PKS6_NS0_5tupleIJNSA_16discard_iteratorINSA_11use_defaultEEES6_EEENSJ_IJSG_SG_EEENS0_18inequality_wrapperINSA_8equal_toIsEEEEPmJS6_EEE10hipError_tPvRmT3_T4_T5_T6_T7_T9_mT8_P12ihipStream_tbDpT10_ENKUlT_T0_E_clISt17integral_constantIbLb0EES1C_IbLb1EEEEDaS18_S19_EUlS18_E_NS1_11comp_targetILNS1_3genE3ELNS1_11target_archE908ELNS1_3gpuE7ELNS1_3repE0EEENS1_30default_config_static_selectorELNS0_4arch9wavefront6targetE1EEEvT1_ ; -- Begin function _ZN7rocprim17ROCPRIM_400000_NS6detail17trampoline_kernelINS0_14default_configENS1_25partition_config_selectorILNS1_17partition_subalgoE8EsNS0_10empty_typeEbEEZZNS1_14partition_implILS5_8ELb0ES3_jN6thrust23THRUST_200600_302600_NS6detail15normal_iteratorINSA_10device_ptrIsEEEEPS6_PKS6_NS0_5tupleIJNSA_16discard_iteratorINSA_11use_defaultEEES6_EEENSJ_IJSG_SG_EEENS0_18inequality_wrapperINSA_8equal_toIsEEEEPmJS6_EEE10hipError_tPvRmT3_T4_T5_T6_T7_T9_mT8_P12ihipStream_tbDpT10_ENKUlT_T0_E_clISt17integral_constantIbLb0EES1C_IbLb1EEEEDaS18_S19_EUlS18_E_NS1_11comp_targetILNS1_3genE3ELNS1_11target_archE908ELNS1_3gpuE7ELNS1_3repE0EEENS1_30default_config_static_selectorELNS0_4arch9wavefront6targetE1EEEvT1_
	.globl	_ZN7rocprim17ROCPRIM_400000_NS6detail17trampoline_kernelINS0_14default_configENS1_25partition_config_selectorILNS1_17partition_subalgoE8EsNS0_10empty_typeEbEEZZNS1_14partition_implILS5_8ELb0ES3_jN6thrust23THRUST_200600_302600_NS6detail15normal_iteratorINSA_10device_ptrIsEEEEPS6_PKS6_NS0_5tupleIJNSA_16discard_iteratorINSA_11use_defaultEEES6_EEENSJ_IJSG_SG_EEENS0_18inequality_wrapperINSA_8equal_toIsEEEEPmJS6_EEE10hipError_tPvRmT3_T4_T5_T6_T7_T9_mT8_P12ihipStream_tbDpT10_ENKUlT_T0_E_clISt17integral_constantIbLb0EES1C_IbLb1EEEEDaS18_S19_EUlS18_E_NS1_11comp_targetILNS1_3genE3ELNS1_11target_archE908ELNS1_3gpuE7ELNS1_3repE0EEENS1_30default_config_static_selectorELNS0_4arch9wavefront6targetE1EEEvT1_
	.p2align	8
	.type	_ZN7rocprim17ROCPRIM_400000_NS6detail17trampoline_kernelINS0_14default_configENS1_25partition_config_selectorILNS1_17partition_subalgoE8EsNS0_10empty_typeEbEEZZNS1_14partition_implILS5_8ELb0ES3_jN6thrust23THRUST_200600_302600_NS6detail15normal_iteratorINSA_10device_ptrIsEEEEPS6_PKS6_NS0_5tupleIJNSA_16discard_iteratorINSA_11use_defaultEEES6_EEENSJ_IJSG_SG_EEENS0_18inequality_wrapperINSA_8equal_toIsEEEEPmJS6_EEE10hipError_tPvRmT3_T4_T5_T6_T7_T9_mT8_P12ihipStream_tbDpT10_ENKUlT_T0_E_clISt17integral_constantIbLb0EES1C_IbLb1EEEEDaS18_S19_EUlS18_E_NS1_11comp_targetILNS1_3genE3ELNS1_11target_archE908ELNS1_3gpuE7ELNS1_3repE0EEENS1_30default_config_static_selectorELNS0_4arch9wavefront6targetE1EEEvT1_,@function
_ZN7rocprim17ROCPRIM_400000_NS6detail17trampoline_kernelINS0_14default_configENS1_25partition_config_selectorILNS1_17partition_subalgoE8EsNS0_10empty_typeEbEEZZNS1_14partition_implILS5_8ELb0ES3_jN6thrust23THRUST_200600_302600_NS6detail15normal_iteratorINSA_10device_ptrIsEEEEPS6_PKS6_NS0_5tupleIJNSA_16discard_iteratorINSA_11use_defaultEEES6_EEENSJ_IJSG_SG_EEENS0_18inequality_wrapperINSA_8equal_toIsEEEEPmJS6_EEE10hipError_tPvRmT3_T4_T5_T6_T7_T9_mT8_P12ihipStream_tbDpT10_ENKUlT_T0_E_clISt17integral_constantIbLb0EES1C_IbLb1EEEEDaS18_S19_EUlS18_E_NS1_11comp_targetILNS1_3genE3ELNS1_11target_archE908ELNS1_3gpuE7ELNS1_3repE0EEENS1_30default_config_static_selectorELNS0_4arch9wavefront6targetE1EEEvT1_: ; @_ZN7rocprim17ROCPRIM_400000_NS6detail17trampoline_kernelINS0_14default_configENS1_25partition_config_selectorILNS1_17partition_subalgoE8EsNS0_10empty_typeEbEEZZNS1_14partition_implILS5_8ELb0ES3_jN6thrust23THRUST_200600_302600_NS6detail15normal_iteratorINSA_10device_ptrIsEEEEPS6_PKS6_NS0_5tupleIJNSA_16discard_iteratorINSA_11use_defaultEEES6_EEENSJ_IJSG_SG_EEENS0_18inequality_wrapperINSA_8equal_toIsEEEEPmJS6_EEE10hipError_tPvRmT3_T4_T5_T6_T7_T9_mT8_P12ihipStream_tbDpT10_ENKUlT_T0_E_clISt17integral_constantIbLb0EES1C_IbLb1EEEEDaS18_S19_EUlS18_E_NS1_11comp_targetILNS1_3genE3ELNS1_11target_archE908ELNS1_3gpuE7ELNS1_3repE0EEENS1_30default_config_static_selectorELNS0_4arch9wavefront6targetE1EEEvT1_
; %bb.0:
	.section	.rodata,"a",@progbits
	.p2align	6, 0x0
	.amdhsa_kernel _ZN7rocprim17ROCPRIM_400000_NS6detail17trampoline_kernelINS0_14default_configENS1_25partition_config_selectorILNS1_17partition_subalgoE8EsNS0_10empty_typeEbEEZZNS1_14partition_implILS5_8ELb0ES3_jN6thrust23THRUST_200600_302600_NS6detail15normal_iteratorINSA_10device_ptrIsEEEEPS6_PKS6_NS0_5tupleIJNSA_16discard_iteratorINSA_11use_defaultEEES6_EEENSJ_IJSG_SG_EEENS0_18inequality_wrapperINSA_8equal_toIsEEEEPmJS6_EEE10hipError_tPvRmT3_T4_T5_T6_T7_T9_mT8_P12ihipStream_tbDpT10_ENKUlT_T0_E_clISt17integral_constantIbLb0EES1C_IbLb1EEEEDaS18_S19_EUlS18_E_NS1_11comp_targetILNS1_3genE3ELNS1_11target_archE908ELNS1_3gpuE7ELNS1_3repE0EEENS1_30default_config_static_selectorELNS0_4arch9wavefront6targetE1EEEvT1_
		.amdhsa_group_segment_fixed_size 0
		.amdhsa_private_segment_fixed_size 0
		.amdhsa_kernarg_size 136
		.amdhsa_user_sgpr_count 6
		.amdhsa_user_sgpr_private_segment_buffer 1
		.amdhsa_user_sgpr_dispatch_ptr 0
		.amdhsa_user_sgpr_queue_ptr 0
		.amdhsa_user_sgpr_kernarg_segment_ptr 1
		.amdhsa_user_sgpr_dispatch_id 0
		.amdhsa_user_sgpr_flat_scratch_init 0
		.amdhsa_user_sgpr_private_segment_size 0
		.amdhsa_uses_dynamic_stack 0
		.amdhsa_system_sgpr_private_segment_wavefront_offset 0
		.amdhsa_system_sgpr_workgroup_id_x 1
		.amdhsa_system_sgpr_workgroup_id_y 0
		.amdhsa_system_sgpr_workgroup_id_z 0
		.amdhsa_system_sgpr_workgroup_info 0
		.amdhsa_system_vgpr_workitem_id 0
		.amdhsa_next_free_vgpr 1
		.amdhsa_next_free_sgpr 0
		.amdhsa_reserve_vcc 0
		.amdhsa_reserve_flat_scratch 0
		.amdhsa_float_round_mode_32 0
		.amdhsa_float_round_mode_16_64 0
		.amdhsa_float_denorm_mode_32 3
		.amdhsa_float_denorm_mode_16_64 3
		.amdhsa_dx10_clamp 1
		.amdhsa_ieee_mode 1
		.amdhsa_fp16_overflow 0
		.amdhsa_exception_fp_ieee_invalid_op 0
		.amdhsa_exception_fp_denorm_src 0
		.amdhsa_exception_fp_ieee_div_zero 0
		.amdhsa_exception_fp_ieee_overflow 0
		.amdhsa_exception_fp_ieee_underflow 0
		.amdhsa_exception_fp_ieee_inexact 0
		.amdhsa_exception_int_div_zero 0
	.end_amdhsa_kernel
	.section	.text._ZN7rocprim17ROCPRIM_400000_NS6detail17trampoline_kernelINS0_14default_configENS1_25partition_config_selectorILNS1_17partition_subalgoE8EsNS0_10empty_typeEbEEZZNS1_14partition_implILS5_8ELb0ES3_jN6thrust23THRUST_200600_302600_NS6detail15normal_iteratorINSA_10device_ptrIsEEEEPS6_PKS6_NS0_5tupleIJNSA_16discard_iteratorINSA_11use_defaultEEES6_EEENSJ_IJSG_SG_EEENS0_18inequality_wrapperINSA_8equal_toIsEEEEPmJS6_EEE10hipError_tPvRmT3_T4_T5_T6_T7_T9_mT8_P12ihipStream_tbDpT10_ENKUlT_T0_E_clISt17integral_constantIbLb0EES1C_IbLb1EEEEDaS18_S19_EUlS18_E_NS1_11comp_targetILNS1_3genE3ELNS1_11target_archE908ELNS1_3gpuE7ELNS1_3repE0EEENS1_30default_config_static_selectorELNS0_4arch9wavefront6targetE1EEEvT1_,"axG",@progbits,_ZN7rocprim17ROCPRIM_400000_NS6detail17trampoline_kernelINS0_14default_configENS1_25partition_config_selectorILNS1_17partition_subalgoE8EsNS0_10empty_typeEbEEZZNS1_14partition_implILS5_8ELb0ES3_jN6thrust23THRUST_200600_302600_NS6detail15normal_iteratorINSA_10device_ptrIsEEEEPS6_PKS6_NS0_5tupleIJNSA_16discard_iteratorINSA_11use_defaultEEES6_EEENSJ_IJSG_SG_EEENS0_18inequality_wrapperINSA_8equal_toIsEEEEPmJS6_EEE10hipError_tPvRmT3_T4_T5_T6_T7_T9_mT8_P12ihipStream_tbDpT10_ENKUlT_T0_E_clISt17integral_constantIbLb0EES1C_IbLb1EEEEDaS18_S19_EUlS18_E_NS1_11comp_targetILNS1_3genE3ELNS1_11target_archE908ELNS1_3gpuE7ELNS1_3repE0EEENS1_30default_config_static_selectorELNS0_4arch9wavefront6targetE1EEEvT1_,comdat
.Lfunc_end720:
	.size	_ZN7rocprim17ROCPRIM_400000_NS6detail17trampoline_kernelINS0_14default_configENS1_25partition_config_selectorILNS1_17partition_subalgoE8EsNS0_10empty_typeEbEEZZNS1_14partition_implILS5_8ELb0ES3_jN6thrust23THRUST_200600_302600_NS6detail15normal_iteratorINSA_10device_ptrIsEEEEPS6_PKS6_NS0_5tupleIJNSA_16discard_iteratorINSA_11use_defaultEEES6_EEENSJ_IJSG_SG_EEENS0_18inequality_wrapperINSA_8equal_toIsEEEEPmJS6_EEE10hipError_tPvRmT3_T4_T5_T6_T7_T9_mT8_P12ihipStream_tbDpT10_ENKUlT_T0_E_clISt17integral_constantIbLb0EES1C_IbLb1EEEEDaS18_S19_EUlS18_E_NS1_11comp_targetILNS1_3genE3ELNS1_11target_archE908ELNS1_3gpuE7ELNS1_3repE0EEENS1_30default_config_static_selectorELNS0_4arch9wavefront6targetE1EEEvT1_, .Lfunc_end720-_ZN7rocprim17ROCPRIM_400000_NS6detail17trampoline_kernelINS0_14default_configENS1_25partition_config_selectorILNS1_17partition_subalgoE8EsNS0_10empty_typeEbEEZZNS1_14partition_implILS5_8ELb0ES3_jN6thrust23THRUST_200600_302600_NS6detail15normal_iteratorINSA_10device_ptrIsEEEEPS6_PKS6_NS0_5tupleIJNSA_16discard_iteratorINSA_11use_defaultEEES6_EEENSJ_IJSG_SG_EEENS0_18inequality_wrapperINSA_8equal_toIsEEEEPmJS6_EEE10hipError_tPvRmT3_T4_T5_T6_T7_T9_mT8_P12ihipStream_tbDpT10_ENKUlT_T0_E_clISt17integral_constantIbLb0EES1C_IbLb1EEEEDaS18_S19_EUlS18_E_NS1_11comp_targetILNS1_3genE3ELNS1_11target_archE908ELNS1_3gpuE7ELNS1_3repE0EEENS1_30default_config_static_selectorELNS0_4arch9wavefront6targetE1EEEvT1_
                                        ; -- End function
	.set _ZN7rocprim17ROCPRIM_400000_NS6detail17trampoline_kernelINS0_14default_configENS1_25partition_config_selectorILNS1_17partition_subalgoE8EsNS0_10empty_typeEbEEZZNS1_14partition_implILS5_8ELb0ES3_jN6thrust23THRUST_200600_302600_NS6detail15normal_iteratorINSA_10device_ptrIsEEEEPS6_PKS6_NS0_5tupleIJNSA_16discard_iteratorINSA_11use_defaultEEES6_EEENSJ_IJSG_SG_EEENS0_18inequality_wrapperINSA_8equal_toIsEEEEPmJS6_EEE10hipError_tPvRmT3_T4_T5_T6_T7_T9_mT8_P12ihipStream_tbDpT10_ENKUlT_T0_E_clISt17integral_constantIbLb0EES1C_IbLb1EEEEDaS18_S19_EUlS18_E_NS1_11comp_targetILNS1_3genE3ELNS1_11target_archE908ELNS1_3gpuE7ELNS1_3repE0EEENS1_30default_config_static_selectorELNS0_4arch9wavefront6targetE1EEEvT1_.num_vgpr, 0
	.set _ZN7rocprim17ROCPRIM_400000_NS6detail17trampoline_kernelINS0_14default_configENS1_25partition_config_selectorILNS1_17partition_subalgoE8EsNS0_10empty_typeEbEEZZNS1_14partition_implILS5_8ELb0ES3_jN6thrust23THRUST_200600_302600_NS6detail15normal_iteratorINSA_10device_ptrIsEEEEPS6_PKS6_NS0_5tupleIJNSA_16discard_iteratorINSA_11use_defaultEEES6_EEENSJ_IJSG_SG_EEENS0_18inequality_wrapperINSA_8equal_toIsEEEEPmJS6_EEE10hipError_tPvRmT3_T4_T5_T6_T7_T9_mT8_P12ihipStream_tbDpT10_ENKUlT_T0_E_clISt17integral_constantIbLb0EES1C_IbLb1EEEEDaS18_S19_EUlS18_E_NS1_11comp_targetILNS1_3genE3ELNS1_11target_archE908ELNS1_3gpuE7ELNS1_3repE0EEENS1_30default_config_static_selectorELNS0_4arch9wavefront6targetE1EEEvT1_.num_agpr, 0
	.set _ZN7rocprim17ROCPRIM_400000_NS6detail17trampoline_kernelINS0_14default_configENS1_25partition_config_selectorILNS1_17partition_subalgoE8EsNS0_10empty_typeEbEEZZNS1_14partition_implILS5_8ELb0ES3_jN6thrust23THRUST_200600_302600_NS6detail15normal_iteratorINSA_10device_ptrIsEEEEPS6_PKS6_NS0_5tupleIJNSA_16discard_iteratorINSA_11use_defaultEEES6_EEENSJ_IJSG_SG_EEENS0_18inequality_wrapperINSA_8equal_toIsEEEEPmJS6_EEE10hipError_tPvRmT3_T4_T5_T6_T7_T9_mT8_P12ihipStream_tbDpT10_ENKUlT_T0_E_clISt17integral_constantIbLb0EES1C_IbLb1EEEEDaS18_S19_EUlS18_E_NS1_11comp_targetILNS1_3genE3ELNS1_11target_archE908ELNS1_3gpuE7ELNS1_3repE0EEENS1_30default_config_static_selectorELNS0_4arch9wavefront6targetE1EEEvT1_.numbered_sgpr, 0
	.set _ZN7rocprim17ROCPRIM_400000_NS6detail17trampoline_kernelINS0_14default_configENS1_25partition_config_selectorILNS1_17partition_subalgoE8EsNS0_10empty_typeEbEEZZNS1_14partition_implILS5_8ELb0ES3_jN6thrust23THRUST_200600_302600_NS6detail15normal_iteratorINSA_10device_ptrIsEEEEPS6_PKS6_NS0_5tupleIJNSA_16discard_iteratorINSA_11use_defaultEEES6_EEENSJ_IJSG_SG_EEENS0_18inequality_wrapperINSA_8equal_toIsEEEEPmJS6_EEE10hipError_tPvRmT3_T4_T5_T6_T7_T9_mT8_P12ihipStream_tbDpT10_ENKUlT_T0_E_clISt17integral_constantIbLb0EES1C_IbLb1EEEEDaS18_S19_EUlS18_E_NS1_11comp_targetILNS1_3genE3ELNS1_11target_archE908ELNS1_3gpuE7ELNS1_3repE0EEENS1_30default_config_static_selectorELNS0_4arch9wavefront6targetE1EEEvT1_.num_named_barrier, 0
	.set _ZN7rocprim17ROCPRIM_400000_NS6detail17trampoline_kernelINS0_14default_configENS1_25partition_config_selectorILNS1_17partition_subalgoE8EsNS0_10empty_typeEbEEZZNS1_14partition_implILS5_8ELb0ES3_jN6thrust23THRUST_200600_302600_NS6detail15normal_iteratorINSA_10device_ptrIsEEEEPS6_PKS6_NS0_5tupleIJNSA_16discard_iteratorINSA_11use_defaultEEES6_EEENSJ_IJSG_SG_EEENS0_18inequality_wrapperINSA_8equal_toIsEEEEPmJS6_EEE10hipError_tPvRmT3_T4_T5_T6_T7_T9_mT8_P12ihipStream_tbDpT10_ENKUlT_T0_E_clISt17integral_constantIbLb0EES1C_IbLb1EEEEDaS18_S19_EUlS18_E_NS1_11comp_targetILNS1_3genE3ELNS1_11target_archE908ELNS1_3gpuE7ELNS1_3repE0EEENS1_30default_config_static_selectorELNS0_4arch9wavefront6targetE1EEEvT1_.private_seg_size, 0
	.set _ZN7rocprim17ROCPRIM_400000_NS6detail17trampoline_kernelINS0_14default_configENS1_25partition_config_selectorILNS1_17partition_subalgoE8EsNS0_10empty_typeEbEEZZNS1_14partition_implILS5_8ELb0ES3_jN6thrust23THRUST_200600_302600_NS6detail15normal_iteratorINSA_10device_ptrIsEEEEPS6_PKS6_NS0_5tupleIJNSA_16discard_iteratorINSA_11use_defaultEEES6_EEENSJ_IJSG_SG_EEENS0_18inequality_wrapperINSA_8equal_toIsEEEEPmJS6_EEE10hipError_tPvRmT3_T4_T5_T6_T7_T9_mT8_P12ihipStream_tbDpT10_ENKUlT_T0_E_clISt17integral_constantIbLb0EES1C_IbLb1EEEEDaS18_S19_EUlS18_E_NS1_11comp_targetILNS1_3genE3ELNS1_11target_archE908ELNS1_3gpuE7ELNS1_3repE0EEENS1_30default_config_static_selectorELNS0_4arch9wavefront6targetE1EEEvT1_.uses_vcc, 0
	.set _ZN7rocprim17ROCPRIM_400000_NS6detail17trampoline_kernelINS0_14default_configENS1_25partition_config_selectorILNS1_17partition_subalgoE8EsNS0_10empty_typeEbEEZZNS1_14partition_implILS5_8ELb0ES3_jN6thrust23THRUST_200600_302600_NS6detail15normal_iteratorINSA_10device_ptrIsEEEEPS6_PKS6_NS0_5tupleIJNSA_16discard_iteratorINSA_11use_defaultEEES6_EEENSJ_IJSG_SG_EEENS0_18inequality_wrapperINSA_8equal_toIsEEEEPmJS6_EEE10hipError_tPvRmT3_T4_T5_T6_T7_T9_mT8_P12ihipStream_tbDpT10_ENKUlT_T0_E_clISt17integral_constantIbLb0EES1C_IbLb1EEEEDaS18_S19_EUlS18_E_NS1_11comp_targetILNS1_3genE3ELNS1_11target_archE908ELNS1_3gpuE7ELNS1_3repE0EEENS1_30default_config_static_selectorELNS0_4arch9wavefront6targetE1EEEvT1_.uses_flat_scratch, 0
	.set _ZN7rocprim17ROCPRIM_400000_NS6detail17trampoline_kernelINS0_14default_configENS1_25partition_config_selectorILNS1_17partition_subalgoE8EsNS0_10empty_typeEbEEZZNS1_14partition_implILS5_8ELb0ES3_jN6thrust23THRUST_200600_302600_NS6detail15normal_iteratorINSA_10device_ptrIsEEEEPS6_PKS6_NS0_5tupleIJNSA_16discard_iteratorINSA_11use_defaultEEES6_EEENSJ_IJSG_SG_EEENS0_18inequality_wrapperINSA_8equal_toIsEEEEPmJS6_EEE10hipError_tPvRmT3_T4_T5_T6_T7_T9_mT8_P12ihipStream_tbDpT10_ENKUlT_T0_E_clISt17integral_constantIbLb0EES1C_IbLb1EEEEDaS18_S19_EUlS18_E_NS1_11comp_targetILNS1_3genE3ELNS1_11target_archE908ELNS1_3gpuE7ELNS1_3repE0EEENS1_30default_config_static_selectorELNS0_4arch9wavefront6targetE1EEEvT1_.has_dyn_sized_stack, 0
	.set _ZN7rocprim17ROCPRIM_400000_NS6detail17trampoline_kernelINS0_14default_configENS1_25partition_config_selectorILNS1_17partition_subalgoE8EsNS0_10empty_typeEbEEZZNS1_14partition_implILS5_8ELb0ES3_jN6thrust23THRUST_200600_302600_NS6detail15normal_iteratorINSA_10device_ptrIsEEEEPS6_PKS6_NS0_5tupleIJNSA_16discard_iteratorINSA_11use_defaultEEES6_EEENSJ_IJSG_SG_EEENS0_18inequality_wrapperINSA_8equal_toIsEEEEPmJS6_EEE10hipError_tPvRmT3_T4_T5_T6_T7_T9_mT8_P12ihipStream_tbDpT10_ENKUlT_T0_E_clISt17integral_constantIbLb0EES1C_IbLb1EEEEDaS18_S19_EUlS18_E_NS1_11comp_targetILNS1_3genE3ELNS1_11target_archE908ELNS1_3gpuE7ELNS1_3repE0EEENS1_30default_config_static_selectorELNS0_4arch9wavefront6targetE1EEEvT1_.has_recursion, 0
	.set _ZN7rocprim17ROCPRIM_400000_NS6detail17trampoline_kernelINS0_14default_configENS1_25partition_config_selectorILNS1_17partition_subalgoE8EsNS0_10empty_typeEbEEZZNS1_14partition_implILS5_8ELb0ES3_jN6thrust23THRUST_200600_302600_NS6detail15normal_iteratorINSA_10device_ptrIsEEEEPS6_PKS6_NS0_5tupleIJNSA_16discard_iteratorINSA_11use_defaultEEES6_EEENSJ_IJSG_SG_EEENS0_18inequality_wrapperINSA_8equal_toIsEEEEPmJS6_EEE10hipError_tPvRmT3_T4_T5_T6_T7_T9_mT8_P12ihipStream_tbDpT10_ENKUlT_T0_E_clISt17integral_constantIbLb0EES1C_IbLb1EEEEDaS18_S19_EUlS18_E_NS1_11comp_targetILNS1_3genE3ELNS1_11target_archE908ELNS1_3gpuE7ELNS1_3repE0EEENS1_30default_config_static_selectorELNS0_4arch9wavefront6targetE1EEEvT1_.has_indirect_call, 0
	.section	.AMDGPU.csdata,"",@progbits
; Kernel info:
; codeLenInByte = 0
; TotalNumSgprs: 4
; NumVgprs: 0
; ScratchSize: 0
; MemoryBound: 0
; FloatMode: 240
; IeeeMode: 1
; LDSByteSize: 0 bytes/workgroup (compile time only)
; SGPRBlocks: 0
; VGPRBlocks: 0
; NumSGPRsForWavesPerEU: 4
; NumVGPRsForWavesPerEU: 1
; Occupancy: 10
; WaveLimiterHint : 0
; COMPUTE_PGM_RSRC2:SCRATCH_EN: 0
; COMPUTE_PGM_RSRC2:USER_SGPR: 6
; COMPUTE_PGM_RSRC2:TRAP_HANDLER: 0
; COMPUTE_PGM_RSRC2:TGID_X_EN: 1
; COMPUTE_PGM_RSRC2:TGID_Y_EN: 0
; COMPUTE_PGM_RSRC2:TGID_Z_EN: 0
; COMPUTE_PGM_RSRC2:TIDIG_COMP_CNT: 0
	.section	.text._ZN7rocprim17ROCPRIM_400000_NS6detail17trampoline_kernelINS0_14default_configENS1_25partition_config_selectorILNS1_17partition_subalgoE8EsNS0_10empty_typeEbEEZZNS1_14partition_implILS5_8ELb0ES3_jN6thrust23THRUST_200600_302600_NS6detail15normal_iteratorINSA_10device_ptrIsEEEEPS6_PKS6_NS0_5tupleIJNSA_16discard_iteratorINSA_11use_defaultEEES6_EEENSJ_IJSG_SG_EEENS0_18inequality_wrapperINSA_8equal_toIsEEEEPmJS6_EEE10hipError_tPvRmT3_T4_T5_T6_T7_T9_mT8_P12ihipStream_tbDpT10_ENKUlT_T0_E_clISt17integral_constantIbLb0EES1C_IbLb1EEEEDaS18_S19_EUlS18_E_NS1_11comp_targetILNS1_3genE2ELNS1_11target_archE906ELNS1_3gpuE6ELNS1_3repE0EEENS1_30default_config_static_selectorELNS0_4arch9wavefront6targetE1EEEvT1_,"axG",@progbits,_ZN7rocprim17ROCPRIM_400000_NS6detail17trampoline_kernelINS0_14default_configENS1_25partition_config_selectorILNS1_17partition_subalgoE8EsNS0_10empty_typeEbEEZZNS1_14partition_implILS5_8ELb0ES3_jN6thrust23THRUST_200600_302600_NS6detail15normal_iteratorINSA_10device_ptrIsEEEEPS6_PKS6_NS0_5tupleIJNSA_16discard_iteratorINSA_11use_defaultEEES6_EEENSJ_IJSG_SG_EEENS0_18inequality_wrapperINSA_8equal_toIsEEEEPmJS6_EEE10hipError_tPvRmT3_T4_T5_T6_T7_T9_mT8_P12ihipStream_tbDpT10_ENKUlT_T0_E_clISt17integral_constantIbLb0EES1C_IbLb1EEEEDaS18_S19_EUlS18_E_NS1_11comp_targetILNS1_3genE2ELNS1_11target_archE906ELNS1_3gpuE6ELNS1_3repE0EEENS1_30default_config_static_selectorELNS0_4arch9wavefront6targetE1EEEvT1_,comdat
	.protected	_ZN7rocprim17ROCPRIM_400000_NS6detail17trampoline_kernelINS0_14default_configENS1_25partition_config_selectorILNS1_17partition_subalgoE8EsNS0_10empty_typeEbEEZZNS1_14partition_implILS5_8ELb0ES3_jN6thrust23THRUST_200600_302600_NS6detail15normal_iteratorINSA_10device_ptrIsEEEEPS6_PKS6_NS0_5tupleIJNSA_16discard_iteratorINSA_11use_defaultEEES6_EEENSJ_IJSG_SG_EEENS0_18inequality_wrapperINSA_8equal_toIsEEEEPmJS6_EEE10hipError_tPvRmT3_T4_T5_T6_T7_T9_mT8_P12ihipStream_tbDpT10_ENKUlT_T0_E_clISt17integral_constantIbLb0EES1C_IbLb1EEEEDaS18_S19_EUlS18_E_NS1_11comp_targetILNS1_3genE2ELNS1_11target_archE906ELNS1_3gpuE6ELNS1_3repE0EEENS1_30default_config_static_selectorELNS0_4arch9wavefront6targetE1EEEvT1_ ; -- Begin function _ZN7rocprim17ROCPRIM_400000_NS6detail17trampoline_kernelINS0_14default_configENS1_25partition_config_selectorILNS1_17partition_subalgoE8EsNS0_10empty_typeEbEEZZNS1_14partition_implILS5_8ELb0ES3_jN6thrust23THRUST_200600_302600_NS6detail15normal_iteratorINSA_10device_ptrIsEEEEPS6_PKS6_NS0_5tupleIJNSA_16discard_iteratorINSA_11use_defaultEEES6_EEENSJ_IJSG_SG_EEENS0_18inequality_wrapperINSA_8equal_toIsEEEEPmJS6_EEE10hipError_tPvRmT3_T4_T5_T6_T7_T9_mT8_P12ihipStream_tbDpT10_ENKUlT_T0_E_clISt17integral_constantIbLb0EES1C_IbLb1EEEEDaS18_S19_EUlS18_E_NS1_11comp_targetILNS1_3genE2ELNS1_11target_archE906ELNS1_3gpuE6ELNS1_3repE0EEENS1_30default_config_static_selectorELNS0_4arch9wavefront6targetE1EEEvT1_
	.globl	_ZN7rocprim17ROCPRIM_400000_NS6detail17trampoline_kernelINS0_14default_configENS1_25partition_config_selectorILNS1_17partition_subalgoE8EsNS0_10empty_typeEbEEZZNS1_14partition_implILS5_8ELb0ES3_jN6thrust23THRUST_200600_302600_NS6detail15normal_iteratorINSA_10device_ptrIsEEEEPS6_PKS6_NS0_5tupleIJNSA_16discard_iteratorINSA_11use_defaultEEES6_EEENSJ_IJSG_SG_EEENS0_18inequality_wrapperINSA_8equal_toIsEEEEPmJS6_EEE10hipError_tPvRmT3_T4_T5_T6_T7_T9_mT8_P12ihipStream_tbDpT10_ENKUlT_T0_E_clISt17integral_constantIbLb0EES1C_IbLb1EEEEDaS18_S19_EUlS18_E_NS1_11comp_targetILNS1_3genE2ELNS1_11target_archE906ELNS1_3gpuE6ELNS1_3repE0EEENS1_30default_config_static_selectorELNS0_4arch9wavefront6targetE1EEEvT1_
	.p2align	8
	.type	_ZN7rocprim17ROCPRIM_400000_NS6detail17trampoline_kernelINS0_14default_configENS1_25partition_config_selectorILNS1_17partition_subalgoE8EsNS0_10empty_typeEbEEZZNS1_14partition_implILS5_8ELb0ES3_jN6thrust23THRUST_200600_302600_NS6detail15normal_iteratorINSA_10device_ptrIsEEEEPS6_PKS6_NS0_5tupleIJNSA_16discard_iteratorINSA_11use_defaultEEES6_EEENSJ_IJSG_SG_EEENS0_18inequality_wrapperINSA_8equal_toIsEEEEPmJS6_EEE10hipError_tPvRmT3_T4_T5_T6_T7_T9_mT8_P12ihipStream_tbDpT10_ENKUlT_T0_E_clISt17integral_constantIbLb0EES1C_IbLb1EEEEDaS18_S19_EUlS18_E_NS1_11comp_targetILNS1_3genE2ELNS1_11target_archE906ELNS1_3gpuE6ELNS1_3repE0EEENS1_30default_config_static_selectorELNS0_4arch9wavefront6targetE1EEEvT1_,@function
_ZN7rocprim17ROCPRIM_400000_NS6detail17trampoline_kernelINS0_14default_configENS1_25partition_config_selectorILNS1_17partition_subalgoE8EsNS0_10empty_typeEbEEZZNS1_14partition_implILS5_8ELb0ES3_jN6thrust23THRUST_200600_302600_NS6detail15normal_iteratorINSA_10device_ptrIsEEEEPS6_PKS6_NS0_5tupleIJNSA_16discard_iteratorINSA_11use_defaultEEES6_EEENSJ_IJSG_SG_EEENS0_18inequality_wrapperINSA_8equal_toIsEEEEPmJS6_EEE10hipError_tPvRmT3_T4_T5_T6_T7_T9_mT8_P12ihipStream_tbDpT10_ENKUlT_T0_E_clISt17integral_constantIbLb0EES1C_IbLb1EEEEDaS18_S19_EUlS18_E_NS1_11comp_targetILNS1_3genE2ELNS1_11target_archE906ELNS1_3gpuE6ELNS1_3repE0EEENS1_30default_config_static_selectorELNS0_4arch9wavefront6targetE1EEEvT1_: ; @_ZN7rocprim17ROCPRIM_400000_NS6detail17trampoline_kernelINS0_14default_configENS1_25partition_config_selectorILNS1_17partition_subalgoE8EsNS0_10empty_typeEbEEZZNS1_14partition_implILS5_8ELb0ES3_jN6thrust23THRUST_200600_302600_NS6detail15normal_iteratorINSA_10device_ptrIsEEEEPS6_PKS6_NS0_5tupleIJNSA_16discard_iteratorINSA_11use_defaultEEES6_EEENSJ_IJSG_SG_EEENS0_18inequality_wrapperINSA_8equal_toIsEEEEPmJS6_EEE10hipError_tPvRmT3_T4_T5_T6_T7_T9_mT8_P12ihipStream_tbDpT10_ENKUlT_T0_E_clISt17integral_constantIbLb0EES1C_IbLb1EEEEDaS18_S19_EUlS18_E_NS1_11comp_targetILNS1_3genE2ELNS1_11target_archE906ELNS1_3gpuE6ELNS1_3repE0EEENS1_30default_config_static_selectorELNS0_4arch9wavefront6targetE1EEEvT1_
; %bb.0:
	s_load_dwordx2 s[6:7], s[4:5], 0x58
	s_load_dwordx4 s[40:43], s[4:5], 0x48
	s_load_dwordx2 s[44:45], s[4:5], 0x68
	v_cmp_ne_u32_e64 s[2:3], 0, v0
	v_cmp_eq_u32_e64 s[0:1], 0, v0
	s_and_saveexec_b64 s[8:9], s[0:1]
	s_cbranch_execz .LBB721_4
; %bb.1:
	s_mov_b64 s[12:13], exec
	v_mbcnt_lo_u32_b32 v1, s12, 0
	v_mbcnt_hi_u32_b32 v1, s13, v1
	v_cmp_eq_u32_e32 vcc, 0, v1
                                        ; implicit-def: $vgpr2
	s_and_saveexec_b64 s[10:11], vcc
	s_cbranch_execz .LBB721_3
; %bb.2:
	s_load_dwordx2 s[14:15], s[4:5], 0x78
	s_bcnt1_i32_b64 s12, s[12:13]
	v_mov_b32_e32 v2, 0
	v_mov_b32_e32 v3, s12
	s_waitcnt lgkmcnt(0)
	global_atomic_add v2, v2, v3, s[14:15] glc
.LBB721_3:
	s_or_b64 exec, exec, s[10:11]
	s_waitcnt vmcnt(0)
	v_readfirstlane_b32 s10, v2
	v_add_u32_e32 v1, s10, v1
	v_mov_b32_e32 v2, 0
	ds_write_b32 v2, v1
.LBB721_4:
	s_or_b64 exec, exec, s[8:9]
	v_mov_b32_e32 v2, 0
	s_load_dwordx4 s[8:11], s[4:5], 0x8
	s_load_dword s12, s[4:5], 0x70
	s_waitcnt lgkmcnt(0)
	s_barrier
	ds_read_b32 v1, v2
	s_waitcnt lgkmcnt(0)
	s_barrier
	global_load_dwordx2 v[17:18], v2, s[42:43]
	s_lshl_b64 s[4:5], s[10:11], 1
	s_add_u32 s8, s8, s4
	s_movk_i32 s4, 0xd80
	v_readfirstlane_b32 s33, v1
	v_mul_lo_u32 v1, v1, s4
	s_mul_i32 s4, s12, 0xd80
	s_addc_u32 s9, s9, s5
	s_add_i32 s5, s4, s10
	s_add_i32 s13, s12, -1
	s_sub_i32 s56, s6, s5
	s_add_u32 s4, s10, s4
	s_addc_u32 s5, s11, 0
	v_mov_b32_e32 v3, s4
	v_mov_b32_e32 v4, s5
	v_cmp_le_u64_e32 vcc, s[6:7], v[3:4]
	s_cmp_eq_u32 s33, s13
	v_lshlrev_b64 v[1:2], 1, v[1:2]
	s_cselect_b64 s[42:43], -1, 0
	s_and_b64 s[46:47], vcc, s[42:43]
	v_mov_b32_e32 v3, s9
	v_add_co_u32_e32 v20, vcc, s8, v1
	s_xor_b64 s[6:7], s[46:47], -1
	v_addc_co_u32_e32 v31, vcc, v3, v2, vcc
	s_mov_b64 s[4:5], -1
	s_and_b64 vcc, exec, s[6:7]
	v_lshlrev_b32_e32 v19, 1, v0
	s_cbranch_vccz .LBB721_6
; %bb.5:
	v_add_co_u32_e32 v1, vcc, v20, v19
	v_addc_co_u32_e32 v2, vcc, 0, v31, vcc
	v_add_co_u32_e32 v3, vcc, 0x1000, v1
	flat_load_ushort v5, v[1:2]
	flat_load_ushort v6, v[1:2] offset:384
	flat_load_ushort v7, v[1:2] offset:768
	flat_load_ushort v8, v[1:2] offset:1152
	flat_load_ushort v9, v[1:2] offset:1536
	flat_load_ushort v10, v[1:2] offset:1920
	flat_load_ushort v11, v[1:2] offset:2304
	flat_load_ushort v12, v[1:2] offset:2688
	v_addc_co_u32_e32 v4, vcc, 0, v2, vcc
	flat_load_ushort v13, v[1:2] offset:3072
	flat_load_ushort v14, v[1:2] offset:3456
	;; [unrolled: 1-line block ×10, first 2 shown]
	s_mov_b64 s[4:5], 0
	s_waitcnt vmcnt(0) lgkmcnt(0)
	ds_write_b16 v19, v5
	ds_write_b16 v19, v6 offset:384
	ds_write_b16 v19, v7 offset:768
	;; [unrolled: 1-line block ×17, first 2 shown]
	s_waitcnt lgkmcnt(0)
	s_barrier
.LBB721_6:
	s_andn2_b64 vcc, exec, s[4:5]
	s_addk_i32 s56, 0xd80
	s_cbranch_vccnz .LBB721_44
; %bb.7:
	v_mov_b32_e32 v1, 0
	v_cmp_gt_u32_e32 vcc, s56, v0
	v_mov_b32_e32 v2, v1
	v_mov_b32_e32 v3, v1
	;; [unrolled: 1-line block ×8, first 2 shown]
	s_and_saveexec_b64 s[4:5], vcc
	s_cbranch_execz .LBB721_9
; %bb.8:
	v_add_co_u32_e32 v2, vcc, v20, v19
	v_addc_co_u32_e32 v3, vcc, 0, v31, vcc
	flat_load_ushort v10, v[2:3]
	v_mov_b32_e32 v2, v1
	v_mov_b32_e32 v3, v1
	;; [unrolled: 1-line block ×8, first 2 shown]
	s_waitcnt vmcnt(0) lgkmcnt(0)
	v_and_b32_e32 v1, 0xffff, v10
.LBB721_9:
	s_or_b64 exec, exec, s[4:5]
	v_add_u32_e32 v10, 0xc0, v0
	v_cmp_gt_u32_e32 vcc, s56, v10
	s_and_saveexec_b64 s[4:5], vcc
	s_cbranch_execz .LBB721_11
; %bb.10:
	v_add_co_u32_e32 v10, vcc, v20, v19
	v_addc_co_u32_e32 v11, vcc, 0, v31, vcc
	flat_load_ushort v10, v[10:11] offset:384
	s_mov_b32 s8, 0x5040100
	s_waitcnt vmcnt(0) lgkmcnt(0)
	v_perm_b32 v1, v10, v1, s8
.LBB721_11:
	s_or_b64 exec, exec, s[4:5]
	v_add_u32_e32 v10, 0x180, v0
	v_cmp_gt_u32_e32 vcc, s56, v10
	s_and_saveexec_b64 s[4:5], vcc
	s_cbranch_execz .LBB721_13
; %bb.12:
	v_add_co_u32_e32 v10, vcc, v20, v19
	v_addc_co_u32_e32 v11, vcc, 0, v31, vcc
	flat_load_ushort v10, v[10:11] offset:768
	s_mov_b32 s8, 0xffff
	s_waitcnt vmcnt(0) lgkmcnt(0)
	v_bfi_b32 v2, s8, v10, v2
.LBB721_13:
	s_or_b64 exec, exec, s[4:5]
	v_add_u32_e32 v10, 0x240, v0
	v_cmp_gt_u32_e32 vcc, s56, v10
	s_and_saveexec_b64 s[4:5], vcc
	s_cbranch_execz .LBB721_15
; %bb.14:
	v_add_co_u32_e32 v10, vcc, v20, v19
	v_addc_co_u32_e32 v11, vcc, 0, v31, vcc
	flat_load_ushort v10, v[10:11] offset:1152
	s_mov_b32 s8, 0x5040100
	s_waitcnt vmcnt(0) lgkmcnt(0)
	v_perm_b32 v2, v10, v2, s8
.LBB721_15:
	s_or_b64 exec, exec, s[4:5]
	v_or_b32_e32 v10, 0x300, v0
	v_cmp_gt_u32_e32 vcc, s56, v10
	s_and_saveexec_b64 s[4:5], vcc
	s_cbranch_execz .LBB721_17
; %bb.16:
	v_add_co_u32_e32 v10, vcc, v20, v19
	v_addc_co_u32_e32 v11, vcc, 0, v31, vcc
	flat_load_ushort v10, v[10:11] offset:1536
	s_mov_b32 s8, 0xffff
	s_waitcnt vmcnt(0) lgkmcnt(0)
	v_bfi_b32 v3, s8, v10, v3
.LBB721_17:
	s_or_b64 exec, exec, s[4:5]
	v_add_u32_e32 v10, 0x3c0, v0
	v_cmp_gt_u32_e32 vcc, s56, v10
	s_and_saveexec_b64 s[4:5], vcc
	s_cbranch_execz .LBB721_19
; %bb.18:
	v_add_co_u32_e32 v10, vcc, v20, v19
	v_addc_co_u32_e32 v11, vcc, 0, v31, vcc
	flat_load_ushort v10, v[10:11] offset:1920
	s_mov_b32 s8, 0x5040100
	s_waitcnt vmcnt(0) lgkmcnt(0)
	v_perm_b32 v3, v10, v3, s8
.LBB721_19:
	s_or_b64 exec, exec, s[4:5]
	v_add_u32_e32 v10, 0x480, v0
	v_cmp_gt_u32_e32 vcc, s56, v10
	s_and_saveexec_b64 s[4:5], vcc
	s_cbranch_execz .LBB721_21
; %bb.20:
	v_add_co_u32_e32 v10, vcc, v20, v19
	v_addc_co_u32_e32 v11, vcc, 0, v31, vcc
	flat_load_ushort v10, v[10:11] offset:2304
	s_mov_b32 s8, 0xffff
	s_waitcnt vmcnt(0) lgkmcnt(0)
	v_bfi_b32 v4, s8, v10, v4
.LBB721_21:
	s_or_b64 exec, exec, s[4:5]
	v_add_u32_e32 v10, 0x540, v0
	v_cmp_gt_u32_e32 vcc, s56, v10
	s_and_saveexec_b64 s[4:5], vcc
	s_cbranch_execz .LBB721_23
; %bb.22:
	v_add_co_u32_e32 v10, vcc, v20, v19
	v_addc_co_u32_e32 v11, vcc, 0, v31, vcc
	flat_load_ushort v10, v[10:11] offset:2688
	s_mov_b32 s8, 0x5040100
	s_waitcnt vmcnt(0) lgkmcnt(0)
	v_perm_b32 v4, v10, v4, s8
.LBB721_23:
	s_or_b64 exec, exec, s[4:5]
	v_or_b32_e32 v10, 0x600, v0
	v_cmp_gt_u32_e32 vcc, s56, v10
	s_and_saveexec_b64 s[4:5], vcc
	s_cbranch_execz .LBB721_25
; %bb.24:
	v_add_co_u32_e32 v10, vcc, v20, v19
	v_addc_co_u32_e32 v11, vcc, 0, v31, vcc
	flat_load_ushort v10, v[10:11] offset:3072
	s_mov_b32 s8, 0xffff
	s_waitcnt vmcnt(0) lgkmcnt(0)
	v_bfi_b32 v5, s8, v10, v5
.LBB721_25:
	s_or_b64 exec, exec, s[4:5]
	v_add_u32_e32 v10, 0x6c0, v0
	v_cmp_gt_u32_e32 vcc, s56, v10
	s_and_saveexec_b64 s[4:5], vcc
	s_cbranch_execz .LBB721_27
; %bb.26:
	v_add_co_u32_e32 v10, vcc, v20, v19
	v_addc_co_u32_e32 v11, vcc, 0, v31, vcc
	flat_load_ushort v10, v[10:11] offset:3456
	s_mov_b32 s8, 0x5040100
	s_waitcnt vmcnt(0) lgkmcnt(0)
	v_perm_b32 v5, v10, v5, s8
.LBB721_27:
	s_or_b64 exec, exec, s[4:5]
	v_add_u32_e32 v10, 0x780, v0
	v_cmp_gt_u32_e32 vcc, s56, v10
	s_and_saveexec_b64 s[4:5], vcc
	s_cbranch_execz .LBB721_29
; %bb.28:
	v_add_co_u32_e32 v10, vcc, v20, v19
	v_addc_co_u32_e32 v11, vcc, 0, v31, vcc
	flat_load_ushort v10, v[10:11] offset:3840
	s_mov_b32 s8, 0xffff
	s_waitcnt vmcnt(0) lgkmcnt(0)
	v_bfi_b32 v6, s8, v10, v6
.LBB721_29:
	s_or_b64 exec, exec, s[4:5]
	v_add_u32_e32 v10, 0x840, v0
	v_cmp_gt_u32_e32 vcc, s56, v10
	s_and_saveexec_b64 s[4:5], vcc
	s_cbranch_execz .LBB721_31
; %bb.30:
	v_lshlrev_b32_e32 v10, 1, v10
	v_add_co_u32_e32 v10, vcc, v20, v10
	v_addc_co_u32_e32 v11, vcc, 0, v31, vcc
	flat_load_ushort v10, v[10:11]
	s_mov_b32 s8, 0x5040100
	s_waitcnt vmcnt(0) lgkmcnt(0)
	v_perm_b32 v6, v10, v6, s8
.LBB721_31:
	s_or_b64 exec, exec, s[4:5]
	v_or_b32_e32 v10, 0x900, v0
	v_cmp_gt_u32_e32 vcc, s56, v10
	s_and_saveexec_b64 s[4:5], vcc
	s_cbranch_execz .LBB721_33
; %bb.32:
	v_lshlrev_b32_e32 v10, 1, v10
	v_add_co_u32_e32 v10, vcc, v20, v10
	v_addc_co_u32_e32 v11, vcc, 0, v31, vcc
	flat_load_ushort v10, v[10:11]
	s_mov_b32 s8, 0xffff
	s_waitcnt vmcnt(0) lgkmcnt(0)
	v_bfi_b32 v7, s8, v10, v7
.LBB721_33:
	s_or_b64 exec, exec, s[4:5]
	v_add_u32_e32 v10, 0x9c0, v0
	v_cmp_gt_u32_e32 vcc, s56, v10
	s_and_saveexec_b64 s[4:5], vcc
	s_cbranch_execz .LBB721_35
; %bb.34:
	v_lshlrev_b32_e32 v10, 1, v10
	v_add_co_u32_e32 v10, vcc, v20, v10
	v_addc_co_u32_e32 v11, vcc, 0, v31, vcc
	flat_load_ushort v10, v[10:11]
	s_mov_b32 s8, 0x5040100
	s_waitcnt vmcnt(0) lgkmcnt(0)
	v_perm_b32 v7, v10, v7, s8
.LBB721_35:
	s_or_b64 exec, exec, s[4:5]
	v_add_u32_e32 v10, 0xa80, v0
	v_cmp_gt_u32_e32 vcc, s56, v10
	s_and_saveexec_b64 s[4:5], vcc
	s_cbranch_execz .LBB721_37
; %bb.36:
	v_lshlrev_b32_e32 v10, 1, v10
	v_add_co_u32_e32 v10, vcc, v20, v10
	v_addc_co_u32_e32 v11, vcc, 0, v31, vcc
	flat_load_ushort v10, v[10:11]
	s_mov_b32 s8, 0xffff
	s_waitcnt vmcnt(0) lgkmcnt(0)
	v_bfi_b32 v8, s8, v10, v8
.LBB721_37:
	s_or_b64 exec, exec, s[4:5]
	v_add_u32_e32 v10, 0xb40, v0
	v_cmp_gt_u32_e32 vcc, s56, v10
	s_and_saveexec_b64 s[4:5], vcc
	s_cbranch_execz .LBB721_39
; %bb.38:
	v_lshlrev_b32_e32 v10, 1, v10
	v_add_co_u32_e32 v10, vcc, v20, v10
	v_addc_co_u32_e32 v11, vcc, 0, v31, vcc
	flat_load_ushort v10, v[10:11]
	s_mov_b32 s8, 0x5040100
	s_waitcnt vmcnt(0) lgkmcnt(0)
	v_perm_b32 v8, v10, v8, s8
.LBB721_39:
	s_or_b64 exec, exec, s[4:5]
	v_or_b32_e32 v10, 0xc00, v0
	v_cmp_gt_u32_e32 vcc, s56, v10
	s_and_saveexec_b64 s[4:5], vcc
	s_cbranch_execz .LBB721_41
; %bb.40:
	v_lshlrev_b32_e32 v10, 1, v10
	v_add_co_u32_e32 v10, vcc, v20, v10
	v_addc_co_u32_e32 v11, vcc, 0, v31, vcc
	flat_load_ushort v10, v[10:11]
	s_mov_b32 s8, 0xffff
	s_waitcnt vmcnt(0) lgkmcnt(0)
	v_bfi_b32 v9, s8, v10, v9
.LBB721_41:
	s_or_b64 exec, exec, s[4:5]
	v_add_u32_e32 v10, 0xcc0, v0
	v_cmp_gt_u32_e32 vcc, s56, v10
	s_and_saveexec_b64 s[4:5], vcc
	s_cbranch_execz .LBB721_43
; %bb.42:
	v_lshlrev_b32_e32 v10, 1, v10
	v_add_co_u32_e32 v10, vcc, v20, v10
	v_addc_co_u32_e32 v11, vcc, 0, v31, vcc
	flat_load_ushort v10, v[10:11]
	s_mov_b32 s8, 0x5040100
	s_waitcnt vmcnt(0) lgkmcnt(0)
	v_perm_b32 v9, v10, v9, s8
.LBB721_43:
	s_or_b64 exec, exec, s[4:5]
	ds_write_b16 v19, v1
	ds_write_b16_d16_hi v19, v1 offset:384
	ds_write_b16 v19, v2 offset:768
	ds_write_b16_d16_hi v19, v2 offset:1152
	ds_write_b16 v19, v3 offset:1536
	;; [unrolled: 2-line block ×8, first 2 shown]
	ds_write_b16_d16_hi v19, v9 offset:6528
	s_waitcnt vmcnt(0) lgkmcnt(0)
	s_barrier
.LBB721_44:
	v_mul_u32_u24_e32 v9, 18, v0
	v_lshlrev_b32_e32 v10, 1, v9
	ds_read2_b32 v[7:8], v10 offset1:1
	ds_read2_b32 v[5:6], v10 offset0:2 offset1:3
	ds_read2_b32 v[3:4], v10 offset0:4 offset1:5
	;; [unrolled: 1-line block ×3, first 2 shown]
	ds_read_b32 v22, v10 offset:32
	s_cmp_lg_u32 s33, 0
	s_cselect_b64 s[48:49], -1, 0
	s_cmp_lg_u64 s[10:11], 0
	s_cselect_b64 s[4:5], -1, 0
	s_or_b64 s[4:5], s[4:5], s[48:49]
	s_waitcnt lgkmcnt(4)
	v_lshrrev_b32_e32 v30, 16, v7
	v_lshrrev_b32_e32 v29, 16, v8
	s_waitcnt lgkmcnt(3)
	v_lshrrev_b32_e32 v28, 16, v5
	v_lshrrev_b32_e32 v27, 16, v6
	;; [unrolled: 3-line block ×4, first 2 shown]
	s_waitcnt lgkmcnt(0)
	v_lshrrev_b32_e32 v21, 16, v22
	s_mov_b64 s[52:53], 0
	s_and_b64 vcc, exec, s[4:5]
	s_waitcnt vmcnt(0)
	s_barrier
	s_cbranch_vccz .LBB721_49
; %bb.45:
	v_add_co_u32_e32 v11, vcc, -2, v20
	v_addc_co_u32_e32 v12, vcc, -1, v31, vcc
	flat_load_ushort v11, v[11:12]
	s_and_b64 vcc, exec, s[6:7]
	ds_write_b16 v19, v21
	s_cbranch_vccz .LBB721_50
; %bb.46:
	s_waitcnt vmcnt(0) lgkmcnt(0)
	v_mov_b32_e32 v12, v11
	s_barrier
	s_and_saveexec_b64 s[4:5], s[2:3]
; %bb.47:
	v_add_u32_e32 v12, -2, v19
	ds_read_u16 v12, v12
; %bb.48:
	s_or_b64 exec, exec, s[4:5]
	v_cmp_ne_u16_e32 vcc, v22, v21
	v_cndmask_b32_e64 v31, 0, 1, vcc
	v_cmp_ne_u16_e32 vcc, v23, v22
	v_cndmask_b32_e64 v32, 0, 1, vcc
	;; [unrolled: 2-line block ×17, first 2 shown]
	s_waitcnt lgkmcnt(0)
	v_cmp_ne_u16_e64 s[50:51], v12, v7
	s_branch .LBB721_54
.LBB721_49:
                                        ; implicit-def: $sgpr50_sgpr51
                                        ; implicit-def: $vgpr31
                                        ; implicit-def: $vgpr32
                                        ; implicit-def: $vgpr33
                                        ; implicit-def: $vgpr34
                                        ; implicit-def: $vgpr35
                                        ; implicit-def: $vgpr36
                                        ; implicit-def: $vgpr37
                                        ; implicit-def: $vgpr38
                                        ; implicit-def: $vgpr39
                                        ; implicit-def: $vgpr47
                                        ; implicit-def: $vgpr46
                                        ; implicit-def: $vgpr45
                                        ; implicit-def: $vgpr44
                                        ; implicit-def: $vgpr43
                                        ; implicit-def: $vgpr42
                                        ; implicit-def: $vgpr41
                                        ; implicit-def: $vgpr40
	s_branch .LBB721_55
.LBB721_50:
                                        ; implicit-def: $sgpr50_sgpr51
                                        ; implicit-def: $vgpr31
                                        ; implicit-def: $vgpr32
                                        ; implicit-def: $vgpr33
                                        ; implicit-def: $vgpr34
                                        ; implicit-def: $vgpr35
                                        ; implicit-def: $vgpr36
                                        ; implicit-def: $vgpr37
                                        ; implicit-def: $vgpr38
                                        ; implicit-def: $vgpr39
                                        ; implicit-def: $vgpr47
                                        ; implicit-def: $vgpr46
                                        ; implicit-def: $vgpr45
                                        ; implicit-def: $vgpr44
                                        ; implicit-def: $vgpr43
                                        ; implicit-def: $vgpr42
                                        ; implicit-def: $vgpr41
                                        ; implicit-def: $vgpr40
	s_cbranch_execz .LBB721_54
; %bb.51:
	s_waitcnt vmcnt(0) lgkmcnt(0)
	s_barrier
	s_and_saveexec_b64 s[4:5], s[2:3]
; %bb.52:
	v_add_u32_e32 v11, -2, v19
	ds_read_u16 v11, v11
; %bb.53:
	s_or_b64 exec, exec, s[4:5]
	v_add_u32_e32 v12, 17, v9
	v_cmp_gt_u32_e32 vcc, s56, v12
	v_cmp_ne_u16_e64 s[4:5], v22, v21
	s_and_b64 s[4:5], vcc, s[4:5]
	v_add_u32_e32 v12, 16, v9
	v_cndmask_b32_e64 v31, 0, 1, s[4:5]
	v_cmp_gt_u32_e32 vcc, s56, v12
	v_cmp_ne_u16_e64 s[4:5], v23, v22
	s_and_b64 s[4:5], vcc, s[4:5]
	v_add_u32_e32 v12, 15, v9
	v_cndmask_b32_e64 v32, 0, 1, s[4:5]
	;; [unrolled: 5-line block ×15, first 2 shown]
	v_cmp_gt_u32_e32 vcc, s56, v12
	v_cmp_ne_u16_e64 s[4:5], v30, v8
	s_and_b64 s[4:5], vcc, s[4:5]
	v_or_b32_e32 v12, 1, v9
	v_cndmask_b32_e64 v46, 0, 1, s[4:5]
	v_cmp_gt_u32_e32 vcc, s56, v12
	v_cmp_ne_u16_e64 s[4:5], v7, v30
	s_and_b64 s[4:5], vcc, s[4:5]
	v_cndmask_b32_e64 v47, 0, 1, s[4:5]
	v_cmp_gt_u32_e32 vcc, s56, v9
	s_waitcnt lgkmcnt(0)
	v_cmp_ne_u16_e64 s[4:5], v11, v7
	s_and_b64 s[50:51], vcc, s[4:5]
.LBB721_54:
	s_mov_b64 s[52:53], -1
	s_cbranch_execnz .LBB721_63
.LBB721_55:
	s_movk_i32 s4, 0xffde
	v_mad_i32_i24 v10, v0, s4, v10
	s_and_b64 vcc, exec, s[6:7]
	v_cmp_ne_u16_e64 s[4:5], v22, v21
	v_cmp_ne_u16_e64 s[6:7], v23, v22
	;; [unrolled: 1-line block ×17, first 2 shown]
	ds_write_b16 v10, v21
	s_cbranch_vccz .LBB721_59
; %bb.56:
	s_waitcnt vmcnt(0) lgkmcnt(0)
	s_barrier
                                        ; implicit-def: $sgpr50_sgpr51
	s_and_saveexec_b64 s[54:55], s[2:3]
	s_xor_b64 s[54:55], exec, s[54:55]
	s_cbranch_execz .LBB721_58
; %bb.57:
	v_add_u32_e32 v11, -2, v10
	ds_read_u16 v11, v11
	s_or_b64 s[52:53], s[52:53], exec
	s_waitcnt lgkmcnt(0)
	v_cmp_ne_u16_e64 s[50:51], v11, v7
.LBB721_58:
	s_or_b64 exec, exec, s[54:55]
	v_cndmask_b32_e64 v31, 0, 1, s[4:5]
	v_cndmask_b32_e64 v32, 0, 1, s[6:7]
	;; [unrolled: 1-line block ×17, first 2 shown]
	s_branch .LBB721_63
.LBB721_59:
                                        ; implicit-def: $sgpr50_sgpr51
                                        ; implicit-def: $vgpr31
                                        ; implicit-def: $vgpr32
                                        ; implicit-def: $vgpr33
                                        ; implicit-def: $vgpr34
                                        ; implicit-def: $vgpr35
                                        ; implicit-def: $vgpr36
                                        ; implicit-def: $vgpr37
                                        ; implicit-def: $vgpr38
                                        ; implicit-def: $vgpr39
                                        ; implicit-def: $vgpr47
                                        ; implicit-def: $vgpr46
                                        ; implicit-def: $vgpr45
                                        ; implicit-def: $vgpr44
                                        ; implicit-def: $vgpr43
                                        ; implicit-def: $vgpr42
                                        ; implicit-def: $vgpr41
                                        ; implicit-def: $vgpr40
	s_cbranch_execz .LBB721_63
; %bb.60:
	s_waitcnt vmcnt(0) lgkmcnt(0)
	v_add_u32_e32 v11, 17, v9
	v_cmp_gt_u32_e32 vcc, s56, v11
	v_cmp_ne_u16_e64 s[4:5], v22, v21
	v_add_u32_e32 v11, 16, v9
	s_and_b64 s[6:7], vcc, s[4:5]
	v_cmp_gt_u32_e32 vcc, s56, v11
	v_cmp_ne_u16_e64 s[4:5], v23, v22
	v_add_u32_e32 v11, 15, v9
	s_and_b64 s[8:9], vcc, s[4:5]
	v_cmp_gt_u32_e32 vcc, s56, v11
	v_cmp_ne_u16_e64 s[4:5], v2, v23
	v_add_u32_e32 v11, 14, v9
	s_and_b64 s[10:11], vcc, s[4:5]
	v_cmp_gt_u32_e32 vcc, s56, v11
	v_cmp_ne_u16_e64 s[4:5], v24, v2
	v_add_u32_e32 v11, 13, v9
	s_and_b64 s[12:13], vcc, s[4:5]
	v_cmp_gt_u32_e32 vcc, s56, v11
	v_cmp_ne_u16_e64 s[4:5], v1, v24
	v_add_u32_e32 v11, 12, v9
	s_and_b64 s[14:15], vcc, s[4:5]
	v_cmp_gt_u32_e32 vcc, s56, v11
	v_cmp_ne_u16_e64 s[4:5], v25, v1
	v_add_u32_e32 v11, 11, v9
	s_and_b64 s[16:17], vcc, s[4:5]
	v_cmp_gt_u32_e32 vcc, s56, v11
	v_cmp_ne_u16_e64 s[4:5], v4, v25
	v_add_u32_e32 v11, 10, v9
	s_and_b64 s[18:19], vcc, s[4:5]
	v_cmp_gt_u32_e32 vcc, s56, v11
	v_cmp_ne_u16_e64 s[4:5], v26, v4
	v_add_u32_e32 v11, 9, v9
	s_and_b64 s[20:21], vcc, s[4:5]
	v_cmp_gt_u32_e32 vcc, s56, v11
	v_cmp_ne_u16_e64 s[4:5], v3, v26
	v_add_u32_e32 v11, 8, v9
	s_and_b64 s[22:23], vcc, s[4:5]
	v_cmp_gt_u32_e32 vcc, s56, v11
	v_cmp_ne_u16_e64 s[4:5], v27, v3
	v_add_u32_e32 v11, 7, v9
	s_and_b64 s[24:25], vcc, s[4:5]
	v_cmp_gt_u32_e32 vcc, s56, v11
	v_cmp_ne_u16_e64 s[4:5], v6, v27
	v_add_u32_e32 v11, 6, v9
	s_and_b64 s[26:27], vcc, s[4:5]
	v_cmp_gt_u32_e32 vcc, s56, v11
	v_cmp_ne_u16_e64 s[4:5], v28, v6
	v_add_u32_e32 v11, 5, v9
	s_and_b64 s[28:29], vcc, s[4:5]
	v_cmp_gt_u32_e32 vcc, s56, v11
	v_cmp_ne_u16_e64 s[4:5], v5, v28
	v_add_u32_e32 v11, 4, v9
	s_and_b64 s[30:31], vcc, s[4:5]
	v_cmp_gt_u32_e32 vcc, s56, v11
	v_cmp_ne_u16_e64 s[4:5], v29, v5
	v_add_u32_e32 v11, 3, v9
	s_and_b64 s[34:35], vcc, s[4:5]
	v_cmp_gt_u32_e32 vcc, s56, v11
	v_cmp_ne_u16_e64 s[4:5], v8, v29
	v_add_u32_e32 v11, 2, v9
	s_and_b64 s[36:37], vcc, s[4:5]
	v_cmp_gt_u32_e32 vcc, s56, v11
	v_cmp_ne_u16_e64 s[4:5], v30, v8
	v_or_b32_e32 v11, 1, v9
	s_and_b64 s[38:39], vcc, s[4:5]
	v_cmp_gt_u32_e32 vcc, s56, v11
	v_cmp_ne_u16_e64 s[4:5], v7, v30
	s_and_b64 s[4:5], vcc, s[4:5]
	s_barrier
                                        ; implicit-def: $sgpr50_sgpr51
	s_and_saveexec_b64 s[54:55], s[2:3]
	s_cbranch_execz .LBB721_62
; %bb.61:
	v_add_u32_e32 v10, -2, v10
	ds_read_u16 v10, v10
	v_cmp_gt_u32_e32 vcc, s56, v9
	s_or_b64 s[52:53], s[52:53], exec
	s_waitcnt lgkmcnt(0)
	v_cmp_ne_u16_e64 s[2:3], v10, v7
	s_and_b64 s[50:51], vcc, s[2:3]
.LBB721_62:
	s_or_b64 exec, exec, s[54:55]
	v_cndmask_b32_e64 v31, 0, 1, s[6:7]
	v_cndmask_b32_e64 v32, 0, 1, s[8:9]
	;; [unrolled: 1-line block ×17, first 2 shown]
.LBB721_63:
	v_mov_b32_e32 v52, 1
	s_and_saveexec_b64 s[2:3], s[52:53]
; %bb.64:
	v_cndmask_b32_e64 v52, 0, 1, s[50:51]
; %bb.65:
	s_or_b64 exec, exec, s[2:3]
	s_andn2_b64 vcc, exec, s[46:47]
	s_cbranch_vccnz .LBB721_67
; %bb.66:
	v_cmp_gt_u32_e32 vcc, s56, v9
	v_or_b32_e32 v10, 1, v9
	v_cndmask_b32_e32 v52, 0, v52, vcc
	v_cmp_gt_u32_e32 vcc, s56, v10
	v_add_u32_e32 v10, 2, v9
	v_cndmask_b32_e32 v47, 0, v47, vcc
	v_cmp_gt_u32_e32 vcc, s56, v10
	v_add_u32_e32 v10, 3, v9
	;; [unrolled: 3-line block ×16, first 2 shown]
	v_cndmask_b32_e32 v32, 0, v32, vcc
	v_cmp_gt_u32_e32 vcc, s56, v9
	v_cndmask_b32_e32 v31, 0, v31, vcc
.LBB721_67:
	v_and_b32_e32 v58, 0xff, v43
	v_and_b32_e32 v57, 0xff, v42
	v_add_u32_sdwa v10, v41, v40 dst_sel:DWORD dst_unused:UNUSED_PAD src0_sel:BYTE_0 src1_sel:BYTE_0
	v_and_b32_e32 v60, 0xff, v45
	v_and_b32_e32 v59, 0xff, v44
	v_add3_u32 v10, v10, v57, v58
	v_and_b32_e32 v62, 0xff, v47
	v_and_b32_e32 v61, 0xff, v46
	v_add3_u32 v10, v10, v59, v60
	;; [unrolled: 3-line block ×7, first 2 shown]
	v_add3_u32 v66, v10, v48, v9
	v_mbcnt_lo_u32_b32 v9, -1, 0
	v_mbcnt_hi_u32_b32 v64, -1, v9
	v_and_b32_e32 v9, 15, v64
	v_cmp_eq_u32_e64 s[14:15], 0, v9
	v_cmp_lt_u32_e64 s[12:13], 1, v9
	v_cmp_lt_u32_e64 s[10:11], 3, v9
	;; [unrolled: 1-line block ×3, first 2 shown]
	v_and_b32_e32 v9, 16, v64
	v_cmp_eq_u32_e64 s[4:5], 0, v9
	v_and_b32_e32 v9, 0xc0, v0
	v_min_u32_e32 v9, 0x80, v9
	v_or_b32_e32 v9, 63, v9
	v_cmp_lt_u32_e64 s[2:3], 31, v64
	v_lshrrev_b32_e32 v65, 6, v0
	v_cmp_eq_u32_e64 s[6:7], v0, v9
	s_and_b64 vcc, exec, s[48:49]
	s_waitcnt vmcnt(0) lgkmcnt(0)
	s_barrier
	s_cbranch_vccz .LBB721_89
; %bb.68:
	v_mov_b32_dpp v9, v66 row_shr:1 row_mask:0xf bank_mask:0xf
	v_cndmask_b32_e64 v9, v9, 0, s[14:15]
	v_add_u32_e32 v9, v9, v66
	s_nop 1
	v_mov_b32_dpp v10, v9 row_shr:2 row_mask:0xf bank_mask:0xf
	v_cndmask_b32_e64 v10, 0, v10, s[12:13]
	v_add_u32_e32 v9, v9, v10
	s_nop 1
	;; [unrolled: 4-line block ×4, first 2 shown]
	v_mov_b32_dpp v10, v9 row_bcast:15 row_mask:0xf bank_mask:0xf
	v_cndmask_b32_e64 v10, v10, 0, s[4:5]
	v_add_u32_e32 v9, v9, v10
	s_nop 1
	v_mov_b32_dpp v10, v9 row_bcast:31 row_mask:0xf bank_mask:0xf
	v_cndmask_b32_e64 v10, 0, v10, s[2:3]
	v_add_u32_e32 v9, v9, v10
	s_and_saveexec_b64 s[16:17], s[6:7]
; %bb.69:
	v_lshlrev_b32_e32 v10, 2, v65
	ds_write_b32 v10, v9
; %bb.70:
	s_or_b64 exec, exec, s[16:17]
	v_cmp_gt_u32_e32 vcc, 3, v0
	s_waitcnt lgkmcnt(0)
	s_barrier
	s_and_saveexec_b64 s[16:17], vcc
	s_cbranch_execz .LBB721_72
; %bb.71:
	v_lshlrev_b32_e32 v10, 2, v0
	ds_read_b32 v11, v10
	v_and_b32_e32 v12, 3, v64
	v_cmp_ne_u32_e32 vcc, 0, v12
	s_waitcnt lgkmcnt(0)
	v_mov_b32_dpp v13, v11 row_shr:1 row_mask:0xf bank_mask:0xf
	v_cndmask_b32_e32 v13, 0, v13, vcc
	v_add_u32_e32 v11, v13, v11
	v_cmp_lt_u32_e32 vcc, 1, v12
	s_nop 0
	v_mov_b32_dpp v13, v11 row_shr:2 row_mask:0xf bank_mask:0xf
	v_cndmask_b32_e32 v12, 0, v13, vcc
	v_add_u32_e32 v11, v11, v12
	ds_write_b32 v10, v11
.LBB721_72:
	s_or_b64 exec, exec, s[16:17]
	v_cmp_gt_u32_e32 vcc, 64, v0
	v_cmp_lt_u32_e64 s[16:17], 63, v0
	s_waitcnt lgkmcnt(0)
	s_barrier
                                        ; implicit-def: $vgpr67
	s_and_saveexec_b64 s[18:19], s[16:17]
	s_cbranch_execz .LBB721_74
; %bb.73:
	v_lshl_add_u32 v10, v65, 2, -4
	ds_read_b32 v67, v10
	s_waitcnt lgkmcnt(0)
	v_add_u32_e32 v9, v67, v9
.LBB721_74:
	s_or_b64 exec, exec, s[18:19]
	v_subrev_co_u32_e64 v10, s[16:17], 1, v64
	v_and_b32_e32 v11, 64, v64
	v_cmp_lt_i32_e64 s[18:19], v10, v11
	v_cndmask_b32_e64 v10, v10, v64, s[18:19]
	v_lshlrev_b32_e32 v10, 2, v10
	ds_bpermute_b32 v68, v10, v9
	s_and_saveexec_b64 s[18:19], vcc
	s_cbranch_execz .LBB721_94
; %bb.75:
	v_mov_b32_e32 v15, 0
	ds_read_b32 v9, v15 offset:8
	s_and_saveexec_b64 s[20:21], s[16:17]
	s_cbranch_execz .LBB721_77
; %bb.76:
	s_add_i32 s22, s33, 64
	s_mov_b32 s23, 0
	s_lshl_b64 s[22:23], s[22:23], 3
	s_add_u32 s22, s44, s22
	v_mov_b32_e32 v10, 1
	s_addc_u32 s23, s45, s23
	s_waitcnt lgkmcnt(0)
	global_store_dwordx2 v15, v[9:10], s[22:23]
.LBB721_77:
	s_or_b64 exec, exec, s[20:21]
	v_xad_u32 v11, v64, -1, s33
	v_add_u32_e32 v14, 64, v11
	v_lshlrev_b64 v[12:13], 3, v[14:15]
	v_mov_b32_e32 v10, s45
	v_add_co_u32_e32 v19, vcc, s44, v12
	v_addc_co_u32_e32 v20, vcc, v10, v13, vcc
	global_load_dwordx2 v[13:14], v[19:20], off glc
	s_waitcnt vmcnt(0)
	v_cmp_eq_u16_sdwa s[22:23], v14, v15 src0_sel:BYTE_0 src1_sel:DWORD
	s_and_saveexec_b64 s[20:21], s[22:23]
	s_cbranch_execz .LBB721_81
; %bb.78:
	s_mov_b64 s[22:23], 0
	v_mov_b32_e32 v10, 0
.LBB721_79:                             ; =>This Inner Loop Header: Depth=1
	global_load_dwordx2 v[13:14], v[19:20], off glc
	s_waitcnt vmcnt(0)
	v_cmp_ne_u16_sdwa s[24:25], v14, v10 src0_sel:BYTE_0 src1_sel:DWORD
	s_or_b64 s[22:23], s[24:25], s[22:23]
	s_andn2_b64 exec, exec, s[22:23]
	s_cbranch_execnz .LBB721_79
; %bb.80:
	s_or_b64 exec, exec, s[22:23]
.LBB721_81:
	s_or_b64 exec, exec, s[20:21]
	v_and_b32_e32 v70, 63, v64
	v_mov_b32_e32 v69, 2
	v_lshlrev_b64 v[15:16], v64, -1
	v_cmp_ne_u32_e32 vcc, 63, v70
	v_cmp_eq_u16_sdwa s[20:21], v14, v69 src0_sel:BYTE_0 src1_sel:DWORD
	v_addc_co_u32_e32 v19, vcc, 0, v64, vcc
	v_and_b32_e32 v10, s21, v16
	v_lshlrev_b32_e32 v71, 2, v19
	v_or_b32_e32 v10, 0x80000000, v10
	ds_bpermute_b32 v19, v71, v13
	v_and_b32_e32 v12, s20, v15
	v_ffbl_b32_e32 v10, v10
	v_add_u32_e32 v10, 32, v10
	v_ffbl_b32_e32 v12, v12
	v_min_u32_e32 v10, v12, v10
	v_cmp_lt_u32_e32 vcc, v70, v10
	s_waitcnt lgkmcnt(0)
	v_cndmask_b32_e32 v12, 0, v19, vcc
	v_cmp_gt_u32_e32 vcc, 62, v70
	v_add_u32_e32 v12, v12, v13
	v_cndmask_b32_e64 v13, 0, 2, vcc
	v_add_lshl_u32 v72, v13, v64, 2
	ds_bpermute_b32 v13, v72, v12
	v_add_u32_e32 v73, 2, v70
	v_cmp_le_u32_e32 vcc, v73, v10
	v_add_u32_e32 v75, 4, v70
	v_add_u32_e32 v77, 8, v70
	s_waitcnt lgkmcnt(0)
	v_cndmask_b32_e32 v13, 0, v13, vcc
	v_cmp_gt_u32_e32 vcc, 60, v70
	v_add_u32_e32 v12, v12, v13
	v_cndmask_b32_e64 v13, 0, 4, vcc
	v_add_lshl_u32 v74, v13, v64, 2
	ds_bpermute_b32 v13, v74, v12
	v_cmp_le_u32_e32 vcc, v75, v10
	v_add_u32_e32 v79, 16, v70
	v_add_u32_e32 v81, 32, v70
	s_waitcnt lgkmcnt(0)
	v_cndmask_b32_e32 v13, 0, v13, vcc
	v_cmp_gt_u32_e32 vcc, 56, v70
	v_add_u32_e32 v12, v12, v13
	v_cndmask_b32_e64 v13, 0, 8, vcc
	v_add_lshl_u32 v76, v13, v64, 2
	ds_bpermute_b32 v13, v76, v12
	v_cmp_le_u32_e32 vcc, v77, v10
	s_waitcnt lgkmcnt(0)
	v_cndmask_b32_e32 v13, 0, v13, vcc
	v_cmp_gt_u32_e32 vcc, 48, v70
	v_add_u32_e32 v12, v12, v13
	v_cndmask_b32_e64 v13, 0, 16, vcc
	v_add_lshl_u32 v78, v13, v64, 2
	ds_bpermute_b32 v13, v78, v12
	v_cmp_le_u32_e32 vcc, v79, v10
	s_waitcnt lgkmcnt(0)
	v_cndmask_b32_e32 v13, 0, v13, vcc
	v_add_u32_e32 v12, v12, v13
	v_mov_b32_e32 v13, 0x80
	v_lshl_or_b32 v80, v64, 2, v13
	ds_bpermute_b32 v13, v80, v12
	v_cmp_le_u32_e32 vcc, v81, v10
	s_waitcnt lgkmcnt(0)
	v_cndmask_b32_e32 v10, 0, v13, vcc
	v_add_u32_e32 v13, v12, v10
	v_mov_b32_e32 v12, 0
	s_branch .LBB721_84
.LBB721_82:                             ;   in Loop: Header=BB721_84 Depth=1
	s_or_b64 exec, exec, s[20:21]
	v_cmp_eq_u16_sdwa s[20:21], v14, v69 src0_sel:BYTE_0 src1_sel:DWORD
	v_and_b32_e32 v19, s21, v16
	v_or_b32_e32 v19, 0x80000000, v19
	ds_bpermute_b32 v82, v71, v13
	v_and_b32_e32 v20, s20, v15
	v_ffbl_b32_e32 v19, v19
	v_add_u32_e32 v19, 32, v19
	v_ffbl_b32_e32 v20, v20
	v_min_u32_e32 v19, v20, v19
	v_cmp_lt_u32_e32 vcc, v70, v19
	s_waitcnt lgkmcnt(0)
	v_cndmask_b32_e32 v20, 0, v82, vcc
	v_add_u32_e32 v13, v20, v13
	ds_bpermute_b32 v20, v72, v13
	v_cmp_le_u32_e32 vcc, v73, v19
	v_subrev_u32_e32 v11, 64, v11
	s_mov_b64 s[20:21], 0
	s_waitcnt lgkmcnt(0)
	v_cndmask_b32_e32 v20, 0, v20, vcc
	v_add_u32_e32 v13, v13, v20
	ds_bpermute_b32 v20, v74, v13
	v_cmp_le_u32_e32 vcc, v75, v19
	s_waitcnt lgkmcnt(0)
	v_cndmask_b32_e32 v20, 0, v20, vcc
	v_add_u32_e32 v13, v13, v20
	ds_bpermute_b32 v20, v76, v13
	v_cmp_le_u32_e32 vcc, v77, v19
	s_waitcnt lgkmcnt(0)
	v_cndmask_b32_e32 v20, 0, v20, vcc
	v_add_u32_e32 v13, v13, v20
	ds_bpermute_b32 v20, v78, v13
	v_cmp_le_u32_e32 vcc, v79, v19
	s_waitcnt lgkmcnt(0)
	v_cndmask_b32_e32 v20, 0, v20, vcc
	v_add_u32_e32 v13, v13, v20
	ds_bpermute_b32 v20, v80, v13
	v_cmp_le_u32_e32 vcc, v81, v19
	s_waitcnt lgkmcnt(0)
	v_cndmask_b32_e32 v19, 0, v20, vcc
	v_add3_u32 v13, v19, v10, v13
.LBB721_83:                             ;   in Loop: Header=BB721_84 Depth=1
	s_and_b64 vcc, exec, s[20:21]
	s_cbranch_vccnz .LBB721_90
.LBB721_84:                             ; =>This Loop Header: Depth=1
                                        ;     Child Loop BB721_87 Depth 2
	v_cmp_ne_u16_sdwa s[20:21], v14, v69 src0_sel:BYTE_0 src1_sel:DWORD
	v_mov_b32_e32 v10, v13
	s_cmp_lg_u64 s[20:21], exec
	s_mov_b64 s[20:21], -1
                                        ; implicit-def: $vgpr13
                                        ; implicit-def: $vgpr14
	s_cbranch_scc1 .LBB721_83
; %bb.85:                               ;   in Loop: Header=BB721_84 Depth=1
	v_lshlrev_b64 v[13:14], 3, v[11:12]
	v_mov_b32_e32 v20, s45
	v_add_co_u32_e32 v19, vcc, s44, v13
	v_addc_co_u32_e32 v20, vcc, v20, v14, vcc
	global_load_dwordx2 v[13:14], v[19:20], off glc
	s_waitcnt vmcnt(0)
	v_cmp_eq_u16_sdwa s[22:23], v14, v12 src0_sel:BYTE_0 src1_sel:DWORD
	s_and_saveexec_b64 s[20:21], s[22:23]
	s_cbranch_execz .LBB721_82
; %bb.86:                               ;   in Loop: Header=BB721_84 Depth=1
	s_mov_b64 s[22:23], 0
.LBB721_87:                             ;   Parent Loop BB721_84 Depth=1
                                        ; =>  This Inner Loop Header: Depth=2
	global_load_dwordx2 v[13:14], v[19:20], off glc
	s_waitcnt vmcnt(0)
	v_cmp_ne_u16_sdwa s[24:25], v14, v12 src0_sel:BYTE_0 src1_sel:DWORD
	s_or_b64 s[22:23], s[24:25], s[22:23]
	s_andn2_b64 exec, exec, s[22:23]
	s_cbranch_execnz .LBB721_87
; %bb.88:                               ;   in Loop: Header=BB721_84 Depth=1
	s_or_b64 exec, exec, s[22:23]
	s_branch .LBB721_82
.LBB721_89:
                                        ; implicit-def: $vgpr10
                                        ; implicit-def: $vgpr11
	s_cbranch_execnz .LBB721_95
	s_branch .LBB721_104
.LBB721_90:
	s_and_saveexec_b64 s[20:21], s[16:17]
	s_cbranch_execz .LBB721_92
; %bb.91:
	s_add_i32 s22, s33, 64
	s_mov_b32 s23, 0
	s_lshl_b64 s[22:23], s[22:23], 3
	s_add_u32 s22, s44, s22
	v_add_u32_e32 v11, v10, v9
	v_mov_b32_e32 v12, 2
	s_addc_u32 s23, s45, s23
	v_mov_b32_e32 v13, 0
	global_store_dwordx2 v13, v[11:12], s[22:23]
	ds_write_b64 v13, v[9:10] offset:6912
.LBB721_92:
	s_or_b64 exec, exec, s[20:21]
	s_and_b64 exec, exec, s[0:1]
; %bb.93:
	v_mov_b32_e32 v9, 0
	ds_write_b32 v9, v10 offset:8
.LBB721_94:
	s_or_b64 exec, exec, s[18:19]
	v_mov_b32_e32 v9, 0
	s_waitcnt vmcnt(0) lgkmcnt(0)
	s_barrier
	ds_read_b32 v11, v9 offset:8
	s_waitcnt lgkmcnt(0)
	s_barrier
	ds_read_b64 v[9:10], v9 offset:6912
	v_cndmask_b32_e64 v12, v68, v67, s[16:17]
	v_cndmask_b32_e64 v12, v12, 0, s[0:1]
	v_add_u32_e32 v11, v11, v12
	s_branch .LBB721_104
.LBB721_95:
	s_waitcnt lgkmcnt(0)
	v_mov_b32_dpp v9, v66 row_shr:1 row_mask:0xf bank_mask:0xf
	v_cndmask_b32_e64 v9, v9, 0, s[14:15]
	v_add_u32_e32 v9, v9, v66
	s_nop 1
	v_mov_b32_dpp v10, v9 row_shr:2 row_mask:0xf bank_mask:0xf
	v_cndmask_b32_e64 v10, 0, v10, s[12:13]
	v_add_u32_e32 v9, v9, v10
	s_nop 1
	;; [unrolled: 4-line block ×4, first 2 shown]
	v_mov_b32_dpp v10, v9 row_bcast:15 row_mask:0xf bank_mask:0xf
	v_cndmask_b32_e64 v10, v10, 0, s[4:5]
	v_add_u32_e32 v9, v9, v10
	s_nop 1
	v_mov_b32_dpp v10, v9 row_bcast:31 row_mask:0xf bank_mask:0xf
	v_cndmask_b32_e64 v10, 0, v10, s[2:3]
	v_add_u32_e32 v9, v9, v10
	s_and_saveexec_b64 s[2:3], s[6:7]
; %bb.96:
	v_lshlrev_b32_e32 v10, 2, v65
	ds_write_b32 v10, v9
; %bb.97:
	s_or_b64 exec, exec, s[2:3]
	v_cmp_gt_u32_e32 vcc, 3, v0
	s_waitcnt lgkmcnt(0)
	s_barrier
	s_and_saveexec_b64 s[2:3], vcc
	s_cbranch_execz .LBB721_99
; %bb.98:
	v_lshlrev_b32_e32 v10, 2, v0
	ds_read_b32 v11, v10
	v_and_b32_e32 v12, 3, v64
	v_cmp_ne_u32_e32 vcc, 0, v12
	s_waitcnt lgkmcnt(0)
	v_mov_b32_dpp v13, v11 row_shr:1 row_mask:0xf bank_mask:0xf
	v_cndmask_b32_e32 v13, 0, v13, vcc
	v_add_u32_e32 v11, v13, v11
	v_cmp_lt_u32_e32 vcc, 1, v12
	s_nop 0
	v_mov_b32_dpp v13, v11 row_shr:2 row_mask:0xf bank_mask:0xf
	v_cndmask_b32_e32 v12, 0, v13, vcc
	v_add_u32_e32 v11, v11, v12
	ds_write_b32 v10, v11
.LBB721_99:
	s_or_b64 exec, exec, s[2:3]
	v_cmp_lt_u32_e32 vcc, 63, v0
	v_mov_b32_e32 v10, 0
	v_mov_b32_e32 v0, 0
	s_waitcnt lgkmcnt(0)
	s_barrier
	s_and_saveexec_b64 s[2:3], vcc
; %bb.100:
	v_lshl_add_u32 v0, v65, 2, -4
	ds_read_b32 v0, v0
; %bb.101:
	s_or_b64 exec, exec, s[2:3]
	v_subrev_co_u32_e32 v11, vcc, 1, v64
	v_and_b32_e32 v12, 64, v64
	v_cmp_lt_i32_e64 s[2:3], v11, v12
	v_cndmask_b32_e64 v11, v11, v64, s[2:3]
	s_waitcnt lgkmcnt(0)
	v_add_u32_e32 v9, v0, v9
	v_lshlrev_b32_e32 v11, 2, v11
	ds_bpermute_b32 v11, v11, v9
	ds_read_b32 v9, v10 offset:8
	s_and_saveexec_b64 s[2:3], s[0:1]
	s_cbranch_execz .LBB721_103
; %bb.102:
	v_mov_b32_e32 v12, 0
	v_mov_b32_e32 v10, 2
	s_waitcnt lgkmcnt(0)
	global_store_dwordx2 v12, v[9:10], s[44:45] offset:512
.LBB721_103:
	s_or_b64 exec, exec, s[2:3]
	s_waitcnt lgkmcnt(1)
	v_cndmask_b32_e32 v0, v11, v0, vcc
	v_cndmask_b32_e64 v11, v0, 0, s[0:1]
	s_waitcnt vmcnt(0) lgkmcnt(0)
	s_barrier
	v_mov_b32_e32 v10, 0
.LBB721_104:
	s_movk_i32 s2, 0xc1
	s_waitcnt lgkmcnt(0)
	v_cmp_gt_u32_e32 vcc, s2, v9
	s_cbranch_vccz .LBB721_107
; %bb.105:
	s_and_b64 s[0:1], s[0:1], s[42:43]
	s_and_saveexec_b64 s[2:3], s[0:1]
	s_cbranch_execnz .LBB721_144
.LBB721_106:
	s_endpgm
.LBB721_107:
	v_and_b32_e32 v0, 1, v52
	v_cmp_eq_u32_e32 vcc, 1, v0
	s_and_saveexec_b64 s[2:3], vcc
; %bb.108:
	v_sub_u32_e32 v0, v11, v10
	v_lshlrev_b32_e32 v0, 1, v0
	ds_write_b16 v0, v7
; %bb.109:
	s_or_b64 exec, exec, s[2:3]
	v_and_b32_e32 v7, 1, v47
	v_add_u32_e32 v0, v11, v63
	v_cmp_eq_u32_e32 vcc, 1, v7
	s_and_saveexec_b64 s[2:3], vcc
; %bb.110:
	v_sub_u32_e32 v7, v0, v10
	v_lshlrev_b32_e32 v7, 1, v7
	ds_write_b16 v7, v30
; %bb.111:
	s_or_b64 exec, exec, s[2:3]
	v_and_b32_e32 v7, 1, v46
	v_add_u32_e32 v0, v0, v62
	;; [unrolled: 10-line block ×7, first 2 shown]
	v_cmp_eq_u32_e32 vcc, 1, v5
	s_and_saveexec_b64 s[2:3], vcc
; %bb.122:
	v_sub_u32_e32 v5, v0, v10
	v_lshlrev_b32_e32 v5, 1, v5
	ds_write_b16 v5, v27
; %bb.123:
	s_or_b64 exec, exec, s[2:3]
	v_and_b32_e32 v5, 1, v40
	v_add_u32_sdwa v0, v0, v41 dst_sel:DWORD dst_unused:UNUSED_PAD src0_sel:DWORD src1_sel:BYTE_0
	v_cmp_eq_u32_e32 vcc, 1, v5
	s_and_saveexec_b64 s[2:3], vcc
; %bb.124:
	v_sub_u32_e32 v5, v0, v10
	v_lshlrev_b32_e32 v5, 1, v5
	ds_write_b16 v5, v3
; %bb.125:
	s_or_b64 exec, exec, s[2:3]
	v_and_b32_e32 v3, 1, v39
	v_add_u32_sdwa v0, v0, v40 dst_sel:DWORD dst_unused:UNUSED_PAD src0_sel:DWORD src1_sel:BYTE_0
	v_cmp_eq_u32_e32 vcc, 1, v3
	s_and_saveexec_b64 s[2:3], vcc
; %bb.126:
	v_sub_u32_e32 v3, v0, v10
	v_lshlrev_b32_e32 v3, 1, v3
	ds_write_b16 v3, v26
; %bb.127:
	s_or_b64 exec, exec, s[2:3]
	v_and_b32_e32 v3, 1, v38
	v_add_u32_e32 v0, v0, v56
	v_cmp_eq_u32_e32 vcc, 1, v3
	s_and_saveexec_b64 s[2:3], vcc
; %bb.128:
	v_sub_u32_e32 v3, v0, v10
	v_lshlrev_b32_e32 v3, 1, v3
	ds_write_b16 v3, v4
; %bb.129:
	s_or_b64 exec, exec, s[2:3]
	v_and_b32_e32 v3, 1, v37
	v_add_u32_e32 v0, v0, v55
	;; [unrolled: 10-line block ×7, first 2 shown]
	v_cmp_eq_u32_e32 vcc, 1, v1
	s_and_saveexec_b64 s[2:3], vcc
; %bb.140:
	v_sub_u32_e32 v1, v0, v10
	v_lshlrev_b32_e32 v1, 1, v1
	ds_write_b16 v1, v22
; %bb.141:
	s_or_b64 exec, exec, s[2:3]
	v_and_b32_e32 v1, 1, v31
	v_cmp_eq_u32_e32 vcc, 1, v1
	s_and_saveexec_b64 s[2:3], vcc
; %bb.142:
	v_sub_u32_e32 v1, v48, v10
	v_lshlrev_b32_e32 v0, 1, v0
	v_lshl_add_u32 v0, v1, 1, v0
	ds_write_b16 v0, v21
; %bb.143:
	s_or_b64 exec, exec, s[2:3]
	s_waitcnt lgkmcnt(0)
	s_barrier
	s_and_b64 s[0:1], s[0:1], s[42:43]
	s_and_saveexec_b64 s[2:3], s[0:1]
	s_cbranch_execz .LBB721_106
.LBB721_144:
	v_add_co_u32_e32 v0, vcc, v17, v9
	v_addc_co_u32_e32 v1, vcc, 0, v18, vcc
	v_add_co_u32_e32 v0, vcc, v0, v10
	v_mov_b32_e32 v2, 0
	v_addc_co_u32_e32 v1, vcc, 0, v1, vcc
	global_store_dwordx2 v2, v[0:1], s[40:41]
	s_endpgm
	.section	.rodata,"a",@progbits
	.p2align	6, 0x0
	.amdhsa_kernel _ZN7rocprim17ROCPRIM_400000_NS6detail17trampoline_kernelINS0_14default_configENS1_25partition_config_selectorILNS1_17partition_subalgoE8EsNS0_10empty_typeEbEEZZNS1_14partition_implILS5_8ELb0ES3_jN6thrust23THRUST_200600_302600_NS6detail15normal_iteratorINSA_10device_ptrIsEEEEPS6_PKS6_NS0_5tupleIJNSA_16discard_iteratorINSA_11use_defaultEEES6_EEENSJ_IJSG_SG_EEENS0_18inequality_wrapperINSA_8equal_toIsEEEEPmJS6_EEE10hipError_tPvRmT3_T4_T5_T6_T7_T9_mT8_P12ihipStream_tbDpT10_ENKUlT_T0_E_clISt17integral_constantIbLb0EES1C_IbLb1EEEEDaS18_S19_EUlS18_E_NS1_11comp_targetILNS1_3genE2ELNS1_11target_archE906ELNS1_3gpuE6ELNS1_3repE0EEENS1_30default_config_static_selectorELNS0_4arch9wavefront6targetE1EEEvT1_
		.amdhsa_group_segment_fixed_size 6920
		.amdhsa_private_segment_fixed_size 0
		.amdhsa_kernarg_size 136
		.amdhsa_user_sgpr_count 6
		.amdhsa_user_sgpr_private_segment_buffer 1
		.amdhsa_user_sgpr_dispatch_ptr 0
		.amdhsa_user_sgpr_queue_ptr 0
		.amdhsa_user_sgpr_kernarg_segment_ptr 1
		.amdhsa_user_sgpr_dispatch_id 0
		.amdhsa_user_sgpr_flat_scratch_init 0
		.amdhsa_user_sgpr_private_segment_size 0
		.amdhsa_uses_dynamic_stack 0
		.amdhsa_system_sgpr_private_segment_wavefront_offset 0
		.amdhsa_system_sgpr_workgroup_id_x 1
		.amdhsa_system_sgpr_workgroup_id_y 0
		.amdhsa_system_sgpr_workgroup_id_z 0
		.amdhsa_system_sgpr_workgroup_info 0
		.amdhsa_system_vgpr_workitem_id 0
		.amdhsa_next_free_vgpr 83
		.amdhsa_next_free_sgpr 77
		.amdhsa_reserve_vcc 1
		.amdhsa_reserve_flat_scratch 0
		.amdhsa_float_round_mode_32 0
		.amdhsa_float_round_mode_16_64 0
		.amdhsa_float_denorm_mode_32 3
		.amdhsa_float_denorm_mode_16_64 3
		.amdhsa_dx10_clamp 1
		.amdhsa_ieee_mode 1
		.amdhsa_fp16_overflow 0
		.amdhsa_exception_fp_ieee_invalid_op 0
		.amdhsa_exception_fp_denorm_src 0
		.amdhsa_exception_fp_ieee_div_zero 0
		.amdhsa_exception_fp_ieee_overflow 0
		.amdhsa_exception_fp_ieee_underflow 0
		.amdhsa_exception_fp_ieee_inexact 0
		.amdhsa_exception_int_div_zero 0
	.end_amdhsa_kernel
	.section	.text._ZN7rocprim17ROCPRIM_400000_NS6detail17trampoline_kernelINS0_14default_configENS1_25partition_config_selectorILNS1_17partition_subalgoE8EsNS0_10empty_typeEbEEZZNS1_14partition_implILS5_8ELb0ES3_jN6thrust23THRUST_200600_302600_NS6detail15normal_iteratorINSA_10device_ptrIsEEEEPS6_PKS6_NS0_5tupleIJNSA_16discard_iteratorINSA_11use_defaultEEES6_EEENSJ_IJSG_SG_EEENS0_18inequality_wrapperINSA_8equal_toIsEEEEPmJS6_EEE10hipError_tPvRmT3_T4_T5_T6_T7_T9_mT8_P12ihipStream_tbDpT10_ENKUlT_T0_E_clISt17integral_constantIbLb0EES1C_IbLb1EEEEDaS18_S19_EUlS18_E_NS1_11comp_targetILNS1_3genE2ELNS1_11target_archE906ELNS1_3gpuE6ELNS1_3repE0EEENS1_30default_config_static_selectorELNS0_4arch9wavefront6targetE1EEEvT1_,"axG",@progbits,_ZN7rocprim17ROCPRIM_400000_NS6detail17trampoline_kernelINS0_14default_configENS1_25partition_config_selectorILNS1_17partition_subalgoE8EsNS0_10empty_typeEbEEZZNS1_14partition_implILS5_8ELb0ES3_jN6thrust23THRUST_200600_302600_NS6detail15normal_iteratorINSA_10device_ptrIsEEEEPS6_PKS6_NS0_5tupleIJNSA_16discard_iteratorINSA_11use_defaultEEES6_EEENSJ_IJSG_SG_EEENS0_18inequality_wrapperINSA_8equal_toIsEEEEPmJS6_EEE10hipError_tPvRmT3_T4_T5_T6_T7_T9_mT8_P12ihipStream_tbDpT10_ENKUlT_T0_E_clISt17integral_constantIbLb0EES1C_IbLb1EEEEDaS18_S19_EUlS18_E_NS1_11comp_targetILNS1_3genE2ELNS1_11target_archE906ELNS1_3gpuE6ELNS1_3repE0EEENS1_30default_config_static_selectorELNS0_4arch9wavefront6targetE1EEEvT1_,comdat
.Lfunc_end721:
	.size	_ZN7rocprim17ROCPRIM_400000_NS6detail17trampoline_kernelINS0_14default_configENS1_25partition_config_selectorILNS1_17partition_subalgoE8EsNS0_10empty_typeEbEEZZNS1_14partition_implILS5_8ELb0ES3_jN6thrust23THRUST_200600_302600_NS6detail15normal_iteratorINSA_10device_ptrIsEEEEPS6_PKS6_NS0_5tupleIJNSA_16discard_iteratorINSA_11use_defaultEEES6_EEENSJ_IJSG_SG_EEENS0_18inequality_wrapperINSA_8equal_toIsEEEEPmJS6_EEE10hipError_tPvRmT3_T4_T5_T6_T7_T9_mT8_P12ihipStream_tbDpT10_ENKUlT_T0_E_clISt17integral_constantIbLb0EES1C_IbLb1EEEEDaS18_S19_EUlS18_E_NS1_11comp_targetILNS1_3genE2ELNS1_11target_archE906ELNS1_3gpuE6ELNS1_3repE0EEENS1_30default_config_static_selectorELNS0_4arch9wavefront6targetE1EEEvT1_, .Lfunc_end721-_ZN7rocprim17ROCPRIM_400000_NS6detail17trampoline_kernelINS0_14default_configENS1_25partition_config_selectorILNS1_17partition_subalgoE8EsNS0_10empty_typeEbEEZZNS1_14partition_implILS5_8ELb0ES3_jN6thrust23THRUST_200600_302600_NS6detail15normal_iteratorINSA_10device_ptrIsEEEEPS6_PKS6_NS0_5tupleIJNSA_16discard_iteratorINSA_11use_defaultEEES6_EEENSJ_IJSG_SG_EEENS0_18inequality_wrapperINSA_8equal_toIsEEEEPmJS6_EEE10hipError_tPvRmT3_T4_T5_T6_T7_T9_mT8_P12ihipStream_tbDpT10_ENKUlT_T0_E_clISt17integral_constantIbLb0EES1C_IbLb1EEEEDaS18_S19_EUlS18_E_NS1_11comp_targetILNS1_3genE2ELNS1_11target_archE906ELNS1_3gpuE6ELNS1_3repE0EEENS1_30default_config_static_selectorELNS0_4arch9wavefront6targetE1EEEvT1_
                                        ; -- End function
	.set _ZN7rocprim17ROCPRIM_400000_NS6detail17trampoline_kernelINS0_14default_configENS1_25partition_config_selectorILNS1_17partition_subalgoE8EsNS0_10empty_typeEbEEZZNS1_14partition_implILS5_8ELb0ES3_jN6thrust23THRUST_200600_302600_NS6detail15normal_iteratorINSA_10device_ptrIsEEEEPS6_PKS6_NS0_5tupleIJNSA_16discard_iteratorINSA_11use_defaultEEES6_EEENSJ_IJSG_SG_EEENS0_18inequality_wrapperINSA_8equal_toIsEEEEPmJS6_EEE10hipError_tPvRmT3_T4_T5_T6_T7_T9_mT8_P12ihipStream_tbDpT10_ENKUlT_T0_E_clISt17integral_constantIbLb0EES1C_IbLb1EEEEDaS18_S19_EUlS18_E_NS1_11comp_targetILNS1_3genE2ELNS1_11target_archE906ELNS1_3gpuE6ELNS1_3repE0EEENS1_30default_config_static_selectorELNS0_4arch9wavefront6targetE1EEEvT1_.num_vgpr, 83
	.set _ZN7rocprim17ROCPRIM_400000_NS6detail17trampoline_kernelINS0_14default_configENS1_25partition_config_selectorILNS1_17partition_subalgoE8EsNS0_10empty_typeEbEEZZNS1_14partition_implILS5_8ELb0ES3_jN6thrust23THRUST_200600_302600_NS6detail15normal_iteratorINSA_10device_ptrIsEEEEPS6_PKS6_NS0_5tupleIJNSA_16discard_iteratorINSA_11use_defaultEEES6_EEENSJ_IJSG_SG_EEENS0_18inequality_wrapperINSA_8equal_toIsEEEEPmJS6_EEE10hipError_tPvRmT3_T4_T5_T6_T7_T9_mT8_P12ihipStream_tbDpT10_ENKUlT_T0_E_clISt17integral_constantIbLb0EES1C_IbLb1EEEEDaS18_S19_EUlS18_E_NS1_11comp_targetILNS1_3genE2ELNS1_11target_archE906ELNS1_3gpuE6ELNS1_3repE0EEENS1_30default_config_static_selectorELNS0_4arch9wavefront6targetE1EEEvT1_.num_agpr, 0
	.set _ZN7rocprim17ROCPRIM_400000_NS6detail17trampoline_kernelINS0_14default_configENS1_25partition_config_selectorILNS1_17partition_subalgoE8EsNS0_10empty_typeEbEEZZNS1_14partition_implILS5_8ELb0ES3_jN6thrust23THRUST_200600_302600_NS6detail15normal_iteratorINSA_10device_ptrIsEEEEPS6_PKS6_NS0_5tupleIJNSA_16discard_iteratorINSA_11use_defaultEEES6_EEENSJ_IJSG_SG_EEENS0_18inequality_wrapperINSA_8equal_toIsEEEEPmJS6_EEE10hipError_tPvRmT3_T4_T5_T6_T7_T9_mT8_P12ihipStream_tbDpT10_ENKUlT_T0_E_clISt17integral_constantIbLb0EES1C_IbLb1EEEEDaS18_S19_EUlS18_E_NS1_11comp_targetILNS1_3genE2ELNS1_11target_archE906ELNS1_3gpuE6ELNS1_3repE0EEENS1_30default_config_static_selectorELNS0_4arch9wavefront6targetE1EEEvT1_.numbered_sgpr, 57
	.set _ZN7rocprim17ROCPRIM_400000_NS6detail17trampoline_kernelINS0_14default_configENS1_25partition_config_selectorILNS1_17partition_subalgoE8EsNS0_10empty_typeEbEEZZNS1_14partition_implILS5_8ELb0ES3_jN6thrust23THRUST_200600_302600_NS6detail15normal_iteratorINSA_10device_ptrIsEEEEPS6_PKS6_NS0_5tupleIJNSA_16discard_iteratorINSA_11use_defaultEEES6_EEENSJ_IJSG_SG_EEENS0_18inequality_wrapperINSA_8equal_toIsEEEEPmJS6_EEE10hipError_tPvRmT3_T4_T5_T6_T7_T9_mT8_P12ihipStream_tbDpT10_ENKUlT_T0_E_clISt17integral_constantIbLb0EES1C_IbLb1EEEEDaS18_S19_EUlS18_E_NS1_11comp_targetILNS1_3genE2ELNS1_11target_archE906ELNS1_3gpuE6ELNS1_3repE0EEENS1_30default_config_static_selectorELNS0_4arch9wavefront6targetE1EEEvT1_.num_named_barrier, 0
	.set _ZN7rocprim17ROCPRIM_400000_NS6detail17trampoline_kernelINS0_14default_configENS1_25partition_config_selectorILNS1_17partition_subalgoE8EsNS0_10empty_typeEbEEZZNS1_14partition_implILS5_8ELb0ES3_jN6thrust23THRUST_200600_302600_NS6detail15normal_iteratorINSA_10device_ptrIsEEEEPS6_PKS6_NS0_5tupleIJNSA_16discard_iteratorINSA_11use_defaultEEES6_EEENSJ_IJSG_SG_EEENS0_18inequality_wrapperINSA_8equal_toIsEEEEPmJS6_EEE10hipError_tPvRmT3_T4_T5_T6_T7_T9_mT8_P12ihipStream_tbDpT10_ENKUlT_T0_E_clISt17integral_constantIbLb0EES1C_IbLb1EEEEDaS18_S19_EUlS18_E_NS1_11comp_targetILNS1_3genE2ELNS1_11target_archE906ELNS1_3gpuE6ELNS1_3repE0EEENS1_30default_config_static_selectorELNS0_4arch9wavefront6targetE1EEEvT1_.private_seg_size, 0
	.set _ZN7rocprim17ROCPRIM_400000_NS6detail17trampoline_kernelINS0_14default_configENS1_25partition_config_selectorILNS1_17partition_subalgoE8EsNS0_10empty_typeEbEEZZNS1_14partition_implILS5_8ELb0ES3_jN6thrust23THRUST_200600_302600_NS6detail15normal_iteratorINSA_10device_ptrIsEEEEPS6_PKS6_NS0_5tupleIJNSA_16discard_iteratorINSA_11use_defaultEEES6_EEENSJ_IJSG_SG_EEENS0_18inequality_wrapperINSA_8equal_toIsEEEEPmJS6_EEE10hipError_tPvRmT3_T4_T5_T6_T7_T9_mT8_P12ihipStream_tbDpT10_ENKUlT_T0_E_clISt17integral_constantIbLb0EES1C_IbLb1EEEEDaS18_S19_EUlS18_E_NS1_11comp_targetILNS1_3genE2ELNS1_11target_archE906ELNS1_3gpuE6ELNS1_3repE0EEENS1_30default_config_static_selectorELNS0_4arch9wavefront6targetE1EEEvT1_.uses_vcc, 1
	.set _ZN7rocprim17ROCPRIM_400000_NS6detail17trampoline_kernelINS0_14default_configENS1_25partition_config_selectorILNS1_17partition_subalgoE8EsNS0_10empty_typeEbEEZZNS1_14partition_implILS5_8ELb0ES3_jN6thrust23THRUST_200600_302600_NS6detail15normal_iteratorINSA_10device_ptrIsEEEEPS6_PKS6_NS0_5tupleIJNSA_16discard_iteratorINSA_11use_defaultEEES6_EEENSJ_IJSG_SG_EEENS0_18inequality_wrapperINSA_8equal_toIsEEEEPmJS6_EEE10hipError_tPvRmT3_T4_T5_T6_T7_T9_mT8_P12ihipStream_tbDpT10_ENKUlT_T0_E_clISt17integral_constantIbLb0EES1C_IbLb1EEEEDaS18_S19_EUlS18_E_NS1_11comp_targetILNS1_3genE2ELNS1_11target_archE906ELNS1_3gpuE6ELNS1_3repE0EEENS1_30default_config_static_selectorELNS0_4arch9wavefront6targetE1EEEvT1_.uses_flat_scratch, 0
	.set _ZN7rocprim17ROCPRIM_400000_NS6detail17trampoline_kernelINS0_14default_configENS1_25partition_config_selectorILNS1_17partition_subalgoE8EsNS0_10empty_typeEbEEZZNS1_14partition_implILS5_8ELb0ES3_jN6thrust23THRUST_200600_302600_NS6detail15normal_iteratorINSA_10device_ptrIsEEEEPS6_PKS6_NS0_5tupleIJNSA_16discard_iteratorINSA_11use_defaultEEES6_EEENSJ_IJSG_SG_EEENS0_18inequality_wrapperINSA_8equal_toIsEEEEPmJS6_EEE10hipError_tPvRmT3_T4_T5_T6_T7_T9_mT8_P12ihipStream_tbDpT10_ENKUlT_T0_E_clISt17integral_constantIbLb0EES1C_IbLb1EEEEDaS18_S19_EUlS18_E_NS1_11comp_targetILNS1_3genE2ELNS1_11target_archE906ELNS1_3gpuE6ELNS1_3repE0EEENS1_30default_config_static_selectorELNS0_4arch9wavefront6targetE1EEEvT1_.has_dyn_sized_stack, 0
	.set _ZN7rocprim17ROCPRIM_400000_NS6detail17trampoline_kernelINS0_14default_configENS1_25partition_config_selectorILNS1_17partition_subalgoE8EsNS0_10empty_typeEbEEZZNS1_14partition_implILS5_8ELb0ES3_jN6thrust23THRUST_200600_302600_NS6detail15normal_iteratorINSA_10device_ptrIsEEEEPS6_PKS6_NS0_5tupleIJNSA_16discard_iteratorINSA_11use_defaultEEES6_EEENSJ_IJSG_SG_EEENS0_18inequality_wrapperINSA_8equal_toIsEEEEPmJS6_EEE10hipError_tPvRmT3_T4_T5_T6_T7_T9_mT8_P12ihipStream_tbDpT10_ENKUlT_T0_E_clISt17integral_constantIbLb0EES1C_IbLb1EEEEDaS18_S19_EUlS18_E_NS1_11comp_targetILNS1_3genE2ELNS1_11target_archE906ELNS1_3gpuE6ELNS1_3repE0EEENS1_30default_config_static_selectorELNS0_4arch9wavefront6targetE1EEEvT1_.has_recursion, 0
	.set _ZN7rocprim17ROCPRIM_400000_NS6detail17trampoline_kernelINS0_14default_configENS1_25partition_config_selectorILNS1_17partition_subalgoE8EsNS0_10empty_typeEbEEZZNS1_14partition_implILS5_8ELb0ES3_jN6thrust23THRUST_200600_302600_NS6detail15normal_iteratorINSA_10device_ptrIsEEEEPS6_PKS6_NS0_5tupleIJNSA_16discard_iteratorINSA_11use_defaultEEES6_EEENSJ_IJSG_SG_EEENS0_18inequality_wrapperINSA_8equal_toIsEEEEPmJS6_EEE10hipError_tPvRmT3_T4_T5_T6_T7_T9_mT8_P12ihipStream_tbDpT10_ENKUlT_T0_E_clISt17integral_constantIbLb0EES1C_IbLb1EEEEDaS18_S19_EUlS18_E_NS1_11comp_targetILNS1_3genE2ELNS1_11target_archE906ELNS1_3gpuE6ELNS1_3repE0EEENS1_30default_config_static_selectorELNS0_4arch9wavefront6targetE1EEEvT1_.has_indirect_call, 0
	.section	.AMDGPU.csdata,"",@progbits
; Kernel info:
; codeLenInByte = 6876
; TotalNumSgprs: 61
; NumVgprs: 83
; ScratchSize: 0
; MemoryBound: 0
; FloatMode: 240
; IeeeMode: 1
; LDSByteSize: 6920 bytes/workgroup (compile time only)
; SGPRBlocks: 10
; VGPRBlocks: 20
; NumSGPRsForWavesPerEU: 81
; NumVGPRsForWavesPerEU: 83
; Occupancy: 3
; WaveLimiterHint : 1
; COMPUTE_PGM_RSRC2:SCRATCH_EN: 0
; COMPUTE_PGM_RSRC2:USER_SGPR: 6
; COMPUTE_PGM_RSRC2:TRAP_HANDLER: 0
; COMPUTE_PGM_RSRC2:TGID_X_EN: 1
; COMPUTE_PGM_RSRC2:TGID_Y_EN: 0
; COMPUTE_PGM_RSRC2:TGID_Z_EN: 0
; COMPUTE_PGM_RSRC2:TIDIG_COMP_CNT: 0
	.section	.text._ZN7rocprim17ROCPRIM_400000_NS6detail17trampoline_kernelINS0_14default_configENS1_25partition_config_selectorILNS1_17partition_subalgoE8EsNS0_10empty_typeEbEEZZNS1_14partition_implILS5_8ELb0ES3_jN6thrust23THRUST_200600_302600_NS6detail15normal_iteratorINSA_10device_ptrIsEEEEPS6_PKS6_NS0_5tupleIJNSA_16discard_iteratorINSA_11use_defaultEEES6_EEENSJ_IJSG_SG_EEENS0_18inequality_wrapperINSA_8equal_toIsEEEEPmJS6_EEE10hipError_tPvRmT3_T4_T5_T6_T7_T9_mT8_P12ihipStream_tbDpT10_ENKUlT_T0_E_clISt17integral_constantIbLb0EES1C_IbLb1EEEEDaS18_S19_EUlS18_E_NS1_11comp_targetILNS1_3genE10ELNS1_11target_archE1200ELNS1_3gpuE4ELNS1_3repE0EEENS1_30default_config_static_selectorELNS0_4arch9wavefront6targetE1EEEvT1_,"axG",@progbits,_ZN7rocprim17ROCPRIM_400000_NS6detail17trampoline_kernelINS0_14default_configENS1_25partition_config_selectorILNS1_17partition_subalgoE8EsNS0_10empty_typeEbEEZZNS1_14partition_implILS5_8ELb0ES3_jN6thrust23THRUST_200600_302600_NS6detail15normal_iteratorINSA_10device_ptrIsEEEEPS6_PKS6_NS0_5tupleIJNSA_16discard_iteratorINSA_11use_defaultEEES6_EEENSJ_IJSG_SG_EEENS0_18inequality_wrapperINSA_8equal_toIsEEEEPmJS6_EEE10hipError_tPvRmT3_T4_T5_T6_T7_T9_mT8_P12ihipStream_tbDpT10_ENKUlT_T0_E_clISt17integral_constantIbLb0EES1C_IbLb1EEEEDaS18_S19_EUlS18_E_NS1_11comp_targetILNS1_3genE10ELNS1_11target_archE1200ELNS1_3gpuE4ELNS1_3repE0EEENS1_30default_config_static_selectorELNS0_4arch9wavefront6targetE1EEEvT1_,comdat
	.protected	_ZN7rocprim17ROCPRIM_400000_NS6detail17trampoline_kernelINS0_14default_configENS1_25partition_config_selectorILNS1_17partition_subalgoE8EsNS0_10empty_typeEbEEZZNS1_14partition_implILS5_8ELb0ES3_jN6thrust23THRUST_200600_302600_NS6detail15normal_iteratorINSA_10device_ptrIsEEEEPS6_PKS6_NS0_5tupleIJNSA_16discard_iteratorINSA_11use_defaultEEES6_EEENSJ_IJSG_SG_EEENS0_18inequality_wrapperINSA_8equal_toIsEEEEPmJS6_EEE10hipError_tPvRmT3_T4_T5_T6_T7_T9_mT8_P12ihipStream_tbDpT10_ENKUlT_T0_E_clISt17integral_constantIbLb0EES1C_IbLb1EEEEDaS18_S19_EUlS18_E_NS1_11comp_targetILNS1_3genE10ELNS1_11target_archE1200ELNS1_3gpuE4ELNS1_3repE0EEENS1_30default_config_static_selectorELNS0_4arch9wavefront6targetE1EEEvT1_ ; -- Begin function _ZN7rocprim17ROCPRIM_400000_NS6detail17trampoline_kernelINS0_14default_configENS1_25partition_config_selectorILNS1_17partition_subalgoE8EsNS0_10empty_typeEbEEZZNS1_14partition_implILS5_8ELb0ES3_jN6thrust23THRUST_200600_302600_NS6detail15normal_iteratorINSA_10device_ptrIsEEEEPS6_PKS6_NS0_5tupleIJNSA_16discard_iteratorINSA_11use_defaultEEES6_EEENSJ_IJSG_SG_EEENS0_18inequality_wrapperINSA_8equal_toIsEEEEPmJS6_EEE10hipError_tPvRmT3_T4_T5_T6_T7_T9_mT8_P12ihipStream_tbDpT10_ENKUlT_T0_E_clISt17integral_constantIbLb0EES1C_IbLb1EEEEDaS18_S19_EUlS18_E_NS1_11comp_targetILNS1_3genE10ELNS1_11target_archE1200ELNS1_3gpuE4ELNS1_3repE0EEENS1_30default_config_static_selectorELNS0_4arch9wavefront6targetE1EEEvT1_
	.globl	_ZN7rocprim17ROCPRIM_400000_NS6detail17trampoline_kernelINS0_14default_configENS1_25partition_config_selectorILNS1_17partition_subalgoE8EsNS0_10empty_typeEbEEZZNS1_14partition_implILS5_8ELb0ES3_jN6thrust23THRUST_200600_302600_NS6detail15normal_iteratorINSA_10device_ptrIsEEEEPS6_PKS6_NS0_5tupleIJNSA_16discard_iteratorINSA_11use_defaultEEES6_EEENSJ_IJSG_SG_EEENS0_18inequality_wrapperINSA_8equal_toIsEEEEPmJS6_EEE10hipError_tPvRmT3_T4_T5_T6_T7_T9_mT8_P12ihipStream_tbDpT10_ENKUlT_T0_E_clISt17integral_constantIbLb0EES1C_IbLb1EEEEDaS18_S19_EUlS18_E_NS1_11comp_targetILNS1_3genE10ELNS1_11target_archE1200ELNS1_3gpuE4ELNS1_3repE0EEENS1_30default_config_static_selectorELNS0_4arch9wavefront6targetE1EEEvT1_
	.p2align	8
	.type	_ZN7rocprim17ROCPRIM_400000_NS6detail17trampoline_kernelINS0_14default_configENS1_25partition_config_selectorILNS1_17partition_subalgoE8EsNS0_10empty_typeEbEEZZNS1_14partition_implILS5_8ELb0ES3_jN6thrust23THRUST_200600_302600_NS6detail15normal_iteratorINSA_10device_ptrIsEEEEPS6_PKS6_NS0_5tupleIJNSA_16discard_iteratorINSA_11use_defaultEEES6_EEENSJ_IJSG_SG_EEENS0_18inequality_wrapperINSA_8equal_toIsEEEEPmJS6_EEE10hipError_tPvRmT3_T4_T5_T6_T7_T9_mT8_P12ihipStream_tbDpT10_ENKUlT_T0_E_clISt17integral_constantIbLb0EES1C_IbLb1EEEEDaS18_S19_EUlS18_E_NS1_11comp_targetILNS1_3genE10ELNS1_11target_archE1200ELNS1_3gpuE4ELNS1_3repE0EEENS1_30default_config_static_selectorELNS0_4arch9wavefront6targetE1EEEvT1_,@function
_ZN7rocprim17ROCPRIM_400000_NS6detail17trampoline_kernelINS0_14default_configENS1_25partition_config_selectorILNS1_17partition_subalgoE8EsNS0_10empty_typeEbEEZZNS1_14partition_implILS5_8ELb0ES3_jN6thrust23THRUST_200600_302600_NS6detail15normal_iteratorINSA_10device_ptrIsEEEEPS6_PKS6_NS0_5tupleIJNSA_16discard_iteratorINSA_11use_defaultEEES6_EEENSJ_IJSG_SG_EEENS0_18inequality_wrapperINSA_8equal_toIsEEEEPmJS6_EEE10hipError_tPvRmT3_T4_T5_T6_T7_T9_mT8_P12ihipStream_tbDpT10_ENKUlT_T0_E_clISt17integral_constantIbLb0EES1C_IbLb1EEEEDaS18_S19_EUlS18_E_NS1_11comp_targetILNS1_3genE10ELNS1_11target_archE1200ELNS1_3gpuE4ELNS1_3repE0EEENS1_30default_config_static_selectorELNS0_4arch9wavefront6targetE1EEEvT1_: ; @_ZN7rocprim17ROCPRIM_400000_NS6detail17trampoline_kernelINS0_14default_configENS1_25partition_config_selectorILNS1_17partition_subalgoE8EsNS0_10empty_typeEbEEZZNS1_14partition_implILS5_8ELb0ES3_jN6thrust23THRUST_200600_302600_NS6detail15normal_iteratorINSA_10device_ptrIsEEEEPS6_PKS6_NS0_5tupleIJNSA_16discard_iteratorINSA_11use_defaultEEES6_EEENSJ_IJSG_SG_EEENS0_18inequality_wrapperINSA_8equal_toIsEEEEPmJS6_EEE10hipError_tPvRmT3_T4_T5_T6_T7_T9_mT8_P12ihipStream_tbDpT10_ENKUlT_T0_E_clISt17integral_constantIbLb0EES1C_IbLb1EEEEDaS18_S19_EUlS18_E_NS1_11comp_targetILNS1_3genE10ELNS1_11target_archE1200ELNS1_3gpuE4ELNS1_3repE0EEENS1_30default_config_static_selectorELNS0_4arch9wavefront6targetE1EEEvT1_
; %bb.0:
	.section	.rodata,"a",@progbits
	.p2align	6, 0x0
	.amdhsa_kernel _ZN7rocprim17ROCPRIM_400000_NS6detail17trampoline_kernelINS0_14default_configENS1_25partition_config_selectorILNS1_17partition_subalgoE8EsNS0_10empty_typeEbEEZZNS1_14partition_implILS5_8ELb0ES3_jN6thrust23THRUST_200600_302600_NS6detail15normal_iteratorINSA_10device_ptrIsEEEEPS6_PKS6_NS0_5tupleIJNSA_16discard_iteratorINSA_11use_defaultEEES6_EEENSJ_IJSG_SG_EEENS0_18inequality_wrapperINSA_8equal_toIsEEEEPmJS6_EEE10hipError_tPvRmT3_T4_T5_T6_T7_T9_mT8_P12ihipStream_tbDpT10_ENKUlT_T0_E_clISt17integral_constantIbLb0EES1C_IbLb1EEEEDaS18_S19_EUlS18_E_NS1_11comp_targetILNS1_3genE10ELNS1_11target_archE1200ELNS1_3gpuE4ELNS1_3repE0EEENS1_30default_config_static_selectorELNS0_4arch9wavefront6targetE1EEEvT1_
		.amdhsa_group_segment_fixed_size 0
		.amdhsa_private_segment_fixed_size 0
		.amdhsa_kernarg_size 136
		.amdhsa_user_sgpr_count 6
		.amdhsa_user_sgpr_private_segment_buffer 1
		.amdhsa_user_sgpr_dispatch_ptr 0
		.amdhsa_user_sgpr_queue_ptr 0
		.amdhsa_user_sgpr_kernarg_segment_ptr 1
		.amdhsa_user_sgpr_dispatch_id 0
		.amdhsa_user_sgpr_flat_scratch_init 0
		.amdhsa_user_sgpr_private_segment_size 0
		.amdhsa_uses_dynamic_stack 0
		.amdhsa_system_sgpr_private_segment_wavefront_offset 0
		.amdhsa_system_sgpr_workgroup_id_x 1
		.amdhsa_system_sgpr_workgroup_id_y 0
		.amdhsa_system_sgpr_workgroup_id_z 0
		.amdhsa_system_sgpr_workgroup_info 0
		.amdhsa_system_vgpr_workitem_id 0
		.amdhsa_next_free_vgpr 1
		.amdhsa_next_free_sgpr 0
		.amdhsa_reserve_vcc 0
		.amdhsa_reserve_flat_scratch 0
		.amdhsa_float_round_mode_32 0
		.amdhsa_float_round_mode_16_64 0
		.amdhsa_float_denorm_mode_32 3
		.amdhsa_float_denorm_mode_16_64 3
		.amdhsa_dx10_clamp 1
		.amdhsa_ieee_mode 1
		.amdhsa_fp16_overflow 0
		.amdhsa_exception_fp_ieee_invalid_op 0
		.amdhsa_exception_fp_denorm_src 0
		.amdhsa_exception_fp_ieee_div_zero 0
		.amdhsa_exception_fp_ieee_overflow 0
		.amdhsa_exception_fp_ieee_underflow 0
		.amdhsa_exception_fp_ieee_inexact 0
		.amdhsa_exception_int_div_zero 0
	.end_amdhsa_kernel
	.section	.text._ZN7rocprim17ROCPRIM_400000_NS6detail17trampoline_kernelINS0_14default_configENS1_25partition_config_selectorILNS1_17partition_subalgoE8EsNS0_10empty_typeEbEEZZNS1_14partition_implILS5_8ELb0ES3_jN6thrust23THRUST_200600_302600_NS6detail15normal_iteratorINSA_10device_ptrIsEEEEPS6_PKS6_NS0_5tupleIJNSA_16discard_iteratorINSA_11use_defaultEEES6_EEENSJ_IJSG_SG_EEENS0_18inequality_wrapperINSA_8equal_toIsEEEEPmJS6_EEE10hipError_tPvRmT3_T4_T5_T6_T7_T9_mT8_P12ihipStream_tbDpT10_ENKUlT_T0_E_clISt17integral_constantIbLb0EES1C_IbLb1EEEEDaS18_S19_EUlS18_E_NS1_11comp_targetILNS1_3genE10ELNS1_11target_archE1200ELNS1_3gpuE4ELNS1_3repE0EEENS1_30default_config_static_selectorELNS0_4arch9wavefront6targetE1EEEvT1_,"axG",@progbits,_ZN7rocprim17ROCPRIM_400000_NS6detail17trampoline_kernelINS0_14default_configENS1_25partition_config_selectorILNS1_17partition_subalgoE8EsNS0_10empty_typeEbEEZZNS1_14partition_implILS5_8ELb0ES3_jN6thrust23THRUST_200600_302600_NS6detail15normal_iteratorINSA_10device_ptrIsEEEEPS6_PKS6_NS0_5tupleIJNSA_16discard_iteratorINSA_11use_defaultEEES6_EEENSJ_IJSG_SG_EEENS0_18inequality_wrapperINSA_8equal_toIsEEEEPmJS6_EEE10hipError_tPvRmT3_T4_T5_T6_T7_T9_mT8_P12ihipStream_tbDpT10_ENKUlT_T0_E_clISt17integral_constantIbLb0EES1C_IbLb1EEEEDaS18_S19_EUlS18_E_NS1_11comp_targetILNS1_3genE10ELNS1_11target_archE1200ELNS1_3gpuE4ELNS1_3repE0EEENS1_30default_config_static_selectorELNS0_4arch9wavefront6targetE1EEEvT1_,comdat
.Lfunc_end722:
	.size	_ZN7rocprim17ROCPRIM_400000_NS6detail17trampoline_kernelINS0_14default_configENS1_25partition_config_selectorILNS1_17partition_subalgoE8EsNS0_10empty_typeEbEEZZNS1_14partition_implILS5_8ELb0ES3_jN6thrust23THRUST_200600_302600_NS6detail15normal_iteratorINSA_10device_ptrIsEEEEPS6_PKS6_NS0_5tupleIJNSA_16discard_iteratorINSA_11use_defaultEEES6_EEENSJ_IJSG_SG_EEENS0_18inequality_wrapperINSA_8equal_toIsEEEEPmJS6_EEE10hipError_tPvRmT3_T4_T5_T6_T7_T9_mT8_P12ihipStream_tbDpT10_ENKUlT_T0_E_clISt17integral_constantIbLb0EES1C_IbLb1EEEEDaS18_S19_EUlS18_E_NS1_11comp_targetILNS1_3genE10ELNS1_11target_archE1200ELNS1_3gpuE4ELNS1_3repE0EEENS1_30default_config_static_selectorELNS0_4arch9wavefront6targetE1EEEvT1_, .Lfunc_end722-_ZN7rocprim17ROCPRIM_400000_NS6detail17trampoline_kernelINS0_14default_configENS1_25partition_config_selectorILNS1_17partition_subalgoE8EsNS0_10empty_typeEbEEZZNS1_14partition_implILS5_8ELb0ES3_jN6thrust23THRUST_200600_302600_NS6detail15normal_iteratorINSA_10device_ptrIsEEEEPS6_PKS6_NS0_5tupleIJNSA_16discard_iteratorINSA_11use_defaultEEES6_EEENSJ_IJSG_SG_EEENS0_18inequality_wrapperINSA_8equal_toIsEEEEPmJS6_EEE10hipError_tPvRmT3_T4_T5_T6_T7_T9_mT8_P12ihipStream_tbDpT10_ENKUlT_T0_E_clISt17integral_constantIbLb0EES1C_IbLb1EEEEDaS18_S19_EUlS18_E_NS1_11comp_targetILNS1_3genE10ELNS1_11target_archE1200ELNS1_3gpuE4ELNS1_3repE0EEENS1_30default_config_static_selectorELNS0_4arch9wavefront6targetE1EEEvT1_
                                        ; -- End function
	.set _ZN7rocprim17ROCPRIM_400000_NS6detail17trampoline_kernelINS0_14default_configENS1_25partition_config_selectorILNS1_17partition_subalgoE8EsNS0_10empty_typeEbEEZZNS1_14partition_implILS5_8ELb0ES3_jN6thrust23THRUST_200600_302600_NS6detail15normal_iteratorINSA_10device_ptrIsEEEEPS6_PKS6_NS0_5tupleIJNSA_16discard_iteratorINSA_11use_defaultEEES6_EEENSJ_IJSG_SG_EEENS0_18inequality_wrapperINSA_8equal_toIsEEEEPmJS6_EEE10hipError_tPvRmT3_T4_T5_T6_T7_T9_mT8_P12ihipStream_tbDpT10_ENKUlT_T0_E_clISt17integral_constantIbLb0EES1C_IbLb1EEEEDaS18_S19_EUlS18_E_NS1_11comp_targetILNS1_3genE10ELNS1_11target_archE1200ELNS1_3gpuE4ELNS1_3repE0EEENS1_30default_config_static_selectorELNS0_4arch9wavefront6targetE1EEEvT1_.num_vgpr, 0
	.set _ZN7rocprim17ROCPRIM_400000_NS6detail17trampoline_kernelINS0_14default_configENS1_25partition_config_selectorILNS1_17partition_subalgoE8EsNS0_10empty_typeEbEEZZNS1_14partition_implILS5_8ELb0ES3_jN6thrust23THRUST_200600_302600_NS6detail15normal_iteratorINSA_10device_ptrIsEEEEPS6_PKS6_NS0_5tupleIJNSA_16discard_iteratorINSA_11use_defaultEEES6_EEENSJ_IJSG_SG_EEENS0_18inequality_wrapperINSA_8equal_toIsEEEEPmJS6_EEE10hipError_tPvRmT3_T4_T5_T6_T7_T9_mT8_P12ihipStream_tbDpT10_ENKUlT_T0_E_clISt17integral_constantIbLb0EES1C_IbLb1EEEEDaS18_S19_EUlS18_E_NS1_11comp_targetILNS1_3genE10ELNS1_11target_archE1200ELNS1_3gpuE4ELNS1_3repE0EEENS1_30default_config_static_selectorELNS0_4arch9wavefront6targetE1EEEvT1_.num_agpr, 0
	.set _ZN7rocprim17ROCPRIM_400000_NS6detail17trampoline_kernelINS0_14default_configENS1_25partition_config_selectorILNS1_17partition_subalgoE8EsNS0_10empty_typeEbEEZZNS1_14partition_implILS5_8ELb0ES3_jN6thrust23THRUST_200600_302600_NS6detail15normal_iteratorINSA_10device_ptrIsEEEEPS6_PKS6_NS0_5tupleIJNSA_16discard_iteratorINSA_11use_defaultEEES6_EEENSJ_IJSG_SG_EEENS0_18inequality_wrapperINSA_8equal_toIsEEEEPmJS6_EEE10hipError_tPvRmT3_T4_T5_T6_T7_T9_mT8_P12ihipStream_tbDpT10_ENKUlT_T0_E_clISt17integral_constantIbLb0EES1C_IbLb1EEEEDaS18_S19_EUlS18_E_NS1_11comp_targetILNS1_3genE10ELNS1_11target_archE1200ELNS1_3gpuE4ELNS1_3repE0EEENS1_30default_config_static_selectorELNS0_4arch9wavefront6targetE1EEEvT1_.numbered_sgpr, 0
	.set _ZN7rocprim17ROCPRIM_400000_NS6detail17trampoline_kernelINS0_14default_configENS1_25partition_config_selectorILNS1_17partition_subalgoE8EsNS0_10empty_typeEbEEZZNS1_14partition_implILS5_8ELb0ES3_jN6thrust23THRUST_200600_302600_NS6detail15normal_iteratorINSA_10device_ptrIsEEEEPS6_PKS6_NS0_5tupleIJNSA_16discard_iteratorINSA_11use_defaultEEES6_EEENSJ_IJSG_SG_EEENS0_18inequality_wrapperINSA_8equal_toIsEEEEPmJS6_EEE10hipError_tPvRmT3_T4_T5_T6_T7_T9_mT8_P12ihipStream_tbDpT10_ENKUlT_T0_E_clISt17integral_constantIbLb0EES1C_IbLb1EEEEDaS18_S19_EUlS18_E_NS1_11comp_targetILNS1_3genE10ELNS1_11target_archE1200ELNS1_3gpuE4ELNS1_3repE0EEENS1_30default_config_static_selectorELNS0_4arch9wavefront6targetE1EEEvT1_.num_named_barrier, 0
	.set _ZN7rocprim17ROCPRIM_400000_NS6detail17trampoline_kernelINS0_14default_configENS1_25partition_config_selectorILNS1_17partition_subalgoE8EsNS0_10empty_typeEbEEZZNS1_14partition_implILS5_8ELb0ES3_jN6thrust23THRUST_200600_302600_NS6detail15normal_iteratorINSA_10device_ptrIsEEEEPS6_PKS6_NS0_5tupleIJNSA_16discard_iteratorINSA_11use_defaultEEES6_EEENSJ_IJSG_SG_EEENS0_18inequality_wrapperINSA_8equal_toIsEEEEPmJS6_EEE10hipError_tPvRmT3_T4_T5_T6_T7_T9_mT8_P12ihipStream_tbDpT10_ENKUlT_T0_E_clISt17integral_constantIbLb0EES1C_IbLb1EEEEDaS18_S19_EUlS18_E_NS1_11comp_targetILNS1_3genE10ELNS1_11target_archE1200ELNS1_3gpuE4ELNS1_3repE0EEENS1_30default_config_static_selectorELNS0_4arch9wavefront6targetE1EEEvT1_.private_seg_size, 0
	.set _ZN7rocprim17ROCPRIM_400000_NS6detail17trampoline_kernelINS0_14default_configENS1_25partition_config_selectorILNS1_17partition_subalgoE8EsNS0_10empty_typeEbEEZZNS1_14partition_implILS5_8ELb0ES3_jN6thrust23THRUST_200600_302600_NS6detail15normal_iteratorINSA_10device_ptrIsEEEEPS6_PKS6_NS0_5tupleIJNSA_16discard_iteratorINSA_11use_defaultEEES6_EEENSJ_IJSG_SG_EEENS0_18inequality_wrapperINSA_8equal_toIsEEEEPmJS6_EEE10hipError_tPvRmT3_T4_T5_T6_T7_T9_mT8_P12ihipStream_tbDpT10_ENKUlT_T0_E_clISt17integral_constantIbLb0EES1C_IbLb1EEEEDaS18_S19_EUlS18_E_NS1_11comp_targetILNS1_3genE10ELNS1_11target_archE1200ELNS1_3gpuE4ELNS1_3repE0EEENS1_30default_config_static_selectorELNS0_4arch9wavefront6targetE1EEEvT1_.uses_vcc, 0
	.set _ZN7rocprim17ROCPRIM_400000_NS6detail17trampoline_kernelINS0_14default_configENS1_25partition_config_selectorILNS1_17partition_subalgoE8EsNS0_10empty_typeEbEEZZNS1_14partition_implILS5_8ELb0ES3_jN6thrust23THRUST_200600_302600_NS6detail15normal_iteratorINSA_10device_ptrIsEEEEPS6_PKS6_NS0_5tupleIJNSA_16discard_iteratorINSA_11use_defaultEEES6_EEENSJ_IJSG_SG_EEENS0_18inequality_wrapperINSA_8equal_toIsEEEEPmJS6_EEE10hipError_tPvRmT3_T4_T5_T6_T7_T9_mT8_P12ihipStream_tbDpT10_ENKUlT_T0_E_clISt17integral_constantIbLb0EES1C_IbLb1EEEEDaS18_S19_EUlS18_E_NS1_11comp_targetILNS1_3genE10ELNS1_11target_archE1200ELNS1_3gpuE4ELNS1_3repE0EEENS1_30default_config_static_selectorELNS0_4arch9wavefront6targetE1EEEvT1_.uses_flat_scratch, 0
	.set _ZN7rocprim17ROCPRIM_400000_NS6detail17trampoline_kernelINS0_14default_configENS1_25partition_config_selectorILNS1_17partition_subalgoE8EsNS0_10empty_typeEbEEZZNS1_14partition_implILS5_8ELb0ES3_jN6thrust23THRUST_200600_302600_NS6detail15normal_iteratorINSA_10device_ptrIsEEEEPS6_PKS6_NS0_5tupleIJNSA_16discard_iteratorINSA_11use_defaultEEES6_EEENSJ_IJSG_SG_EEENS0_18inequality_wrapperINSA_8equal_toIsEEEEPmJS6_EEE10hipError_tPvRmT3_T4_T5_T6_T7_T9_mT8_P12ihipStream_tbDpT10_ENKUlT_T0_E_clISt17integral_constantIbLb0EES1C_IbLb1EEEEDaS18_S19_EUlS18_E_NS1_11comp_targetILNS1_3genE10ELNS1_11target_archE1200ELNS1_3gpuE4ELNS1_3repE0EEENS1_30default_config_static_selectorELNS0_4arch9wavefront6targetE1EEEvT1_.has_dyn_sized_stack, 0
	.set _ZN7rocprim17ROCPRIM_400000_NS6detail17trampoline_kernelINS0_14default_configENS1_25partition_config_selectorILNS1_17partition_subalgoE8EsNS0_10empty_typeEbEEZZNS1_14partition_implILS5_8ELb0ES3_jN6thrust23THRUST_200600_302600_NS6detail15normal_iteratorINSA_10device_ptrIsEEEEPS6_PKS6_NS0_5tupleIJNSA_16discard_iteratorINSA_11use_defaultEEES6_EEENSJ_IJSG_SG_EEENS0_18inequality_wrapperINSA_8equal_toIsEEEEPmJS6_EEE10hipError_tPvRmT3_T4_T5_T6_T7_T9_mT8_P12ihipStream_tbDpT10_ENKUlT_T0_E_clISt17integral_constantIbLb0EES1C_IbLb1EEEEDaS18_S19_EUlS18_E_NS1_11comp_targetILNS1_3genE10ELNS1_11target_archE1200ELNS1_3gpuE4ELNS1_3repE0EEENS1_30default_config_static_selectorELNS0_4arch9wavefront6targetE1EEEvT1_.has_recursion, 0
	.set _ZN7rocprim17ROCPRIM_400000_NS6detail17trampoline_kernelINS0_14default_configENS1_25partition_config_selectorILNS1_17partition_subalgoE8EsNS0_10empty_typeEbEEZZNS1_14partition_implILS5_8ELb0ES3_jN6thrust23THRUST_200600_302600_NS6detail15normal_iteratorINSA_10device_ptrIsEEEEPS6_PKS6_NS0_5tupleIJNSA_16discard_iteratorINSA_11use_defaultEEES6_EEENSJ_IJSG_SG_EEENS0_18inequality_wrapperINSA_8equal_toIsEEEEPmJS6_EEE10hipError_tPvRmT3_T4_T5_T6_T7_T9_mT8_P12ihipStream_tbDpT10_ENKUlT_T0_E_clISt17integral_constantIbLb0EES1C_IbLb1EEEEDaS18_S19_EUlS18_E_NS1_11comp_targetILNS1_3genE10ELNS1_11target_archE1200ELNS1_3gpuE4ELNS1_3repE0EEENS1_30default_config_static_selectorELNS0_4arch9wavefront6targetE1EEEvT1_.has_indirect_call, 0
	.section	.AMDGPU.csdata,"",@progbits
; Kernel info:
; codeLenInByte = 0
; TotalNumSgprs: 4
; NumVgprs: 0
; ScratchSize: 0
; MemoryBound: 0
; FloatMode: 240
; IeeeMode: 1
; LDSByteSize: 0 bytes/workgroup (compile time only)
; SGPRBlocks: 0
; VGPRBlocks: 0
; NumSGPRsForWavesPerEU: 4
; NumVGPRsForWavesPerEU: 1
; Occupancy: 10
; WaveLimiterHint : 0
; COMPUTE_PGM_RSRC2:SCRATCH_EN: 0
; COMPUTE_PGM_RSRC2:USER_SGPR: 6
; COMPUTE_PGM_RSRC2:TRAP_HANDLER: 0
; COMPUTE_PGM_RSRC2:TGID_X_EN: 1
; COMPUTE_PGM_RSRC2:TGID_Y_EN: 0
; COMPUTE_PGM_RSRC2:TGID_Z_EN: 0
; COMPUTE_PGM_RSRC2:TIDIG_COMP_CNT: 0
	.section	.text._ZN7rocprim17ROCPRIM_400000_NS6detail17trampoline_kernelINS0_14default_configENS1_25partition_config_selectorILNS1_17partition_subalgoE8EsNS0_10empty_typeEbEEZZNS1_14partition_implILS5_8ELb0ES3_jN6thrust23THRUST_200600_302600_NS6detail15normal_iteratorINSA_10device_ptrIsEEEEPS6_PKS6_NS0_5tupleIJNSA_16discard_iteratorINSA_11use_defaultEEES6_EEENSJ_IJSG_SG_EEENS0_18inequality_wrapperINSA_8equal_toIsEEEEPmJS6_EEE10hipError_tPvRmT3_T4_T5_T6_T7_T9_mT8_P12ihipStream_tbDpT10_ENKUlT_T0_E_clISt17integral_constantIbLb0EES1C_IbLb1EEEEDaS18_S19_EUlS18_E_NS1_11comp_targetILNS1_3genE9ELNS1_11target_archE1100ELNS1_3gpuE3ELNS1_3repE0EEENS1_30default_config_static_selectorELNS0_4arch9wavefront6targetE1EEEvT1_,"axG",@progbits,_ZN7rocprim17ROCPRIM_400000_NS6detail17trampoline_kernelINS0_14default_configENS1_25partition_config_selectorILNS1_17partition_subalgoE8EsNS0_10empty_typeEbEEZZNS1_14partition_implILS5_8ELb0ES3_jN6thrust23THRUST_200600_302600_NS6detail15normal_iteratorINSA_10device_ptrIsEEEEPS6_PKS6_NS0_5tupleIJNSA_16discard_iteratorINSA_11use_defaultEEES6_EEENSJ_IJSG_SG_EEENS0_18inequality_wrapperINSA_8equal_toIsEEEEPmJS6_EEE10hipError_tPvRmT3_T4_T5_T6_T7_T9_mT8_P12ihipStream_tbDpT10_ENKUlT_T0_E_clISt17integral_constantIbLb0EES1C_IbLb1EEEEDaS18_S19_EUlS18_E_NS1_11comp_targetILNS1_3genE9ELNS1_11target_archE1100ELNS1_3gpuE3ELNS1_3repE0EEENS1_30default_config_static_selectorELNS0_4arch9wavefront6targetE1EEEvT1_,comdat
	.protected	_ZN7rocprim17ROCPRIM_400000_NS6detail17trampoline_kernelINS0_14default_configENS1_25partition_config_selectorILNS1_17partition_subalgoE8EsNS0_10empty_typeEbEEZZNS1_14partition_implILS5_8ELb0ES3_jN6thrust23THRUST_200600_302600_NS6detail15normal_iteratorINSA_10device_ptrIsEEEEPS6_PKS6_NS0_5tupleIJNSA_16discard_iteratorINSA_11use_defaultEEES6_EEENSJ_IJSG_SG_EEENS0_18inequality_wrapperINSA_8equal_toIsEEEEPmJS6_EEE10hipError_tPvRmT3_T4_T5_T6_T7_T9_mT8_P12ihipStream_tbDpT10_ENKUlT_T0_E_clISt17integral_constantIbLb0EES1C_IbLb1EEEEDaS18_S19_EUlS18_E_NS1_11comp_targetILNS1_3genE9ELNS1_11target_archE1100ELNS1_3gpuE3ELNS1_3repE0EEENS1_30default_config_static_selectorELNS0_4arch9wavefront6targetE1EEEvT1_ ; -- Begin function _ZN7rocprim17ROCPRIM_400000_NS6detail17trampoline_kernelINS0_14default_configENS1_25partition_config_selectorILNS1_17partition_subalgoE8EsNS0_10empty_typeEbEEZZNS1_14partition_implILS5_8ELb0ES3_jN6thrust23THRUST_200600_302600_NS6detail15normal_iteratorINSA_10device_ptrIsEEEEPS6_PKS6_NS0_5tupleIJNSA_16discard_iteratorINSA_11use_defaultEEES6_EEENSJ_IJSG_SG_EEENS0_18inequality_wrapperINSA_8equal_toIsEEEEPmJS6_EEE10hipError_tPvRmT3_T4_T5_T6_T7_T9_mT8_P12ihipStream_tbDpT10_ENKUlT_T0_E_clISt17integral_constantIbLb0EES1C_IbLb1EEEEDaS18_S19_EUlS18_E_NS1_11comp_targetILNS1_3genE9ELNS1_11target_archE1100ELNS1_3gpuE3ELNS1_3repE0EEENS1_30default_config_static_selectorELNS0_4arch9wavefront6targetE1EEEvT1_
	.globl	_ZN7rocprim17ROCPRIM_400000_NS6detail17trampoline_kernelINS0_14default_configENS1_25partition_config_selectorILNS1_17partition_subalgoE8EsNS0_10empty_typeEbEEZZNS1_14partition_implILS5_8ELb0ES3_jN6thrust23THRUST_200600_302600_NS6detail15normal_iteratorINSA_10device_ptrIsEEEEPS6_PKS6_NS0_5tupleIJNSA_16discard_iteratorINSA_11use_defaultEEES6_EEENSJ_IJSG_SG_EEENS0_18inequality_wrapperINSA_8equal_toIsEEEEPmJS6_EEE10hipError_tPvRmT3_T4_T5_T6_T7_T9_mT8_P12ihipStream_tbDpT10_ENKUlT_T0_E_clISt17integral_constantIbLb0EES1C_IbLb1EEEEDaS18_S19_EUlS18_E_NS1_11comp_targetILNS1_3genE9ELNS1_11target_archE1100ELNS1_3gpuE3ELNS1_3repE0EEENS1_30default_config_static_selectorELNS0_4arch9wavefront6targetE1EEEvT1_
	.p2align	8
	.type	_ZN7rocprim17ROCPRIM_400000_NS6detail17trampoline_kernelINS0_14default_configENS1_25partition_config_selectorILNS1_17partition_subalgoE8EsNS0_10empty_typeEbEEZZNS1_14partition_implILS5_8ELb0ES3_jN6thrust23THRUST_200600_302600_NS6detail15normal_iteratorINSA_10device_ptrIsEEEEPS6_PKS6_NS0_5tupleIJNSA_16discard_iteratorINSA_11use_defaultEEES6_EEENSJ_IJSG_SG_EEENS0_18inequality_wrapperINSA_8equal_toIsEEEEPmJS6_EEE10hipError_tPvRmT3_T4_T5_T6_T7_T9_mT8_P12ihipStream_tbDpT10_ENKUlT_T0_E_clISt17integral_constantIbLb0EES1C_IbLb1EEEEDaS18_S19_EUlS18_E_NS1_11comp_targetILNS1_3genE9ELNS1_11target_archE1100ELNS1_3gpuE3ELNS1_3repE0EEENS1_30default_config_static_selectorELNS0_4arch9wavefront6targetE1EEEvT1_,@function
_ZN7rocprim17ROCPRIM_400000_NS6detail17trampoline_kernelINS0_14default_configENS1_25partition_config_selectorILNS1_17partition_subalgoE8EsNS0_10empty_typeEbEEZZNS1_14partition_implILS5_8ELb0ES3_jN6thrust23THRUST_200600_302600_NS6detail15normal_iteratorINSA_10device_ptrIsEEEEPS6_PKS6_NS0_5tupleIJNSA_16discard_iteratorINSA_11use_defaultEEES6_EEENSJ_IJSG_SG_EEENS0_18inequality_wrapperINSA_8equal_toIsEEEEPmJS6_EEE10hipError_tPvRmT3_T4_T5_T6_T7_T9_mT8_P12ihipStream_tbDpT10_ENKUlT_T0_E_clISt17integral_constantIbLb0EES1C_IbLb1EEEEDaS18_S19_EUlS18_E_NS1_11comp_targetILNS1_3genE9ELNS1_11target_archE1100ELNS1_3gpuE3ELNS1_3repE0EEENS1_30default_config_static_selectorELNS0_4arch9wavefront6targetE1EEEvT1_: ; @_ZN7rocprim17ROCPRIM_400000_NS6detail17trampoline_kernelINS0_14default_configENS1_25partition_config_selectorILNS1_17partition_subalgoE8EsNS0_10empty_typeEbEEZZNS1_14partition_implILS5_8ELb0ES3_jN6thrust23THRUST_200600_302600_NS6detail15normal_iteratorINSA_10device_ptrIsEEEEPS6_PKS6_NS0_5tupleIJNSA_16discard_iteratorINSA_11use_defaultEEES6_EEENSJ_IJSG_SG_EEENS0_18inequality_wrapperINSA_8equal_toIsEEEEPmJS6_EEE10hipError_tPvRmT3_T4_T5_T6_T7_T9_mT8_P12ihipStream_tbDpT10_ENKUlT_T0_E_clISt17integral_constantIbLb0EES1C_IbLb1EEEEDaS18_S19_EUlS18_E_NS1_11comp_targetILNS1_3genE9ELNS1_11target_archE1100ELNS1_3gpuE3ELNS1_3repE0EEENS1_30default_config_static_selectorELNS0_4arch9wavefront6targetE1EEEvT1_
; %bb.0:
	.section	.rodata,"a",@progbits
	.p2align	6, 0x0
	.amdhsa_kernel _ZN7rocprim17ROCPRIM_400000_NS6detail17trampoline_kernelINS0_14default_configENS1_25partition_config_selectorILNS1_17partition_subalgoE8EsNS0_10empty_typeEbEEZZNS1_14partition_implILS5_8ELb0ES3_jN6thrust23THRUST_200600_302600_NS6detail15normal_iteratorINSA_10device_ptrIsEEEEPS6_PKS6_NS0_5tupleIJNSA_16discard_iteratorINSA_11use_defaultEEES6_EEENSJ_IJSG_SG_EEENS0_18inequality_wrapperINSA_8equal_toIsEEEEPmJS6_EEE10hipError_tPvRmT3_T4_T5_T6_T7_T9_mT8_P12ihipStream_tbDpT10_ENKUlT_T0_E_clISt17integral_constantIbLb0EES1C_IbLb1EEEEDaS18_S19_EUlS18_E_NS1_11comp_targetILNS1_3genE9ELNS1_11target_archE1100ELNS1_3gpuE3ELNS1_3repE0EEENS1_30default_config_static_selectorELNS0_4arch9wavefront6targetE1EEEvT1_
		.amdhsa_group_segment_fixed_size 0
		.amdhsa_private_segment_fixed_size 0
		.amdhsa_kernarg_size 136
		.amdhsa_user_sgpr_count 6
		.amdhsa_user_sgpr_private_segment_buffer 1
		.amdhsa_user_sgpr_dispatch_ptr 0
		.amdhsa_user_sgpr_queue_ptr 0
		.amdhsa_user_sgpr_kernarg_segment_ptr 1
		.amdhsa_user_sgpr_dispatch_id 0
		.amdhsa_user_sgpr_flat_scratch_init 0
		.amdhsa_user_sgpr_private_segment_size 0
		.amdhsa_uses_dynamic_stack 0
		.amdhsa_system_sgpr_private_segment_wavefront_offset 0
		.amdhsa_system_sgpr_workgroup_id_x 1
		.amdhsa_system_sgpr_workgroup_id_y 0
		.amdhsa_system_sgpr_workgroup_id_z 0
		.amdhsa_system_sgpr_workgroup_info 0
		.amdhsa_system_vgpr_workitem_id 0
		.amdhsa_next_free_vgpr 1
		.amdhsa_next_free_sgpr 0
		.amdhsa_reserve_vcc 0
		.amdhsa_reserve_flat_scratch 0
		.amdhsa_float_round_mode_32 0
		.amdhsa_float_round_mode_16_64 0
		.amdhsa_float_denorm_mode_32 3
		.amdhsa_float_denorm_mode_16_64 3
		.amdhsa_dx10_clamp 1
		.amdhsa_ieee_mode 1
		.amdhsa_fp16_overflow 0
		.amdhsa_exception_fp_ieee_invalid_op 0
		.amdhsa_exception_fp_denorm_src 0
		.amdhsa_exception_fp_ieee_div_zero 0
		.amdhsa_exception_fp_ieee_overflow 0
		.amdhsa_exception_fp_ieee_underflow 0
		.amdhsa_exception_fp_ieee_inexact 0
		.amdhsa_exception_int_div_zero 0
	.end_amdhsa_kernel
	.section	.text._ZN7rocprim17ROCPRIM_400000_NS6detail17trampoline_kernelINS0_14default_configENS1_25partition_config_selectorILNS1_17partition_subalgoE8EsNS0_10empty_typeEbEEZZNS1_14partition_implILS5_8ELb0ES3_jN6thrust23THRUST_200600_302600_NS6detail15normal_iteratorINSA_10device_ptrIsEEEEPS6_PKS6_NS0_5tupleIJNSA_16discard_iteratorINSA_11use_defaultEEES6_EEENSJ_IJSG_SG_EEENS0_18inequality_wrapperINSA_8equal_toIsEEEEPmJS6_EEE10hipError_tPvRmT3_T4_T5_T6_T7_T9_mT8_P12ihipStream_tbDpT10_ENKUlT_T0_E_clISt17integral_constantIbLb0EES1C_IbLb1EEEEDaS18_S19_EUlS18_E_NS1_11comp_targetILNS1_3genE9ELNS1_11target_archE1100ELNS1_3gpuE3ELNS1_3repE0EEENS1_30default_config_static_selectorELNS0_4arch9wavefront6targetE1EEEvT1_,"axG",@progbits,_ZN7rocprim17ROCPRIM_400000_NS6detail17trampoline_kernelINS0_14default_configENS1_25partition_config_selectorILNS1_17partition_subalgoE8EsNS0_10empty_typeEbEEZZNS1_14partition_implILS5_8ELb0ES3_jN6thrust23THRUST_200600_302600_NS6detail15normal_iteratorINSA_10device_ptrIsEEEEPS6_PKS6_NS0_5tupleIJNSA_16discard_iteratorINSA_11use_defaultEEES6_EEENSJ_IJSG_SG_EEENS0_18inequality_wrapperINSA_8equal_toIsEEEEPmJS6_EEE10hipError_tPvRmT3_T4_T5_T6_T7_T9_mT8_P12ihipStream_tbDpT10_ENKUlT_T0_E_clISt17integral_constantIbLb0EES1C_IbLb1EEEEDaS18_S19_EUlS18_E_NS1_11comp_targetILNS1_3genE9ELNS1_11target_archE1100ELNS1_3gpuE3ELNS1_3repE0EEENS1_30default_config_static_selectorELNS0_4arch9wavefront6targetE1EEEvT1_,comdat
.Lfunc_end723:
	.size	_ZN7rocprim17ROCPRIM_400000_NS6detail17trampoline_kernelINS0_14default_configENS1_25partition_config_selectorILNS1_17partition_subalgoE8EsNS0_10empty_typeEbEEZZNS1_14partition_implILS5_8ELb0ES3_jN6thrust23THRUST_200600_302600_NS6detail15normal_iteratorINSA_10device_ptrIsEEEEPS6_PKS6_NS0_5tupleIJNSA_16discard_iteratorINSA_11use_defaultEEES6_EEENSJ_IJSG_SG_EEENS0_18inequality_wrapperINSA_8equal_toIsEEEEPmJS6_EEE10hipError_tPvRmT3_T4_T5_T6_T7_T9_mT8_P12ihipStream_tbDpT10_ENKUlT_T0_E_clISt17integral_constantIbLb0EES1C_IbLb1EEEEDaS18_S19_EUlS18_E_NS1_11comp_targetILNS1_3genE9ELNS1_11target_archE1100ELNS1_3gpuE3ELNS1_3repE0EEENS1_30default_config_static_selectorELNS0_4arch9wavefront6targetE1EEEvT1_, .Lfunc_end723-_ZN7rocprim17ROCPRIM_400000_NS6detail17trampoline_kernelINS0_14default_configENS1_25partition_config_selectorILNS1_17partition_subalgoE8EsNS0_10empty_typeEbEEZZNS1_14partition_implILS5_8ELb0ES3_jN6thrust23THRUST_200600_302600_NS6detail15normal_iteratorINSA_10device_ptrIsEEEEPS6_PKS6_NS0_5tupleIJNSA_16discard_iteratorINSA_11use_defaultEEES6_EEENSJ_IJSG_SG_EEENS0_18inequality_wrapperINSA_8equal_toIsEEEEPmJS6_EEE10hipError_tPvRmT3_T4_T5_T6_T7_T9_mT8_P12ihipStream_tbDpT10_ENKUlT_T0_E_clISt17integral_constantIbLb0EES1C_IbLb1EEEEDaS18_S19_EUlS18_E_NS1_11comp_targetILNS1_3genE9ELNS1_11target_archE1100ELNS1_3gpuE3ELNS1_3repE0EEENS1_30default_config_static_selectorELNS0_4arch9wavefront6targetE1EEEvT1_
                                        ; -- End function
	.set _ZN7rocprim17ROCPRIM_400000_NS6detail17trampoline_kernelINS0_14default_configENS1_25partition_config_selectorILNS1_17partition_subalgoE8EsNS0_10empty_typeEbEEZZNS1_14partition_implILS5_8ELb0ES3_jN6thrust23THRUST_200600_302600_NS6detail15normal_iteratorINSA_10device_ptrIsEEEEPS6_PKS6_NS0_5tupleIJNSA_16discard_iteratorINSA_11use_defaultEEES6_EEENSJ_IJSG_SG_EEENS0_18inequality_wrapperINSA_8equal_toIsEEEEPmJS6_EEE10hipError_tPvRmT3_T4_T5_T6_T7_T9_mT8_P12ihipStream_tbDpT10_ENKUlT_T0_E_clISt17integral_constantIbLb0EES1C_IbLb1EEEEDaS18_S19_EUlS18_E_NS1_11comp_targetILNS1_3genE9ELNS1_11target_archE1100ELNS1_3gpuE3ELNS1_3repE0EEENS1_30default_config_static_selectorELNS0_4arch9wavefront6targetE1EEEvT1_.num_vgpr, 0
	.set _ZN7rocprim17ROCPRIM_400000_NS6detail17trampoline_kernelINS0_14default_configENS1_25partition_config_selectorILNS1_17partition_subalgoE8EsNS0_10empty_typeEbEEZZNS1_14partition_implILS5_8ELb0ES3_jN6thrust23THRUST_200600_302600_NS6detail15normal_iteratorINSA_10device_ptrIsEEEEPS6_PKS6_NS0_5tupleIJNSA_16discard_iteratorINSA_11use_defaultEEES6_EEENSJ_IJSG_SG_EEENS0_18inequality_wrapperINSA_8equal_toIsEEEEPmJS6_EEE10hipError_tPvRmT3_T4_T5_T6_T7_T9_mT8_P12ihipStream_tbDpT10_ENKUlT_T0_E_clISt17integral_constantIbLb0EES1C_IbLb1EEEEDaS18_S19_EUlS18_E_NS1_11comp_targetILNS1_3genE9ELNS1_11target_archE1100ELNS1_3gpuE3ELNS1_3repE0EEENS1_30default_config_static_selectorELNS0_4arch9wavefront6targetE1EEEvT1_.num_agpr, 0
	.set _ZN7rocprim17ROCPRIM_400000_NS6detail17trampoline_kernelINS0_14default_configENS1_25partition_config_selectorILNS1_17partition_subalgoE8EsNS0_10empty_typeEbEEZZNS1_14partition_implILS5_8ELb0ES3_jN6thrust23THRUST_200600_302600_NS6detail15normal_iteratorINSA_10device_ptrIsEEEEPS6_PKS6_NS0_5tupleIJNSA_16discard_iteratorINSA_11use_defaultEEES6_EEENSJ_IJSG_SG_EEENS0_18inequality_wrapperINSA_8equal_toIsEEEEPmJS6_EEE10hipError_tPvRmT3_T4_T5_T6_T7_T9_mT8_P12ihipStream_tbDpT10_ENKUlT_T0_E_clISt17integral_constantIbLb0EES1C_IbLb1EEEEDaS18_S19_EUlS18_E_NS1_11comp_targetILNS1_3genE9ELNS1_11target_archE1100ELNS1_3gpuE3ELNS1_3repE0EEENS1_30default_config_static_selectorELNS0_4arch9wavefront6targetE1EEEvT1_.numbered_sgpr, 0
	.set _ZN7rocprim17ROCPRIM_400000_NS6detail17trampoline_kernelINS0_14default_configENS1_25partition_config_selectorILNS1_17partition_subalgoE8EsNS0_10empty_typeEbEEZZNS1_14partition_implILS5_8ELb0ES3_jN6thrust23THRUST_200600_302600_NS6detail15normal_iteratorINSA_10device_ptrIsEEEEPS6_PKS6_NS0_5tupleIJNSA_16discard_iteratorINSA_11use_defaultEEES6_EEENSJ_IJSG_SG_EEENS0_18inequality_wrapperINSA_8equal_toIsEEEEPmJS6_EEE10hipError_tPvRmT3_T4_T5_T6_T7_T9_mT8_P12ihipStream_tbDpT10_ENKUlT_T0_E_clISt17integral_constantIbLb0EES1C_IbLb1EEEEDaS18_S19_EUlS18_E_NS1_11comp_targetILNS1_3genE9ELNS1_11target_archE1100ELNS1_3gpuE3ELNS1_3repE0EEENS1_30default_config_static_selectorELNS0_4arch9wavefront6targetE1EEEvT1_.num_named_barrier, 0
	.set _ZN7rocprim17ROCPRIM_400000_NS6detail17trampoline_kernelINS0_14default_configENS1_25partition_config_selectorILNS1_17partition_subalgoE8EsNS0_10empty_typeEbEEZZNS1_14partition_implILS5_8ELb0ES3_jN6thrust23THRUST_200600_302600_NS6detail15normal_iteratorINSA_10device_ptrIsEEEEPS6_PKS6_NS0_5tupleIJNSA_16discard_iteratorINSA_11use_defaultEEES6_EEENSJ_IJSG_SG_EEENS0_18inequality_wrapperINSA_8equal_toIsEEEEPmJS6_EEE10hipError_tPvRmT3_T4_T5_T6_T7_T9_mT8_P12ihipStream_tbDpT10_ENKUlT_T0_E_clISt17integral_constantIbLb0EES1C_IbLb1EEEEDaS18_S19_EUlS18_E_NS1_11comp_targetILNS1_3genE9ELNS1_11target_archE1100ELNS1_3gpuE3ELNS1_3repE0EEENS1_30default_config_static_selectorELNS0_4arch9wavefront6targetE1EEEvT1_.private_seg_size, 0
	.set _ZN7rocprim17ROCPRIM_400000_NS6detail17trampoline_kernelINS0_14default_configENS1_25partition_config_selectorILNS1_17partition_subalgoE8EsNS0_10empty_typeEbEEZZNS1_14partition_implILS5_8ELb0ES3_jN6thrust23THRUST_200600_302600_NS6detail15normal_iteratorINSA_10device_ptrIsEEEEPS6_PKS6_NS0_5tupleIJNSA_16discard_iteratorINSA_11use_defaultEEES6_EEENSJ_IJSG_SG_EEENS0_18inequality_wrapperINSA_8equal_toIsEEEEPmJS6_EEE10hipError_tPvRmT3_T4_T5_T6_T7_T9_mT8_P12ihipStream_tbDpT10_ENKUlT_T0_E_clISt17integral_constantIbLb0EES1C_IbLb1EEEEDaS18_S19_EUlS18_E_NS1_11comp_targetILNS1_3genE9ELNS1_11target_archE1100ELNS1_3gpuE3ELNS1_3repE0EEENS1_30default_config_static_selectorELNS0_4arch9wavefront6targetE1EEEvT1_.uses_vcc, 0
	.set _ZN7rocprim17ROCPRIM_400000_NS6detail17trampoline_kernelINS0_14default_configENS1_25partition_config_selectorILNS1_17partition_subalgoE8EsNS0_10empty_typeEbEEZZNS1_14partition_implILS5_8ELb0ES3_jN6thrust23THRUST_200600_302600_NS6detail15normal_iteratorINSA_10device_ptrIsEEEEPS6_PKS6_NS0_5tupleIJNSA_16discard_iteratorINSA_11use_defaultEEES6_EEENSJ_IJSG_SG_EEENS0_18inequality_wrapperINSA_8equal_toIsEEEEPmJS6_EEE10hipError_tPvRmT3_T4_T5_T6_T7_T9_mT8_P12ihipStream_tbDpT10_ENKUlT_T0_E_clISt17integral_constantIbLb0EES1C_IbLb1EEEEDaS18_S19_EUlS18_E_NS1_11comp_targetILNS1_3genE9ELNS1_11target_archE1100ELNS1_3gpuE3ELNS1_3repE0EEENS1_30default_config_static_selectorELNS0_4arch9wavefront6targetE1EEEvT1_.uses_flat_scratch, 0
	.set _ZN7rocprim17ROCPRIM_400000_NS6detail17trampoline_kernelINS0_14default_configENS1_25partition_config_selectorILNS1_17partition_subalgoE8EsNS0_10empty_typeEbEEZZNS1_14partition_implILS5_8ELb0ES3_jN6thrust23THRUST_200600_302600_NS6detail15normal_iteratorINSA_10device_ptrIsEEEEPS6_PKS6_NS0_5tupleIJNSA_16discard_iteratorINSA_11use_defaultEEES6_EEENSJ_IJSG_SG_EEENS0_18inequality_wrapperINSA_8equal_toIsEEEEPmJS6_EEE10hipError_tPvRmT3_T4_T5_T6_T7_T9_mT8_P12ihipStream_tbDpT10_ENKUlT_T0_E_clISt17integral_constantIbLb0EES1C_IbLb1EEEEDaS18_S19_EUlS18_E_NS1_11comp_targetILNS1_3genE9ELNS1_11target_archE1100ELNS1_3gpuE3ELNS1_3repE0EEENS1_30default_config_static_selectorELNS0_4arch9wavefront6targetE1EEEvT1_.has_dyn_sized_stack, 0
	.set _ZN7rocprim17ROCPRIM_400000_NS6detail17trampoline_kernelINS0_14default_configENS1_25partition_config_selectorILNS1_17partition_subalgoE8EsNS0_10empty_typeEbEEZZNS1_14partition_implILS5_8ELb0ES3_jN6thrust23THRUST_200600_302600_NS6detail15normal_iteratorINSA_10device_ptrIsEEEEPS6_PKS6_NS0_5tupleIJNSA_16discard_iteratorINSA_11use_defaultEEES6_EEENSJ_IJSG_SG_EEENS0_18inequality_wrapperINSA_8equal_toIsEEEEPmJS6_EEE10hipError_tPvRmT3_T4_T5_T6_T7_T9_mT8_P12ihipStream_tbDpT10_ENKUlT_T0_E_clISt17integral_constantIbLb0EES1C_IbLb1EEEEDaS18_S19_EUlS18_E_NS1_11comp_targetILNS1_3genE9ELNS1_11target_archE1100ELNS1_3gpuE3ELNS1_3repE0EEENS1_30default_config_static_selectorELNS0_4arch9wavefront6targetE1EEEvT1_.has_recursion, 0
	.set _ZN7rocprim17ROCPRIM_400000_NS6detail17trampoline_kernelINS0_14default_configENS1_25partition_config_selectorILNS1_17partition_subalgoE8EsNS0_10empty_typeEbEEZZNS1_14partition_implILS5_8ELb0ES3_jN6thrust23THRUST_200600_302600_NS6detail15normal_iteratorINSA_10device_ptrIsEEEEPS6_PKS6_NS0_5tupleIJNSA_16discard_iteratorINSA_11use_defaultEEES6_EEENSJ_IJSG_SG_EEENS0_18inequality_wrapperINSA_8equal_toIsEEEEPmJS6_EEE10hipError_tPvRmT3_T4_T5_T6_T7_T9_mT8_P12ihipStream_tbDpT10_ENKUlT_T0_E_clISt17integral_constantIbLb0EES1C_IbLb1EEEEDaS18_S19_EUlS18_E_NS1_11comp_targetILNS1_3genE9ELNS1_11target_archE1100ELNS1_3gpuE3ELNS1_3repE0EEENS1_30default_config_static_selectorELNS0_4arch9wavefront6targetE1EEEvT1_.has_indirect_call, 0
	.section	.AMDGPU.csdata,"",@progbits
; Kernel info:
; codeLenInByte = 0
; TotalNumSgprs: 4
; NumVgprs: 0
; ScratchSize: 0
; MemoryBound: 0
; FloatMode: 240
; IeeeMode: 1
; LDSByteSize: 0 bytes/workgroup (compile time only)
; SGPRBlocks: 0
; VGPRBlocks: 0
; NumSGPRsForWavesPerEU: 4
; NumVGPRsForWavesPerEU: 1
; Occupancy: 10
; WaveLimiterHint : 0
; COMPUTE_PGM_RSRC2:SCRATCH_EN: 0
; COMPUTE_PGM_RSRC2:USER_SGPR: 6
; COMPUTE_PGM_RSRC2:TRAP_HANDLER: 0
; COMPUTE_PGM_RSRC2:TGID_X_EN: 1
; COMPUTE_PGM_RSRC2:TGID_Y_EN: 0
; COMPUTE_PGM_RSRC2:TGID_Z_EN: 0
; COMPUTE_PGM_RSRC2:TIDIG_COMP_CNT: 0
	.section	.text._ZN7rocprim17ROCPRIM_400000_NS6detail17trampoline_kernelINS0_14default_configENS1_25partition_config_selectorILNS1_17partition_subalgoE8EsNS0_10empty_typeEbEEZZNS1_14partition_implILS5_8ELb0ES3_jN6thrust23THRUST_200600_302600_NS6detail15normal_iteratorINSA_10device_ptrIsEEEEPS6_PKS6_NS0_5tupleIJNSA_16discard_iteratorINSA_11use_defaultEEES6_EEENSJ_IJSG_SG_EEENS0_18inequality_wrapperINSA_8equal_toIsEEEEPmJS6_EEE10hipError_tPvRmT3_T4_T5_T6_T7_T9_mT8_P12ihipStream_tbDpT10_ENKUlT_T0_E_clISt17integral_constantIbLb0EES1C_IbLb1EEEEDaS18_S19_EUlS18_E_NS1_11comp_targetILNS1_3genE8ELNS1_11target_archE1030ELNS1_3gpuE2ELNS1_3repE0EEENS1_30default_config_static_selectorELNS0_4arch9wavefront6targetE1EEEvT1_,"axG",@progbits,_ZN7rocprim17ROCPRIM_400000_NS6detail17trampoline_kernelINS0_14default_configENS1_25partition_config_selectorILNS1_17partition_subalgoE8EsNS0_10empty_typeEbEEZZNS1_14partition_implILS5_8ELb0ES3_jN6thrust23THRUST_200600_302600_NS6detail15normal_iteratorINSA_10device_ptrIsEEEEPS6_PKS6_NS0_5tupleIJNSA_16discard_iteratorINSA_11use_defaultEEES6_EEENSJ_IJSG_SG_EEENS0_18inequality_wrapperINSA_8equal_toIsEEEEPmJS6_EEE10hipError_tPvRmT3_T4_T5_T6_T7_T9_mT8_P12ihipStream_tbDpT10_ENKUlT_T0_E_clISt17integral_constantIbLb0EES1C_IbLb1EEEEDaS18_S19_EUlS18_E_NS1_11comp_targetILNS1_3genE8ELNS1_11target_archE1030ELNS1_3gpuE2ELNS1_3repE0EEENS1_30default_config_static_selectorELNS0_4arch9wavefront6targetE1EEEvT1_,comdat
	.protected	_ZN7rocprim17ROCPRIM_400000_NS6detail17trampoline_kernelINS0_14default_configENS1_25partition_config_selectorILNS1_17partition_subalgoE8EsNS0_10empty_typeEbEEZZNS1_14partition_implILS5_8ELb0ES3_jN6thrust23THRUST_200600_302600_NS6detail15normal_iteratorINSA_10device_ptrIsEEEEPS6_PKS6_NS0_5tupleIJNSA_16discard_iteratorINSA_11use_defaultEEES6_EEENSJ_IJSG_SG_EEENS0_18inequality_wrapperINSA_8equal_toIsEEEEPmJS6_EEE10hipError_tPvRmT3_T4_T5_T6_T7_T9_mT8_P12ihipStream_tbDpT10_ENKUlT_T0_E_clISt17integral_constantIbLb0EES1C_IbLb1EEEEDaS18_S19_EUlS18_E_NS1_11comp_targetILNS1_3genE8ELNS1_11target_archE1030ELNS1_3gpuE2ELNS1_3repE0EEENS1_30default_config_static_selectorELNS0_4arch9wavefront6targetE1EEEvT1_ ; -- Begin function _ZN7rocprim17ROCPRIM_400000_NS6detail17trampoline_kernelINS0_14default_configENS1_25partition_config_selectorILNS1_17partition_subalgoE8EsNS0_10empty_typeEbEEZZNS1_14partition_implILS5_8ELb0ES3_jN6thrust23THRUST_200600_302600_NS6detail15normal_iteratorINSA_10device_ptrIsEEEEPS6_PKS6_NS0_5tupleIJNSA_16discard_iteratorINSA_11use_defaultEEES6_EEENSJ_IJSG_SG_EEENS0_18inequality_wrapperINSA_8equal_toIsEEEEPmJS6_EEE10hipError_tPvRmT3_T4_T5_T6_T7_T9_mT8_P12ihipStream_tbDpT10_ENKUlT_T0_E_clISt17integral_constantIbLb0EES1C_IbLb1EEEEDaS18_S19_EUlS18_E_NS1_11comp_targetILNS1_3genE8ELNS1_11target_archE1030ELNS1_3gpuE2ELNS1_3repE0EEENS1_30default_config_static_selectorELNS0_4arch9wavefront6targetE1EEEvT1_
	.globl	_ZN7rocprim17ROCPRIM_400000_NS6detail17trampoline_kernelINS0_14default_configENS1_25partition_config_selectorILNS1_17partition_subalgoE8EsNS0_10empty_typeEbEEZZNS1_14partition_implILS5_8ELb0ES3_jN6thrust23THRUST_200600_302600_NS6detail15normal_iteratorINSA_10device_ptrIsEEEEPS6_PKS6_NS0_5tupleIJNSA_16discard_iteratorINSA_11use_defaultEEES6_EEENSJ_IJSG_SG_EEENS0_18inequality_wrapperINSA_8equal_toIsEEEEPmJS6_EEE10hipError_tPvRmT3_T4_T5_T6_T7_T9_mT8_P12ihipStream_tbDpT10_ENKUlT_T0_E_clISt17integral_constantIbLb0EES1C_IbLb1EEEEDaS18_S19_EUlS18_E_NS1_11comp_targetILNS1_3genE8ELNS1_11target_archE1030ELNS1_3gpuE2ELNS1_3repE0EEENS1_30default_config_static_selectorELNS0_4arch9wavefront6targetE1EEEvT1_
	.p2align	8
	.type	_ZN7rocprim17ROCPRIM_400000_NS6detail17trampoline_kernelINS0_14default_configENS1_25partition_config_selectorILNS1_17partition_subalgoE8EsNS0_10empty_typeEbEEZZNS1_14partition_implILS5_8ELb0ES3_jN6thrust23THRUST_200600_302600_NS6detail15normal_iteratorINSA_10device_ptrIsEEEEPS6_PKS6_NS0_5tupleIJNSA_16discard_iteratorINSA_11use_defaultEEES6_EEENSJ_IJSG_SG_EEENS0_18inequality_wrapperINSA_8equal_toIsEEEEPmJS6_EEE10hipError_tPvRmT3_T4_T5_T6_T7_T9_mT8_P12ihipStream_tbDpT10_ENKUlT_T0_E_clISt17integral_constantIbLb0EES1C_IbLb1EEEEDaS18_S19_EUlS18_E_NS1_11comp_targetILNS1_3genE8ELNS1_11target_archE1030ELNS1_3gpuE2ELNS1_3repE0EEENS1_30default_config_static_selectorELNS0_4arch9wavefront6targetE1EEEvT1_,@function
_ZN7rocprim17ROCPRIM_400000_NS6detail17trampoline_kernelINS0_14default_configENS1_25partition_config_selectorILNS1_17partition_subalgoE8EsNS0_10empty_typeEbEEZZNS1_14partition_implILS5_8ELb0ES3_jN6thrust23THRUST_200600_302600_NS6detail15normal_iteratorINSA_10device_ptrIsEEEEPS6_PKS6_NS0_5tupleIJNSA_16discard_iteratorINSA_11use_defaultEEES6_EEENSJ_IJSG_SG_EEENS0_18inequality_wrapperINSA_8equal_toIsEEEEPmJS6_EEE10hipError_tPvRmT3_T4_T5_T6_T7_T9_mT8_P12ihipStream_tbDpT10_ENKUlT_T0_E_clISt17integral_constantIbLb0EES1C_IbLb1EEEEDaS18_S19_EUlS18_E_NS1_11comp_targetILNS1_3genE8ELNS1_11target_archE1030ELNS1_3gpuE2ELNS1_3repE0EEENS1_30default_config_static_selectorELNS0_4arch9wavefront6targetE1EEEvT1_: ; @_ZN7rocprim17ROCPRIM_400000_NS6detail17trampoline_kernelINS0_14default_configENS1_25partition_config_selectorILNS1_17partition_subalgoE8EsNS0_10empty_typeEbEEZZNS1_14partition_implILS5_8ELb0ES3_jN6thrust23THRUST_200600_302600_NS6detail15normal_iteratorINSA_10device_ptrIsEEEEPS6_PKS6_NS0_5tupleIJNSA_16discard_iteratorINSA_11use_defaultEEES6_EEENSJ_IJSG_SG_EEENS0_18inequality_wrapperINSA_8equal_toIsEEEEPmJS6_EEE10hipError_tPvRmT3_T4_T5_T6_T7_T9_mT8_P12ihipStream_tbDpT10_ENKUlT_T0_E_clISt17integral_constantIbLb0EES1C_IbLb1EEEEDaS18_S19_EUlS18_E_NS1_11comp_targetILNS1_3genE8ELNS1_11target_archE1030ELNS1_3gpuE2ELNS1_3repE0EEENS1_30default_config_static_selectorELNS0_4arch9wavefront6targetE1EEEvT1_
; %bb.0:
	.section	.rodata,"a",@progbits
	.p2align	6, 0x0
	.amdhsa_kernel _ZN7rocprim17ROCPRIM_400000_NS6detail17trampoline_kernelINS0_14default_configENS1_25partition_config_selectorILNS1_17partition_subalgoE8EsNS0_10empty_typeEbEEZZNS1_14partition_implILS5_8ELb0ES3_jN6thrust23THRUST_200600_302600_NS6detail15normal_iteratorINSA_10device_ptrIsEEEEPS6_PKS6_NS0_5tupleIJNSA_16discard_iteratorINSA_11use_defaultEEES6_EEENSJ_IJSG_SG_EEENS0_18inequality_wrapperINSA_8equal_toIsEEEEPmJS6_EEE10hipError_tPvRmT3_T4_T5_T6_T7_T9_mT8_P12ihipStream_tbDpT10_ENKUlT_T0_E_clISt17integral_constantIbLb0EES1C_IbLb1EEEEDaS18_S19_EUlS18_E_NS1_11comp_targetILNS1_3genE8ELNS1_11target_archE1030ELNS1_3gpuE2ELNS1_3repE0EEENS1_30default_config_static_selectorELNS0_4arch9wavefront6targetE1EEEvT1_
		.amdhsa_group_segment_fixed_size 0
		.amdhsa_private_segment_fixed_size 0
		.amdhsa_kernarg_size 136
		.amdhsa_user_sgpr_count 6
		.amdhsa_user_sgpr_private_segment_buffer 1
		.amdhsa_user_sgpr_dispatch_ptr 0
		.amdhsa_user_sgpr_queue_ptr 0
		.amdhsa_user_sgpr_kernarg_segment_ptr 1
		.amdhsa_user_sgpr_dispatch_id 0
		.amdhsa_user_sgpr_flat_scratch_init 0
		.amdhsa_user_sgpr_private_segment_size 0
		.amdhsa_uses_dynamic_stack 0
		.amdhsa_system_sgpr_private_segment_wavefront_offset 0
		.amdhsa_system_sgpr_workgroup_id_x 1
		.amdhsa_system_sgpr_workgroup_id_y 0
		.amdhsa_system_sgpr_workgroup_id_z 0
		.amdhsa_system_sgpr_workgroup_info 0
		.amdhsa_system_vgpr_workitem_id 0
		.amdhsa_next_free_vgpr 1
		.amdhsa_next_free_sgpr 0
		.amdhsa_reserve_vcc 0
		.amdhsa_reserve_flat_scratch 0
		.amdhsa_float_round_mode_32 0
		.amdhsa_float_round_mode_16_64 0
		.amdhsa_float_denorm_mode_32 3
		.amdhsa_float_denorm_mode_16_64 3
		.amdhsa_dx10_clamp 1
		.amdhsa_ieee_mode 1
		.amdhsa_fp16_overflow 0
		.amdhsa_exception_fp_ieee_invalid_op 0
		.amdhsa_exception_fp_denorm_src 0
		.amdhsa_exception_fp_ieee_div_zero 0
		.amdhsa_exception_fp_ieee_overflow 0
		.amdhsa_exception_fp_ieee_underflow 0
		.amdhsa_exception_fp_ieee_inexact 0
		.amdhsa_exception_int_div_zero 0
	.end_amdhsa_kernel
	.section	.text._ZN7rocprim17ROCPRIM_400000_NS6detail17trampoline_kernelINS0_14default_configENS1_25partition_config_selectorILNS1_17partition_subalgoE8EsNS0_10empty_typeEbEEZZNS1_14partition_implILS5_8ELb0ES3_jN6thrust23THRUST_200600_302600_NS6detail15normal_iteratorINSA_10device_ptrIsEEEEPS6_PKS6_NS0_5tupleIJNSA_16discard_iteratorINSA_11use_defaultEEES6_EEENSJ_IJSG_SG_EEENS0_18inequality_wrapperINSA_8equal_toIsEEEEPmJS6_EEE10hipError_tPvRmT3_T4_T5_T6_T7_T9_mT8_P12ihipStream_tbDpT10_ENKUlT_T0_E_clISt17integral_constantIbLb0EES1C_IbLb1EEEEDaS18_S19_EUlS18_E_NS1_11comp_targetILNS1_3genE8ELNS1_11target_archE1030ELNS1_3gpuE2ELNS1_3repE0EEENS1_30default_config_static_selectorELNS0_4arch9wavefront6targetE1EEEvT1_,"axG",@progbits,_ZN7rocprim17ROCPRIM_400000_NS6detail17trampoline_kernelINS0_14default_configENS1_25partition_config_selectorILNS1_17partition_subalgoE8EsNS0_10empty_typeEbEEZZNS1_14partition_implILS5_8ELb0ES3_jN6thrust23THRUST_200600_302600_NS6detail15normal_iteratorINSA_10device_ptrIsEEEEPS6_PKS6_NS0_5tupleIJNSA_16discard_iteratorINSA_11use_defaultEEES6_EEENSJ_IJSG_SG_EEENS0_18inequality_wrapperINSA_8equal_toIsEEEEPmJS6_EEE10hipError_tPvRmT3_T4_T5_T6_T7_T9_mT8_P12ihipStream_tbDpT10_ENKUlT_T0_E_clISt17integral_constantIbLb0EES1C_IbLb1EEEEDaS18_S19_EUlS18_E_NS1_11comp_targetILNS1_3genE8ELNS1_11target_archE1030ELNS1_3gpuE2ELNS1_3repE0EEENS1_30default_config_static_selectorELNS0_4arch9wavefront6targetE1EEEvT1_,comdat
.Lfunc_end724:
	.size	_ZN7rocprim17ROCPRIM_400000_NS6detail17trampoline_kernelINS0_14default_configENS1_25partition_config_selectorILNS1_17partition_subalgoE8EsNS0_10empty_typeEbEEZZNS1_14partition_implILS5_8ELb0ES3_jN6thrust23THRUST_200600_302600_NS6detail15normal_iteratorINSA_10device_ptrIsEEEEPS6_PKS6_NS0_5tupleIJNSA_16discard_iteratorINSA_11use_defaultEEES6_EEENSJ_IJSG_SG_EEENS0_18inequality_wrapperINSA_8equal_toIsEEEEPmJS6_EEE10hipError_tPvRmT3_T4_T5_T6_T7_T9_mT8_P12ihipStream_tbDpT10_ENKUlT_T0_E_clISt17integral_constantIbLb0EES1C_IbLb1EEEEDaS18_S19_EUlS18_E_NS1_11comp_targetILNS1_3genE8ELNS1_11target_archE1030ELNS1_3gpuE2ELNS1_3repE0EEENS1_30default_config_static_selectorELNS0_4arch9wavefront6targetE1EEEvT1_, .Lfunc_end724-_ZN7rocprim17ROCPRIM_400000_NS6detail17trampoline_kernelINS0_14default_configENS1_25partition_config_selectorILNS1_17partition_subalgoE8EsNS0_10empty_typeEbEEZZNS1_14partition_implILS5_8ELb0ES3_jN6thrust23THRUST_200600_302600_NS6detail15normal_iteratorINSA_10device_ptrIsEEEEPS6_PKS6_NS0_5tupleIJNSA_16discard_iteratorINSA_11use_defaultEEES6_EEENSJ_IJSG_SG_EEENS0_18inequality_wrapperINSA_8equal_toIsEEEEPmJS6_EEE10hipError_tPvRmT3_T4_T5_T6_T7_T9_mT8_P12ihipStream_tbDpT10_ENKUlT_T0_E_clISt17integral_constantIbLb0EES1C_IbLb1EEEEDaS18_S19_EUlS18_E_NS1_11comp_targetILNS1_3genE8ELNS1_11target_archE1030ELNS1_3gpuE2ELNS1_3repE0EEENS1_30default_config_static_selectorELNS0_4arch9wavefront6targetE1EEEvT1_
                                        ; -- End function
	.set _ZN7rocprim17ROCPRIM_400000_NS6detail17trampoline_kernelINS0_14default_configENS1_25partition_config_selectorILNS1_17partition_subalgoE8EsNS0_10empty_typeEbEEZZNS1_14partition_implILS5_8ELb0ES3_jN6thrust23THRUST_200600_302600_NS6detail15normal_iteratorINSA_10device_ptrIsEEEEPS6_PKS6_NS0_5tupleIJNSA_16discard_iteratorINSA_11use_defaultEEES6_EEENSJ_IJSG_SG_EEENS0_18inequality_wrapperINSA_8equal_toIsEEEEPmJS6_EEE10hipError_tPvRmT3_T4_T5_T6_T7_T9_mT8_P12ihipStream_tbDpT10_ENKUlT_T0_E_clISt17integral_constantIbLb0EES1C_IbLb1EEEEDaS18_S19_EUlS18_E_NS1_11comp_targetILNS1_3genE8ELNS1_11target_archE1030ELNS1_3gpuE2ELNS1_3repE0EEENS1_30default_config_static_selectorELNS0_4arch9wavefront6targetE1EEEvT1_.num_vgpr, 0
	.set _ZN7rocprim17ROCPRIM_400000_NS6detail17trampoline_kernelINS0_14default_configENS1_25partition_config_selectorILNS1_17partition_subalgoE8EsNS0_10empty_typeEbEEZZNS1_14partition_implILS5_8ELb0ES3_jN6thrust23THRUST_200600_302600_NS6detail15normal_iteratorINSA_10device_ptrIsEEEEPS6_PKS6_NS0_5tupleIJNSA_16discard_iteratorINSA_11use_defaultEEES6_EEENSJ_IJSG_SG_EEENS0_18inequality_wrapperINSA_8equal_toIsEEEEPmJS6_EEE10hipError_tPvRmT3_T4_T5_T6_T7_T9_mT8_P12ihipStream_tbDpT10_ENKUlT_T0_E_clISt17integral_constantIbLb0EES1C_IbLb1EEEEDaS18_S19_EUlS18_E_NS1_11comp_targetILNS1_3genE8ELNS1_11target_archE1030ELNS1_3gpuE2ELNS1_3repE0EEENS1_30default_config_static_selectorELNS0_4arch9wavefront6targetE1EEEvT1_.num_agpr, 0
	.set _ZN7rocprim17ROCPRIM_400000_NS6detail17trampoline_kernelINS0_14default_configENS1_25partition_config_selectorILNS1_17partition_subalgoE8EsNS0_10empty_typeEbEEZZNS1_14partition_implILS5_8ELb0ES3_jN6thrust23THRUST_200600_302600_NS6detail15normal_iteratorINSA_10device_ptrIsEEEEPS6_PKS6_NS0_5tupleIJNSA_16discard_iteratorINSA_11use_defaultEEES6_EEENSJ_IJSG_SG_EEENS0_18inequality_wrapperINSA_8equal_toIsEEEEPmJS6_EEE10hipError_tPvRmT3_T4_T5_T6_T7_T9_mT8_P12ihipStream_tbDpT10_ENKUlT_T0_E_clISt17integral_constantIbLb0EES1C_IbLb1EEEEDaS18_S19_EUlS18_E_NS1_11comp_targetILNS1_3genE8ELNS1_11target_archE1030ELNS1_3gpuE2ELNS1_3repE0EEENS1_30default_config_static_selectorELNS0_4arch9wavefront6targetE1EEEvT1_.numbered_sgpr, 0
	.set _ZN7rocprim17ROCPRIM_400000_NS6detail17trampoline_kernelINS0_14default_configENS1_25partition_config_selectorILNS1_17partition_subalgoE8EsNS0_10empty_typeEbEEZZNS1_14partition_implILS5_8ELb0ES3_jN6thrust23THRUST_200600_302600_NS6detail15normal_iteratorINSA_10device_ptrIsEEEEPS6_PKS6_NS0_5tupleIJNSA_16discard_iteratorINSA_11use_defaultEEES6_EEENSJ_IJSG_SG_EEENS0_18inequality_wrapperINSA_8equal_toIsEEEEPmJS6_EEE10hipError_tPvRmT3_T4_T5_T6_T7_T9_mT8_P12ihipStream_tbDpT10_ENKUlT_T0_E_clISt17integral_constantIbLb0EES1C_IbLb1EEEEDaS18_S19_EUlS18_E_NS1_11comp_targetILNS1_3genE8ELNS1_11target_archE1030ELNS1_3gpuE2ELNS1_3repE0EEENS1_30default_config_static_selectorELNS0_4arch9wavefront6targetE1EEEvT1_.num_named_barrier, 0
	.set _ZN7rocprim17ROCPRIM_400000_NS6detail17trampoline_kernelINS0_14default_configENS1_25partition_config_selectorILNS1_17partition_subalgoE8EsNS0_10empty_typeEbEEZZNS1_14partition_implILS5_8ELb0ES3_jN6thrust23THRUST_200600_302600_NS6detail15normal_iteratorINSA_10device_ptrIsEEEEPS6_PKS6_NS0_5tupleIJNSA_16discard_iteratorINSA_11use_defaultEEES6_EEENSJ_IJSG_SG_EEENS0_18inequality_wrapperINSA_8equal_toIsEEEEPmJS6_EEE10hipError_tPvRmT3_T4_T5_T6_T7_T9_mT8_P12ihipStream_tbDpT10_ENKUlT_T0_E_clISt17integral_constantIbLb0EES1C_IbLb1EEEEDaS18_S19_EUlS18_E_NS1_11comp_targetILNS1_3genE8ELNS1_11target_archE1030ELNS1_3gpuE2ELNS1_3repE0EEENS1_30default_config_static_selectorELNS0_4arch9wavefront6targetE1EEEvT1_.private_seg_size, 0
	.set _ZN7rocprim17ROCPRIM_400000_NS6detail17trampoline_kernelINS0_14default_configENS1_25partition_config_selectorILNS1_17partition_subalgoE8EsNS0_10empty_typeEbEEZZNS1_14partition_implILS5_8ELb0ES3_jN6thrust23THRUST_200600_302600_NS6detail15normal_iteratorINSA_10device_ptrIsEEEEPS6_PKS6_NS0_5tupleIJNSA_16discard_iteratorINSA_11use_defaultEEES6_EEENSJ_IJSG_SG_EEENS0_18inequality_wrapperINSA_8equal_toIsEEEEPmJS6_EEE10hipError_tPvRmT3_T4_T5_T6_T7_T9_mT8_P12ihipStream_tbDpT10_ENKUlT_T0_E_clISt17integral_constantIbLb0EES1C_IbLb1EEEEDaS18_S19_EUlS18_E_NS1_11comp_targetILNS1_3genE8ELNS1_11target_archE1030ELNS1_3gpuE2ELNS1_3repE0EEENS1_30default_config_static_selectorELNS0_4arch9wavefront6targetE1EEEvT1_.uses_vcc, 0
	.set _ZN7rocprim17ROCPRIM_400000_NS6detail17trampoline_kernelINS0_14default_configENS1_25partition_config_selectorILNS1_17partition_subalgoE8EsNS0_10empty_typeEbEEZZNS1_14partition_implILS5_8ELb0ES3_jN6thrust23THRUST_200600_302600_NS6detail15normal_iteratorINSA_10device_ptrIsEEEEPS6_PKS6_NS0_5tupleIJNSA_16discard_iteratorINSA_11use_defaultEEES6_EEENSJ_IJSG_SG_EEENS0_18inequality_wrapperINSA_8equal_toIsEEEEPmJS6_EEE10hipError_tPvRmT3_T4_T5_T6_T7_T9_mT8_P12ihipStream_tbDpT10_ENKUlT_T0_E_clISt17integral_constantIbLb0EES1C_IbLb1EEEEDaS18_S19_EUlS18_E_NS1_11comp_targetILNS1_3genE8ELNS1_11target_archE1030ELNS1_3gpuE2ELNS1_3repE0EEENS1_30default_config_static_selectorELNS0_4arch9wavefront6targetE1EEEvT1_.uses_flat_scratch, 0
	.set _ZN7rocprim17ROCPRIM_400000_NS6detail17trampoline_kernelINS0_14default_configENS1_25partition_config_selectorILNS1_17partition_subalgoE8EsNS0_10empty_typeEbEEZZNS1_14partition_implILS5_8ELb0ES3_jN6thrust23THRUST_200600_302600_NS6detail15normal_iteratorINSA_10device_ptrIsEEEEPS6_PKS6_NS0_5tupleIJNSA_16discard_iteratorINSA_11use_defaultEEES6_EEENSJ_IJSG_SG_EEENS0_18inequality_wrapperINSA_8equal_toIsEEEEPmJS6_EEE10hipError_tPvRmT3_T4_T5_T6_T7_T9_mT8_P12ihipStream_tbDpT10_ENKUlT_T0_E_clISt17integral_constantIbLb0EES1C_IbLb1EEEEDaS18_S19_EUlS18_E_NS1_11comp_targetILNS1_3genE8ELNS1_11target_archE1030ELNS1_3gpuE2ELNS1_3repE0EEENS1_30default_config_static_selectorELNS0_4arch9wavefront6targetE1EEEvT1_.has_dyn_sized_stack, 0
	.set _ZN7rocprim17ROCPRIM_400000_NS6detail17trampoline_kernelINS0_14default_configENS1_25partition_config_selectorILNS1_17partition_subalgoE8EsNS0_10empty_typeEbEEZZNS1_14partition_implILS5_8ELb0ES3_jN6thrust23THRUST_200600_302600_NS6detail15normal_iteratorINSA_10device_ptrIsEEEEPS6_PKS6_NS0_5tupleIJNSA_16discard_iteratorINSA_11use_defaultEEES6_EEENSJ_IJSG_SG_EEENS0_18inequality_wrapperINSA_8equal_toIsEEEEPmJS6_EEE10hipError_tPvRmT3_T4_T5_T6_T7_T9_mT8_P12ihipStream_tbDpT10_ENKUlT_T0_E_clISt17integral_constantIbLb0EES1C_IbLb1EEEEDaS18_S19_EUlS18_E_NS1_11comp_targetILNS1_3genE8ELNS1_11target_archE1030ELNS1_3gpuE2ELNS1_3repE0EEENS1_30default_config_static_selectorELNS0_4arch9wavefront6targetE1EEEvT1_.has_recursion, 0
	.set _ZN7rocprim17ROCPRIM_400000_NS6detail17trampoline_kernelINS0_14default_configENS1_25partition_config_selectorILNS1_17partition_subalgoE8EsNS0_10empty_typeEbEEZZNS1_14partition_implILS5_8ELb0ES3_jN6thrust23THRUST_200600_302600_NS6detail15normal_iteratorINSA_10device_ptrIsEEEEPS6_PKS6_NS0_5tupleIJNSA_16discard_iteratorINSA_11use_defaultEEES6_EEENSJ_IJSG_SG_EEENS0_18inequality_wrapperINSA_8equal_toIsEEEEPmJS6_EEE10hipError_tPvRmT3_T4_T5_T6_T7_T9_mT8_P12ihipStream_tbDpT10_ENKUlT_T0_E_clISt17integral_constantIbLb0EES1C_IbLb1EEEEDaS18_S19_EUlS18_E_NS1_11comp_targetILNS1_3genE8ELNS1_11target_archE1030ELNS1_3gpuE2ELNS1_3repE0EEENS1_30default_config_static_selectorELNS0_4arch9wavefront6targetE1EEEvT1_.has_indirect_call, 0
	.section	.AMDGPU.csdata,"",@progbits
; Kernel info:
; codeLenInByte = 0
; TotalNumSgprs: 4
; NumVgprs: 0
; ScratchSize: 0
; MemoryBound: 0
; FloatMode: 240
; IeeeMode: 1
; LDSByteSize: 0 bytes/workgroup (compile time only)
; SGPRBlocks: 0
; VGPRBlocks: 0
; NumSGPRsForWavesPerEU: 4
; NumVGPRsForWavesPerEU: 1
; Occupancy: 10
; WaveLimiterHint : 0
; COMPUTE_PGM_RSRC2:SCRATCH_EN: 0
; COMPUTE_PGM_RSRC2:USER_SGPR: 6
; COMPUTE_PGM_RSRC2:TRAP_HANDLER: 0
; COMPUTE_PGM_RSRC2:TGID_X_EN: 1
; COMPUTE_PGM_RSRC2:TGID_Y_EN: 0
; COMPUTE_PGM_RSRC2:TGID_Z_EN: 0
; COMPUTE_PGM_RSRC2:TIDIG_COMP_CNT: 0
	.section	.text._ZN7rocprim17ROCPRIM_400000_NS6detail17trampoline_kernelINS0_14default_configENS1_22reduce_config_selectorIlEEZNS1_11reduce_implILb1ES3_PlS7_lN6thrust23THRUST_200600_302600_NS4plusIlEEEE10hipError_tPvRmT1_T2_T3_mT4_P12ihipStream_tbEUlT_E0_NS1_11comp_targetILNS1_3genE0ELNS1_11target_archE4294967295ELNS1_3gpuE0ELNS1_3repE0EEENS1_30default_config_static_selectorELNS0_4arch9wavefront6targetE1EEEvSF_,"axG",@progbits,_ZN7rocprim17ROCPRIM_400000_NS6detail17trampoline_kernelINS0_14default_configENS1_22reduce_config_selectorIlEEZNS1_11reduce_implILb1ES3_PlS7_lN6thrust23THRUST_200600_302600_NS4plusIlEEEE10hipError_tPvRmT1_T2_T3_mT4_P12ihipStream_tbEUlT_E0_NS1_11comp_targetILNS1_3genE0ELNS1_11target_archE4294967295ELNS1_3gpuE0ELNS1_3repE0EEENS1_30default_config_static_selectorELNS0_4arch9wavefront6targetE1EEEvSF_,comdat
	.protected	_ZN7rocprim17ROCPRIM_400000_NS6detail17trampoline_kernelINS0_14default_configENS1_22reduce_config_selectorIlEEZNS1_11reduce_implILb1ES3_PlS7_lN6thrust23THRUST_200600_302600_NS4plusIlEEEE10hipError_tPvRmT1_T2_T3_mT4_P12ihipStream_tbEUlT_E0_NS1_11comp_targetILNS1_3genE0ELNS1_11target_archE4294967295ELNS1_3gpuE0ELNS1_3repE0EEENS1_30default_config_static_selectorELNS0_4arch9wavefront6targetE1EEEvSF_ ; -- Begin function _ZN7rocprim17ROCPRIM_400000_NS6detail17trampoline_kernelINS0_14default_configENS1_22reduce_config_selectorIlEEZNS1_11reduce_implILb1ES3_PlS7_lN6thrust23THRUST_200600_302600_NS4plusIlEEEE10hipError_tPvRmT1_T2_T3_mT4_P12ihipStream_tbEUlT_E0_NS1_11comp_targetILNS1_3genE0ELNS1_11target_archE4294967295ELNS1_3gpuE0ELNS1_3repE0EEENS1_30default_config_static_selectorELNS0_4arch9wavefront6targetE1EEEvSF_
	.globl	_ZN7rocprim17ROCPRIM_400000_NS6detail17trampoline_kernelINS0_14default_configENS1_22reduce_config_selectorIlEEZNS1_11reduce_implILb1ES3_PlS7_lN6thrust23THRUST_200600_302600_NS4plusIlEEEE10hipError_tPvRmT1_T2_T3_mT4_P12ihipStream_tbEUlT_E0_NS1_11comp_targetILNS1_3genE0ELNS1_11target_archE4294967295ELNS1_3gpuE0ELNS1_3repE0EEENS1_30default_config_static_selectorELNS0_4arch9wavefront6targetE1EEEvSF_
	.p2align	8
	.type	_ZN7rocprim17ROCPRIM_400000_NS6detail17trampoline_kernelINS0_14default_configENS1_22reduce_config_selectorIlEEZNS1_11reduce_implILb1ES3_PlS7_lN6thrust23THRUST_200600_302600_NS4plusIlEEEE10hipError_tPvRmT1_T2_T3_mT4_P12ihipStream_tbEUlT_E0_NS1_11comp_targetILNS1_3genE0ELNS1_11target_archE4294967295ELNS1_3gpuE0ELNS1_3repE0EEENS1_30default_config_static_selectorELNS0_4arch9wavefront6targetE1EEEvSF_,@function
_ZN7rocprim17ROCPRIM_400000_NS6detail17trampoline_kernelINS0_14default_configENS1_22reduce_config_selectorIlEEZNS1_11reduce_implILb1ES3_PlS7_lN6thrust23THRUST_200600_302600_NS4plusIlEEEE10hipError_tPvRmT1_T2_T3_mT4_P12ihipStream_tbEUlT_E0_NS1_11comp_targetILNS1_3genE0ELNS1_11target_archE4294967295ELNS1_3gpuE0ELNS1_3repE0EEENS1_30default_config_static_selectorELNS0_4arch9wavefront6targetE1EEEvSF_: ; @_ZN7rocprim17ROCPRIM_400000_NS6detail17trampoline_kernelINS0_14default_configENS1_22reduce_config_selectorIlEEZNS1_11reduce_implILb1ES3_PlS7_lN6thrust23THRUST_200600_302600_NS4plusIlEEEE10hipError_tPvRmT1_T2_T3_mT4_P12ihipStream_tbEUlT_E0_NS1_11comp_targetILNS1_3genE0ELNS1_11target_archE4294967295ELNS1_3gpuE0ELNS1_3repE0EEENS1_30default_config_static_selectorELNS0_4arch9wavefront6targetE1EEEvSF_
; %bb.0:
	.section	.rodata,"a",@progbits
	.p2align	6, 0x0
	.amdhsa_kernel _ZN7rocprim17ROCPRIM_400000_NS6detail17trampoline_kernelINS0_14default_configENS1_22reduce_config_selectorIlEEZNS1_11reduce_implILb1ES3_PlS7_lN6thrust23THRUST_200600_302600_NS4plusIlEEEE10hipError_tPvRmT1_T2_T3_mT4_P12ihipStream_tbEUlT_E0_NS1_11comp_targetILNS1_3genE0ELNS1_11target_archE4294967295ELNS1_3gpuE0ELNS1_3repE0EEENS1_30default_config_static_selectorELNS0_4arch9wavefront6targetE1EEEvSF_
		.amdhsa_group_segment_fixed_size 0
		.amdhsa_private_segment_fixed_size 0
		.amdhsa_kernarg_size 64
		.amdhsa_user_sgpr_count 6
		.amdhsa_user_sgpr_private_segment_buffer 1
		.amdhsa_user_sgpr_dispatch_ptr 0
		.amdhsa_user_sgpr_queue_ptr 0
		.amdhsa_user_sgpr_kernarg_segment_ptr 1
		.amdhsa_user_sgpr_dispatch_id 0
		.amdhsa_user_sgpr_flat_scratch_init 0
		.amdhsa_user_sgpr_private_segment_size 0
		.amdhsa_uses_dynamic_stack 0
		.amdhsa_system_sgpr_private_segment_wavefront_offset 0
		.amdhsa_system_sgpr_workgroup_id_x 1
		.amdhsa_system_sgpr_workgroup_id_y 0
		.amdhsa_system_sgpr_workgroup_id_z 0
		.amdhsa_system_sgpr_workgroup_info 0
		.amdhsa_system_vgpr_workitem_id 0
		.amdhsa_next_free_vgpr 1
		.amdhsa_next_free_sgpr 0
		.amdhsa_reserve_vcc 0
		.amdhsa_reserve_flat_scratch 0
		.amdhsa_float_round_mode_32 0
		.amdhsa_float_round_mode_16_64 0
		.amdhsa_float_denorm_mode_32 3
		.amdhsa_float_denorm_mode_16_64 3
		.amdhsa_dx10_clamp 1
		.amdhsa_ieee_mode 1
		.amdhsa_fp16_overflow 0
		.amdhsa_exception_fp_ieee_invalid_op 0
		.amdhsa_exception_fp_denorm_src 0
		.amdhsa_exception_fp_ieee_div_zero 0
		.amdhsa_exception_fp_ieee_overflow 0
		.amdhsa_exception_fp_ieee_underflow 0
		.amdhsa_exception_fp_ieee_inexact 0
		.amdhsa_exception_int_div_zero 0
	.end_amdhsa_kernel
	.section	.text._ZN7rocprim17ROCPRIM_400000_NS6detail17trampoline_kernelINS0_14default_configENS1_22reduce_config_selectorIlEEZNS1_11reduce_implILb1ES3_PlS7_lN6thrust23THRUST_200600_302600_NS4plusIlEEEE10hipError_tPvRmT1_T2_T3_mT4_P12ihipStream_tbEUlT_E0_NS1_11comp_targetILNS1_3genE0ELNS1_11target_archE4294967295ELNS1_3gpuE0ELNS1_3repE0EEENS1_30default_config_static_selectorELNS0_4arch9wavefront6targetE1EEEvSF_,"axG",@progbits,_ZN7rocprim17ROCPRIM_400000_NS6detail17trampoline_kernelINS0_14default_configENS1_22reduce_config_selectorIlEEZNS1_11reduce_implILb1ES3_PlS7_lN6thrust23THRUST_200600_302600_NS4plusIlEEEE10hipError_tPvRmT1_T2_T3_mT4_P12ihipStream_tbEUlT_E0_NS1_11comp_targetILNS1_3genE0ELNS1_11target_archE4294967295ELNS1_3gpuE0ELNS1_3repE0EEENS1_30default_config_static_selectorELNS0_4arch9wavefront6targetE1EEEvSF_,comdat
.Lfunc_end725:
	.size	_ZN7rocprim17ROCPRIM_400000_NS6detail17trampoline_kernelINS0_14default_configENS1_22reduce_config_selectorIlEEZNS1_11reduce_implILb1ES3_PlS7_lN6thrust23THRUST_200600_302600_NS4plusIlEEEE10hipError_tPvRmT1_T2_T3_mT4_P12ihipStream_tbEUlT_E0_NS1_11comp_targetILNS1_3genE0ELNS1_11target_archE4294967295ELNS1_3gpuE0ELNS1_3repE0EEENS1_30default_config_static_selectorELNS0_4arch9wavefront6targetE1EEEvSF_, .Lfunc_end725-_ZN7rocprim17ROCPRIM_400000_NS6detail17trampoline_kernelINS0_14default_configENS1_22reduce_config_selectorIlEEZNS1_11reduce_implILb1ES3_PlS7_lN6thrust23THRUST_200600_302600_NS4plusIlEEEE10hipError_tPvRmT1_T2_T3_mT4_P12ihipStream_tbEUlT_E0_NS1_11comp_targetILNS1_3genE0ELNS1_11target_archE4294967295ELNS1_3gpuE0ELNS1_3repE0EEENS1_30default_config_static_selectorELNS0_4arch9wavefront6targetE1EEEvSF_
                                        ; -- End function
	.set _ZN7rocprim17ROCPRIM_400000_NS6detail17trampoline_kernelINS0_14default_configENS1_22reduce_config_selectorIlEEZNS1_11reduce_implILb1ES3_PlS7_lN6thrust23THRUST_200600_302600_NS4plusIlEEEE10hipError_tPvRmT1_T2_T3_mT4_P12ihipStream_tbEUlT_E0_NS1_11comp_targetILNS1_3genE0ELNS1_11target_archE4294967295ELNS1_3gpuE0ELNS1_3repE0EEENS1_30default_config_static_selectorELNS0_4arch9wavefront6targetE1EEEvSF_.num_vgpr, 0
	.set _ZN7rocprim17ROCPRIM_400000_NS6detail17trampoline_kernelINS0_14default_configENS1_22reduce_config_selectorIlEEZNS1_11reduce_implILb1ES3_PlS7_lN6thrust23THRUST_200600_302600_NS4plusIlEEEE10hipError_tPvRmT1_T2_T3_mT4_P12ihipStream_tbEUlT_E0_NS1_11comp_targetILNS1_3genE0ELNS1_11target_archE4294967295ELNS1_3gpuE0ELNS1_3repE0EEENS1_30default_config_static_selectorELNS0_4arch9wavefront6targetE1EEEvSF_.num_agpr, 0
	.set _ZN7rocprim17ROCPRIM_400000_NS6detail17trampoline_kernelINS0_14default_configENS1_22reduce_config_selectorIlEEZNS1_11reduce_implILb1ES3_PlS7_lN6thrust23THRUST_200600_302600_NS4plusIlEEEE10hipError_tPvRmT1_T2_T3_mT4_P12ihipStream_tbEUlT_E0_NS1_11comp_targetILNS1_3genE0ELNS1_11target_archE4294967295ELNS1_3gpuE0ELNS1_3repE0EEENS1_30default_config_static_selectorELNS0_4arch9wavefront6targetE1EEEvSF_.numbered_sgpr, 0
	.set _ZN7rocprim17ROCPRIM_400000_NS6detail17trampoline_kernelINS0_14default_configENS1_22reduce_config_selectorIlEEZNS1_11reduce_implILb1ES3_PlS7_lN6thrust23THRUST_200600_302600_NS4plusIlEEEE10hipError_tPvRmT1_T2_T3_mT4_P12ihipStream_tbEUlT_E0_NS1_11comp_targetILNS1_3genE0ELNS1_11target_archE4294967295ELNS1_3gpuE0ELNS1_3repE0EEENS1_30default_config_static_selectorELNS0_4arch9wavefront6targetE1EEEvSF_.num_named_barrier, 0
	.set _ZN7rocprim17ROCPRIM_400000_NS6detail17trampoline_kernelINS0_14default_configENS1_22reduce_config_selectorIlEEZNS1_11reduce_implILb1ES3_PlS7_lN6thrust23THRUST_200600_302600_NS4plusIlEEEE10hipError_tPvRmT1_T2_T3_mT4_P12ihipStream_tbEUlT_E0_NS1_11comp_targetILNS1_3genE0ELNS1_11target_archE4294967295ELNS1_3gpuE0ELNS1_3repE0EEENS1_30default_config_static_selectorELNS0_4arch9wavefront6targetE1EEEvSF_.private_seg_size, 0
	.set _ZN7rocprim17ROCPRIM_400000_NS6detail17trampoline_kernelINS0_14default_configENS1_22reduce_config_selectorIlEEZNS1_11reduce_implILb1ES3_PlS7_lN6thrust23THRUST_200600_302600_NS4plusIlEEEE10hipError_tPvRmT1_T2_T3_mT4_P12ihipStream_tbEUlT_E0_NS1_11comp_targetILNS1_3genE0ELNS1_11target_archE4294967295ELNS1_3gpuE0ELNS1_3repE0EEENS1_30default_config_static_selectorELNS0_4arch9wavefront6targetE1EEEvSF_.uses_vcc, 0
	.set _ZN7rocprim17ROCPRIM_400000_NS6detail17trampoline_kernelINS0_14default_configENS1_22reduce_config_selectorIlEEZNS1_11reduce_implILb1ES3_PlS7_lN6thrust23THRUST_200600_302600_NS4plusIlEEEE10hipError_tPvRmT1_T2_T3_mT4_P12ihipStream_tbEUlT_E0_NS1_11comp_targetILNS1_3genE0ELNS1_11target_archE4294967295ELNS1_3gpuE0ELNS1_3repE0EEENS1_30default_config_static_selectorELNS0_4arch9wavefront6targetE1EEEvSF_.uses_flat_scratch, 0
	.set _ZN7rocprim17ROCPRIM_400000_NS6detail17trampoline_kernelINS0_14default_configENS1_22reduce_config_selectorIlEEZNS1_11reduce_implILb1ES3_PlS7_lN6thrust23THRUST_200600_302600_NS4plusIlEEEE10hipError_tPvRmT1_T2_T3_mT4_P12ihipStream_tbEUlT_E0_NS1_11comp_targetILNS1_3genE0ELNS1_11target_archE4294967295ELNS1_3gpuE0ELNS1_3repE0EEENS1_30default_config_static_selectorELNS0_4arch9wavefront6targetE1EEEvSF_.has_dyn_sized_stack, 0
	.set _ZN7rocprim17ROCPRIM_400000_NS6detail17trampoline_kernelINS0_14default_configENS1_22reduce_config_selectorIlEEZNS1_11reduce_implILb1ES3_PlS7_lN6thrust23THRUST_200600_302600_NS4plusIlEEEE10hipError_tPvRmT1_T2_T3_mT4_P12ihipStream_tbEUlT_E0_NS1_11comp_targetILNS1_3genE0ELNS1_11target_archE4294967295ELNS1_3gpuE0ELNS1_3repE0EEENS1_30default_config_static_selectorELNS0_4arch9wavefront6targetE1EEEvSF_.has_recursion, 0
	.set _ZN7rocprim17ROCPRIM_400000_NS6detail17trampoline_kernelINS0_14default_configENS1_22reduce_config_selectorIlEEZNS1_11reduce_implILb1ES3_PlS7_lN6thrust23THRUST_200600_302600_NS4plusIlEEEE10hipError_tPvRmT1_T2_T3_mT4_P12ihipStream_tbEUlT_E0_NS1_11comp_targetILNS1_3genE0ELNS1_11target_archE4294967295ELNS1_3gpuE0ELNS1_3repE0EEENS1_30default_config_static_selectorELNS0_4arch9wavefront6targetE1EEEvSF_.has_indirect_call, 0
	.section	.AMDGPU.csdata,"",@progbits
; Kernel info:
; codeLenInByte = 0
; TotalNumSgprs: 4
; NumVgprs: 0
; ScratchSize: 0
; MemoryBound: 0
; FloatMode: 240
; IeeeMode: 1
; LDSByteSize: 0 bytes/workgroup (compile time only)
; SGPRBlocks: 0
; VGPRBlocks: 0
; NumSGPRsForWavesPerEU: 4
; NumVGPRsForWavesPerEU: 1
; Occupancy: 10
; WaveLimiterHint : 0
; COMPUTE_PGM_RSRC2:SCRATCH_EN: 0
; COMPUTE_PGM_RSRC2:USER_SGPR: 6
; COMPUTE_PGM_RSRC2:TRAP_HANDLER: 0
; COMPUTE_PGM_RSRC2:TGID_X_EN: 1
; COMPUTE_PGM_RSRC2:TGID_Y_EN: 0
; COMPUTE_PGM_RSRC2:TGID_Z_EN: 0
; COMPUTE_PGM_RSRC2:TIDIG_COMP_CNT: 0
	.section	.text._ZN7rocprim17ROCPRIM_400000_NS6detail17trampoline_kernelINS0_14default_configENS1_22reduce_config_selectorIlEEZNS1_11reduce_implILb1ES3_PlS7_lN6thrust23THRUST_200600_302600_NS4plusIlEEEE10hipError_tPvRmT1_T2_T3_mT4_P12ihipStream_tbEUlT_E0_NS1_11comp_targetILNS1_3genE5ELNS1_11target_archE942ELNS1_3gpuE9ELNS1_3repE0EEENS1_30default_config_static_selectorELNS0_4arch9wavefront6targetE1EEEvSF_,"axG",@progbits,_ZN7rocprim17ROCPRIM_400000_NS6detail17trampoline_kernelINS0_14default_configENS1_22reduce_config_selectorIlEEZNS1_11reduce_implILb1ES3_PlS7_lN6thrust23THRUST_200600_302600_NS4plusIlEEEE10hipError_tPvRmT1_T2_T3_mT4_P12ihipStream_tbEUlT_E0_NS1_11comp_targetILNS1_3genE5ELNS1_11target_archE942ELNS1_3gpuE9ELNS1_3repE0EEENS1_30default_config_static_selectorELNS0_4arch9wavefront6targetE1EEEvSF_,comdat
	.protected	_ZN7rocprim17ROCPRIM_400000_NS6detail17trampoline_kernelINS0_14default_configENS1_22reduce_config_selectorIlEEZNS1_11reduce_implILb1ES3_PlS7_lN6thrust23THRUST_200600_302600_NS4plusIlEEEE10hipError_tPvRmT1_T2_T3_mT4_P12ihipStream_tbEUlT_E0_NS1_11comp_targetILNS1_3genE5ELNS1_11target_archE942ELNS1_3gpuE9ELNS1_3repE0EEENS1_30default_config_static_selectorELNS0_4arch9wavefront6targetE1EEEvSF_ ; -- Begin function _ZN7rocprim17ROCPRIM_400000_NS6detail17trampoline_kernelINS0_14default_configENS1_22reduce_config_selectorIlEEZNS1_11reduce_implILb1ES3_PlS7_lN6thrust23THRUST_200600_302600_NS4plusIlEEEE10hipError_tPvRmT1_T2_T3_mT4_P12ihipStream_tbEUlT_E0_NS1_11comp_targetILNS1_3genE5ELNS1_11target_archE942ELNS1_3gpuE9ELNS1_3repE0EEENS1_30default_config_static_selectorELNS0_4arch9wavefront6targetE1EEEvSF_
	.globl	_ZN7rocprim17ROCPRIM_400000_NS6detail17trampoline_kernelINS0_14default_configENS1_22reduce_config_selectorIlEEZNS1_11reduce_implILb1ES3_PlS7_lN6thrust23THRUST_200600_302600_NS4plusIlEEEE10hipError_tPvRmT1_T2_T3_mT4_P12ihipStream_tbEUlT_E0_NS1_11comp_targetILNS1_3genE5ELNS1_11target_archE942ELNS1_3gpuE9ELNS1_3repE0EEENS1_30default_config_static_selectorELNS0_4arch9wavefront6targetE1EEEvSF_
	.p2align	8
	.type	_ZN7rocprim17ROCPRIM_400000_NS6detail17trampoline_kernelINS0_14default_configENS1_22reduce_config_selectorIlEEZNS1_11reduce_implILb1ES3_PlS7_lN6thrust23THRUST_200600_302600_NS4plusIlEEEE10hipError_tPvRmT1_T2_T3_mT4_P12ihipStream_tbEUlT_E0_NS1_11comp_targetILNS1_3genE5ELNS1_11target_archE942ELNS1_3gpuE9ELNS1_3repE0EEENS1_30default_config_static_selectorELNS0_4arch9wavefront6targetE1EEEvSF_,@function
_ZN7rocprim17ROCPRIM_400000_NS6detail17trampoline_kernelINS0_14default_configENS1_22reduce_config_selectorIlEEZNS1_11reduce_implILb1ES3_PlS7_lN6thrust23THRUST_200600_302600_NS4plusIlEEEE10hipError_tPvRmT1_T2_T3_mT4_P12ihipStream_tbEUlT_E0_NS1_11comp_targetILNS1_3genE5ELNS1_11target_archE942ELNS1_3gpuE9ELNS1_3repE0EEENS1_30default_config_static_selectorELNS0_4arch9wavefront6targetE1EEEvSF_: ; @_ZN7rocprim17ROCPRIM_400000_NS6detail17trampoline_kernelINS0_14default_configENS1_22reduce_config_selectorIlEEZNS1_11reduce_implILb1ES3_PlS7_lN6thrust23THRUST_200600_302600_NS4plusIlEEEE10hipError_tPvRmT1_T2_T3_mT4_P12ihipStream_tbEUlT_E0_NS1_11comp_targetILNS1_3genE5ELNS1_11target_archE942ELNS1_3gpuE9ELNS1_3repE0EEENS1_30default_config_static_selectorELNS0_4arch9wavefront6targetE1EEEvSF_
; %bb.0:
	.section	.rodata,"a",@progbits
	.p2align	6, 0x0
	.amdhsa_kernel _ZN7rocprim17ROCPRIM_400000_NS6detail17trampoline_kernelINS0_14default_configENS1_22reduce_config_selectorIlEEZNS1_11reduce_implILb1ES3_PlS7_lN6thrust23THRUST_200600_302600_NS4plusIlEEEE10hipError_tPvRmT1_T2_T3_mT4_P12ihipStream_tbEUlT_E0_NS1_11comp_targetILNS1_3genE5ELNS1_11target_archE942ELNS1_3gpuE9ELNS1_3repE0EEENS1_30default_config_static_selectorELNS0_4arch9wavefront6targetE1EEEvSF_
		.amdhsa_group_segment_fixed_size 0
		.amdhsa_private_segment_fixed_size 0
		.amdhsa_kernarg_size 64
		.amdhsa_user_sgpr_count 6
		.amdhsa_user_sgpr_private_segment_buffer 1
		.amdhsa_user_sgpr_dispatch_ptr 0
		.amdhsa_user_sgpr_queue_ptr 0
		.amdhsa_user_sgpr_kernarg_segment_ptr 1
		.amdhsa_user_sgpr_dispatch_id 0
		.amdhsa_user_sgpr_flat_scratch_init 0
		.amdhsa_user_sgpr_private_segment_size 0
		.amdhsa_uses_dynamic_stack 0
		.amdhsa_system_sgpr_private_segment_wavefront_offset 0
		.amdhsa_system_sgpr_workgroup_id_x 1
		.amdhsa_system_sgpr_workgroup_id_y 0
		.amdhsa_system_sgpr_workgroup_id_z 0
		.amdhsa_system_sgpr_workgroup_info 0
		.amdhsa_system_vgpr_workitem_id 0
		.amdhsa_next_free_vgpr 1
		.amdhsa_next_free_sgpr 0
		.amdhsa_reserve_vcc 0
		.amdhsa_reserve_flat_scratch 0
		.amdhsa_float_round_mode_32 0
		.amdhsa_float_round_mode_16_64 0
		.amdhsa_float_denorm_mode_32 3
		.amdhsa_float_denorm_mode_16_64 3
		.amdhsa_dx10_clamp 1
		.amdhsa_ieee_mode 1
		.amdhsa_fp16_overflow 0
		.amdhsa_exception_fp_ieee_invalid_op 0
		.amdhsa_exception_fp_denorm_src 0
		.amdhsa_exception_fp_ieee_div_zero 0
		.amdhsa_exception_fp_ieee_overflow 0
		.amdhsa_exception_fp_ieee_underflow 0
		.amdhsa_exception_fp_ieee_inexact 0
		.amdhsa_exception_int_div_zero 0
	.end_amdhsa_kernel
	.section	.text._ZN7rocprim17ROCPRIM_400000_NS6detail17trampoline_kernelINS0_14default_configENS1_22reduce_config_selectorIlEEZNS1_11reduce_implILb1ES3_PlS7_lN6thrust23THRUST_200600_302600_NS4plusIlEEEE10hipError_tPvRmT1_T2_T3_mT4_P12ihipStream_tbEUlT_E0_NS1_11comp_targetILNS1_3genE5ELNS1_11target_archE942ELNS1_3gpuE9ELNS1_3repE0EEENS1_30default_config_static_selectorELNS0_4arch9wavefront6targetE1EEEvSF_,"axG",@progbits,_ZN7rocprim17ROCPRIM_400000_NS6detail17trampoline_kernelINS0_14default_configENS1_22reduce_config_selectorIlEEZNS1_11reduce_implILb1ES3_PlS7_lN6thrust23THRUST_200600_302600_NS4plusIlEEEE10hipError_tPvRmT1_T2_T3_mT4_P12ihipStream_tbEUlT_E0_NS1_11comp_targetILNS1_3genE5ELNS1_11target_archE942ELNS1_3gpuE9ELNS1_3repE0EEENS1_30default_config_static_selectorELNS0_4arch9wavefront6targetE1EEEvSF_,comdat
.Lfunc_end726:
	.size	_ZN7rocprim17ROCPRIM_400000_NS6detail17trampoline_kernelINS0_14default_configENS1_22reduce_config_selectorIlEEZNS1_11reduce_implILb1ES3_PlS7_lN6thrust23THRUST_200600_302600_NS4plusIlEEEE10hipError_tPvRmT1_T2_T3_mT4_P12ihipStream_tbEUlT_E0_NS1_11comp_targetILNS1_3genE5ELNS1_11target_archE942ELNS1_3gpuE9ELNS1_3repE0EEENS1_30default_config_static_selectorELNS0_4arch9wavefront6targetE1EEEvSF_, .Lfunc_end726-_ZN7rocprim17ROCPRIM_400000_NS6detail17trampoline_kernelINS0_14default_configENS1_22reduce_config_selectorIlEEZNS1_11reduce_implILb1ES3_PlS7_lN6thrust23THRUST_200600_302600_NS4plusIlEEEE10hipError_tPvRmT1_T2_T3_mT4_P12ihipStream_tbEUlT_E0_NS1_11comp_targetILNS1_3genE5ELNS1_11target_archE942ELNS1_3gpuE9ELNS1_3repE0EEENS1_30default_config_static_selectorELNS0_4arch9wavefront6targetE1EEEvSF_
                                        ; -- End function
	.set _ZN7rocprim17ROCPRIM_400000_NS6detail17trampoline_kernelINS0_14default_configENS1_22reduce_config_selectorIlEEZNS1_11reduce_implILb1ES3_PlS7_lN6thrust23THRUST_200600_302600_NS4plusIlEEEE10hipError_tPvRmT1_T2_T3_mT4_P12ihipStream_tbEUlT_E0_NS1_11comp_targetILNS1_3genE5ELNS1_11target_archE942ELNS1_3gpuE9ELNS1_3repE0EEENS1_30default_config_static_selectorELNS0_4arch9wavefront6targetE1EEEvSF_.num_vgpr, 0
	.set _ZN7rocprim17ROCPRIM_400000_NS6detail17trampoline_kernelINS0_14default_configENS1_22reduce_config_selectorIlEEZNS1_11reduce_implILb1ES3_PlS7_lN6thrust23THRUST_200600_302600_NS4plusIlEEEE10hipError_tPvRmT1_T2_T3_mT4_P12ihipStream_tbEUlT_E0_NS1_11comp_targetILNS1_3genE5ELNS1_11target_archE942ELNS1_3gpuE9ELNS1_3repE0EEENS1_30default_config_static_selectorELNS0_4arch9wavefront6targetE1EEEvSF_.num_agpr, 0
	.set _ZN7rocprim17ROCPRIM_400000_NS6detail17trampoline_kernelINS0_14default_configENS1_22reduce_config_selectorIlEEZNS1_11reduce_implILb1ES3_PlS7_lN6thrust23THRUST_200600_302600_NS4plusIlEEEE10hipError_tPvRmT1_T2_T3_mT4_P12ihipStream_tbEUlT_E0_NS1_11comp_targetILNS1_3genE5ELNS1_11target_archE942ELNS1_3gpuE9ELNS1_3repE0EEENS1_30default_config_static_selectorELNS0_4arch9wavefront6targetE1EEEvSF_.numbered_sgpr, 0
	.set _ZN7rocprim17ROCPRIM_400000_NS6detail17trampoline_kernelINS0_14default_configENS1_22reduce_config_selectorIlEEZNS1_11reduce_implILb1ES3_PlS7_lN6thrust23THRUST_200600_302600_NS4plusIlEEEE10hipError_tPvRmT1_T2_T3_mT4_P12ihipStream_tbEUlT_E0_NS1_11comp_targetILNS1_3genE5ELNS1_11target_archE942ELNS1_3gpuE9ELNS1_3repE0EEENS1_30default_config_static_selectorELNS0_4arch9wavefront6targetE1EEEvSF_.num_named_barrier, 0
	.set _ZN7rocprim17ROCPRIM_400000_NS6detail17trampoline_kernelINS0_14default_configENS1_22reduce_config_selectorIlEEZNS1_11reduce_implILb1ES3_PlS7_lN6thrust23THRUST_200600_302600_NS4plusIlEEEE10hipError_tPvRmT1_T2_T3_mT4_P12ihipStream_tbEUlT_E0_NS1_11comp_targetILNS1_3genE5ELNS1_11target_archE942ELNS1_3gpuE9ELNS1_3repE0EEENS1_30default_config_static_selectorELNS0_4arch9wavefront6targetE1EEEvSF_.private_seg_size, 0
	.set _ZN7rocprim17ROCPRIM_400000_NS6detail17trampoline_kernelINS0_14default_configENS1_22reduce_config_selectorIlEEZNS1_11reduce_implILb1ES3_PlS7_lN6thrust23THRUST_200600_302600_NS4plusIlEEEE10hipError_tPvRmT1_T2_T3_mT4_P12ihipStream_tbEUlT_E0_NS1_11comp_targetILNS1_3genE5ELNS1_11target_archE942ELNS1_3gpuE9ELNS1_3repE0EEENS1_30default_config_static_selectorELNS0_4arch9wavefront6targetE1EEEvSF_.uses_vcc, 0
	.set _ZN7rocprim17ROCPRIM_400000_NS6detail17trampoline_kernelINS0_14default_configENS1_22reduce_config_selectorIlEEZNS1_11reduce_implILb1ES3_PlS7_lN6thrust23THRUST_200600_302600_NS4plusIlEEEE10hipError_tPvRmT1_T2_T3_mT4_P12ihipStream_tbEUlT_E0_NS1_11comp_targetILNS1_3genE5ELNS1_11target_archE942ELNS1_3gpuE9ELNS1_3repE0EEENS1_30default_config_static_selectorELNS0_4arch9wavefront6targetE1EEEvSF_.uses_flat_scratch, 0
	.set _ZN7rocprim17ROCPRIM_400000_NS6detail17trampoline_kernelINS0_14default_configENS1_22reduce_config_selectorIlEEZNS1_11reduce_implILb1ES3_PlS7_lN6thrust23THRUST_200600_302600_NS4plusIlEEEE10hipError_tPvRmT1_T2_T3_mT4_P12ihipStream_tbEUlT_E0_NS1_11comp_targetILNS1_3genE5ELNS1_11target_archE942ELNS1_3gpuE9ELNS1_3repE0EEENS1_30default_config_static_selectorELNS0_4arch9wavefront6targetE1EEEvSF_.has_dyn_sized_stack, 0
	.set _ZN7rocprim17ROCPRIM_400000_NS6detail17trampoline_kernelINS0_14default_configENS1_22reduce_config_selectorIlEEZNS1_11reduce_implILb1ES3_PlS7_lN6thrust23THRUST_200600_302600_NS4plusIlEEEE10hipError_tPvRmT1_T2_T3_mT4_P12ihipStream_tbEUlT_E0_NS1_11comp_targetILNS1_3genE5ELNS1_11target_archE942ELNS1_3gpuE9ELNS1_3repE0EEENS1_30default_config_static_selectorELNS0_4arch9wavefront6targetE1EEEvSF_.has_recursion, 0
	.set _ZN7rocprim17ROCPRIM_400000_NS6detail17trampoline_kernelINS0_14default_configENS1_22reduce_config_selectorIlEEZNS1_11reduce_implILb1ES3_PlS7_lN6thrust23THRUST_200600_302600_NS4plusIlEEEE10hipError_tPvRmT1_T2_T3_mT4_P12ihipStream_tbEUlT_E0_NS1_11comp_targetILNS1_3genE5ELNS1_11target_archE942ELNS1_3gpuE9ELNS1_3repE0EEENS1_30default_config_static_selectorELNS0_4arch9wavefront6targetE1EEEvSF_.has_indirect_call, 0
	.section	.AMDGPU.csdata,"",@progbits
; Kernel info:
; codeLenInByte = 0
; TotalNumSgprs: 4
; NumVgprs: 0
; ScratchSize: 0
; MemoryBound: 0
; FloatMode: 240
; IeeeMode: 1
; LDSByteSize: 0 bytes/workgroup (compile time only)
; SGPRBlocks: 0
; VGPRBlocks: 0
; NumSGPRsForWavesPerEU: 4
; NumVGPRsForWavesPerEU: 1
; Occupancy: 10
; WaveLimiterHint : 0
; COMPUTE_PGM_RSRC2:SCRATCH_EN: 0
; COMPUTE_PGM_RSRC2:USER_SGPR: 6
; COMPUTE_PGM_RSRC2:TRAP_HANDLER: 0
; COMPUTE_PGM_RSRC2:TGID_X_EN: 1
; COMPUTE_PGM_RSRC2:TGID_Y_EN: 0
; COMPUTE_PGM_RSRC2:TGID_Z_EN: 0
; COMPUTE_PGM_RSRC2:TIDIG_COMP_CNT: 0
	.section	.text._ZN7rocprim17ROCPRIM_400000_NS6detail17trampoline_kernelINS0_14default_configENS1_22reduce_config_selectorIlEEZNS1_11reduce_implILb1ES3_PlS7_lN6thrust23THRUST_200600_302600_NS4plusIlEEEE10hipError_tPvRmT1_T2_T3_mT4_P12ihipStream_tbEUlT_E0_NS1_11comp_targetILNS1_3genE4ELNS1_11target_archE910ELNS1_3gpuE8ELNS1_3repE0EEENS1_30default_config_static_selectorELNS0_4arch9wavefront6targetE1EEEvSF_,"axG",@progbits,_ZN7rocprim17ROCPRIM_400000_NS6detail17trampoline_kernelINS0_14default_configENS1_22reduce_config_selectorIlEEZNS1_11reduce_implILb1ES3_PlS7_lN6thrust23THRUST_200600_302600_NS4plusIlEEEE10hipError_tPvRmT1_T2_T3_mT4_P12ihipStream_tbEUlT_E0_NS1_11comp_targetILNS1_3genE4ELNS1_11target_archE910ELNS1_3gpuE8ELNS1_3repE0EEENS1_30default_config_static_selectorELNS0_4arch9wavefront6targetE1EEEvSF_,comdat
	.protected	_ZN7rocprim17ROCPRIM_400000_NS6detail17trampoline_kernelINS0_14default_configENS1_22reduce_config_selectorIlEEZNS1_11reduce_implILb1ES3_PlS7_lN6thrust23THRUST_200600_302600_NS4plusIlEEEE10hipError_tPvRmT1_T2_T3_mT4_P12ihipStream_tbEUlT_E0_NS1_11comp_targetILNS1_3genE4ELNS1_11target_archE910ELNS1_3gpuE8ELNS1_3repE0EEENS1_30default_config_static_selectorELNS0_4arch9wavefront6targetE1EEEvSF_ ; -- Begin function _ZN7rocprim17ROCPRIM_400000_NS6detail17trampoline_kernelINS0_14default_configENS1_22reduce_config_selectorIlEEZNS1_11reduce_implILb1ES3_PlS7_lN6thrust23THRUST_200600_302600_NS4plusIlEEEE10hipError_tPvRmT1_T2_T3_mT4_P12ihipStream_tbEUlT_E0_NS1_11comp_targetILNS1_3genE4ELNS1_11target_archE910ELNS1_3gpuE8ELNS1_3repE0EEENS1_30default_config_static_selectorELNS0_4arch9wavefront6targetE1EEEvSF_
	.globl	_ZN7rocprim17ROCPRIM_400000_NS6detail17trampoline_kernelINS0_14default_configENS1_22reduce_config_selectorIlEEZNS1_11reduce_implILb1ES3_PlS7_lN6thrust23THRUST_200600_302600_NS4plusIlEEEE10hipError_tPvRmT1_T2_T3_mT4_P12ihipStream_tbEUlT_E0_NS1_11comp_targetILNS1_3genE4ELNS1_11target_archE910ELNS1_3gpuE8ELNS1_3repE0EEENS1_30default_config_static_selectorELNS0_4arch9wavefront6targetE1EEEvSF_
	.p2align	8
	.type	_ZN7rocprim17ROCPRIM_400000_NS6detail17trampoline_kernelINS0_14default_configENS1_22reduce_config_selectorIlEEZNS1_11reduce_implILb1ES3_PlS7_lN6thrust23THRUST_200600_302600_NS4plusIlEEEE10hipError_tPvRmT1_T2_T3_mT4_P12ihipStream_tbEUlT_E0_NS1_11comp_targetILNS1_3genE4ELNS1_11target_archE910ELNS1_3gpuE8ELNS1_3repE0EEENS1_30default_config_static_selectorELNS0_4arch9wavefront6targetE1EEEvSF_,@function
_ZN7rocprim17ROCPRIM_400000_NS6detail17trampoline_kernelINS0_14default_configENS1_22reduce_config_selectorIlEEZNS1_11reduce_implILb1ES3_PlS7_lN6thrust23THRUST_200600_302600_NS4plusIlEEEE10hipError_tPvRmT1_T2_T3_mT4_P12ihipStream_tbEUlT_E0_NS1_11comp_targetILNS1_3genE4ELNS1_11target_archE910ELNS1_3gpuE8ELNS1_3repE0EEENS1_30default_config_static_selectorELNS0_4arch9wavefront6targetE1EEEvSF_: ; @_ZN7rocprim17ROCPRIM_400000_NS6detail17trampoline_kernelINS0_14default_configENS1_22reduce_config_selectorIlEEZNS1_11reduce_implILb1ES3_PlS7_lN6thrust23THRUST_200600_302600_NS4plusIlEEEE10hipError_tPvRmT1_T2_T3_mT4_P12ihipStream_tbEUlT_E0_NS1_11comp_targetILNS1_3genE4ELNS1_11target_archE910ELNS1_3gpuE8ELNS1_3repE0EEENS1_30default_config_static_selectorELNS0_4arch9wavefront6targetE1EEEvSF_
; %bb.0:
	.section	.rodata,"a",@progbits
	.p2align	6, 0x0
	.amdhsa_kernel _ZN7rocprim17ROCPRIM_400000_NS6detail17trampoline_kernelINS0_14default_configENS1_22reduce_config_selectorIlEEZNS1_11reduce_implILb1ES3_PlS7_lN6thrust23THRUST_200600_302600_NS4plusIlEEEE10hipError_tPvRmT1_T2_T3_mT4_P12ihipStream_tbEUlT_E0_NS1_11comp_targetILNS1_3genE4ELNS1_11target_archE910ELNS1_3gpuE8ELNS1_3repE0EEENS1_30default_config_static_selectorELNS0_4arch9wavefront6targetE1EEEvSF_
		.amdhsa_group_segment_fixed_size 0
		.amdhsa_private_segment_fixed_size 0
		.amdhsa_kernarg_size 64
		.amdhsa_user_sgpr_count 6
		.amdhsa_user_sgpr_private_segment_buffer 1
		.amdhsa_user_sgpr_dispatch_ptr 0
		.amdhsa_user_sgpr_queue_ptr 0
		.amdhsa_user_sgpr_kernarg_segment_ptr 1
		.amdhsa_user_sgpr_dispatch_id 0
		.amdhsa_user_sgpr_flat_scratch_init 0
		.amdhsa_user_sgpr_private_segment_size 0
		.amdhsa_uses_dynamic_stack 0
		.amdhsa_system_sgpr_private_segment_wavefront_offset 0
		.amdhsa_system_sgpr_workgroup_id_x 1
		.amdhsa_system_sgpr_workgroup_id_y 0
		.amdhsa_system_sgpr_workgroup_id_z 0
		.amdhsa_system_sgpr_workgroup_info 0
		.amdhsa_system_vgpr_workitem_id 0
		.amdhsa_next_free_vgpr 1
		.amdhsa_next_free_sgpr 0
		.amdhsa_reserve_vcc 0
		.amdhsa_reserve_flat_scratch 0
		.amdhsa_float_round_mode_32 0
		.amdhsa_float_round_mode_16_64 0
		.amdhsa_float_denorm_mode_32 3
		.amdhsa_float_denorm_mode_16_64 3
		.amdhsa_dx10_clamp 1
		.amdhsa_ieee_mode 1
		.amdhsa_fp16_overflow 0
		.amdhsa_exception_fp_ieee_invalid_op 0
		.amdhsa_exception_fp_denorm_src 0
		.amdhsa_exception_fp_ieee_div_zero 0
		.amdhsa_exception_fp_ieee_overflow 0
		.amdhsa_exception_fp_ieee_underflow 0
		.amdhsa_exception_fp_ieee_inexact 0
		.amdhsa_exception_int_div_zero 0
	.end_amdhsa_kernel
	.section	.text._ZN7rocprim17ROCPRIM_400000_NS6detail17trampoline_kernelINS0_14default_configENS1_22reduce_config_selectorIlEEZNS1_11reduce_implILb1ES3_PlS7_lN6thrust23THRUST_200600_302600_NS4plusIlEEEE10hipError_tPvRmT1_T2_T3_mT4_P12ihipStream_tbEUlT_E0_NS1_11comp_targetILNS1_3genE4ELNS1_11target_archE910ELNS1_3gpuE8ELNS1_3repE0EEENS1_30default_config_static_selectorELNS0_4arch9wavefront6targetE1EEEvSF_,"axG",@progbits,_ZN7rocprim17ROCPRIM_400000_NS6detail17trampoline_kernelINS0_14default_configENS1_22reduce_config_selectorIlEEZNS1_11reduce_implILb1ES3_PlS7_lN6thrust23THRUST_200600_302600_NS4plusIlEEEE10hipError_tPvRmT1_T2_T3_mT4_P12ihipStream_tbEUlT_E0_NS1_11comp_targetILNS1_3genE4ELNS1_11target_archE910ELNS1_3gpuE8ELNS1_3repE0EEENS1_30default_config_static_selectorELNS0_4arch9wavefront6targetE1EEEvSF_,comdat
.Lfunc_end727:
	.size	_ZN7rocprim17ROCPRIM_400000_NS6detail17trampoline_kernelINS0_14default_configENS1_22reduce_config_selectorIlEEZNS1_11reduce_implILb1ES3_PlS7_lN6thrust23THRUST_200600_302600_NS4plusIlEEEE10hipError_tPvRmT1_T2_T3_mT4_P12ihipStream_tbEUlT_E0_NS1_11comp_targetILNS1_3genE4ELNS1_11target_archE910ELNS1_3gpuE8ELNS1_3repE0EEENS1_30default_config_static_selectorELNS0_4arch9wavefront6targetE1EEEvSF_, .Lfunc_end727-_ZN7rocprim17ROCPRIM_400000_NS6detail17trampoline_kernelINS0_14default_configENS1_22reduce_config_selectorIlEEZNS1_11reduce_implILb1ES3_PlS7_lN6thrust23THRUST_200600_302600_NS4plusIlEEEE10hipError_tPvRmT1_T2_T3_mT4_P12ihipStream_tbEUlT_E0_NS1_11comp_targetILNS1_3genE4ELNS1_11target_archE910ELNS1_3gpuE8ELNS1_3repE0EEENS1_30default_config_static_selectorELNS0_4arch9wavefront6targetE1EEEvSF_
                                        ; -- End function
	.set _ZN7rocprim17ROCPRIM_400000_NS6detail17trampoline_kernelINS0_14default_configENS1_22reduce_config_selectorIlEEZNS1_11reduce_implILb1ES3_PlS7_lN6thrust23THRUST_200600_302600_NS4plusIlEEEE10hipError_tPvRmT1_T2_T3_mT4_P12ihipStream_tbEUlT_E0_NS1_11comp_targetILNS1_3genE4ELNS1_11target_archE910ELNS1_3gpuE8ELNS1_3repE0EEENS1_30default_config_static_selectorELNS0_4arch9wavefront6targetE1EEEvSF_.num_vgpr, 0
	.set _ZN7rocprim17ROCPRIM_400000_NS6detail17trampoline_kernelINS0_14default_configENS1_22reduce_config_selectorIlEEZNS1_11reduce_implILb1ES3_PlS7_lN6thrust23THRUST_200600_302600_NS4plusIlEEEE10hipError_tPvRmT1_T2_T3_mT4_P12ihipStream_tbEUlT_E0_NS1_11comp_targetILNS1_3genE4ELNS1_11target_archE910ELNS1_3gpuE8ELNS1_3repE0EEENS1_30default_config_static_selectorELNS0_4arch9wavefront6targetE1EEEvSF_.num_agpr, 0
	.set _ZN7rocprim17ROCPRIM_400000_NS6detail17trampoline_kernelINS0_14default_configENS1_22reduce_config_selectorIlEEZNS1_11reduce_implILb1ES3_PlS7_lN6thrust23THRUST_200600_302600_NS4plusIlEEEE10hipError_tPvRmT1_T2_T3_mT4_P12ihipStream_tbEUlT_E0_NS1_11comp_targetILNS1_3genE4ELNS1_11target_archE910ELNS1_3gpuE8ELNS1_3repE0EEENS1_30default_config_static_selectorELNS0_4arch9wavefront6targetE1EEEvSF_.numbered_sgpr, 0
	.set _ZN7rocprim17ROCPRIM_400000_NS6detail17trampoline_kernelINS0_14default_configENS1_22reduce_config_selectorIlEEZNS1_11reduce_implILb1ES3_PlS7_lN6thrust23THRUST_200600_302600_NS4plusIlEEEE10hipError_tPvRmT1_T2_T3_mT4_P12ihipStream_tbEUlT_E0_NS1_11comp_targetILNS1_3genE4ELNS1_11target_archE910ELNS1_3gpuE8ELNS1_3repE0EEENS1_30default_config_static_selectorELNS0_4arch9wavefront6targetE1EEEvSF_.num_named_barrier, 0
	.set _ZN7rocprim17ROCPRIM_400000_NS6detail17trampoline_kernelINS0_14default_configENS1_22reduce_config_selectorIlEEZNS1_11reduce_implILb1ES3_PlS7_lN6thrust23THRUST_200600_302600_NS4plusIlEEEE10hipError_tPvRmT1_T2_T3_mT4_P12ihipStream_tbEUlT_E0_NS1_11comp_targetILNS1_3genE4ELNS1_11target_archE910ELNS1_3gpuE8ELNS1_3repE0EEENS1_30default_config_static_selectorELNS0_4arch9wavefront6targetE1EEEvSF_.private_seg_size, 0
	.set _ZN7rocprim17ROCPRIM_400000_NS6detail17trampoline_kernelINS0_14default_configENS1_22reduce_config_selectorIlEEZNS1_11reduce_implILb1ES3_PlS7_lN6thrust23THRUST_200600_302600_NS4plusIlEEEE10hipError_tPvRmT1_T2_T3_mT4_P12ihipStream_tbEUlT_E0_NS1_11comp_targetILNS1_3genE4ELNS1_11target_archE910ELNS1_3gpuE8ELNS1_3repE0EEENS1_30default_config_static_selectorELNS0_4arch9wavefront6targetE1EEEvSF_.uses_vcc, 0
	.set _ZN7rocprim17ROCPRIM_400000_NS6detail17trampoline_kernelINS0_14default_configENS1_22reduce_config_selectorIlEEZNS1_11reduce_implILb1ES3_PlS7_lN6thrust23THRUST_200600_302600_NS4plusIlEEEE10hipError_tPvRmT1_T2_T3_mT4_P12ihipStream_tbEUlT_E0_NS1_11comp_targetILNS1_3genE4ELNS1_11target_archE910ELNS1_3gpuE8ELNS1_3repE0EEENS1_30default_config_static_selectorELNS0_4arch9wavefront6targetE1EEEvSF_.uses_flat_scratch, 0
	.set _ZN7rocprim17ROCPRIM_400000_NS6detail17trampoline_kernelINS0_14default_configENS1_22reduce_config_selectorIlEEZNS1_11reduce_implILb1ES3_PlS7_lN6thrust23THRUST_200600_302600_NS4plusIlEEEE10hipError_tPvRmT1_T2_T3_mT4_P12ihipStream_tbEUlT_E0_NS1_11comp_targetILNS1_3genE4ELNS1_11target_archE910ELNS1_3gpuE8ELNS1_3repE0EEENS1_30default_config_static_selectorELNS0_4arch9wavefront6targetE1EEEvSF_.has_dyn_sized_stack, 0
	.set _ZN7rocprim17ROCPRIM_400000_NS6detail17trampoline_kernelINS0_14default_configENS1_22reduce_config_selectorIlEEZNS1_11reduce_implILb1ES3_PlS7_lN6thrust23THRUST_200600_302600_NS4plusIlEEEE10hipError_tPvRmT1_T2_T3_mT4_P12ihipStream_tbEUlT_E0_NS1_11comp_targetILNS1_3genE4ELNS1_11target_archE910ELNS1_3gpuE8ELNS1_3repE0EEENS1_30default_config_static_selectorELNS0_4arch9wavefront6targetE1EEEvSF_.has_recursion, 0
	.set _ZN7rocprim17ROCPRIM_400000_NS6detail17trampoline_kernelINS0_14default_configENS1_22reduce_config_selectorIlEEZNS1_11reduce_implILb1ES3_PlS7_lN6thrust23THRUST_200600_302600_NS4plusIlEEEE10hipError_tPvRmT1_T2_T3_mT4_P12ihipStream_tbEUlT_E0_NS1_11comp_targetILNS1_3genE4ELNS1_11target_archE910ELNS1_3gpuE8ELNS1_3repE0EEENS1_30default_config_static_selectorELNS0_4arch9wavefront6targetE1EEEvSF_.has_indirect_call, 0
	.section	.AMDGPU.csdata,"",@progbits
; Kernel info:
; codeLenInByte = 0
; TotalNumSgprs: 4
; NumVgprs: 0
; ScratchSize: 0
; MemoryBound: 0
; FloatMode: 240
; IeeeMode: 1
; LDSByteSize: 0 bytes/workgroup (compile time only)
; SGPRBlocks: 0
; VGPRBlocks: 0
; NumSGPRsForWavesPerEU: 4
; NumVGPRsForWavesPerEU: 1
; Occupancy: 10
; WaveLimiterHint : 0
; COMPUTE_PGM_RSRC2:SCRATCH_EN: 0
; COMPUTE_PGM_RSRC2:USER_SGPR: 6
; COMPUTE_PGM_RSRC2:TRAP_HANDLER: 0
; COMPUTE_PGM_RSRC2:TGID_X_EN: 1
; COMPUTE_PGM_RSRC2:TGID_Y_EN: 0
; COMPUTE_PGM_RSRC2:TGID_Z_EN: 0
; COMPUTE_PGM_RSRC2:TIDIG_COMP_CNT: 0
	.section	.text._ZN7rocprim17ROCPRIM_400000_NS6detail17trampoline_kernelINS0_14default_configENS1_22reduce_config_selectorIlEEZNS1_11reduce_implILb1ES3_PlS7_lN6thrust23THRUST_200600_302600_NS4plusIlEEEE10hipError_tPvRmT1_T2_T3_mT4_P12ihipStream_tbEUlT_E0_NS1_11comp_targetILNS1_3genE3ELNS1_11target_archE908ELNS1_3gpuE7ELNS1_3repE0EEENS1_30default_config_static_selectorELNS0_4arch9wavefront6targetE1EEEvSF_,"axG",@progbits,_ZN7rocprim17ROCPRIM_400000_NS6detail17trampoline_kernelINS0_14default_configENS1_22reduce_config_selectorIlEEZNS1_11reduce_implILb1ES3_PlS7_lN6thrust23THRUST_200600_302600_NS4plusIlEEEE10hipError_tPvRmT1_T2_T3_mT4_P12ihipStream_tbEUlT_E0_NS1_11comp_targetILNS1_3genE3ELNS1_11target_archE908ELNS1_3gpuE7ELNS1_3repE0EEENS1_30default_config_static_selectorELNS0_4arch9wavefront6targetE1EEEvSF_,comdat
	.protected	_ZN7rocprim17ROCPRIM_400000_NS6detail17trampoline_kernelINS0_14default_configENS1_22reduce_config_selectorIlEEZNS1_11reduce_implILb1ES3_PlS7_lN6thrust23THRUST_200600_302600_NS4plusIlEEEE10hipError_tPvRmT1_T2_T3_mT4_P12ihipStream_tbEUlT_E0_NS1_11comp_targetILNS1_3genE3ELNS1_11target_archE908ELNS1_3gpuE7ELNS1_3repE0EEENS1_30default_config_static_selectorELNS0_4arch9wavefront6targetE1EEEvSF_ ; -- Begin function _ZN7rocprim17ROCPRIM_400000_NS6detail17trampoline_kernelINS0_14default_configENS1_22reduce_config_selectorIlEEZNS1_11reduce_implILb1ES3_PlS7_lN6thrust23THRUST_200600_302600_NS4plusIlEEEE10hipError_tPvRmT1_T2_T3_mT4_P12ihipStream_tbEUlT_E0_NS1_11comp_targetILNS1_3genE3ELNS1_11target_archE908ELNS1_3gpuE7ELNS1_3repE0EEENS1_30default_config_static_selectorELNS0_4arch9wavefront6targetE1EEEvSF_
	.globl	_ZN7rocprim17ROCPRIM_400000_NS6detail17trampoline_kernelINS0_14default_configENS1_22reduce_config_selectorIlEEZNS1_11reduce_implILb1ES3_PlS7_lN6thrust23THRUST_200600_302600_NS4plusIlEEEE10hipError_tPvRmT1_T2_T3_mT4_P12ihipStream_tbEUlT_E0_NS1_11comp_targetILNS1_3genE3ELNS1_11target_archE908ELNS1_3gpuE7ELNS1_3repE0EEENS1_30default_config_static_selectorELNS0_4arch9wavefront6targetE1EEEvSF_
	.p2align	8
	.type	_ZN7rocprim17ROCPRIM_400000_NS6detail17trampoline_kernelINS0_14default_configENS1_22reduce_config_selectorIlEEZNS1_11reduce_implILb1ES3_PlS7_lN6thrust23THRUST_200600_302600_NS4plusIlEEEE10hipError_tPvRmT1_T2_T3_mT4_P12ihipStream_tbEUlT_E0_NS1_11comp_targetILNS1_3genE3ELNS1_11target_archE908ELNS1_3gpuE7ELNS1_3repE0EEENS1_30default_config_static_selectorELNS0_4arch9wavefront6targetE1EEEvSF_,@function
_ZN7rocprim17ROCPRIM_400000_NS6detail17trampoline_kernelINS0_14default_configENS1_22reduce_config_selectorIlEEZNS1_11reduce_implILb1ES3_PlS7_lN6thrust23THRUST_200600_302600_NS4plusIlEEEE10hipError_tPvRmT1_T2_T3_mT4_P12ihipStream_tbEUlT_E0_NS1_11comp_targetILNS1_3genE3ELNS1_11target_archE908ELNS1_3gpuE7ELNS1_3repE0EEENS1_30default_config_static_selectorELNS0_4arch9wavefront6targetE1EEEvSF_: ; @_ZN7rocprim17ROCPRIM_400000_NS6detail17trampoline_kernelINS0_14default_configENS1_22reduce_config_selectorIlEEZNS1_11reduce_implILb1ES3_PlS7_lN6thrust23THRUST_200600_302600_NS4plusIlEEEE10hipError_tPvRmT1_T2_T3_mT4_P12ihipStream_tbEUlT_E0_NS1_11comp_targetILNS1_3genE3ELNS1_11target_archE908ELNS1_3gpuE7ELNS1_3repE0EEENS1_30default_config_static_selectorELNS0_4arch9wavefront6targetE1EEEvSF_
; %bb.0:
	.section	.rodata,"a",@progbits
	.p2align	6, 0x0
	.amdhsa_kernel _ZN7rocprim17ROCPRIM_400000_NS6detail17trampoline_kernelINS0_14default_configENS1_22reduce_config_selectorIlEEZNS1_11reduce_implILb1ES3_PlS7_lN6thrust23THRUST_200600_302600_NS4plusIlEEEE10hipError_tPvRmT1_T2_T3_mT4_P12ihipStream_tbEUlT_E0_NS1_11comp_targetILNS1_3genE3ELNS1_11target_archE908ELNS1_3gpuE7ELNS1_3repE0EEENS1_30default_config_static_selectorELNS0_4arch9wavefront6targetE1EEEvSF_
		.amdhsa_group_segment_fixed_size 0
		.amdhsa_private_segment_fixed_size 0
		.amdhsa_kernarg_size 64
		.amdhsa_user_sgpr_count 6
		.amdhsa_user_sgpr_private_segment_buffer 1
		.amdhsa_user_sgpr_dispatch_ptr 0
		.amdhsa_user_sgpr_queue_ptr 0
		.amdhsa_user_sgpr_kernarg_segment_ptr 1
		.amdhsa_user_sgpr_dispatch_id 0
		.amdhsa_user_sgpr_flat_scratch_init 0
		.amdhsa_user_sgpr_private_segment_size 0
		.amdhsa_uses_dynamic_stack 0
		.amdhsa_system_sgpr_private_segment_wavefront_offset 0
		.amdhsa_system_sgpr_workgroup_id_x 1
		.amdhsa_system_sgpr_workgroup_id_y 0
		.amdhsa_system_sgpr_workgroup_id_z 0
		.amdhsa_system_sgpr_workgroup_info 0
		.amdhsa_system_vgpr_workitem_id 0
		.amdhsa_next_free_vgpr 1
		.amdhsa_next_free_sgpr 0
		.amdhsa_reserve_vcc 0
		.amdhsa_reserve_flat_scratch 0
		.amdhsa_float_round_mode_32 0
		.amdhsa_float_round_mode_16_64 0
		.amdhsa_float_denorm_mode_32 3
		.amdhsa_float_denorm_mode_16_64 3
		.amdhsa_dx10_clamp 1
		.amdhsa_ieee_mode 1
		.amdhsa_fp16_overflow 0
		.amdhsa_exception_fp_ieee_invalid_op 0
		.amdhsa_exception_fp_denorm_src 0
		.amdhsa_exception_fp_ieee_div_zero 0
		.amdhsa_exception_fp_ieee_overflow 0
		.amdhsa_exception_fp_ieee_underflow 0
		.amdhsa_exception_fp_ieee_inexact 0
		.amdhsa_exception_int_div_zero 0
	.end_amdhsa_kernel
	.section	.text._ZN7rocprim17ROCPRIM_400000_NS6detail17trampoline_kernelINS0_14default_configENS1_22reduce_config_selectorIlEEZNS1_11reduce_implILb1ES3_PlS7_lN6thrust23THRUST_200600_302600_NS4plusIlEEEE10hipError_tPvRmT1_T2_T3_mT4_P12ihipStream_tbEUlT_E0_NS1_11comp_targetILNS1_3genE3ELNS1_11target_archE908ELNS1_3gpuE7ELNS1_3repE0EEENS1_30default_config_static_selectorELNS0_4arch9wavefront6targetE1EEEvSF_,"axG",@progbits,_ZN7rocprim17ROCPRIM_400000_NS6detail17trampoline_kernelINS0_14default_configENS1_22reduce_config_selectorIlEEZNS1_11reduce_implILb1ES3_PlS7_lN6thrust23THRUST_200600_302600_NS4plusIlEEEE10hipError_tPvRmT1_T2_T3_mT4_P12ihipStream_tbEUlT_E0_NS1_11comp_targetILNS1_3genE3ELNS1_11target_archE908ELNS1_3gpuE7ELNS1_3repE0EEENS1_30default_config_static_selectorELNS0_4arch9wavefront6targetE1EEEvSF_,comdat
.Lfunc_end728:
	.size	_ZN7rocprim17ROCPRIM_400000_NS6detail17trampoline_kernelINS0_14default_configENS1_22reduce_config_selectorIlEEZNS1_11reduce_implILb1ES3_PlS7_lN6thrust23THRUST_200600_302600_NS4plusIlEEEE10hipError_tPvRmT1_T2_T3_mT4_P12ihipStream_tbEUlT_E0_NS1_11comp_targetILNS1_3genE3ELNS1_11target_archE908ELNS1_3gpuE7ELNS1_3repE0EEENS1_30default_config_static_selectorELNS0_4arch9wavefront6targetE1EEEvSF_, .Lfunc_end728-_ZN7rocprim17ROCPRIM_400000_NS6detail17trampoline_kernelINS0_14default_configENS1_22reduce_config_selectorIlEEZNS1_11reduce_implILb1ES3_PlS7_lN6thrust23THRUST_200600_302600_NS4plusIlEEEE10hipError_tPvRmT1_T2_T3_mT4_P12ihipStream_tbEUlT_E0_NS1_11comp_targetILNS1_3genE3ELNS1_11target_archE908ELNS1_3gpuE7ELNS1_3repE0EEENS1_30default_config_static_selectorELNS0_4arch9wavefront6targetE1EEEvSF_
                                        ; -- End function
	.set _ZN7rocprim17ROCPRIM_400000_NS6detail17trampoline_kernelINS0_14default_configENS1_22reduce_config_selectorIlEEZNS1_11reduce_implILb1ES3_PlS7_lN6thrust23THRUST_200600_302600_NS4plusIlEEEE10hipError_tPvRmT1_T2_T3_mT4_P12ihipStream_tbEUlT_E0_NS1_11comp_targetILNS1_3genE3ELNS1_11target_archE908ELNS1_3gpuE7ELNS1_3repE0EEENS1_30default_config_static_selectorELNS0_4arch9wavefront6targetE1EEEvSF_.num_vgpr, 0
	.set _ZN7rocprim17ROCPRIM_400000_NS6detail17trampoline_kernelINS0_14default_configENS1_22reduce_config_selectorIlEEZNS1_11reduce_implILb1ES3_PlS7_lN6thrust23THRUST_200600_302600_NS4plusIlEEEE10hipError_tPvRmT1_T2_T3_mT4_P12ihipStream_tbEUlT_E0_NS1_11comp_targetILNS1_3genE3ELNS1_11target_archE908ELNS1_3gpuE7ELNS1_3repE0EEENS1_30default_config_static_selectorELNS0_4arch9wavefront6targetE1EEEvSF_.num_agpr, 0
	.set _ZN7rocprim17ROCPRIM_400000_NS6detail17trampoline_kernelINS0_14default_configENS1_22reduce_config_selectorIlEEZNS1_11reduce_implILb1ES3_PlS7_lN6thrust23THRUST_200600_302600_NS4plusIlEEEE10hipError_tPvRmT1_T2_T3_mT4_P12ihipStream_tbEUlT_E0_NS1_11comp_targetILNS1_3genE3ELNS1_11target_archE908ELNS1_3gpuE7ELNS1_3repE0EEENS1_30default_config_static_selectorELNS0_4arch9wavefront6targetE1EEEvSF_.numbered_sgpr, 0
	.set _ZN7rocprim17ROCPRIM_400000_NS6detail17trampoline_kernelINS0_14default_configENS1_22reduce_config_selectorIlEEZNS1_11reduce_implILb1ES3_PlS7_lN6thrust23THRUST_200600_302600_NS4plusIlEEEE10hipError_tPvRmT1_T2_T3_mT4_P12ihipStream_tbEUlT_E0_NS1_11comp_targetILNS1_3genE3ELNS1_11target_archE908ELNS1_3gpuE7ELNS1_3repE0EEENS1_30default_config_static_selectorELNS0_4arch9wavefront6targetE1EEEvSF_.num_named_barrier, 0
	.set _ZN7rocprim17ROCPRIM_400000_NS6detail17trampoline_kernelINS0_14default_configENS1_22reduce_config_selectorIlEEZNS1_11reduce_implILb1ES3_PlS7_lN6thrust23THRUST_200600_302600_NS4plusIlEEEE10hipError_tPvRmT1_T2_T3_mT4_P12ihipStream_tbEUlT_E0_NS1_11comp_targetILNS1_3genE3ELNS1_11target_archE908ELNS1_3gpuE7ELNS1_3repE0EEENS1_30default_config_static_selectorELNS0_4arch9wavefront6targetE1EEEvSF_.private_seg_size, 0
	.set _ZN7rocprim17ROCPRIM_400000_NS6detail17trampoline_kernelINS0_14default_configENS1_22reduce_config_selectorIlEEZNS1_11reduce_implILb1ES3_PlS7_lN6thrust23THRUST_200600_302600_NS4plusIlEEEE10hipError_tPvRmT1_T2_T3_mT4_P12ihipStream_tbEUlT_E0_NS1_11comp_targetILNS1_3genE3ELNS1_11target_archE908ELNS1_3gpuE7ELNS1_3repE0EEENS1_30default_config_static_selectorELNS0_4arch9wavefront6targetE1EEEvSF_.uses_vcc, 0
	.set _ZN7rocprim17ROCPRIM_400000_NS6detail17trampoline_kernelINS0_14default_configENS1_22reduce_config_selectorIlEEZNS1_11reduce_implILb1ES3_PlS7_lN6thrust23THRUST_200600_302600_NS4plusIlEEEE10hipError_tPvRmT1_T2_T3_mT4_P12ihipStream_tbEUlT_E0_NS1_11comp_targetILNS1_3genE3ELNS1_11target_archE908ELNS1_3gpuE7ELNS1_3repE0EEENS1_30default_config_static_selectorELNS0_4arch9wavefront6targetE1EEEvSF_.uses_flat_scratch, 0
	.set _ZN7rocprim17ROCPRIM_400000_NS6detail17trampoline_kernelINS0_14default_configENS1_22reduce_config_selectorIlEEZNS1_11reduce_implILb1ES3_PlS7_lN6thrust23THRUST_200600_302600_NS4plusIlEEEE10hipError_tPvRmT1_T2_T3_mT4_P12ihipStream_tbEUlT_E0_NS1_11comp_targetILNS1_3genE3ELNS1_11target_archE908ELNS1_3gpuE7ELNS1_3repE0EEENS1_30default_config_static_selectorELNS0_4arch9wavefront6targetE1EEEvSF_.has_dyn_sized_stack, 0
	.set _ZN7rocprim17ROCPRIM_400000_NS6detail17trampoline_kernelINS0_14default_configENS1_22reduce_config_selectorIlEEZNS1_11reduce_implILb1ES3_PlS7_lN6thrust23THRUST_200600_302600_NS4plusIlEEEE10hipError_tPvRmT1_T2_T3_mT4_P12ihipStream_tbEUlT_E0_NS1_11comp_targetILNS1_3genE3ELNS1_11target_archE908ELNS1_3gpuE7ELNS1_3repE0EEENS1_30default_config_static_selectorELNS0_4arch9wavefront6targetE1EEEvSF_.has_recursion, 0
	.set _ZN7rocprim17ROCPRIM_400000_NS6detail17trampoline_kernelINS0_14default_configENS1_22reduce_config_selectorIlEEZNS1_11reduce_implILb1ES3_PlS7_lN6thrust23THRUST_200600_302600_NS4plusIlEEEE10hipError_tPvRmT1_T2_T3_mT4_P12ihipStream_tbEUlT_E0_NS1_11comp_targetILNS1_3genE3ELNS1_11target_archE908ELNS1_3gpuE7ELNS1_3repE0EEENS1_30default_config_static_selectorELNS0_4arch9wavefront6targetE1EEEvSF_.has_indirect_call, 0
	.section	.AMDGPU.csdata,"",@progbits
; Kernel info:
; codeLenInByte = 0
; TotalNumSgprs: 4
; NumVgprs: 0
; ScratchSize: 0
; MemoryBound: 0
; FloatMode: 240
; IeeeMode: 1
; LDSByteSize: 0 bytes/workgroup (compile time only)
; SGPRBlocks: 0
; VGPRBlocks: 0
; NumSGPRsForWavesPerEU: 4
; NumVGPRsForWavesPerEU: 1
; Occupancy: 10
; WaveLimiterHint : 0
; COMPUTE_PGM_RSRC2:SCRATCH_EN: 0
; COMPUTE_PGM_RSRC2:USER_SGPR: 6
; COMPUTE_PGM_RSRC2:TRAP_HANDLER: 0
; COMPUTE_PGM_RSRC2:TGID_X_EN: 1
; COMPUTE_PGM_RSRC2:TGID_Y_EN: 0
; COMPUTE_PGM_RSRC2:TGID_Z_EN: 0
; COMPUTE_PGM_RSRC2:TIDIG_COMP_CNT: 0
	.section	.text._ZN7rocprim17ROCPRIM_400000_NS6detail17trampoline_kernelINS0_14default_configENS1_22reduce_config_selectorIlEEZNS1_11reduce_implILb1ES3_PlS7_lN6thrust23THRUST_200600_302600_NS4plusIlEEEE10hipError_tPvRmT1_T2_T3_mT4_P12ihipStream_tbEUlT_E0_NS1_11comp_targetILNS1_3genE2ELNS1_11target_archE906ELNS1_3gpuE6ELNS1_3repE0EEENS1_30default_config_static_selectorELNS0_4arch9wavefront6targetE1EEEvSF_,"axG",@progbits,_ZN7rocprim17ROCPRIM_400000_NS6detail17trampoline_kernelINS0_14default_configENS1_22reduce_config_selectorIlEEZNS1_11reduce_implILb1ES3_PlS7_lN6thrust23THRUST_200600_302600_NS4plusIlEEEE10hipError_tPvRmT1_T2_T3_mT4_P12ihipStream_tbEUlT_E0_NS1_11comp_targetILNS1_3genE2ELNS1_11target_archE906ELNS1_3gpuE6ELNS1_3repE0EEENS1_30default_config_static_selectorELNS0_4arch9wavefront6targetE1EEEvSF_,comdat
	.protected	_ZN7rocprim17ROCPRIM_400000_NS6detail17trampoline_kernelINS0_14default_configENS1_22reduce_config_selectorIlEEZNS1_11reduce_implILb1ES3_PlS7_lN6thrust23THRUST_200600_302600_NS4plusIlEEEE10hipError_tPvRmT1_T2_T3_mT4_P12ihipStream_tbEUlT_E0_NS1_11comp_targetILNS1_3genE2ELNS1_11target_archE906ELNS1_3gpuE6ELNS1_3repE0EEENS1_30default_config_static_selectorELNS0_4arch9wavefront6targetE1EEEvSF_ ; -- Begin function _ZN7rocprim17ROCPRIM_400000_NS6detail17trampoline_kernelINS0_14default_configENS1_22reduce_config_selectorIlEEZNS1_11reduce_implILb1ES3_PlS7_lN6thrust23THRUST_200600_302600_NS4plusIlEEEE10hipError_tPvRmT1_T2_T3_mT4_P12ihipStream_tbEUlT_E0_NS1_11comp_targetILNS1_3genE2ELNS1_11target_archE906ELNS1_3gpuE6ELNS1_3repE0EEENS1_30default_config_static_selectorELNS0_4arch9wavefront6targetE1EEEvSF_
	.globl	_ZN7rocprim17ROCPRIM_400000_NS6detail17trampoline_kernelINS0_14default_configENS1_22reduce_config_selectorIlEEZNS1_11reduce_implILb1ES3_PlS7_lN6thrust23THRUST_200600_302600_NS4plusIlEEEE10hipError_tPvRmT1_T2_T3_mT4_P12ihipStream_tbEUlT_E0_NS1_11comp_targetILNS1_3genE2ELNS1_11target_archE906ELNS1_3gpuE6ELNS1_3repE0EEENS1_30default_config_static_selectorELNS0_4arch9wavefront6targetE1EEEvSF_
	.p2align	8
	.type	_ZN7rocprim17ROCPRIM_400000_NS6detail17trampoline_kernelINS0_14default_configENS1_22reduce_config_selectorIlEEZNS1_11reduce_implILb1ES3_PlS7_lN6thrust23THRUST_200600_302600_NS4plusIlEEEE10hipError_tPvRmT1_T2_T3_mT4_P12ihipStream_tbEUlT_E0_NS1_11comp_targetILNS1_3genE2ELNS1_11target_archE906ELNS1_3gpuE6ELNS1_3repE0EEENS1_30default_config_static_selectorELNS0_4arch9wavefront6targetE1EEEvSF_,@function
_ZN7rocprim17ROCPRIM_400000_NS6detail17trampoline_kernelINS0_14default_configENS1_22reduce_config_selectorIlEEZNS1_11reduce_implILb1ES3_PlS7_lN6thrust23THRUST_200600_302600_NS4plusIlEEEE10hipError_tPvRmT1_T2_T3_mT4_P12ihipStream_tbEUlT_E0_NS1_11comp_targetILNS1_3genE2ELNS1_11target_archE906ELNS1_3gpuE6ELNS1_3repE0EEENS1_30default_config_static_selectorELNS0_4arch9wavefront6targetE1EEEvSF_: ; @_ZN7rocprim17ROCPRIM_400000_NS6detail17trampoline_kernelINS0_14default_configENS1_22reduce_config_selectorIlEEZNS1_11reduce_implILb1ES3_PlS7_lN6thrust23THRUST_200600_302600_NS4plusIlEEEE10hipError_tPvRmT1_T2_T3_mT4_P12ihipStream_tbEUlT_E0_NS1_11comp_targetILNS1_3genE2ELNS1_11target_archE906ELNS1_3gpuE6ELNS1_3repE0EEENS1_30default_config_static_selectorELNS0_4arch9wavefront6targetE1EEEvSF_
; %bb.0:
	s_load_dwordx8 s[8:15], s[4:5], 0x0
	s_load_dwordx4 s[0:3], s[4:5], 0x20
	s_load_dwordx2 s[16:17], s[4:5], 0x30
	v_lshlrev_b32_e32 v6, 3, v0
	v_mbcnt_lo_u32_b32 v5, -1, 0
	s_waitcnt lgkmcnt(0)
	s_lshl_b64 s[4:5], s[10:11], 3
	s_add_u32 s18, s8, s4
	s_addc_u32 s19, s9, s5
	s_lshl_b32 s8, s6, 9
	s_mov_b32 s9, 0
	s_lshr_b64 s[10:11], s[12:13], 9
	s_lshl_b64 s[4:5], s[8:9], 3
	s_add_u32 s4, s18, s4
	s_mov_b32 s7, s9
	s_addc_u32 s5, s19, s5
	s_cmp_lg_u64 s[10:11], s[6:7]
	s_cbranch_scc0 .LBB729_6
; %bb.1:
	global_load_dwordx2 v[1:2], v6, s[4:5]
	global_load_dwordx2 v[7:8], v6, s[4:5] offset:2048
	v_mbcnt_hi_u32_b32 v3, -1, v5
	v_lshlrev_b32_e32 v4, 2, v3
	v_or_b32_e32 v9, 0xfc, v4
	s_waitcnt vmcnt(0)
	v_add_co_u32_e32 v1, vcc, v7, v1
	v_addc_co_u32_e32 v2, vcc, v8, v2, vcc
	s_nop 0
	v_mov_b32_dpp v7, v1 quad_perm:[1,0,3,2] row_mask:0xf bank_mask:0xf bound_ctrl:1
	v_add_co_u32_e32 v1, vcc, v1, v7
	v_mov_b32_dpp v8, v2 quad_perm:[1,0,3,2] row_mask:0xf bank_mask:0xf bound_ctrl:1
	v_addc_co_u32_e32 v2, vcc, 0, v2, vcc
	v_add_co_u32_e32 v7, vcc, 0, v1
	v_addc_co_u32_e32 v2, vcc, v8, v2, vcc
	v_mov_b32_dpp v1, v1 quad_perm:[2,3,0,1] row_mask:0xf bank_mask:0xf bound_ctrl:1
	v_add_co_u32_e32 v1, vcc, v7, v1
	v_mov_b32_dpp v8, v2 quad_perm:[2,3,0,1] row_mask:0xf bank_mask:0xf bound_ctrl:1
	v_addc_co_u32_e32 v2, vcc, 0, v2, vcc
	v_add_co_u32_e32 v7, vcc, 0, v1
	v_addc_co_u32_e32 v2, vcc, v2, v8, vcc
	v_mov_b32_dpp v1, v1 row_ror:4 row_mask:0xf bank_mask:0xf bound_ctrl:1
	v_add_co_u32_e32 v1, vcc, v7, v1
	v_mov_b32_dpp v8, v2 row_ror:4 row_mask:0xf bank_mask:0xf bound_ctrl:1
	v_addc_co_u32_e32 v2, vcc, 0, v2, vcc
	v_add_co_u32_e32 v7, vcc, 0, v1
	v_addc_co_u32_e32 v2, vcc, v2, v8, vcc
	v_mov_b32_dpp v1, v1 row_ror:8 row_mask:0xf bank_mask:0xf bound_ctrl:1
	v_add_co_u32_e32 v1, vcc, v7, v1
	v_mov_b32_dpp v8, v2 row_ror:8 row_mask:0xf bank_mask:0xf bound_ctrl:1
	v_addc_co_u32_e32 v2, vcc, 0, v2, vcc
	v_add_co_u32_e32 v7, vcc, 0, v1
	v_addc_co_u32_e32 v2, vcc, v2, v8, vcc
	v_mov_b32_dpp v1, v1 row_bcast:15 row_mask:0xf bank_mask:0xf bound_ctrl:1
	v_add_co_u32_e32 v1, vcc, v7, v1
	v_mov_b32_dpp v8, v2 row_bcast:15 row_mask:0xf bank_mask:0xf bound_ctrl:1
	v_addc_co_u32_e32 v2, vcc, 0, v2, vcc
	v_add_co_u32_e32 v7, vcc, 0, v1
	v_addc_co_u32_e32 v2, vcc, v2, v8, vcc
	v_mov_b32_dpp v1, v1 row_bcast:31 row_mask:0xf bank_mask:0xf bound_ctrl:1
	v_add_co_u32_e32 v1, vcc, v7, v1
	v_addc_co_u32_e32 v7, vcc, 0, v2, vcc
	ds_bpermute_b32 v1, v9, v1
	s_nop 0
	v_add_u32_dpp v2, v2, v7 row_bcast:31 row_mask:0xf bank_mask:0xf bound_ctrl:1
	ds_bpermute_b32 v2, v9, v2
	v_cmp_eq_u32_e32 vcc, 0, v3
	s_and_saveexec_b64 s[10:11], vcc
	s_cbranch_execz .LBB729_3
; %bb.2:
	v_lshrrev_b32_e32 v7, 3, v0
	v_and_b32_e32 v7, 24, v7
	s_waitcnt lgkmcnt(0)
	ds_write_b64 v7, v[1:2]
.LBB729_3:
	s_or_b64 exec, exec, s[10:11]
	v_cmp_gt_u32_e32 vcc, 64, v0
	s_waitcnt lgkmcnt(0)
	s_barrier
	s_and_saveexec_b64 s[10:11], vcc
	s_cbranch_execz .LBB729_5
; %bb.4:
	v_and_b32_e32 v7, 3, v3
	v_lshlrev_b32_e32 v1, 3, v7
	ds_read_b64 v[1:2], v1
	v_cmp_ne_u32_e32 vcc, 3, v7
	v_addc_co_u32_e32 v3, vcc, 0, v3, vcc
	v_lshlrev_b32_e32 v3, 2, v3
	s_waitcnt lgkmcnt(0)
	ds_bpermute_b32 v7, v3, v1
	ds_bpermute_b32 v3, v3, v2
	v_or_b32_e32 v4, 8, v4
	s_waitcnt lgkmcnt(1)
	v_add_co_u32_e32 v1, vcc, v1, v7
	v_addc_co_u32_e32 v2, vcc, 0, v2, vcc
	ds_bpermute_b32 v7, v4, v1
	v_add_co_u32_e32 v1, vcc, 0, v1
	s_waitcnt lgkmcnt(1)
	v_addc_co_u32_e32 v2, vcc, v3, v2, vcc
	ds_bpermute_b32 v3, v4, v2
	s_waitcnt lgkmcnt(1)
	v_add_co_u32_e32 v1, vcc, v1, v7
	v_addc_co_u32_e32 v2, vcc, 0, v2, vcc
	v_add_co_u32_e32 v1, vcc, 0, v1
	s_waitcnt lgkmcnt(0)
	v_addc_co_u32_e32 v2, vcc, v2, v3, vcc
.LBB729_5:
	s_or_b64 exec, exec, s[10:11]
	s_branch .LBB729_28
.LBB729_6:
                                        ; implicit-def: $vgpr1_vgpr2
	s_cbranch_execz .LBB729_28
; %bb.7:
	s_sub_i32 s10, s12, s8
	v_mov_b32_e32 v1, 0
	v_cmp_gt_u32_e32 vcc, s10, v0
	v_mov_b32_e32 v2, v1
	v_mov_b32_e32 v3, v1
	;; [unrolled: 1-line block ×3, first 2 shown]
	s_and_saveexec_b64 s[8:9], vcc
	s_cbranch_execz .LBB729_9
; %bb.8:
	global_load_dwordx2 v[7:8], v6, s[4:5]
	v_mov_b32_e32 v9, v1
	v_mov_b32_e32 v10, v1
	s_waitcnt vmcnt(0)
	v_mov_b32_e32 v1, v7
	v_mov_b32_e32 v2, v8
	;; [unrolled: 1-line block ×4, first 2 shown]
.LBB729_9:
	s_or_b64 exec, exec, s[8:9]
	v_or_b32_e32 v7, 0x100, v0
	v_cmp_gt_u32_e32 vcc, s10, v7
	s_and_saveexec_b64 s[8:9], vcc
	s_cbranch_execz .LBB729_11
; %bb.10:
	global_load_dwordx2 v[3:4], v6, s[4:5] offset:2048
.LBB729_11:
	s_or_b64 exec, exec, s[8:9]
	s_waitcnt vmcnt(0)
	v_cndmask_b32_e32 v3, 0, v3, vcc
	v_cndmask_b32_e32 v4, 0, v4, vcc
	v_add_co_u32_e32 v1, vcc, v3, v1
	v_mbcnt_hi_u32_b32 v3, -1, v5
	v_addc_co_u32_e32 v2, vcc, v4, v2, vcc
	v_and_b32_e32 v4, 63, v3
	v_cmp_ne_u32_e32 vcc, 63, v4
	v_addc_co_u32_e32 v6, vcc, 0, v3, vcc
	v_lshlrev_b32_e32 v6, 2, v6
	ds_bpermute_b32 v8, v6, v1
	ds_bpermute_b32 v7, v6, v2
	s_min_u32 s8, s10, 0x100
	v_and_b32_e32 v5, 0xc0, v0
	v_sub_u32_e64 v5, s8, v5 clamp
	v_add_u32_e32 v6, 1, v4
	v_cmp_lt_u32_e32 vcc, v6, v5
	v_mov_b32_e32 v6, v1
	s_and_saveexec_b64 s[4:5], vcc
	s_cbranch_execz .LBB729_13
; %bb.12:
	s_waitcnt lgkmcnt(1)
	v_add_co_u32_e32 v6, vcc, v1, v8
	v_addc_co_u32_e32 v2, vcc, 0, v2, vcc
	v_add_co_u32_e32 v1, vcc, 0, v6
	s_waitcnt lgkmcnt(0)
	v_addc_co_u32_e32 v2, vcc, v7, v2, vcc
.LBB729_13:
	s_or_b64 exec, exec, s[4:5]
	v_cmp_gt_u32_e32 vcc, 62, v4
	s_waitcnt lgkmcnt(0)
	v_cndmask_b32_e64 v7, 0, 2, vcc
	v_add_lshl_u32 v7, v7, v3, 2
	ds_bpermute_b32 v8, v7, v6
	ds_bpermute_b32 v7, v7, v2
	v_add_u32_e32 v9, 2, v4
	v_cmp_lt_u32_e32 vcc, v9, v5
	s_and_saveexec_b64 s[4:5], vcc
	s_cbranch_execz .LBB729_15
; %bb.14:
	s_waitcnt lgkmcnt(1)
	v_add_co_u32_e32 v6, vcc, v1, v8
	v_addc_co_u32_e32 v2, vcc, 0, v2, vcc
	v_add_co_u32_e32 v1, vcc, 0, v6
	s_waitcnt lgkmcnt(0)
	v_addc_co_u32_e32 v2, vcc, v7, v2, vcc
.LBB729_15:
	s_or_b64 exec, exec, s[4:5]
	v_cmp_gt_u32_e32 vcc, 60, v4
	s_waitcnt lgkmcnt(0)
	v_cndmask_b32_e64 v7, 0, 4, vcc
	v_add_lshl_u32 v7, v7, v3, 2
	ds_bpermute_b32 v8, v7, v6
	ds_bpermute_b32 v7, v7, v2
	v_add_u32_e32 v9, 4, v4
	v_cmp_lt_u32_e32 vcc, v9, v5
	s_and_saveexec_b64 s[4:5], vcc
	s_cbranch_execz .LBB729_17
; %bb.16:
	s_waitcnt lgkmcnt(1)
	v_add_co_u32_e32 v6, vcc, v1, v8
	v_addc_co_u32_e32 v2, vcc, 0, v2, vcc
	v_add_co_u32_e32 v1, vcc, 0, v6
	s_waitcnt lgkmcnt(0)
	v_addc_co_u32_e32 v2, vcc, v7, v2, vcc
.LBB729_17:
	s_or_b64 exec, exec, s[4:5]
	v_cmp_gt_u32_e32 vcc, 56, v4
	s_waitcnt lgkmcnt(0)
	v_cndmask_b32_e64 v7, 0, 8, vcc
	v_add_lshl_u32 v7, v7, v3, 2
	ds_bpermute_b32 v8, v7, v6
	ds_bpermute_b32 v7, v7, v2
	v_add_u32_e32 v9, 8, v4
	v_cmp_lt_u32_e32 vcc, v9, v5
	s_and_saveexec_b64 s[4:5], vcc
	s_cbranch_execz .LBB729_19
; %bb.18:
	s_waitcnt lgkmcnt(1)
	v_add_co_u32_e32 v6, vcc, v1, v8
	v_addc_co_u32_e32 v2, vcc, 0, v2, vcc
	v_add_co_u32_e32 v1, vcc, 0, v6
	s_waitcnt lgkmcnt(0)
	v_addc_co_u32_e32 v2, vcc, v7, v2, vcc
.LBB729_19:
	s_or_b64 exec, exec, s[4:5]
	v_cmp_gt_u32_e32 vcc, 48, v4
	s_waitcnt lgkmcnt(0)
	v_cndmask_b32_e64 v7, 0, 16, vcc
	v_add_lshl_u32 v7, v7, v3, 2
	ds_bpermute_b32 v8, v7, v6
	ds_bpermute_b32 v7, v7, v2
	v_add_u32_e32 v9, 16, v4
	v_cmp_lt_u32_e32 vcc, v9, v5
	s_and_saveexec_b64 s[4:5], vcc
	s_cbranch_execz .LBB729_21
; %bb.20:
	s_waitcnt lgkmcnt(1)
	v_add_co_u32_e32 v6, vcc, v1, v8
	v_addc_co_u32_e32 v2, vcc, 0, v2, vcc
	v_add_co_u32_e32 v1, vcc, 0, v6
	s_waitcnt lgkmcnt(0)
	v_addc_co_u32_e32 v2, vcc, v7, v2, vcc
.LBB729_21:
	s_or_b64 exec, exec, s[4:5]
	s_waitcnt lgkmcnt(0)
	v_lshlrev_b32_e32 v7, 2, v3
	v_or_b32_e32 v8, 0x80, v7
	ds_bpermute_b32 v6, v8, v6
	ds_bpermute_b32 v8, v8, v2
	v_add_u32_e32 v4, 32, v4
	s_waitcnt lgkmcnt(1)
	v_add_co_u32_e32 v6, vcc, v1, v6
	v_addc_co_u32_e32 v9, vcc, 0, v2, vcc
	v_add_co_u32_e32 v6, vcc, 0, v6
	s_waitcnt lgkmcnt(0)
	v_addc_co_u32_e32 v8, vcc, v9, v8, vcc
	v_cmp_lt_u32_e32 vcc, v4, v5
	v_cndmask_b32_e32 v2, v2, v8, vcc
	v_cndmask_b32_e32 v1, v1, v6, vcc
	v_cmp_eq_u32_e32 vcc, 0, v3
	s_and_saveexec_b64 s[4:5], vcc
; %bb.22:
	v_lshrrev_b32_e32 v4, 3, v0
	v_and_b32_e32 v4, 24, v4
	ds_write_b64 v4, v[1:2] offset:32
; %bb.23:
	s_or_b64 exec, exec, s[4:5]
	v_cmp_gt_u32_e32 vcc, 4, v0
	s_waitcnt lgkmcnt(0)
	s_barrier
	s_and_saveexec_b64 s[4:5], vcc
	s_cbranch_execz .LBB729_27
; %bb.24:
	v_lshlrev_b32_e32 v1, 3, v3
	ds_read_b64 v[1:2], v1 offset:32
	v_and_b32_e32 v4, 3, v3
	v_cmp_ne_u32_e32 vcc, 3, v4
	v_addc_co_u32_e32 v3, vcc, 0, v3, vcc
	v_lshlrev_b32_e32 v3, 2, v3
	s_waitcnt lgkmcnt(0)
	ds_bpermute_b32 v6, v3, v1
	ds_bpermute_b32 v5, v3, v2
	s_add_i32 s8, s8, 63
	s_lshr_b32 s10, s8, 6
	v_add_u32_e32 v3, 1, v4
	v_cmp_gt_u32_e32 vcc, s10, v3
	v_mov_b32_e32 v3, v1
	s_and_saveexec_b64 s[8:9], vcc
	s_cbranch_execz .LBB729_26
; %bb.25:
	s_waitcnt lgkmcnt(1)
	v_add_co_u32_e32 v3, vcc, v1, v6
	v_addc_co_u32_e32 v2, vcc, 0, v2, vcc
	v_add_co_u32_e32 v1, vcc, 0, v3
	s_waitcnt lgkmcnt(0)
	v_addc_co_u32_e32 v2, vcc, v5, v2, vcc
.LBB729_26:
	s_or_b64 exec, exec, s[8:9]
	s_waitcnt lgkmcnt(0)
	v_or_b32_e32 v5, 8, v7
	ds_bpermute_b32 v3, v5, v3
	ds_bpermute_b32 v5, v5, v2
	v_add_u32_e32 v4, 2, v4
	s_waitcnt lgkmcnt(1)
	v_add_co_u32_e32 v3, vcc, v1, v3
	v_addc_co_u32_e32 v6, vcc, 0, v2, vcc
	v_add_co_u32_e32 v3, vcc, 0, v3
	s_waitcnt lgkmcnt(0)
	v_addc_co_u32_e32 v5, vcc, v6, v5, vcc
	v_cmp_gt_u32_e32 vcc, s10, v4
	v_cndmask_b32_e32 v2, v2, v5, vcc
	v_cndmask_b32_e32 v1, v1, v3, vcc
.LBB729_27:
	s_or_b64 exec, exec, s[4:5]
.LBB729_28:
	v_cmp_eq_u32_e32 vcc, 0, v0
	s_and_saveexec_b64 s[4:5], vcc
	s_cbranch_execnz .LBB729_30
; %bb.29:
	s_endpgm
.LBB729_30:
	s_mul_i32 s1, s2, s1
	s_mul_hi_u32 s4, s2, s0
	s_add_i32 s1, s4, s1
	s_mul_i32 s3, s3, s0
	s_add_i32 s1, s1, s3
	s_mul_i32 s0, s2, s0
	s_lshl_b64 s[0:1], s[0:1], 3
	s_add_u32 s2, s14, s0
	s_addc_u32 s3, s15, s1
	s_cmp_eq_u64 s[12:13], 0
	v_mov_b32_e32 v0, s17
	s_cselect_b64 vcc, -1, 0
	s_lshl_b64 s[0:1], s[6:7], 3
	v_cndmask_b32_e32 v2, v2, v0, vcc
	v_mov_b32_e32 v0, s16
	s_add_u32 s0, s2, s0
	v_cndmask_b32_e32 v1, v1, v0, vcc
	s_addc_u32 s1, s3, s1
	v_mov_b32_e32 v0, 0
	global_store_dwordx2 v0, v[1:2], s[0:1]
	s_endpgm
	.section	.rodata,"a",@progbits
	.p2align	6, 0x0
	.amdhsa_kernel _ZN7rocprim17ROCPRIM_400000_NS6detail17trampoline_kernelINS0_14default_configENS1_22reduce_config_selectorIlEEZNS1_11reduce_implILb1ES3_PlS7_lN6thrust23THRUST_200600_302600_NS4plusIlEEEE10hipError_tPvRmT1_T2_T3_mT4_P12ihipStream_tbEUlT_E0_NS1_11comp_targetILNS1_3genE2ELNS1_11target_archE906ELNS1_3gpuE6ELNS1_3repE0EEENS1_30default_config_static_selectorELNS0_4arch9wavefront6targetE1EEEvSF_
		.amdhsa_group_segment_fixed_size 64
		.amdhsa_private_segment_fixed_size 0
		.amdhsa_kernarg_size 64
		.amdhsa_user_sgpr_count 6
		.amdhsa_user_sgpr_private_segment_buffer 1
		.amdhsa_user_sgpr_dispatch_ptr 0
		.amdhsa_user_sgpr_queue_ptr 0
		.amdhsa_user_sgpr_kernarg_segment_ptr 1
		.amdhsa_user_sgpr_dispatch_id 0
		.amdhsa_user_sgpr_flat_scratch_init 0
		.amdhsa_user_sgpr_private_segment_size 0
		.amdhsa_uses_dynamic_stack 0
		.amdhsa_system_sgpr_private_segment_wavefront_offset 0
		.amdhsa_system_sgpr_workgroup_id_x 1
		.amdhsa_system_sgpr_workgroup_id_y 0
		.amdhsa_system_sgpr_workgroup_id_z 0
		.amdhsa_system_sgpr_workgroup_info 0
		.amdhsa_system_vgpr_workitem_id 0
		.amdhsa_next_free_vgpr 11
		.amdhsa_next_free_sgpr 20
		.amdhsa_reserve_vcc 1
		.amdhsa_reserve_flat_scratch 0
		.amdhsa_float_round_mode_32 0
		.amdhsa_float_round_mode_16_64 0
		.amdhsa_float_denorm_mode_32 3
		.amdhsa_float_denorm_mode_16_64 3
		.amdhsa_dx10_clamp 1
		.amdhsa_ieee_mode 1
		.amdhsa_fp16_overflow 0
		.amdhsa_exception_fp_ieee_invalid_op 0
		.amdhsa_exception_fp_denorm_src 0
		.amdhsa_exception_fp_ieee_div_zero 0
		.amdhsa_exception_fp_ieee_overflow 0
		.amdhsa_exception_fp_ieee_underflow 0
		.amdhsa_exception_fp_ieee_inexact 0
		.amdhsa_exception_int_div_zero 0
	.end_amdhsa_kernel
	.section	.text._ZN7rocprim17ROCPRIM_400000_NS6detail17trampoline_kernelINS0_14default_configENS1_22reduce_config_selectorIlEEZNS1_11reduce_implILb1ES3_PlS7_lN6thrust23THRUST_200600_302600_NS4plusIlEEEE10hipError_tPvRmT1_T2_T3_mT4_P12ihipStream_tbEUlT_E0_NS1_11comp_targetILNS1_3genE2ELNS1_11target_archE906ELNS1_3gpuE6ELNS1_3repE0EEENS1_30default_config_static_selectorELNS0_4arch9wavefront6targetE1EEEvSF_,"axG",@progbits,_ZN7rocprim17ROCPRIM_400000_NS6detail17trampoline_kernelINS0_14default_configENS1_22reduce_config_selectorIlEEZNS1_11reduce_implILb1ES3_PlS7_lN6thrust23THRUST_200600_302600_NS4plusIlEEEE10hipError_tPvRmT1_T2_T3_mT4_P12ihipStream_tbEUlT_E0_NS1_11comp_targetILNS1_3genE2ELNS1_11target_archE906ELNS1_3gpuE6ELNS1_3repE0EEENS1_30default_config_static_selectorELNS0_4arch9wavefront6targetE1EEEvSF_,comdat
.Lfunc_end729:
	.size	_ZN7rocprim17ROCPRIM_400000_NS6detail17trampoline_kernelINS0_14default_configENS1_22reduce_config_selectorIlEEZNS1_11reduce_implILb1ES3_PlS7_lN6thrust23THRUST_200600_302600_NS4plusIlEEEE10hipError_tPvRmT1_T2_T3_mT4_P12ihipStream_tbEUlT_E0_NS1_11comp_targetILNS1_3genE2ELNS1_11target_archE906ELNS1_3gpuE6ELNS1_3repE0EEENS1_30default_config_static_selectorELNS0_4arch9wavefront6targetE1EEEvSF_, .Lfunc_end729-_ZN7rocprim17ROCPRIM_400000_NS6detail17trampoline_kernelINS0_14default_configENS1_22reduce_config_selectorIlEEZNS1_11reduce_implILb1ES3_PlS7_lN6thrust23THRUST_200600_302600_NS4plusIlEEEE10hipError_tPvRmT1_T2_T3_mT4_P12ihipStream_tbEUlT_E0_NS1_11comp_targetILNS1_3genE2ELNS1_11target_archE906ELNS1_3gpuE6ELNS1_3repE0EEENS1_30default_config_static_selectorELNS0_4arch9wavefront6targetE1EEEvSF_
                                        ; -- End function
	.set _ZN7rocprim17ROCPRIM_400000_NS6detail17trampoline_kernelINS0_14default_configENS1_22reduce_config_selectorIlEEZNS1_11reduce_implILb1ES3_PlS7_lN6thrust23THRUST_200600_302600_NS4plusIlEEEE10hipError_tPvRmT1_T2_T3_mT4_P12ihipStream_tbEUlT_E0_NS1_11comp_targetILNS1_3genE2ELNS1_11target_archE906ELNS1_3gpuE6ELNS1_3repE0EEENS1_30default_config_static_selectorELNS0_4arch9wavefront6targetE1EEEvSF_.num_vgpr, 11
	.set _ZN7rocprim17ROCPRIM_400000_NS6detail17trampoline_kernelINS0_14default_configENS1_22reduce_config_selectorIlEEZNS1_11reduce_implILb1ES3_PlS7_lN6thrust23THRUST_200600_302600_NS4plusIlEEEE10hipError_tPvRmT1_T2_T3_mT4_P12ihipStream_tbEUlT_E0_NS1_11comp_targetILNS1_3genE2ELNS1_11target_archE906ELNS1_3gpuE6ELNS1_3repE0EEENS1_30default_config_static_selectorELNS0_4arch9wavefront6targetE1EEEvSF_.num_agpr, 0
	.set _ZN7rocprim17ROCPRIM_400000_NS6detail17trampoline_kernelINS0_14default_configENS1_22reduce_config_selectorIlEEZNS1_11reduce_implILb1ES3_PlS7_lN6thrust23THRUST_200600_302600_NS4plusIlEEEE10hipError_tPvRmT1_T2_T3_mT4_P12ihipStream_tbEUlT_E0_NS1_11comp_targetILNS1_3genE2ELNS1_11target_archE906ELNS1_3gpuE6ELNS1_3repE0EEENS1_30default_config_static_selectorELNS0_4arch9wavefront6targetE1EEEvSF_.numbered_sgpr, 20
	.set _ZN7rocprim17ROCPRIM_400000_NS6detail17trampoline_kernelINS0_14default_configENS1_22reduce_config_selectorIlEEZNS1_11reduce_implILb1ES3_PlS7_lN6thrust23THRUST_200600_302600_NS4plusIlEEEE10hipError_tPvRmT1_T2_T3_mT4_P12ihipStream_tbEUlT_E0_NS1_11comp_targetILNS1_3genE2ELNS1_11target_archE906ELNS1_3gpuE6ELNS1_3repE0EEENS1_30default_config_static_selectorELNS0_4arch9wavefront6targetE1EEEvSF_.num_named_barrier, 0
	.set _ZN7rocprim17ROCPRIM_400000_NS6detail17trampoline_kernelINS0_14default_configENS1_22reduce_config_selectorIlEEZNS1_11reduce_implILb1ES3_PlS7_lN6thrust23THRUST_200600_302600_NS4plusIlEEEE10hipError_tPvRmT1_T2_T3_mT4_P12ihipStream_tbEUlT_E0_NS1_11comp_targetILNS1_3genE2ELNS1_11target_archE906ELNS1_3gpuE6ELNS1_3repE0EEENS1_30default_config_static_selectorELNS0_4arch9wavefront6targetE1EEEvSF_.private_seg_size, 0
	.set _ZN7rocprim17ROCPRIM_400000_NS6detail17trampoline_kernelINS0_14default_configENS1_22reduce_config_selectorIlEEZNS1_11reduce_implILb1ES3_PlS7_lN6thrust23THRUST_200600_302600_NS4plusIlEEEE10hipError_tPvRmT1_T2_T3_mT4_P12ihipStream_tbEUlT_E0_NS1_11comp_targetILNS1_3genE2ELNS1_11target_archE906ELNS1_3gpuE6ELNS1_3repE0EEENS1_30default_config_static_selectorELNS0_4arch9wavefront6targetE1EEEvSF_.uses_vcc, 1
	.set _ZN7rocprim17ROCPRIM_400000_NS6detail17trampoline_kernelINS0_14default_configENS1_22reduce_config_selectorIlEEZNS1_11reduce_implILb1ES3_PlS7_lN6thrust23THRUST_200600_302600_NS4plusIlEEEE10hipError_tPvRmT1_T2_T3_mT4_P12ihipStream_tbEUlT_E0_NS1_11comp_targetILNS1_3genE2ELNS1_11target_archE906ELNS1_3gpuE6ELNS1_3repE0EEENS1_30default_config_static_selectorELNS0_4arch9wavefront6targetE1EEEvSF_.uses_flat_scratch, 0
	.set _ZN7rocprim17ROCPRIM_400000_NS6detail17trampoline_kernelINS0_14default_configENS1_22reduce_config_selectorIlEEZNS1_11reduce_implILb1ES3_PlS7_lN6thrust23THRUST_200600_302600_NS4plusIlEEEE10hipError_tPvRmT1_T2_T3_mT4_P12ihipStream_tbEUlT_E0_NS1_11comp_targetILNS1_3genE2ELNS1_11target_archE906ELNS1_3gpuE6ELNS1_3repE0EEENS1_30default_config_static_selectorELNS0_4arch9wavefront6targetE1EEEvSF_.has_dyn_sized_stack, 0
	.set _ZN7rocprim17ROCPRIM_400000_NS6detail17trampoline_kernelINS0_14default_configENS1_22reduce_config_selectorIlEEZNS1_11reduce_implILb1ES3_PlS7_lN6thrust23THRUST_200600_302600_NS4plusIlEEEE10hipError_tPvRmT1_T2_T3_mT4_P12ihipStream_tbEUlT_E0_NS1_11comp_targetILNS1_3genE2ELNS1_11target_archE906ELNS1_3gpuE6ELNS1_3repE0EEENS1_30default_config_static_selectorELNS0_4arch9wavefront6targetE1EEEvSF_.has_recursion, 0
	.set _ZN7rocprim17ROCPRIM_400000_NS6detail17trampoline_kernelINS0_14default_configENS1_22reduce_config_selectorIlEEZNS1_11reduce_implILb1ES3_PlS7_lN6thrust23THRUST_200600_302600_NS4plusIlEEEE10hipError_tPvRmT1_T2_T3_mT4_P12ihipStream_tbEUlT_E0_NS1_11comp_targetILNS1_3genE2ELNS1_11target_archE906ELNS1_3gpuE6ELNS1_3repE0EEENS1_30default_config_static_selectorELNS0_4arch9wavefront6targetE1EEEvSF_.has_indirect_call, 0
	.section	.AMDGPU.csdata,"",@progbits
; Kernel info:
; codeLenInByte = 1496
; TotalNumSgprs: 24
; NumVgprs: 11
; ScratchSize: 0
; MemoryBound: 0
; FloatMode: 240
; IeeeMode: 1
; LDSByteSize: 64 bytes/workgroup (compile time only)
; SGPRBlocks: 2
; VGPRBlocks: 2
; NumSGPRsForWavesPerEU: 24
; NumVGPRsForWavesPerEU: 11
; Occupancy: 10
; WaveLimiterHint : 1
; COMPUTE_PGM_RSRC2:SCRATCH_EN: 0
; COMPUTE_PGM_RSRC2:USER_SGPR: 6
; COMPUTE_PGM_RSRC2:TRAP_HANDLER: 0
; COMPUTE_PGM_RSRC2:TGID_X_EN: 1
; COMPUTE_PGM_RSRC2:TGID_Y_EN: 0
; COMPUTE_PGM_RSRC2:TGID_Z_EN: 0
; COMPUTE_PGM_RSRC2:TIDIG_COMP_CNT: 0
	.section	.text._ZN7rocprim17ROCPRIM_400000_NS6detail17trampoline_kernelINS0_14default_configENS1_22reduce_config_selectorIlEEZNS1_11reduce_implILb1ES3_PlS7_lN6thrust23THRUST_200600_302600_NS4plusIlEEEE10hipError_tPvRmT1_T2_T3_mT4_P12ihipStream_tbEUlT_E0_NS1_11comp_targetILNS1_3genE10ELNS1_11target_archE1201ELNS1_3gpuE5ELNS1_3repE0EEENS1_30default_config_static_selectorELNS0_4arch9wavefront6targetE1EEEvSF_,"axG",@progbits,_ZN7rocprim17ROCPRIM_400000_NS6detail17trampoline_kernelINS0_14default_configENS1_22reduce_config_selectorIlEEZNS1_11reduce_implILb1ES3_PlS7_lN6thrust23THRUST_200600_302600_NS4plusIlEEEE10hipError_tPvRmT1_T2_T3_mT4_P12ihipStream_tbEUlT_E0_NS1_11comp_targetILNS1_3genE10ELNS1_11target_archE1201ELNS1_3gpuE5ELNS1_3repE0EEENS1_30default_config_static_selectorELNS0_4arch9wavefront6targetE1EEEvSF_,comdat
	.protected	_ZN7rocprim17ROCPRIM_400000_NS6detail17trampoline_kernelINS0_14default_configENS1_22reduce_config_selectorIlEEZNS1_11reduce_implILb1ES3_PlS7_lN6thrust23THRUST_200600_302600_NS4plusIlEEEE10hipError_tPvRmT1_T2_T3_mT4_P12ihipStream_tbEUlT_E0_NS1_11comp_targetILNS1_3genE10ELNS1_11target_archE1201ELNS1_3gpuE5ELNS1_3repE0EEENS1_30default_config_static_selectorELNS0_4arch9wavefront6targetE1EEEvSF_ ; -- Begin function _ZN7rocprim17ROCPRIM_400000_NS6detail17trampoline_kernelINS0_14default_configENS1_22reduce_config_selectorIlEEZNS1_11reduce_implILb1ES3_PlS7_lN6thrust23THRUST_200600_302600_NS4plusIlEEEE10hipError_tPvRmT1_T2_T3_mT4_P12ihipStream_tbEUlT_E0_NS1_11comp_targetILNS1_3genE10ELNS1_11target_archE1201ELNS1_3gpuE5ELNS1_3repE0EEENS1_30default_config_static_selectorELNS0_4arch9wavefront6targetE1EEEvSF_
	.globl	_ZN7rocprim17ROCPRIM_400000_NS6detail17trampoline_kernelINS0_14default_configENS1_22reduce_config_selectorIlEEZNS1_11reduce_implILb1ES3_PlS7_lN6thrust23THRUST_200600_302600_NS4plusIlEEEE10hipError_tPvRmT1_T2_T3_mT4_P12ihipStream_tbEUlT_E0_NS1_11comp_targetILNS1_3genE10ELNS1_11target_archE1201ELNS1_3gpuE5ELNS1_3repE0EEENS1_30default_config_static_selectorELNS0_4arch9wavefront6targetE1EEEvSF_
	.p2align	8
	.type	_ZN7rocprim17ROCPRIM_400000_NS6detail17trampoline_kernelINS0_14default_configENS1_22reduce_config_selectorIlEEZNS1_11reduce_implILb1ES3_PlS7_lN6thrust23THRUST_200600_302600_NS4plusIlEEEE10hipError_tPvRmT1_T2_T3_mT4_P12ihipStream_tbEUlT_E0_NS1_11comp_targetILNS1_3genE10ELNS1_11target_archE1201ELNS1_3gpuE5ELNS1_3repE0EEENS1_30default_config_static_selectorELNS0_4arch9wavefront6targetE1EEEvSF_,@function
_ZN7rocprim17ROCPRIM_400000_NS6detail17trampoline_kernelINS0_14default_configENS1_22reduce_config_selectorIlEEZNS1_11reduce_implILb1ES3_PlS7_lN6thrust23THRUST_200600_302600_NS4plusIlEEEE10hipError_tPvRmT1_T2_T3_mT4_P12ihipStream_tbEUlT_E0_NS1_11comp_targetILNS1_3genE10ELNS1_11target_archE1201ELNS1_3gpuE5ELNS1_3repE0EEENS1_30default_config_static_selectorELNS0_4arch9wavefront6targetE1EEEvSF_: ; @_ZN7rocprim17ROCPRIM_400000_NS6detail17trampoline_kernelINS0_14default_configENS1_22reduce_config_selectorIlEEZNS1_11reduce_implILb1ES3_PlS7_lN6thrust23THRUST_200600_302600_NS4plusIlEEEE10hipError_tPvRmT1_T2_T3_mT4_P12ihipStream_tbEUlT_E0_NS1_11comp_targetILNS1_3genE10ELNS1_11target_archE1201ELNS1_3gpuE5ELNS1_3repE0EEENS1_30default_config_static_selectorELNS0_4arch9wavefront6targetE1EEEvSF_
; %bb.0:
	.section	.rodata,"a",@progbits
	.p2align	6, 0x0
	.amdhsa_kernel _ZN7rocprim17ROCPRIM_400000_NS6detail17trampoline_kernelINS0_14default_configENS1_22reduce_config_selectorIlEEZNS1_11reduce_implILb1ES3_PlS7_lN6thrust23THRUST_200600_302600_NS4plusIlEEEE10hipError_tPvRmT1_T2_T3_mT4_P12ihipStream_tbEUlT_E0_NS1_11comp_targetILNS1_3genE10ELNS1_11target_archE1201ELNS1_3gpuE5ELNS1_3repE0EEENS1_30default_config_static_selectorELNS0_4arch9wavefront6targetE1EEEvSF_
		.amdhsa_group_segment_fixed_size 0
		.amdhsa_private_segment_fixed_size 0
		.amdhsa_kernarg_size 64
		.amdhsa_user_sgpr_count 6
		.amdhsa_user_sgpr_private_segment_buffer 1
		.amdhsa_user_sgpr_dispatch_ptr 0
		.amdhsa_user_sgpr_queue_ptr 0
		.amdhsa_user_sgpr_kernarg_segment_ptr 1
		.amdhsa_user_sgpr_dispatch_id 0
		.amdhsa_user_sgpr_flat_scratch_init 0
		.amdhsa_user_sgpr_private_segment_size 0
		.amdhsa_uses_dynamic_stack 0
		.amdhsa_system_sgpr_private_segment_wavefront_offset 0
		.amdhsa_system_sgpr_workgroup_id_x 1
		.amdhsa_system_sgpr_workgroup_id_y 0
		.amdhsa_system_sgpr_workgroup_id_z 0
		.amdhsa_system_sgpr_workgroup_info 0
		.amdhsa_system_vgpr_workitem_id 0
		.amdhsa_next_free_vgpr 1
		.amdhsa_next_free_sgpr 0
		.amdhsa_reserve_vcc 0
		.amdhsa_reserve_flat_scratch 0
		.amdhsa_float_round_mode_32 0
		.amdhsa_float_round_mode_16_64 0
		.amdhsa_float_denorm_mode_32 3
		.amdhsa_float_denorm_mode_16_64 3
		.amdhsa_dx10_clamp 1
		.amdhsa_ieee_mode 1
		.amdhsa_fp16_overflow 0
		.amdhsa_exception_fp_ieee_invalid_op 0
		.amdhsa_exception_fp_denorm_src 0
		.amdhsa_exception_fp_ieee_div_zero 0
		.amdhsa_exception_fp_ieee_overflow 0
		.amdhsa_exception_fp_ieee_underflow 0
		.amdhsa_exception_fp_ieee_inexact 0
		.amdhsa_exception_int_div_zero 0
	.end_amdhsa_kernel
	.section	.text._ZN7rocprim17ROCPRIM_400000_NS6detail17trampoline_kernelINS0_14default_configENS1_22reduce_config_selectorIlEEZNS1_11reduce_implILb1ES3_PlS7_lN6thrust23THRUST_200600_302600_NS4plusIlEEEE10hipError_tPvRmT1_T2_T3_mT4_P12ihipStream_tbEUlT_E0_NS1_11comp_targetILNS1_3genE10ELNS1_11target_archE1201ELNS1_3gpuE5ELNS1_3repE0EEENS1_30default_config_static_selectorELNS0_4arch9wavefront6targetE1EEEvSF_,"axG",@progbits,_ZN7rocprim17ROCPRIM_400000_NS6detail17trampoline_kernelINS0_14default_configENS1_22reduce_config_selectorIlEEZNS1_11reduce_implILb1ES3_PlS7_lN6thrust23THRUST_200600_302600_NS4plusIlEEEE10hipError_tPvRmT1_T2_T3_mT4_P12ihipStream_tbEUlT_E0_NS1_11comp_targetILNS1_3genE10ELNS1_11target_archE1201ELNS1_3gpuE5ELNS1_3repE0EEENS1_30default_config_static_selectorELNS0_4arch9wavefront6targetE1EEEvSF_,comdat
.Lfunc_end730:
	.size	_ZN7rocprim17ROCPRIM_400000_NS6detail17trampoline_kernelINS0_14default_configENS1_22reduce_config_selectorIlEEZNS1_11reduce_implILb1ES3_PlS7_lN6thrust23THRUST_200600_302600_NS4plusIlEEEE10hipError_tPvRmT1_T2_T3_mT4_P12ihipStream_tbEUlT_E0_NS1_11comp_targetILNS1_3genE10ELNS1_11target_archE1201ELNS1_3gpuE5ELNS1_3repE0EEENS1_30default_config_static_selectorELNS0_4arch9wavefront6targetE1EEEvSF_, .Lfunc_end730-_ZN7rocprim17ROCPRIM_400000_NS6detail17trampoline_kernelINS0_14default_configENS1_22reduce_config_selectorIlEEZNS1_11reduce_implILb1ES3_PlS7_lN6thrust23THRUST_200600_302600_NS4plusIlEEEE10hipError_tPvRmT1_T2_T3_mT4_P12ihipStream_tbEUlT_E0_NS1_11comp_targetILNS1_3genE10ELNS1_11target_archE1201ELNS1_3gpuE5ELNS1_3repE0EEENS1_30default_config_static_selectorELNS0_4arch9wavefront6targetE1EEEvSF_
                                        ; -- End function
	.set _ZN7rocprim17ROCPRIM_400000_NS6detail17trampoline_kernelINS0_14default_configENS1_22reduce_config_selectorIlEEZNS1_11reduce_implILb1ES3_PlS7_lN6thrust23THRUST_200600_302600_NS4plusIlEEEE10hipError_tPvRmT1_T2_T3_mT4_P12ihipStream_tbEUlT_E0_NS1_11comp_targetILNS1_3genE10ELNS1_11target_archE1201ELNS1_3gpuE5ELNS1_3repE0EEENS1_30default_config_static_selectorELNS0_4arch9wavefront6targetE1EEEvSF_.num_vgpr, 0
	.set _ZN7rocprim17ROCPRIM_400000_NS6detail17trampoline_kernelINS0_14default_configENS1_22reduce_config_selectorIlEEZNS1_11reduce_implILb1ES3_PlS7_lN6thrust23THRUST_200600_302600_NS4plusIlEEEE10hipError_tPvRmT1_T2_T3_mT4_P12ihipStream_tbEUlT_E0_NS1_11comp_targetILNS1_3genE10ELNS1_11target_archE1201ELNS1_3gpuE5ELNS1_3repE0EEENS1_30default_config_static_selectorELNS0_4arch9wavefront6targetE1EEEvSF_.num_agpr, 0
	.set _ZN7rocprim17ROCPRIM_400000_NS6detail17trampoline_kernelINS0_14default_configENS1_22reduce_config_selectorIlEEZNS1_11reduce_implILb1ES3_PlS7_lN6thrust23THRUST_200600_302600_NS4plusIlEEEE10hipError_tPvRmT1_T2_T3_mT4_P12ihipStream_tbEUlT_E0_NS1_11comp_targetILNS1_3genE10ELNS1_11target_archE1201ELNS1_3gpuE5ELNS1_3repE0EEENS1_30default_config_static_selectorELNS0_4arch9wavefront6targetE1EEEvSF_.numbered_sgpr, 0
	.set _ZN7rocprim17ROCPRIM_400000_NS6detail17trampoline_kernelINS0_14default_configENS1_22reduce_config_selectorIlEEZNS1_11reduce_implILb1ES3_PlS7_lN6thrust23THRUST_200600_302600_NS4plusIlEEEE10hipError_tPvRmT1_T2_T3_mT4_P12ihipStream_tbEUlT_E0_NS1_11comp_targetILNS1_3genE10ELNS1_11target_archE1201ELNS1_3gpuE5ELNS1_3repE0EEENS1_30default_config_static_selectorELNS0_4arch9wavefront6targetE1EEEvSF_.num_named_barrier, 0
	.set _ZN7rocprim17ROCPRIM_400000_NS6detail17trampoline_kernelINS0_14default_configENS1_22reduce_config_selectorIlEEZNS1_11reduce_implILb1ES3_PlS7_lN6thrust23THRUST_200600_302600_NS4plusIlEEEE10hipError_tPvRmT1_T2_T3_mT4_P12ihipStream_tbEUlT_E0_NS1_11comp_targetILNS1_3genE10ELNS1_11target_archE1201ELNS1_3gpuE5ELNS1_3repE0EEENS1_30default_config_static_selectorELNS0_4arch9wavefront6targetE1EEEvSF_.private_seg_size, 0
	.set _ZN7rocprim17ROCPRIM_400000_NS6detail17trampoline_kernelINS0_14default_configENS1_22reduce_config_selectorIlEEZNS1_11reduce_implILb1ES3_PlS7_lN6thrust23THRUST_200600_302600_NS4plusIlEEEE10hipError_tPvRmT1_T2_T3_mT4_P12ihipStream_tbEUlT_E0_NS1_11comp_targetILNS1_3genE10ELNS1_11target_archE1201ELNS1_3gpuE5ELNS1_3repE0EEENS1_30default_config_static_selectorELNS0_4arch9wavefront6targetE1EEEvSF_.uses_vcc, 0
	.set _ZN7rocprim17ROCPRIM_400000_NS6detail17trampoline_kernelINS0_14default_configENS1_22reduce_config_selectorIlEEZNS1_11reduce_implILb1ES3_PlS7_lN6thrust23THRUST_200600_302600_NS4plusIlEEEE10hipError_tPvRmT1_T2_T3_mT4_P12ihipStream_tbEUlT_E0_NS1_11comp_targetILNS1_3genE10ELNS1_11target_archE1201ELNS1_3gpuE5ELNS1_3repE0EEENS1_30default_config_static_selectorELNS0_4arch9wavefront6targetE1EEEvSF_.uses_flat_scratch, 0
	.set _ZN7rocprim17ROCPRIM_400000_NS6detail17trampoline_kernelINS0_14default_configENS1_22reduce_config_selectorIlEEZNS1_11reduce_implILb1ES3_PlS7_lN6thrust23THRUST_200600_302600_NS4plusIlEEEE10hipError_tPvRmT1_T2_T3_mT4_P12ihipStream_tbEUlT_E0_NS1_11comp_targetILNS1_3genE10ELNS1_11target_archE1201ELNS1_3gpuE5ELNS1_3repE0EEENS1_30default_config_static_selectorELNS0_4arch9wavefront6targetE1EEEvSF_.has_dyn_sized_stack, 0
	.set _ZN7rocprim17ROCPRIM_400000_NS6detail17trampoline_kernelINS0_14default_configENS1_22reduce_config_selectorIlEEZNS1_11reduce_implILb1ES3_PlS7_lN6thrust23THRUST_200600_302600_NS4plusIlEEEE10hipError_tPvRmT1_T2_T3_mT4_P12ihipStream_tbEUlT_E0_NS1_11comp_targetILNS1_3genE10ELNS1_11target_archE1201ELNS1_3gpuE5ELNS1_3repE0EEENS1_30default_config_static_selectorELNS0_4arch9wavefront6targetE1EEEvSF_.has_recursion, 0
	.set _ZN7rocprim17ROCPRIM_400000_NS6detail17trampoline_kernelINS0_14default_configENS1_22reduce_config_selectorIlEEZNS1_11reduce_implILb1ES3_PlS7_lN6thrust23THRUST_200600_302600_NS4plusIlEEEE10hipError_tPvRmT1_T2_T3_mT4_P12ihipStream_tbEUlT_E0_NS1_11comp_targetILNS1_3genE10ELNS1_11target_archE1201ELNS1_3gpuE5ELNS1_3repE0EEENS1_30default_config_static_selectorELNS0_4arch9wavefront6targetE1EEEvSF_.has_indirect_call, 0
	.section	.AMDGPU.csdata,"",@progbits
; Kernel info:
; codeLenInByte = 0
; TotalNumSgprs: 4
; NumVgprs: 0
; ScratchSize: 0
; MemoryBound: 0
; FloatMode: 240
; IeeeMode: 1
; LDSByteSize: 0 bytes/workgroup (compile time only)
; SGPRBlocks: 0
; VGPRBlocks: 0
; NumSGPRsForWavesPerEU: 4
; NumVGPRsForWavesPerEU: 1
; Occupancy: 10
; WaveLimiterHint : 0
; COMPUTE_PGM_RSRC2:SCRATCH_EN: 0
; COMPUTE_PGM_RSRC2:USER_SGPR: 6
; COMPUTE_PGM_RSRC2:TRAP_HANDLER: 0
; COMPUTE_PGM_RSRC2:TGID_X_EN: 1
; COMPUTE_PGM_RSRC2:TGID_Y_EN: 0
; COMPUTE_PGM_RSRC2:TGID_Z_EN: 0
; COMPUTE_PGM_RSRC2:TIDIG_COMP_CNT: 0
	.section	.text._ZN7rocprim17ROCPRIM_400000_NS6detail17trampoline_kernelINS0_14default_configENS1_22reduce_config_selectorIlEEZNS1_11reduce_implILb1ES3_PlS7_lN6thrust23THRUST_200600_302600_NS4plusIlEEEE10hipError_tPvRmT1_T2_T3_mT4_P12ihipStream_tbEUlT_E0_NS1_11comp_targetILNS1_3genE10ELNS1_11target_archE1200ELNS1_3gpuE4ELNS1_3repE0EEENS1_30default_config_static_selectorELNS0_4arch9wavefront6targetE1EEEvSF_,"axG",@progbits,_ZN7rocprim17ROCPRIM_400000_NS6detail17trampoline_kernelINS0_14default_configENS1_22reduce_config_selectorIlEEZNS1_11reduce_implILb1ES3_PlS7_lN6thrust23THRUST_200600_302600_NS4plusIlEEEE10hipError_tPvRmT1_T2_T3_mT4_P12ihipStream_tbEUlT_E0_NS1_11comp_targetILNS1_3genE10ELNS1_11target_archE1200ELNS1_3gpuE4ELNS1_3repE0EEENS1_30default_config_static_selectorELNS0_4arch9wavefront6targetE1EEEvSF_,comdat
	.protected	_ZN7rocprim17ROCPRIM_400000_NS6detail17trampoline_kernelINS0_14default_configENS1_22reduce_config_selectorIlEEZNS1_11reduce_implILb1ES3_PlS7_lN6thrust23THRUST_200600_302600_NS4plusIlEEEE10hipError_tPvRmT1_T2_T3_mT4_P12ihipStream_tbEUlT_E0_NS1_11comp_targetILNS1_3genE10ELNS1_11target_archE1200ELNS1_3gpuE4ELNS1_3repE0EEENS1_30default_config_static_selectorELNS0_4arch9wavefront6targetE1EEEvSF_ ; -- Begin function _ZN7rocprim17ROCPRIM_400000_NS6detail17trampoline_kernelINS0_14default_configENS1_22reduce_config_selectorIlEEZNS1_11reduce_implILb1ES3_PlS7_lN6thrust23THRUST_200600_302600_NS4plusIlEEEE10hipError_tPvRmT1_T2_T3_mT4_P12ihipStream_tbEUlT_E0_NS1_11comp_targetILNS1_3genE10ELNS1_11target_archE1200ELNS1_3gpuE4ELNS1_3repE0EEENS1_30default_config_static_selectorELNS0_4arch9wavefront6targetE1EEEvSF_
	.globl	_ZN7rocprim17ROCPRIM_400000_NS6detail17trampoline_kernelINS0_14default_configENS1_22reduce_config_selectorIlEEZNS1_11reduce_implILb1ES3_PlS7_lN6thrust23THRUST_200600_302600_NS4plusIlEEEE10hipError_tPvRmT1_T2_T3_mT4_P12ihipStream_tbEUlT_E0_NS1_11comp_targetILNS1_3genE10ELNS1_11target_archE1200ELNS1_3gpuE4ELNS1_3repE0EEENS1_30default_config_static_selectorELNS0_4arch9wavefront6targetE1EEEvSF_
	.p2align	8
	.type	_ZN7rocprim17ROCPRIM_400000_NS6detail17trampoline_kernelINS0_14default_configENS1_22reduce_config_selectorIlEEZNS1_11reduce_implILb1ES3_PlS7_lN6thrust23THRUST_200600_302600_NS4plusIlEEEE10hipError_tPvRmT1_T2_T3_mT4_P12ihipStream_tbEUlT_E0_NS1_11comp_targetILNS1_3genE10ELNS1_11target_archE1200ELNS1_3gpuE4ELNS1_3repE0EEENS1_30default_config_static_selectorELNS0_4arch9wavefront6targetE1EEEvSF_,@function
_ZN7rocprim17ROCPRIM_400000_NS6detail17trampoline_kernelINS0_14default_configENS1_22reduce_config_selectorIlEEZNS1_11reduce_implILb1ES3_PlS7_lN6thrust23THRUST_200600_302600_NS4plusIlEEEE10hipError_tPvRmT1_T2_T3_mT4_P12ihipStream_tbEUlT_E0_NS1_11comp_targetILNS1_3genE10ELNS1_11target_archE1200ELNS1_3gpuE4ELNS1_3repE0EEENS1_30default_config_static_selectorELNS0_4arch9wavefront6targetE1EEEvSF_: ; @_ZN7rocprim17ROCPRIM_400000_NS6detail17trampoline_kernelINS0_14default_configENS1_22reduce_config_selectorIlEEZNS1_11reduce_implILb1ES3_PlS7_lN6thrust23THRUST_200600_302600_NS4plusIlEEEE10hipError_tPvRmT1_T2_T3_mT4_P12ihipStream_tbEUlT_E0_NS1_11comp_targetILNS1_3genE10ELNS1_11target_archE1200ELNS1_3gpuE4ELNS1_3repE0EEENS1_30default_config_static_selectorELNS0_4arch9wavefront6targetE1EEEvSF_
; %bb.0:
	.section	.rodata,"a",@progbits
	.p2align	6, 0x0
	.amdhsa_kernel _ZN7rocprim17ROCPRIM_400000_NS6detail17trampoline_kernelINS0_14default_configENS1_22reduce_config_selectorIlEEZNS1_11reduce_implILb1ES3_PlS7_lN6thrust23THRUST_200600_302600_NS4plusIlEEEE10hipError_tPvRmT1_T2_T3_mT4_P12ihipStream_tbEUlT_E0_NS1_11comp_targetILNS1_3genE10ELNS1_11target_archE1200ELNS1_3gpuE4ELNS1_3repE0EEENS1_30default_config_static_selectorELNS0_4arch9wavefront6targetE1EEEvSF_
		.amdhsa_group_segment_fixed_size 0
		.amdhsa_private_segment_fixed_size 0
		.amdhsa_kernarg_size 64
		.amdhsa_user_sgpr_count 6
		.amdhsa_user_sgpr_private_segment_buffer 1
		.amdhsa_user_sgpr_dispatch_ptr 0
		.amdhsa_user_sgpr_queue_ptr 0
		.amdhsa_user_sgpr_kernarg_segment_ptr 1
		.amdhsa_user_sgpr_dispatch_id 0
		.amdhsa_user_sgpr_flat_scratch_init 0
		.amdhsa_user_sgpr_private_segment_size 0
		.amdhsa_uses_dynamic_stack 0
		.amdhsa_system_sgpr_private_segment_wavefront_offset 0
		.amdhsa_system_sgpr_workgroup_id_x 1
		.amdhsa_system_sgpr_workgroup_id_y 0
		.amdhsa_system_sgpr_workgroup_id_z 0
		.amdhsa_system_sgpr_workgroup_info 0
		.amdhsa_system_vgpr_workitem_id 0
		.amdhsa_next_free_vgpr 1
		.amdhsa_next_free_sgpr 0
		.amdhsa_reserve_vcc 0
		.amdhsa_reserve_flat_scratch 0
		.amdhsa_float_round_mode_32 0
		.amdhsa_float_round_mode_16_64 0
		.amdhsa_float_denorm_mode_32 3
		.amdhsa_float_denorm_mode_16_64 3
		.amdhsa_dx10_clamp 1
		.amdhsa_ieee_mode 1
		.amdhsa_fp16_overflow 0
		.amdhsa_exception_fp_ieee_invalid_op 0
		.amdhsa_exception_fp_denorm_src 0
		.amdhsa_exception_fp_ieee_div_zero 0
		.amdhsa_exception_fp_ieee_overflow 0
		.amdhsa_exception_fp_ieee_underflow 0
		.amdhsa_exception_fp_ieee_inexact 0
		.amdhsa_exception_int_div_zero 0
	.end_amdhsa_kernel
	.section	.text._ZN7rocprim17ROCPRIM_400000_NS6detail17trampoline_kernelINS0_14default_configENS1_22reduce_config_selectorIlEEZNS1_11reduce_implILb1ES3_PlS7_lN6thrust23THRUST_200600_302600_NS4plusIlEEEE10hipError_tPvRmT1_T2_T3_mT4_P12ihipStream_tbEUlT_E0_NS1_11comp_targetILNS1_3genE10ELNS1_11target_archE1200ELNS1_3gpuE4ELNS1_3repE0EEENS1_30default_config_static_selectorELNS0_4arch9wavefront6targetE1EEEvSF_,"axG",@progbits,_ZN7rocprim17ROCPRIM_400000_NS6detail17trampoline_kernelINS0_14default_configENS1_22reduce_config_selectorIlEEZNS1_11reduce_implILb1ES3_PlS7_lN6thrust23THRUST_200600_302600_NS4plusIlEEEE10hipError_tPvRmT1_T2_T3_mT4_P12ihipStream_tbEUlT_E0_NS1_11comp_targetILNS1_3genE10ELNS1_11target_archE1200ELNS1_3gpuE4ELNS1_3repE0EEENS1_30default_config_static_selectorELNS0_4arch9wavefront6targetE1EEEvSF_,comdat
.Lfunc_end731:
	.size	_ZN7rocprim17ROCPRIM_400000_NS6detail17trampoline_kernelINS0_14default_configENS1_22reduce_config_selectorIlEEZNS1_11reduce_implILb1ES3_PlS7_lN6thrust23THRUST_200600_302600_NS4plusIlEEEE10hipError_tPvRmT1_T2_T3_mT4_P12ihipStream_tbEUlT_E0_NS1_11comp_targetILNS1_3genE10ELNS1_11target_archE1200ELNS1_3gpuE4ELNS1_3repE0EEENS1_30default_config_static_selectorELNS0_4arch9wavefront6targetE1EEEvSF_, .Lfunc_end731-_ZN7rocprim17ROCPRIM_400000_NS6detail17trampoline_kernelINS0_14default_configENS1_22reduce_config_selectorIlEEZNS1_11reduce_implILb1ES3_PlS7_lN6thrust23THRUST_200600_302600_NS4plusIlEEEE10hipError_tPvRmT1_T2_T3_mT4_P12ihipStream_tbEUlT_E0_NS1_11comp_targetILNS1_3genE10ELNS1_11target_archE1200ELNS1_3gpuE4ELNS1_3repE0EEENS1_30default_config_static_selectorELNS0_4arch9wavefront6targetE1EEEvSF_
                                        ; -- End function
	.set _ZN7rocprim17ROCPRIM_400000_NS6detail17trampoline_kernelINS0_14default_configENS1_22reduce_config_selectorIlEEZNS1_11reduce_implILb1ES3_PlS7_lN6thrust23THRUST_200600_302600_NS4plusIlEEEE10hipError_tPvRmT1_T2_T3_mT4_P12ihipStream_tbEUlT_E0_NS1_11comp_targetILNS1_3genE10ELNS1_11target_archE1200ELNS1_3gpuE4ELNS1_3repE0EEENS1_30default_config_static_selectorELNS0_4arch9wavefront6targetE1EEEvSF_.num_vgpr, 0
	.set _ZN7rocprim17ROCPRIM_400000_NS6detail17trampoline_kernelINS0_14default_configENS1_22reduce_config_selectorIlEEZNS1_11reduce_implILb1ES3_PlS7_lN6thrust23THRUST_200600_302600_NS4plusIlEEEE10hipError_tPvRmT1_T2_T3_mT4_P12ihipStream_tbEUlT_E0_NS1_11comp_targetILNS1_3genE10ELNS1_11target_archE1200ELNS1_3gpuE4ELNS1_3repE0EEENS1_30default_config_static_selectorELNS0_4arch9wavefront6targetE1EEEvSF_.num_agpr, 0
	.set _ZN7rocprim17ROCPRIM_400000_NS6detail17trampoline_kernelINS0_14default_configENS1_22reduce_config_selectorIlEEZNS1_11reduce_implILb1ES3_PlS7_lN6thrust23THRUST_200600_302600_NS4plusIlEEEE10hipError_tPvRmT1_T2_T3_mT4_P12ihipStream_tbEUlT_E0_NS1_11comp_targetILNS1_3genE10ELNS1_11target_archE1200ELNS1_3gpuE4ELNS1_3repE0EEENS1_30default_config_static_selectorELNS0_4arch9wavefront6targetE1EEEvSF_.numbered_sgpr, 0
	.set _ZN7rocprim17ROCPRIM_400000_NS6detail17trampoline_kernelINS0_14default_configENS1_22reduce_config_selectorIlEEZNS1_11reduce_implILb1ES3_PlS7_lN6thrust23THRUST_200600_302600_NS4plusIlEEEE10hipError_tPvRmT1_T2_T3_mT4_P12ihipStream_tbEUlT_E0_NS1_11comp_targetILNS1_3genE10ELNS1_11target_archE1200ELNS1_3gpuE4ELNS1_3repE0EEENS1_30default_config_static_selectorELNS0_4arch9wavefront6targetE1EEEvSF_.num_named_barrier, 0
	.set _ZN7rocprim17ROCPRIM_400000_NS6detail17trampoline_kernelINS0_14default_configENS1_22reduce_config_selectorIlEEZNS1_11reduce_implILb1ES3_PlS7_lN6thrust23THRUST_200600_302600_NS4plusIlEEEE10hipError_tPvRmT1_T2_T3_mT4_P12ihipStream_tbEUlT_E0_NS1_11comp_targetILNS1_3genE10ELNS1_11target_archE1200ELNS1_3gpuE4ELNS1_3repE0EEENS1_30default_config_static_selectorELNS0_4arch9wavefront6targetE1EEEvSF_.private_seg_size, 0
	.set _ZN7rocprim17ROCPRIM_400000_NS6detail17trampoline_kernelINS0_14default_configENS1_22reduce_config_selectorIlEEZNS1_11reduce_implILb1ES3_PlS7_lN6thrust23THRUST_200600_302600_NS4plusIlEEEE10hipError_tPvRmT1_T2_T3_mT4_P12ihipStream_tbEUlT_E0_NS1_11comp_targetILNS1_3genE10ELNS1_11target_archE1200ELNS1_3gpuE4ELNS1_3repE0EEENS1_30default_config_static_selectorELNS0_4arch9wavefront6targetE1EEEvSF_.uses_vcc, 0
	.set _ZN7rocprim17ROCPRIM_400000_NS6detail17trampoline_kernelINS0_14default_configENS1_22reduce_config_selectorIlEEZNS1_11reduce_implILb1ES3_PlS7_lN6thrust23THRUST_200600_302600_NS4plusIlEEEE10hipError_tPvRmT1_T2_T3_mT4_P12ihipStream_tbEUlT_E0_NS1_11comp_targetILNS1_3genE10ELNS1_11target_archE1200ELNS1_3gpuE4ELNS1_3repE0EEENS1_30default_config_static_selectorELNS0_4arch9wavefront6targetE1EEEvSF_.uses_flat_scratch, 0
	.set _ZN7rocprim17ROCPRIM_400000_NS6detail17trampoline_kernelINS0_14default_configENS1_22reduce_config_selectorIlEEZNS1_11reduce_implILb1ES3_PlS7_lN6thrust23THRUST_200600_302600_NS4plusIlEEEE10hipError_tPvRmT1_T2_T3_mT4_P12ihipStream_tbEUlT_E0_NS1_11comp_targetILNS1_3genE10ELNS1_11target_archE1200ELNS1_3gpuE4ELNS1_3repE0EEENS1_30default_config_static_selectorELNS0_4arch9wavefront6targetE1EEEvSF_.has_dyn_sized_stack, 0
	.set _ZN7rocprim17ROCPRIM_400000_NS6detail17trampoline_kernelINS0_14default_configENS1_22reduce_config_selectorIlEEZNS1_11reduce_implILb1ES3_PlS7_lN6thrust23THRUST_200600_302600_NS4plusIlEEEE10hipError_tPvRmT1_T2_T3_mT4_P12ihipStream_tbEUlT_E0_NS1_11comp_targetILNS1_3genE10ELNS1_11target_archE1200ELNS1_3gpuE4ELNS1_3repE0EEENS1_30default_config_static_selectorELNS0_4arch9wavefront6targetE1EEEvSF_.has_recursion, 0
	.set _ZN7rocprim17ROCPRIM_400000_NS6detail17trampoline_kernelINS0_14default_configENS1_22reduce_config_selectorIlEEZNS1_11reduce_implILb1ES3_PlS7_lN6thrust23THRUST_200600_302600_NS4plusIlEEEE10hipError_tPvRmT1_T2_T3_mT4_P12ihipStream_tbEUlT_E0_NS1_11comp_targetILNS1_3genE10ELNS1_11target_archE1200ELNS1_3gpuE4ELNS1_3repE0EEENS1_30default_config_static_selectorELNS0_4arch9wavefront6targetE1EEEvSF_.has_indirect_call, 0
	.section	.AMDGPU.csdata,"",@progbits
; Kernel info:
; codeLenInByte = 0
; TotalNumSgprs: 4
; NumVgprs: 0
; ScratchSize: 0
; MemoryBound: 0
; FloatMode: 240
; IeeeMode: 1
; LDSByteSize: 0 bytes/workgroup (compile time only)
; SGPRBlocks: 0
; VGPRBlocks: 0
; NumSGPRsForWavesPerEU: 4
; NumVGPRsForWavesPerEU: 1
; Occupancy: 10
; WaveLimiterHint : 0
; COMPUTE_PGM_RSRC2:SCRATCH_EN: 0
; COMPUTE_PGM_RSRC2:USER_SGPR: 6
; COMPUTE_PGM_RSRC2:TRAP_HANDLER: 0
; COMPUTE_PGM_RSRC2:TGID_X_EN: 1
; COMPUTE_PGM_RSRC2:TGID_Y_EN: 0
; COMPUTE_PGM_RSRC2:TGID_Z_EN: 0
; COMPUTE_PGM_RSRC2:TIDIG_COMP_CNT: 0
	.section	.text._ZN7rocprim17ROCPRIM_400000_NS6detail17trampoline_kernelINS0_14default_configENS1_22reduce_config_selectorIlEEZNS1_11reduce_implILb1ES3_PlS7_lN6thrust23THRUST_200600_302600_NS4plusIlEEEE10hipError_tPvRmT1_T2_T3_mT4_P12ihipStream_tbEUlT_E0_NS1_11comp_targetILNS1_3genE9ELNS1_11target_archE1100ELNS1_3gpuE3ELNS1_3repE0EEENS1_30default_config_static_selectorELNS0_4arch9wavefront6targetE1EEEvSF_,"axG",@progbits,_ZN7rocprim17ROCPRIM_400000_NS6detail17trampoline_kernelINS0_14default_configENS1_22reduce_config_selectorIlEEZNS1_11reduce_implILb1ES3_PlS7_lN6thrust23THRUST_200600_302600_NS4plusIlEEEE10hipError_tPvRmT1_T2_T3_mT4_P12ihipStream_tbEUlT_E0_NS1_11comp_targetILNS1_3genE9ELNS1_11target_archE1100ELNS1_3gpuE3ELNS1_3repE0EEENS1_30default_config_static_selectorELNS0_4arch9wavefront6targetE1EEEvSF_,comdat
	.protected	_ZN7rocprim17ROCPRIM_400000_NS6detail17trampoline_kernelINS0_14default_configENS1_22reduce_config_selectorIlEEZNS1_11reduce_implILb1ES3_PlS7_lN6thrust23THRUST_200600_302600_NS4plusIlEEEE10hipError_tPvRmT1_T2_T3_mT4_P12ihipStream_tbEUlT_E0_NS1_11comp_targetILNS1_3genE9ELNS1_11target_archE1100ELNS1_3gpuE3ELNS1_3repE0EEENS1_30default_config_static_selectorELNS0_4arch9wavefront6targetE1EEEvSF_ ; -- Begin function _ZN7rocprim17ROCPRIM_400000_NS6detail17trampoline_kernelINS0_14default_configENS1_22reduce_config_selectorIlEEZNS1_11reduce_implILb1ES3_PlS7_lN6thrust23THRUST_200600_302600_NS4plusIlEEEE10hipError_tPvRmT1_T2_T3_mT4_P12ihipStream_tbEUlT_E0_NS1_11comp_targetILNS1_3genE9ELNS1_11target_archE1100ELNS1_3gpuE3ELNS1_3repE0EEENS1_30default_config_static_selectorELNS0_4arch9wavefront6targetE1EEEvSF_
	.globl	_ZN7rocprim17ROCPRIM_400000_NS6detail17trampoline_kernelINS0_14default_configENS1_22reduce_config_selectorIlEEZNS1_11reduce_implILb1ES3_PlS7_lN6thrust23THRUST_200600_302600_NS4plusIlEEEE10hipError_tPvRmT1_T2_T3_mT4_P12ihipStream_tbEUlT_E0_NS1_11comp_targetILNS1_3genE9ELNS1_11target_archE1100ELNS1_3gpuE3ELNS1_3repE0EEENS1_30default_config_static_selectorELNS0_4arch9wavefront6targetE1EEEvSF_
	.p2align	8
	.type	_ZN7rocprim17ROCPRIM_400000_NS6detail17trampoline_kernelINS0_14default_configENS1_22reduce_config_selectorIlEEZNS1_11reduce_implILb1ES3_PlS7_lN6thrust23THRUST_200600_302600_NS4plusIlEEEE10hipError_tPvRmT1_T2_T3_mT4_P12ihipStream_tbEUlT_E0_NS1_11comp_targetILNS1_3genE9ELNS1_11target_archE1100ELNS1_3gpuE3ELNS1_3repE0EEENS1_30default_config_static_selectorELNS0_4arch9wavefront6targetE1EEEvSF_,@function
_ZN7rocprim17ROCPRIM_400000_NS6detail17trampoline_kernelINS0_14default_configENS1_22reduce_config_selectorIlEEZNS1_11reduce_implILb1ES3_PlS7_lN6thrust23THRUST_200600_302600_NS4plusIlEEEE10hipError_tPvRmT1_T2_T3_mT4_P12ihipStream_tbEUlT_E0_NS1_11comp_targetILNS1_3genE9ELNS1_11target_archE1100ELNS1_3gpuE3ELNS1_3repE0EEENS1_30default_config_static_selectorELNS0_4arch9wavefront6targetE1EEEvSF_: ; @_ZN7rocprim17ROCPRIM_400000_NS6detail17trampoline_kernelINS0_14default_configENS1_22reduce_config_selectorIlEEZNS1_11reduce_implILb1ES3_PlS7_lN6thrust23THRUST_200600_302600_NS4plusIlEEEE10hipError_tPvRmT1_T2_T3_mT4_P12ihipStream_tbEUlT_E0_NS1_11comp_targetILNS1_3genE9ELNS1_11target_archE1100ELNS1_3gpuE3ELNS1_3repE0EEENS1_30default_config_static_selectorELNS0_4arch9wavefront6targetE1EEEvSF_
; %bb.0:
	.section	.rodata,"a",@progbits
	.p2align	6, 0x0
	.amdhsa_kernel _ZN7rocprim17ROCPRIM_400000_NS6detail17trampoline_kernelINS0_14default_configENS1_22reduce_config_selectorIlEEZNS1_11reduce_implILb1ES3_PlS7_lN6thrust23THRUST_200600_302600_NS4plusIlEEEE10hipError_tPvRmT1_T2_T3_mT4_P12ihipStream_tbEUlT_E0_NS1_11comp_targetILNS1_3genE9ELNS1_11target_archE1100ELNS1_3gpuE3ELNS1_3repE0EEENS1_30default_config_static_selectorELNS0_4arch9wavefront6targetE1EEEvSF_
		.amdhsa_group_segment_fixed_size 0
		.amdhsa_private_segment_fixed_size 0
		.amdhsa_kernarg_size 64
		.amdhsa_user_sgpr_count 6
		.amdhsa_user_sgpr_private_segment_buffer 1
		.amdhsa_user_sgpr_dispatch_ptr 0
		.amdhsa_user_sgpr_queue_ptr 0
		.amdhsa_user_sgpr_kernarg_segment_ptr 1
		.amdhsa_user_sgpr_dispatch_id 0
		.amdhsa_user_sgpr_flat_scratch_init 0
		.amdhsa_user_sgpr_private_segment_size 0
		.amdhsa_uses_dynamic_stack 0
		.amdhsa_system_sgpr_private_segment_wavefront_offset 0
		.amdhsa_system_sgpr_workgroup_id_x 1
		.amdhsa_system_sgpr_workgroup_id_y 0
		.amdhsa_system_sgpr_workgroup_id_z 0
		.amdhsa_system_sgpr_workgroup_info 0
		.amdhsa_system_vgpr_workitem_id 0
		.amdhsa_next_free_vgpr 1
		.amdhsa_next_free_sgpr 0
		.amdhsa_reserve_vcc 0
		.amdhsa_reserve_flat_scratch 0
		.amdhsa_float_round_mode_32 0
		.amdhsa_float_round_mode_16_64 0
		.amdhsa_float_denorm_mode_32 3
		.amdhsa_float_denorm_mode_16_64 3
		.amdhsa_dx10_clamp 1
		.amdhsa_ieee_mode 1
		.amdhsa_fp16_overflow 0
		.amdhsa_exception_fp_ieee_invalid_op 0
		.amdhsa_exception_fp_denorm_src 0
		.amdhsa_exception_fp_ieee_div_zero 0
		.amdhsa_exception_fp_ieee_overflow 0
		.amdhsa_exception_fp_ieee_underflow 0
		.amdhsa_exception_fp_ieee_inexact 0
		.amdhsa_exception_int_div_zero 0
	.end_amdhsa_kernel
	.section	.text._ZN7rocprim17ROCPRIM_400000_NS6detail17trampoline_kernelINS0_14default_configENS1_22reduce_config_selectorIlEEZNS1_11reduce_implILb1ES3_PlS7_lN6thrust23THRUST_200600_302600_NS4plusIlEEEE10hipError_tPvRmT1_T2_T3_mT4_P12ihipStream_tbEUlT_E0_NS1_11comp_targetILNS1_3genE9ELNS1_11target_archE1100ELNS1_3gpuE3ELNS1_3repE0EEENS1_30default_config_static_selectorELNS0_4arch9wavefront6targetE1EEEvSF_,"axG",@progbits,_ZN7rocprim17ROCPRIM_400000_NS6detail17trampoline_kernelINS0_14default_configENS1_22reduce_config_selectorIlEEZNS1_11reduce_implILb1ES3_PlS7_lN6thrust23THRUST_200600_302600_NS4plusIlEEEE10hipError_tPvRmT1_T2_T3_mT4_P12ihipStream_tbEUlT_E0_NS1_11comp_targetILNS1_3genE9ELNS1_11target_archE1100ELNS1_3gpuE3ELNS1_3repE0EEENS1_30default_config_static_selectorELNS0_4arch9wavefront6targetE1EEEvSF_,comdat
.Lfunc_end732:
	.size	_ZN7rocprim17ROCPRIM_400000_NS6detail17trampoline_kernelINS0_14default_configENS1_22reduce_config_selectorIlEEZNS1_11reduce_implILb1ES3_PlS7_lN6thrust23THRUST_200600_302600_NS4plusIlEEEE10hipError_tPvRmT1_T2_T3_mT4_P12ihipStream_tbEUlT_E0_NS1_11comp_targetILNS1_3genE9ELNS1_11target_archE1100ELNS1_3gpuE3ELNS1_3repE0EEENS1_30default_config_static_selectorELNS0_4arch9wavefront6targetE1EEEvSF_, .Lfunc_end732-_ZN7rocprim17ROCPRIM_400000_NS6detail17trampoline_kernelINS0_14default_configENS1_22reduce_config_selectorIlEEZNS1_11reduce_implILb1ES3_PlS7_lN6thrust23THRUST_200600_302600_NS4plusIlEEEE10hipError_tPvRmT1_T2_T3_mT4_P12ihipStream_tbEUlT_E0_NS1_11comp_targetILNS1_3genE9ELNS1_11target_archE1100ELNS1_3gpuE3ELNS1_3repE0EEENS1_30default_config_static_selectorELNS0_4arch9wavefront6targetE1EEEvSF_
                                        ; -- End function
	.set _ZN7rocprim17ROCPRIM_400000_NS6detail17trampoline_kernelINS0_14default_configENS1_22reduce_config_selectorIlEEZNS1_11reduce_implILb1ES3_PlS7_lN6thrust23THRUST_200600_302600_NS4plusIlEEEE10hipError_tPvRmT1_T2_T3_mT4_P12ihipStream_tbEUlT_E0_NS1_11comp_targetILNS1_3genE9ELNS1_11target_archE1100ELNS1_3gpuE3ELNS1_3repE0EEENS1_30default_config_static_selectorELNS0_4arch9wavefront6targetE1EEEvSF_.num_vgpr, 0
	.set _ZN7rocprim17ROCPRIM_400000_NS6detail17trampoline_kernelINS0_14default_configENS1_22reduce_config_selectorIlEEZNS1_11reduce_implILb1ES3_PlS7_lN6thrust23THRUST_200600_302600_NS4plusIlEEEE10hipError_tPvRmT1_T2_T3_mT4_P12ihipStream_tbEUlT_E0_NS1_11comp_targetILNS1_3genE9ELNS1_11target_archE1100ELNS1_3gpuE3ELNS1_3repE0EEENS1_30default_config_static_selectorELNS0_4arch9wavefront6targetE1EEEvSF_.num_agpr, 0
	.set _ZN7rocprim17ROCPRIM_400000_NS6detail17trampoline_kernelINS0_14default_configENS1_22reduce_config_selectorIlEEZNS1_11reduce_implILb1ES3_PlS7_lN6thrust23THRUST_200600_302600_NS4plusIlEEEE10hipError_tPvRmT1_T2_T3_mT4_P12ihipStream_tbEUlT_E0_NS1_11comp_targetILNS1_3genE9ELNS1_11target_archE1100ELNS1_3gpuE3ELNS1_3repE0EEENS1_30default_config_static_selectorELNS0_4arch9wavefront6targetE1EEEvSF_.numbered_sgpr, 0
	.set _ZN7rocprim17ROCPRIM_400000_NS6detail17trampoline_kernelINS0_14default_configENS1_22reduce_config_selectorIlEEZNS1_11reduce_implILb1ES3_PlS7_lN6thrust23THRUST_200600_302600_NS4plusIlEEEE10hipError_tPvRmT1_T2_T3_mT4_P12ihipStream_tbEUlT_E0_NS1_11comp_targetILNS1_3genE9ELNS1_11target_archE1100ELNS1_3gpuE3ELNS1_3repE0EEENS1_30default_config_static_selectorELNS0_4arch9wavefront6targetE1EEEvSF_.num_named_barrier, 0
	.set _ZN7rocprim17ROCPRIM_400000_NS6detail17trampoline_kernelINS0_14default_configENS1_22reduce_config_selectorIlEEZNS1_11reduce_implILb1ES3_PlS7_lN6thrust23THRUST_200600_302600_NS4plusIlEEEE10hipError_tPvRmT1_T2_T3_mT4_P12ihipStream_tbEUlT_E0_NS1_11comp_targetILNS1_3genE9ELNS1_11target_archE1100ELNS1_3gpuE3ELNS1_3repE0EEENS1_30default_config_static_selectorELNS0_4arch9wavefront6targetE1EEEvSF_.private_seg_size, 0
	.set _ZN7rocprim17ROCPRIM_400000_NS6detail17trampoline_kernelINS0_14default_configENS1_22reduce_config_selectorIlEEZNS1_11reduce_implILb1ES3_PlS7_lN6thrust23THRUST_200600_302600_NS4plusIlEEEE10hipError_tPvRmT1_T2_T3_mT4_P12ihipStream_tbEUlT_E0_NS1_11comp_targetILNS1_3genE9ELNS1_11target_archE1100ELNS1_3gpuE3ELNS1_3repE0EEENS1_30default_config_static_selectorELNS0_4arch9wavefront6targetE1EEEvSF_.uses_vcc, 0
	.set _ZN7rocprim17ROCPRIM_400000_NS6detail17trampoline_kernelINS0_14default_configENS1_22reduce_config_selectorIlEEZNS1_11reduce_implILb1ES3_PlS7_lN6thrust23THRUST_200600_302600_NS4plusIlEEEE10hipError_tPvRmT1_T2_T3_mT4_P12ihipStream_tbEUlT_E0_NS1_11comp_targetILNS1_3genE9ELNS1_11target_archE1100ELNS1_3gpuE3ELNS1_3repE0EEENS1_30default_config_static_selectorELNS0_4arch9wavefront6targetE1EEEvSF_.uses_flat_scratch, 0
	.set _ZN7rocprim17ROCPRIM_400000_NS6detail17trampoline_kernelINS0_14default_configENS1_22reduce_config_selectorIlEEZNS1_11reduce_implILb1ES3_PlS7_lN6thrust23THRUST_200600_302600_NS4plusIlEEEE10hipError_tPvRmT1_T2_T3_mT4_P12ihipStream_tbEUlT_E0_NS1_11comp_targetILNS1_3genE9ELNS1_11target_archE1100ELNS1_3gpuE3ELNS1_3repE0EEENS1_30default_config_static_selectorELNS0_4arch9wavefront6targetE1EEEvSF_.has_dyn_sized_stack, 0
	.set _ZN7rocprim17ROCPRIM_400000_NS6detail17trampoline_kernelINS0_14default_configENS1_22reduce_config_selectorIlEEZNS1_11reduce_implILb1ES3_PlS7_lN6thrust23THRUST_200600_302600_NS4plusIlEEEE10hipError_tPvRmT1_T2_T3_mT4_P12ihipStream_tbEUlT_E0_NS1_11comp_targetILNS1_3genE9ELNS1_11target_archE1100ELNS1_3gpuE3ELNS1_3repE0EEENS1_30default_config_static_selectorELNS0_4arch9wavefront6targetE1EEEvSF_.has_recursion, 0
	.set _ZN7rocprim17ROCPRIM_400000_NS6detail17trampoline_kernelINS0_14default_configENS1_22reduce_config_selectorIlEEZNS1_11reduce_implILb1ES3_PlS7_lN6thrust23THRUST_200600_302600_NS4plusIlEEEE10hipError_tPvRmT1_T2_T3_mT4_P12ihipStream_tbEUlT_E0_NS1_11comp_targetILNS1_3genE9ELNS1_11target_archE1100ELNS1_3gpuE3ELNS1_3repE0EEENS1_30default_config_static_selectorELNS0_4arch9wavefront6targetE1EEEvSF_.has_indirect_call, 0
	.section	.AMDGPU.csdata,"",@progbits
; Kernel info:
; codeLenInByte = 0
; TotalNumSgprs: 4
; NumVgprs: 0
; ScratchSize: 0
; MemoryBound: 0
; FloatMode: 240
; IeeeMode: 1
; LDSByteSize: 0 bytes/workgroup (compile time only)
; SGPRBlocks: 0
; VGPRBlocks: 0
; NumSGPRsForWavesPerEU: 4
; NumVGPRsForWavesPerEU: 1
; Occupancy: 10
; WaveLimiterHint : 0
; COMPUTE_PGM_RSRC2:SCRATCH_EN: 0
; COMPUTE_PGM_RSRC2:USER_SGPR: 6
; COMPUTE_PGM_RSRC2:TRAP_HANDLER: 0
; COMPUTE_PGM_RSRC2:TGID_X_EN: 1
; COMPUTE_PGM_RSRC2:TGID_Y_EN: 0
; COMPUTE_PGM_RSRC2:TGID_Z_EN: 0
; COMPUTE_PGM_RSRC2:TIDIG_COMP_CNT: 0
	.section	.text._ZN7rocprim17ROCPRIM_400000_NS6detail17trampoline_kernelINS0_14default_configENS1_22reduce_config_selectorIlEEZNS1_11reduce_implILb1ES3_PlS7_lN6thrust23THRUST_200600_302600_NS4plusIlEEEE10hipError_tPvRmT1_T2_T3_mT4_P12ihipStream_tbEUlT_E0_NS1_11comp_targetILNS1_3genE8ELNS1_11target_archE1030ELNS1_3gpuE2ELNS1_3repE0EEENS1_30default_config_static_selectorELNS0_4arch9wavefront6targetE1EEEvSF_,"axG",@progbits,_ZN7rocprim17ROCPRIM_400000_NS6detail17trampoline_kernelINS0_14default_configENS1_22reduce_config_selectorIlEEZNS1_11reduce_implILb1ES3_PlS7_lN6thrust23THRUST_200600_302600_NS4plusIlEEEE10hipError_tPvRmT1_T2_T3_mT4_P12ihipStream_tbEUlT_E0_NS1_11comp_targetILNS1_3genE8ELNS1_11target_archE1030ELNS1_3gpuE2ELNS1_3repE0EEENS1_30default_config_static_selectorELNS0_4arch9wavefront6targetE1EEEvSF_,comdat
	.protected	_ZN7rocprim17ROCPRIM_400000_NS6detail17trampoline_kernelINS0_14default_configENS1_22reduce_config_selectorIlEEZNS1_11reduce_implILb1ES3_PlS7_lN6thrust23THRUST_200600_302600_NS4plusIlEEEE10hipError_tPvRmT1_T2_T3_mT4_P12ihipStream_tbEUlT_E0_NS1_11comp_targetILNS1_3genE8ELNS1_11target_archE1030ELNS1_3gpuE2ELNS1_3repE0EEENS1_30default_config_static_selectorELNS0_4arch9wavefront6targetE1EEEvSF_ ; -- Begin function _ZN7rocprim17ROCPRIM_400000_NS6detail17trampoline_kernelINS0_14default_configENS1_22reduce_config_selectorIlEEZNS1_11reduce_implILb1ES3_PlS7_lN6thrust23THRUST_200600_302600_NS4plusIlEEEE10hipError_tPvRmT1_T2_T3_mT4_P12ihipStream_tbEUlT_E0_NS1_11comp_targetILNS1_3genE8ELNS1_11target_archE1030ELNS1_3gpuE2ELNS1_3repE0EEENS1_30default_config_static_selectorELNS0_4arch9wavefront6targetE1EEEvSF_
	.globl	_ZN7rocprim17ROCPRIM_400000_NS6detail17trampoline_kernelINS0_14default_configENS1_22reduce_config_selectorIlEEZNS1_11reduce_implILb1ES3_PlS7_lN6thrust23THRUST_200600_302600_NS4plusIlEEEE10hipError_tPvRmT1_T2_T3_mT4_P12ihipStream_tbEUlT_E0_NS1_11comp_targetILNS1_3genE8ELNS1_11target_archE1030ELNS1_3gpuE2ELNS1_3repE0EEENS1_30default_config_static_selectorELNS0_4arch9wavefront6targetE1EEEvSF_
	.p2align	8
	.type	_ZN7rocprim17ROCPRIM_400000_NS6detail17trampoline_kernelINS0_14default_configENS1_22reduce_config_selectorIlEEZNS1_11reduce_implILb1ES3_PlS7_lN6thrust23THRUST_200600_302600_NS4plusIlEEEE10hipError_tPvRmT1_T2_T3_mT4_P12ihipStream_tbEUlT_E0_NS1_11comp_targetILNS1_3genE8ELNS1_11target_archE1030ELNS1_3gpuE2ELNS1_3repE0EEENS1_30default_config_static_selectorELNS0_4arch9wavefront6targetE1EEEvSF_,@function
_ZN7rocprim17ROCPRIM_400000_NS6detail17trampoline_kernelINS0_14default_configENS1_22reduce_config_selectorIlEEZNS1_11reduce_implILb1ES3_PlS7_lN6thrust23THRUST_200600_302600_NS4plusIlEEEE10hipError_tPvRmT1_T2_T3_mT4_P12ihipStream_tbEUlT_E0_NS1_11comp_targetILNS1_3genE8ELNS1_11target_archE1030ELNS1_3gpuE2ELNS1_3repE0EEENS1_30default_config_static_selectorELNS0_4arch9wavefront6targetE1EEEvSF_: ; @_ZN7rocprim17ROCPRIM_400000_NS6detail17trampoline_kernelINS0_14default_configENS1_22reduce_config_selectorIlEEZNS1_11reduce_implILb1ES3_PlS7_lN6thrust23THRUST_200600_302600_NS4plusIlEEEE10hipError_tPvRmT1_T2_T3_mT4_P12ihipStream_tbEUlT_E0_NS1_11comp_targetILNS1_3genE8ELNS1_11target_archE1030ELNS1_3gpuE2ELNS1_3repE0EEENS1_30default_config_static_selectorELNS0_4arch9wavefront6targetE1EEEvSF_
; %bb.0:
	.section	.rodata,"a",@progbits
	.p2align	6, 0x0
	.amdhsa_kernel _ZN7rocprim17ROCPRIM_400000_NS6detail17trampoline_kernelINS0_14default_configENS1_22reduce_config_selectorIlEEZNS1_11reduce_implILb1ES3_PlS7_lN6thrust23THRUST_200600_302600_NS4plusIlEEEE10hipError_tPvRmT1_T2_T3_mT4_P12ihipStream_tbEUlT_E0_NS1_11comp_targetILNS1_3genE8ELNS1_11target_archE1030ELNS1_3gpuE2ELNS1_3repE0EEENS1_30default_config_static_selectorELNS0_4arch9wavefront6targetE1EEEvSF_
		.amdhsa_group_segment_fixed_size 0
		.amdhsa_private_segment_fixed_size 0
		.amdhsa_kernarg_size 64
		.amdhsa_user_sgpr_count 6
		.amdhsa_user_sgpr_private_segment_buffer 1
		.amdhsa_user_sgpr_dispatch_ptr 0
		.amdhsa_user_sgpr_queue_ptr 0
		.amdhsa_user_sgpr_kernarg_segment_ptr 1
		.amdhsa_user_sgpr_dispatch_id 0
		.amdhsa_user_sgpr_flat_scratch_init 0
		.amdhsa_user_sgpr_private_segment_size 0
		.amdhsa_uses_dynamic_stack 0
		.amdhsa_system_sgpr_private_segment_wavefront_offset 0
		.amdhsa_system_sgpr_workgroup_id_x 1
		.amdhsa_system_sgpr_workgroup_id_y 0
		.amdhsa_system_sgpr_workgroup_id_z 0
		.amdhsa_system_sgpr_workgroup_info 0
		.amdhsa_system_vgpr_workitem_id 0
		.amdhsa_next_free_vgpr 1
		.amdhsa_next_free_sgpr 0
		.amdhsa_reserve_vcc 0
		.amdhsa_reserve_flat_scratch 0
		.amdhsa_float_round_mode_32 0
		.amdhsa_float_round_mode_16_64 0
		.amdhsa_float_denorm_mode_32 3
		.amdhsa_float_denorm_mode_16_64 3
		.amdhsa_dx10_clamp 1
		.amdhsa_ieee_mode 1
		.amdhsa_fp16_overflow 0
		.amdhsa_exception_fp_ieee_invalid_op 0
		.amdhsa_exception_fp_denorm_src 0
		.amdhsa_exception_fp_ieee_div_zero 0
		.amdhsa_exception_fp_ieee_overflow 0
		.amdhsa_exception_fp_ieee_underflow 0
		.amdhsa_exception_fp_ieee_inexact 0
		.amdhsa_exception_int_div_zero 0
	.end_amdhsa_kernel
	.section	.text._ZN7rocprim17ROCPRIM_400000_NS6detail17trampoline_kernelINS0_14default_configENS1_22reduce_config_selectorIlEEZNS1_11reduce_implILb1ES3_PlS7_lN6thrust23THRUST_200600_302600_NS4plusIlEEEE10hipError_tPvRmT1_T2_T3_mT4_P12ihipStream_tbEUlT_E0_NS1_11comp_targetILNS1_3genE8ELNS1_11target_archE1030ELNS1_3gpuE2ELNS1_3repE0EEENS1_30default_config_static_selectorELNS0_4arch9wavefront6targetE1EEEvSF_,"axG",@progbits,_ZN7rocprim17ROCPRIM_400000_NS6detail17trampoline_kernelINS0_14default_configENS1_22reduce_config_selectorIlEEZNS1_11reduce_implILb1ES3_PlS7_lN6thrust23THRUST_200600_302600_NS4plusIlEEEE10hipError_tPvRmT1_T2_T3_mT4_P12ihipStream_tbEUlT_E0_NS1_11comp_targetILNS1_3genE8ELNS1_11target_archE1030ELNS1_3gpuE2ELNS1_3repE0EEENS1_30default_config_static_selectorELNS0_4arch9wavefront6targetE1EEEvSF_,comdat
.Lfunc_end733:
	.size	_ZN7rocprim17ROCPRIM_400000_NS6detail17trampoline_kernelINS0_14default_configENS1_22reduce_config_selectorIlEEZNS1_11reduce_implILb1ES3_PlS7_lN6thrust23THRUST_200600_302600_NS4plusIlEEEE10hipError_tPvRmT1_T2_T3_mT4_P12ihipStream_tbEUlT_E0_NS1_11comp_targetILNS1_3genE8ELNS1_11target_archE1030ELNS1_3gpuE2ELNS1_3repE0EEENS1_30default_config_static_selectorELNS0_4arch9wavefront6targetE1EEEvSF_, .Lfunc_end733-_ZN7rocprim17ROCPRIM_400000_NS6detail17trampoline_kernelINS0_14default_configENS1_22reduce_config_selectorIlEEZNS1_11reduce_implILb1ES3_PlS7_lN6thrust23THRUST_200600_302600_NS4plusIlEEEE10hipError_tPvRmT1_T2_T3_mT4_P12ihipStream_tbEUlT_E0_NS1_11comp_targetILNS1_3genE8ELNS1_11target_archE1030ELNS1_3gpuE2ELNS1_3repE0EEENS1_30default_config_static_selectorELNS0_4arch9wavefront6targetE1EEEvSF_
                                        ; -- End function
	.set _ZN7rocprim17ROCPRIM_400000_NS6detail17trampoline_kernelINS0_14default_configENS1_22reduce_config_selectorIlEEZNS1_11reduce_implILb1ES3_PlS7_lN6thrust23THRUST_200600_302600_NS4plusIlEEEE10hipError_tPvRmT1_T2_T3_mT4_P12ihipStream_tbEUlT_E0_NS1_11comp_targetILNS1_3genE8ELNS1_11target_archE1030ELNS1_3gpuE2ELNS1_3repE0EEENS1_30default_config_static_selectorELNS0_4arch9wavefront6targetE1EEEvSF_.num_vgpr, 0
	.set _ZN7rocprim17ROCPRIM_400000_NS6detail17trampoline_kernelINS0_14default_configENS1_22reduce_config_selectorIlEEZNS1_11reduce_implILb1ES3_PlS7_lN6thrust23THRUST_200600_302600_NS4plusIlEEEE10hipError_tPvRmT1_T2_T3_mT4_P12ihipStream_tbEUlT_E0_NS1_11comp_targetILNS1_3genE8ELNS1_11target_archE1030ELNS1_3gpuE2ELNS1_3repE0EEENS1_30default_config_static_selectorELNS0_4arch9wavefront6targetE1EEEvSF_.num_agpr, 0
	.set _ZN7rocprim17ROCPRIM_400000_NS6detail17trampoline_kernelINS0_14default_configENS1_22reduce_config_selectorIlEEZNS1_11reduce_implILb1ES3_PlS7_lN6thrust23THRUST_200600_302600_NS4plusIlEEEE10hipError_tPvRmT1_T2_T3_mT4_P12ihipStream_tbEUlT_E0_NS1_11comp_targetILNS1_3genE8ELNS1_11target_archE1030ELNS1_3gpuE2ELNS1_3repE0EEENS1_30default_config_static_selectorELNS0_4arch9wavefront6targetE1EEEvSF_.numbered_sgpr, 0
	.set _ZN7rocprim17ROCPRIM_400000_NS6detail17trampoline_kernelINS0_14default_configENS1_22reduce_config_selectorIlEEZNS1_11reduce_implILb1ES3_PlS7_lN6thrust23THRUST_200600_302600_NS4plusIlEEEE10hipError_tPvRmT1_T2_T3_mT4_P12ihipStream_tbEUlT_E0_NS1_11comp_targetILNS1_3genE8ELNS1_11target_archE1030ELNS1_3gpuE2ELNS1_3repE0EEENS1_30default_config_static_selectorELNS0_4arch9wavefront6targetE1EEEvSF_.num_named_barrier, 0
	.set _ZN7rocprim17ROCPRIM_400000_NS6detail17trampoline_kernelINS0_14default_configENS1_22reduce_config_selectorIlEEZNS1_11reduce_implILb1ES3_PlS7_lN6thrust23THRUST_200600_302600_NS4plusIlEEEE10hipError_tPvRmT1_T2_T3_mT4_P12ihipStream_tbEUlT_E0_NS1_11comp_targetILNS1_3genE8ELNS1_11target_archE1030ELNS1_3gpuE2ELNS1_3repE0EEENS1_30default_config_static_selectorELNS0_4arch9wavefront6targetE1EEEvSF_.private_seg_size, 0
	.set _ZN7rocprim17ROCPRIM_400000_NS6detail17trampoline_kernelINS0_14default_configENS1_22reduce_config_selectorIlEEZNS1_11reduce_implILb1ES3_PlS7_lN6thrust23THRUST_200600_302600_NS4plusIlEEEE10hipError_tPvRmT1_T2_T3_mT4_P12ihipStream_tbEUlT_E0_NS1_11comp_targetILNS1_3genE8ELNS1_11target_archE1030ELNS1_3gpuE2ELNS1_3repE0EEENS1_30default_config_static_selectorELNS0_4arch9wavefront6targetE1EEEvSF_.uses_vcc, 0
	.set _ZN7rocprim17ROCPRIM_400000_NS6detail17trampoline_kernelINS0_14default_configENS1_22reduce_config_selectorIlEEZNS1_11reduce_implILb1ES3_PlS7_lN6thrust23THRUST_200600_302600_NS4plusIlEEEE10hipError_tPvRmT1_T2_T3_mT4_P12ihipStream_tbEUlT_E0_NS1_11comp_targetILNS1_3genE8ELNS1_11target_archE1030ELNS1_3gpuE2ELNS1_3repE0EEENS1_30default_config_static_selectorELNS0_4arch9wavefront6targetE1EEEvSF_.uses_flat_scratch, 0
	.set _ZN7rocprim17ROCPRIM_400000_NS6detail17trampoline_kernelINS0_14default_configENS1_22reduce_config_selectorIlEEZNS1_11reduce_implILb1ES3_PlS7_lN6thrust23THRUST_200600_302600_NS4plusIlEEEE10hipError_tPvRmT1_T2_T3_mT4_P12ihipStream_tbEUlT_E0_NS1_11comp_targetILNS1_3genE8ELNS1_11target_archE1030ELNS1_3gpuE2ELNS1_3repE0EEENS1_30default_config_static_selectorELNS0_4arch9wavefront6targetE1EEEvSF_.has_dyn_sized_stack, 0
	.set _ZN7rocprim17ROCPRIM_400000_NS6detail17trampoline_kernelINS0_14default_configENS1_22reduce_config_selectorIlEEZNS1_11reduce_implILb1ES3_PlS7_lN6thrust23THRUST_200600_302600_NS4plusIlEEEE10hipError_tPvRmT1_T2_T3_mT4_P12ihipStream_tbEUlT_E0_NS1_11comp_targetILNS1_3genE8ELNS1_11target_archE1030ELNS1_3gpuE2ELNS1_3repE0EEENS1_30default_config_static_selectorELNS0_4arch9wavefront6targetE1EEEvSF_.has_recursion, 0
	.set _ZN7rocprim17ROCPRIM_400000_NS6detail17trampoline_kernelINS0_14default_configENS1_22reduce_config_selectorIlEEZNS1_11reduce_implILb1ES3_PlS7_lN6thrust23THRUST_200600_302600_NS4plusIlEEEE10hipError_tPvRmT1_T2_T3_mT4_P12ihipStream_tbEUlT_E0_NS1_11comp_targetILNS1_3genE8ELNS1_11target_archE1030ELNS1_3gpuE2ELNS1_3repE0EEENS1_30default_config_static_selectorELNS0_4arch9wavefront6targetE1EEEvSF_.has_indirect_call, 0
	.section	.AMDGPU.csdata,"",@progbits
; Kernel info:
; codeLenInByte = 0
; TotalNumSgprs: 4
; NumVgprs: 0
; ScratchSize: 0
; MemoryBound: 0
; FloatMode: 240
; IeeeMode: 1
; LDSByteSize: 0 bytes/workgroup (compile time only)
; SGPRBlocks: 0
; VGPRBlocks: 0
; NumSGPRsForWavesPerEU: 4
; NumVGPRsForWavesPerEU: 1
; Occupancy: 10
; WaveLimiterHint : 0
; COMPUTE_PGM_RSRC2:SCRATCH_EN: 0
; COMPUTE_PGM_RSRC2:USER_SGPR: 6
; COMPUTE_PGM_RSRC2:TRAP_HANDLER: 0
; COMPUTE_PGM_RSRC2:TGID_X_EN: 1
; COMPUTE_PGM_RSRC2:TGID_Y_EN: 0
; COMPUTE_PGM_RSRC2:TGID_Z_EN: 0
; COMPUTE_PGM_RSRC2:TIDIG_COMP_CNT: 0
	.section	.text._ZN7rocprim17ROCPRIM_400000_NS6detail17trampoline_kernelINS0_14default_configENS1_22reduce_config_selectorIlEEZNS1_11reduce_implILb1ES3_PlS7_lN6thrust23THRUST_200600_302600_NS4plusIlEEEE10hipError_tPvRmT1_T2_T3_mT4_P12ihipStream_tbEUlT_E1_NS1_11comp_targetILNS1_3genE0ELNS1_11target_archE4294967295ELNS1_3gpuE0ELNS1_3repE0EEENS1_30default_config_static_selectorELNS0_4arch9wavefront6targetE1EEEvSF_,"axG",@progbits,_ZN7rocprim17ROCPRIM_400000_NS6detail17trampoline_kernelINS0_14default_configENS1_22reduce_config_selectorIlEEZNS1_11reduce_implILb1ES3_PlS7_lN6thrust23THRUST_200600_302600_NS4plusIlEEEE10hipError_tPvRmT1_T2_T3_mT4_P12ihipStream_tbEUlT_E1_NS1_11comp_targetILNS1_3genE0ELNS1_11target_archE4294967295ELNS1_3gpuE0ELNS1_3repE0EEENS1_30default_config_static_selectorELNS0_4arch9wavefront6targetE1EEEvSF_,comdat
	.protected	_ZN7rocprim17ROCPRIM_400000_NS6detail17trampoline_kernelINS0_14default_configENS1_22reduce_config_selectorIlEEZNS1_11reduce_implILb1ES3_PlS7_lN6thrust23THRUST_200600_302600_NS4plusIlEEEE10hipError_tPvRmT1_T2_T3_mT4_P12ihipStream_tbEUlT_E1_NS1_11comp_targetILNS1_3genE0ELNS1_11target_archE4294967295ELNS1_3gpuE0ELNS1_3repE0EEENS1_30default_config_static_selectorELNS0_4arch9wavefront6targetE1EEEvSF_ ; -- Begin function _ZN7rocprim17ROCPRIM_400000_NS6detail17trampoline_kernelINS0_14default_configENS1_22reduce_config_selectorIlEEZNS1_11reduce_implILb1ES3_PlS7_lN6thrust23THRUST_200600_302600_NS4plusIlEEEE10hipError_tPvRmT1_T2_T3_mT4_P12ihipStream_tbEUlT_E1_NS1_11comp_targetILNS1_3genE0ELNS1_11target_archE4294967295ELNS1_3gpuE0ELNS1_3repE0EEENS1_30default_config_static_selectorELNS0_4arch9wavefront6targetE1EEEvSF_
	.globl	_ZN7rocprim17ROCPRIM_400000_NS6detail17trampoline_kernelINS0_14default_configENS1_22reduce_config_selectorIlEEZNS1_11reduce_implILb1ES3_PlS7_lN6thrust23THRUST_200600_302600_NS4plusIlEEEE10hipError_tPvRmT1_T2_T3_mT4_P12ihipStream_tbEUlT_E1_NS1_11comp_targetILNS1_3genE0ELNS1_11target_archE4294967295ELNS1_3gpuE0ELNS1_3repE0EEENS1_30default_config_static_selectorELNS0_4arch9wavefront6targetE1EEEvSF_
	.p2align	8
	.type	_ZN7rocprim17ROCPRIM_400000_NS6detail17trampoline_kernelINS0_14default_configENS1_22reduce_config_selectorIlEEZNS1_11reduce_implILb1ES3_PlS7_lN6thrust23THRUST_200600_302600_NS4plusIlEEEE10hipError_tPvRmT1_T2_T3_mT4_P12ihipStream_tbEUlT_E1_NS1_11comp_targetILNS1_3genE0ELNS1_11target_archE4294967295ELNS1_3gpuE0ELNS1_3repE0EEENS1_30default_config_static_selectorELNS0_4arch9wavefront6targetE1EEEvSF_,@function
_ZN7rocprim17ROCPRIM_400000_NS6detail17trampoline_kernelINS0_14default_configENS1_22reduce_config_selectorIlEEZNS1_11reduce_implILb1ES3_PlS7_lN6thrust23THRUST_200600_302600_NS4plusIlEEEE10hipError_tPvRmT1_T2_T3_mT4_P12ihipStream_tbEUlT_E1_NS1_11comp_targetILNS1_3genE0ELNS1_11target_archE4294967295ELNS1_3gpuE0ELNS1_3repE0EEENS1_30default_config_static_selectorELNS0_4arch9wavefront6targetE1EEEvSF_: ; @_ZN7rocprim17ROCPRIM_400000_NS6detail17trampoline_kernelINS0_14default_configENS1_22reduce_config_selectorIlEEZNS1_11reduce_implILb1ES3_PlS7_lN6thrust23THRUST_200600_302600_NS4plusIlEEEE10hipError_tPvRmT1_T2_T3_mT4_P12ihipStream_tbEUlT_E1_NS1_11comp_targetILNS1_3genE0ELNS1_11target_archE4294967295ELNS1_3gpuE0ELNS1_3repE0EEENS1_30default_config_static_selectorELNS0_4arch9wavefront6targetE1EEEvSF_
; %bb.0:
	.section	.rodata,"a",@progbits
	.p2align	6, 0x0
	.amdhsa_kernel _ZN7rocprim17ROCPRIM_400000_NS6detail17trampoline_kernelINS0_14default_configENS1_22reduce_config_selectorIlEEZNS1_11reduce_implILb1ES3_PlS7_lN6thrust23THRUST_200600_302600_NS4plusIlEEEE10hipError_tPvRmT1_T2_T3_mT4_P12ihipStream_tbEUlT_E1_NS1_11comp_targetILNS1_3genE0ELNS1_11target_archE4294967295ELNS1_3gpuE0ELNS1_3repE0EEENS1_30default_config_static_selectorELNS0_4arch9wavefront6targetE1EEEvSF_
		.amdhsa_group_segment_fixed_size 0
		.amdhsa_private_segment_fixed_size 0
		.amdhsa_kernarg_size 48
		.amdhsa_user_sgpr_count 6
		.amdhsa_user_sgpr_private_segment_buffer 1
		.amdhsa_user_sgpr_dispatch_ptr 0
		.amdhsa_user_sgpr_queue_ptr 0
		.amdhsa_user_sgpr_kernarg_segment_ptr 1
		.amdhsa_user_sgpr_dispatch_id 0
		.amdhsa_user_sgpr_flat_scratch_init 0
		.amdhsa_user_sgpr_private_segment_size 0
		.amdhsa_uses_dynamic_stack 0
		.amdhsa_system_sgpr_private_segment_wavefront_offset 0
		.amdhsa_system_sgpr_workgroup_id_x 1
		.amdhsa_system_sgpr_workgroup_id_y 0
		.amdhsa_system_sgpr_workgroup_id_z 0
		.amdhsa_system_sgpr_workgroup_info 0
		.amdhsa_system_vgpr_workitem_id 0
		.amdhsa_next_free_vgpr 1
		.amdhsa_next_free_sgpr 0
		.amdhsa_reserve_vcc 0
		.amdhsa_reserve_flat_scratch 0
		.amdhsa_float_round_mode_32 0
		.amdhsa_float_round_mode_16_64 0
		.amdhsa_float_denorm_mode_32 3
		.amdhsa_float_denorm_mode_16_64 3
		.amdhsa_dx10_clamp 1
		.amdhsa_ieee_mode 1
		.amdhsa_fp16_overflow 0
		.amdhsa_exception_fp_ieee_invalid_op 0
		.amdhsa_exception_fp_denorm_src 0
		.amdhsa_exception_fp_ieee_div_zero 0
		.amdhsa_exception_fp_ieee_overflow 0
		.amdhsa_exception_fp_ieee_underflow 0
		.amdhsa_exception_fp_ieee_inexact 0
		.amdhsa_exception_int_div_zero 0
	.end_amdhsa_kernel
	.section	.text._ZN7rocprim17ROCPRIM_400000_NS6detail17trampoline_kernelINS0_14default_configENS1_22reduce_config_selectorIlEEZNS1_11reduce_implILb1ES3_PlS7_lN6thrust23THRUST_200600_302600_NS4plusIlEEEE10hipError_tPvRmT1_T2_T3_mT4_P12ihipStream_tbEUlT_E1_NS1_11comp_targetILNS1_3genE0ELNS1_11target_archE4294967295ELNS1_3gpuE0ELNS1_3repE0EEENS1_30default_config_static_selectorELNS0_4arch9wavefront6targetE1EEEvSF_,"axG",@progbits,_ZN7rocprim17ROCPRIM_400000_NS6detail17trampoline_kernelINS0_14default_configENS1_22reduce_config_selectorIlEEZNS1_11reduce_implILb1ES3_PlS7_lN6thrust23THRUST_200600_302600_NS4plusIlEEEE10hipError_tPvRmT1_T2_T3_mT4_P12ihipStream_tbEUlT_E1_NS1_11comp_targetILNS1_3genE0ELNS1_11target_archE4294967295ELNS1_3gpuE0ELNS1_3repE0EEENS1_30default_config_static_selectorELNS0_4arch9wavefront6targetE1EEEvSF_,comdat
.Lfunc_end734:
	.size	_ZN7rocprim17ROCPRIM_400000_NS6detail17trampoline_kernelINS0_14default_configENS1_22reduce_config_selectorIlEEZNS1_11reduce_implILb1ES3_PlS7_lN6thrust23THRUST_200600_302600_NS4plusIlEEEE10hipError_tPvRmT1_T2_T3_mT4_P12ihipStream_tbEUlT_E1_NS1_11comp_targetILNS1_3genE0ELNS1_11target_archE4294967295ELNS1_3gpuE0ELNS1_3repE0EEENS1_30default_config_static_selectorELNS0_4arch9wavefront6targetE1EEEvSF_, .Lfunc_end734-_ZN7rocprim17ROCPRIM_400000_NS6detail17trampoline_kernelINS0_14default_configENS1_22reduce_config_selectorIlEEZNS1_11reduce_implILb1ES3_PlS7_lN6thrust23THRUST_200600_302600_NS4plusIlEEEE10hipError_tPvRmT1_T2_T3_mT4_P12ihipStream_tbEUlT_E1_NS1_11comp_targetILNS1_3genE0ELNS1_11target_archE4294967295ELNS1_3gpuE0ELNS1_3repE0EEENS1_30default_config_static_selectorELNS0_4arch9wavefront6targetE1EEEvSF_
                                        ; -- End function
	.set _ZN7rocprim17ROCPRIM_400000_NS6detail17trampoline_kernelINS0_14default_configENS1_22reduce_config_selectorIlEEZNS1_11reduce_implILb1ES3_PlS7_lN6thrust23THRUST_200600_302600_NS4plusIlEEEE10hipError_tPvRmT1_T2_T3_mT4_P12ihipStream_tbEUlT_E1_NS1_11comp_targetILNS1_3genE0ELNS1_11target_archE4294967295ELNS1_3gpuE0ELNS1_3repE0EEENS1_30default_config_static_selectorELNS0_4arch9wavefront6targetE1EEEvSF_.num_vgpr, 0
	.set _ZN7rocprim17ROCPRIM_400000_NS6detail17trampoline_kernelINS0_14default_configENS1_22reduce_config_selectorIlEEZNS1_11reduce_implILb1ES3_PlS7_lN6thrust23THRUST_200600_302600_NS4plusIlEEEE10hipError_tPvRmT1_T2_T3_mT4_P12ihipStream_tbEUlT_E1_NS1_11comp_targetILNS1_3genE0ELNS1_11target_archE4294967295ELNS1_3gpuE0ELNS1_3repE0EEENS1_30default_config_static_selectorELNS0_4arch9wavefront6targetE1EEEvSF_.num_agpr, 0
	.set _ZN7rocprim17ROCPRIM_400000_NS6detail17trampoline_kernelINS0_14default_configENS1_22reduce_config_selectorIlEEZNS1_11reduce_implILb1ES3_PlS7_lN6thrust23THRUST_200600_302600_NS4plusIlEEEE10hipError_tPvRmT1_T2_T3_mT4_P12ihipStream_tbEUlT_E1_NS1_11comp_targetILNS1_3genE0ELNS1_11target_archE4294967295ELNS1_3gpuE0ELNS1_3repE0EEENS1_30default_config_static_selectorELNS0_4arch9wavefront6targetE1EEEvSF_.numbered_sgpr, 0
	.set _ZN7rocprim17ROCPRIM_400000_NS6detail17trampoline_kernelINS0_14default_configENS1_22reduce_config_selectorIlEEZNS1_11reduce_implILb1ES3_PlS7_lN6thrust23THRUST_200600_302600_NS4plusIlEEEE10hipError_tPvRmT1_T2_T3_mT4_P12ihipStream_tbEUlT_E1_NS1_11comp_targetILNS1_3genE0ELNS1_11target_archE4294967295ELNS1_3gpuE0ELNS1_3repE0EEENS1_30default_config_static_selectorELNS0_4arch9wavefront6targetE1EEEvSF_.num_named_barrier, 0
	.set _ZN7rocprim17ROCPRIM_400000_NS6detail17trampoline_kernelINS0_14default_configENS1_22reduce_config_selectorIlEEZNS1_11reduce_implILb1ES3_PlS7_lN6thrust23THRUST_200600_302600_NS4plusIlEEEE10hipError_tPvRmT1_T2_T3_mT4_P12ihipStream_tbEUlT_E1_NS1_11comp_targetILNS1_3genE0ELNS1_11target_archE4294967295ELNS1_3gpuE0ELNS1_3repE0EEENS1_30default_config_static_selectorELNS0_4arch9wavefront6targetE1EEEvSF_.private_seg_size, 0
	.set _ZN7rocprim17ROCPRIM_400000_NS6detail17trampoline_kernelINS0_14default_configENS1_22reduce_config_selectorIlEEZNS1_11reduce_implILb1ES3_PlS7_lN6thrust23THRUST_200600_302600_NS4plusIlEEEE10hipError_tPvRmT1_T2_T3_mT4_P12ihipStream_tbEUlT_E1_NS1_11comp_targetILNS1_3genE0ELNS1_11target_archE4294967295ELNS1_3gpuE0ELNS1_3repE0EEENS1_30default_config_static_selectorELNS0_4arch9wavefront6targetE1EEEvSF_.uses_vcc, 0
	.set _ZN7rocprim17ROCPRIM_400000_NS6detail17trampoline_kernelINS0_14default_configENS1_22reduce_config_selectorIlEEZNS1_11reduce_implILb1ES3_PlS7_lN6thrust23THRUST_200600_302600_NS4plusIlEEEE10hipError_tPvRmT1_T2_T3_mT4_P12ihipStream_tbEUlT_E1_NS1_11comp_targetILNS1_3genE0ELNS1_11target_archE4294967295ELNS1_3gpuE0ELNS1_3repE0EEENS1_30default_config_static_selectorELNS0_4arch9wavefront6targetE1EEEvSF_.uses_flat_scratch, 0
	.set _ZN7rocprim17ROCPRIM_400000_NS6detail17trampoline_kernelINS0_14default_configENS1_22reduce_config_selectorIlEEZNS1_11reduce_implILb1ES3_PlS7_lN6thrust23THRUST_200600_302600_NS4plusIlEEEE10hipError_tPvRmT1_T2_T3_mT4_P12ihipStream_tbEUlT_E1_NS1_11comp_targetILNS1_3genE0ELNS1_11target_archE4294967295ELNS1_3gpuE0ELNS1_3repE0EEENS1_30default_config_static_selectorELNS0_4arch9wavefront6targetE1EEEvSF_.has_dyn_sized_stack, 0
	.set _ZN7rocprim17ROCPRIM_400000_NS6detail17trampoline_kernelINS0_14default_configENS1_22reduce_config_selectorIlEEZNS1_11reduce_implILb1ES3_PlS7_lN6thrust23THRUST_200600_302600_NS4plusIlEEEE10hipError_tPvRmT1_T2_T3_mT4_P12ihipStream_tbEUlT_E1_NS1_11comp_targetILNS1_3genE0ELNS1_11target_archE4294967295ELNS1_3gpuE0ELNS1_3repE0EEENS1_30default_config_static_selectorELNS0_4arch9wavefront6targetE1EEEvSF_.has_recursion, 0
	.set _ZN7rocprim17ROCPRIM_400000_NS6detail17trampoline_kernelINS0_14default_configENS1_22reduce_config_selectorIlEEZNS1_11reduce_implILb1ES3_PlS7_lN6thrust23THRUST_200600_302600_NS4plusIlEEEE10hipError_tPvRmT1_T2_T3_mT4_P12ihipStream_tbEUlT_E1_NS1_11comp_targetILNS1_3genE0ELNS1_11target_archE4294967295ELNS1_3gpuE0ELNS1_3repE0EEENS1_30default_config_static_selectorELNS0_4arch9wavefront6targetE1EEEvSF_.has_indirect_call, 0
	.section	.AMDGPU.csdata,"",@progbits
; Kernel info:
; codeLenInByte = 0
; TotalNumSgprs: 4
; NumVgprs: 0
; ScratchSize: 0
; MemoryBound: 0
; FloatMode: 240
; IeeeMode: 1
; LDSByteSize: 0 bytes/workgroup (compile time only)
; SGPRBlocks: 0
; VGPRBlocks: 0
; NumSGPRsForWavesPerEU: 4
; NumVGPRsForWavesPerEU: 1
; Occupancy: 10
; WaveLimiterHint : 0
; COMPUTE_PGM_RSRC2:SCRATCH_EN: 0
; COMPUTE_PGM_RSRC2:USER_SGPR: 6
; COMPUTE_PGM_RSRC2:TRAP_HANDLER: 0
; COMPUTE_PGM_RSRC2:TGID_X_EN: 1
; COMPUTE_PGM_RSRC2:TGID_Y_EN: 0
; COMPUTE_PGM_RSRC2:TGID_Z_EN: 0
; COMPUTE_PGM_RSRC2:TIDIG_COMP_CNT: 0
	.section	.text._ZN7rocprim17ROCPRIM_400000_NS6detail17trampoline_kernelINS0_14default_configENS1_22reduce_config_selectorIlEEZNS1_11reduce_implILb1ES3_PlS7_lN6thrust23THRUST_200600_302600_NS4plusIlEEEE10hipError_tPvRmT1_T2_T3_mT4_P12ihipStream_tbEUlT_E1_NS1_11comp_targetILNS1_3genE5ELNS1_11target_archE942ELNS1_3gpuE9ELNS1_3repE0EEENS1_30default_config_static_selectorELNS0_4arch9wavefront6targetE1EEEvSF_,"axG",@progbits,_ZN7rocprim17ROCPRIM_400000_NS6detail17trampoline_kernelINS0_14default_configENS1_22reduce_config_selectorIlEEZNS1_11reduce_implILb1ES3_PlS7_lN6thrust23THRUST_200600_302600_NS4plusIlEEEE10hipError_tPvRmT1_T2_T3_mT4_P12ihipStream_tbEUlT_E1_NS1_11comp_targetILNS1_3genE5ELNS1_11target_archE942ELNS1_3gpuE9ELNS1_3repE0EEENS1_30default_config_static_selectorELNS0_4arch9wavefront6targetE1EEEvSF_,comdat
	.protected	_ZN7rocprim17ROCPRIM_400000_NS6detail17trampoline_kernelINS0_14default_configENS1_22reduce_config_selectorIlEEZNS1_11reduce_implILb1ES3_PlS7_lN6thrust23THRUST_200600_302600_NS4plusIlEEEE10hipError_tPvRmT1_T2_T3_mT4_P12ihipStream_tbEUlT_E1_NS1_11comp_targetILNS1_3genE5ELNS1_11target_archE942ELNS1_3gpuE9ELNS1_3repE0EEENS1_30default_config_static_selectorELNS0_4arch9wavefront6targetE1EEEvSF_ ; -- Begin function _ZN7rocprim17ROCPRIM_400000_NS6detail17trampoline_kernelINS0_14default_configENS1_22reduce_config_selectorIlEEZNS1_11reduce_implILb1ES3_PlS7_lN6thrust23THRUST_200600_302600_NS4plusIlEEEE10hipError_tPvRmT1_T2_T3_mT4_P12ihipStream_tbEUlT_E1_NS1_11comp_targetILNS1_3genE5ELNS1_11target_archE942ELNS1_3gpuE9ELNS1_3repE0EEENS1_30default_config_static_selectorELNS0_4arch9wavefront6targetE1EEEvSF_
	.globl	_ZN7rocprim17ROCPRIM_400000_NS6detail17trampoline_kernelINS0_14default_configENS1_22reduce_config_selectorIlEEZNS1_11reduce_implILb1ES3_PlS7_lN6thrust23THRUST_200600_302600_NS4plusIlEEEE10hipError_tPvRmT1_T2_T3_mT4_P12ihipStream_tbEUlT_E1_NS1_11comp_targetILNS1_3genE5ELNS1_11target_archE942ELNS1_3gpuE9ELNS1_3repE0EEENS1_30default_config_static_selectorELNS0_4arch9wavefront6targetE1EEEvSF_
	.p2align	8
	.type	_ZN7rocprim17ROCPRIM_400000_NS6detail17trampoline_kernelINS0_14default_configENS1_22reduce_config_selectorIlEEZNS1_11reduce_implILb1ES3_PlS7_lN6thrust23THRUST_200600_302600_NS4plusIlEEEE10hipError_tPvRmT1_T2_T3_mT4_P12ihipStream_tbEUlT_E1_NS1_11comp_targetILNS1_3genE5ELNS1_11target_archE942ELNS1_3gpuE9ELNS1_3repE0EEENS1_30default_config_static_selectorELNS0_4arch9wavefront6targetE1EEEvSF_,@function
_ZN7rocprim17ROCPRIM_400000_NS6detail17trampoline_kernelINS0_14default_configENS1_22reduce_config_selectorIlEEZNS1_11reduce_implILb1ES3_PlS7_lN6thrust23THRUST_200600_302600_NS4plusIlEEEE10hipError_tPvRmT1_T2_T3_mT4_P12ihipStream_tbEUlT_E1_NS1_11comp_targetILNS1_3genE5ELNS1_11target_archE942ELNS1_3gpuE9ELNS1_3repE0EEENS1_30default_config_static_selectorELNS0_4arch9wavefront6targetE1EEEvSF_: ; @_ZN7rocprim17ROCPRIM_400000_NS6detail17trampoline_kernelINS0_14default_configENS1_22reduce_config_selectorIlEEZNS1_11reduce_implILb1ES3_PlS7_lN6thrust23THRUST_200600_302600_NS4plusIlEEEE10hipError_tPvRmT1_T2_T3_mT4_P12ihipStream_tbEUlT_E1_NS1_11comp_targetILNS1_3genE5ELNS1_11target_archE942ELNS1_3gpuE9ELNS1_3repE0EEENS1_30default_config_static_selectorELNS0_4arch9wavefront6targetE1EEEvSF_
; %bb.0:
	.section	.rodata,"a",@progbits
	.p2align	6, 0x0
	.amdhsa_kernel _ZN7rocprim17ROCPRIM_400000_NS6detail17trampoline_kernelINS0_14default_configENS1_22reduce_config_selectorIlEEZNS1_11reduce_implILb1ES3_PlS7_lN6thrust23THRUST_200600_302600_NS4plusIlEEEE10hipError_tPvRmT1_T2_T3_mT4_P12ihipStream_tbEUlT_E1_NS1_11comp_targetILNS1_3genE5ELNS1_11target_archE942ELNS1_3gpuE9ELNS1_3repE0EEENS1_30default_config_static_selectorELNS0_4arch9wavefront6targetE1EEEvSF_
		.amdhsa_group_segment_fixed_size 0
		.amdhsa_private_segment_fixed_size 0
		.amdhsa_kernarg_size 48
		.amdhsa_user_sgpr_count 6
		.amdhsa_user_sgpr_private_segment_buffer 1
		.amdhsa_user_sgpr_dispatch_ptr 0
		.amdhsa_user_sgpr_queue_ptr 0
		.amdhsa_user_sgpr_kernarg_segment_ptr 1
		.amdhsa_user_sgpr_dispatch_id 0
		.amdhsa_user_sgpr_flat_scratch_init 0
		.amdhsa_user_sgpr_private_segment_size 0
		.amdhsa_uses_dynamic_stack 0
		.amdhsa_system_sgpr_private_segment_wavefront_offset 0
		.amdhsa_system_sgpr_workgroup_id_x 1
		.amdhsa_system_sgpr_workgroup_id_y 0
		.amdhsa_system_sgpr_workgroup_id_z 0
		.amdhsa_system_sgpr_workgroup_info 0
		.amdhsa_system_vgpr_workitem_id 0
		.amdhsa_next_free_vgpr 1
		.amdhsa_next_free_sgpr 0
		.amdhsa_reserve_vcc 0
		.amdhsa_reserve_flat_scratch 0
		.amdhsa_float_round_mode_32 0
		.amdhsa_float_round_mode_16_64 0
		.amdhsa_float_denorm_mode_32 3
		.amdhsa_float_denorm_mode_16_64 3
		.amdhsa_dx10_clamp 1
		.amdhsa_ieee_mode 1
		.amdhsa_fp16_overflow 0
		.amdhsa_exception_fp_ieee_invalid_op 0
		.amdhsa_exception_fp_denorm_src 0
		.amdhsa_exception_fp_ieee_div_zero 0
		.amdhsa_exception_fp_ieee_overflow 0
		.amdhsa_exception_fp_ieee_underflow 0
		.amdhsa_exception_fp_ieee_inexact 0
		.amdhsa_exception_int_div_zero 0
	.end_amdhsa_kernel
	.section	.text._ZN7rocprim17ROCPRIM_400000_NS6detail17trampoline_kernelINS0_14default_configENS1_22reduce_config_selectorIlEEZNS1_11reduce_implILb1ES3_PlS7_lN6thrust23THRUST_200600_302600_NS4plusIlEEEE10hipError_tPvRmT1_T2_T3_mT4_P12ihipStream_tbEUlT_E1_NS1_11comp_targetILNS1_3genE5ELNS1_11target_archE942ELNS1_3gpuE9ELNS1_3repE0EEENS1_30default_config_static_selectorELNS0_4arch9wavefront6targetE1EEEvSF_,"axG",@progbits,_ZN7rocprim17ROCPRIM_400000_NS6detail17trampoline_kernelINS0_14default_configENS1_22reduce_config_selectorIlEEZNS1_11reduce_implILb1ES3_PlS7_lN6thrust23THRUST_200600_302600_NS4plusIlEEEE10hipError_tPvRmT1_T2_T3_mT4_P12ihipStream_tbEUlT_E1_NS1_11comp_targetILNS1_3genE5ELNS1_11target_archE942ELNS1_3gpuE9ELNS1_3repE0EEENS1_30default_config_static_selectorELNS0_4arch9wavefront6targetE1EEEvSF_,comdat
.Lfunc_end735:
	.size	_ZN7rocprim17ROCPRIM_400000_NS6detail17trampoline_kernelINS0_14default_configENS1_22reduce_config_selectorIlEEZNS1_11reduce_implILb1ES3_PlS7_lN6thrust23THRUST_200600_302600_NS4plusIlEEEE10hipError_tPvRmT1_T2_T3_mT4_P12ihipStream_tbEUlT_E1_NS1_11comp_targetILNS1_3genE5ELNS1_11target_archE942ELNS1_3gpuE9ELNS1_3repE0EEENS1_30default_config_static_selectorELNS0_4arch9wavefront6targetE1EEEvSF_, .Lfunc_end735-_ZN7rocprim17ROCPRIM_400000_NS6detail17trampoline_kernelINS0_14default_configENS1_22reduce_config_selectorIlEEZNS1_11reduce_implILb1ES3_PlS7_lN6thrust23THRUST_200600_302600_NS4plusIlEEEE10hipError_tPvRmT1_T2_T3_mT4_P12ihipStream_tbEUlT_E1_NS1_11comp_targetILNS1_3genE5ELNS1_11target_archE942ELNS1_3gpuE9ELNS1_3repE0EEENS1_30default_config_static_selectorELNS0_4arch9wavefront6targetE1EEEvSF_
                                        ; -- End function
	.set _ZN7rocprim17ROCPRIM_400000_NS6detail17trampoline_kernelINS0_14default_configENS1_22reduce_config_selectorIlEEZNS1_11reduce_implILb1ES3_PlS7_lN6thrust23THRUST_200600_302600_NS4plusIlEEEE10hipError_tPvRmT1_T2_T3_mT4_P12ihipStream_tbEUlT_E1_NS1_11comp_targetILNS1_3genE5ELNS1_11target_archE942ELNS1_3gpuE9ELNS1_3repE0EEENS1_30default_config_static_selectorELNS0_4arch9wavefront6targetE1EEEvSF_.num_vgpr, 0
	.set _ZN7rocprim17ROCPRIM_400000_NS6detail17trampoline_kernelINS0_14default_configENS1_22reduce_config_selectorIlEEZNS1_11reduce_implILb1ES3_PlS7_lN6thrust23THRUST_200600_302600_NS4plusIlEEEE10hipError_tPvRmT1_T2_T3_mT4_P12ihipStream_tbEUlT_E1_NS1_11comp_targetILNS1_3genE5ELNS1_11target_archE942ELNS1_3gpuE9ELNS1_3repE0EEENS1_30default_config_static_selectorELNS0_4arch9wavefront6targetE1EEEvSF_.num_agpr, 0
	.set _ZN7rocprim17ROCPRIM_400000_NS6detail17trampoline_kernelINS0_14default_configENS1_22reduce_config_selectorIlEEZNS1_11reduce_implILb1ES3_PlS7_lN6thrust23THRUST_200600_302600_NS4plusIlEEEE10hipError_tPvRmT1_T2_T3_mT4_P12ihipStream_tbEUlT_E1_NS1_11comp_targetILNS1_3genE5ELNS1_11target_archE942ELNS1_3gpuE9ELNS1_3repE0EEENS1_30default_config_static_selectorELNS0_4arch9wavefront6targetE1EEEvSF_.numbered_sgpr, 0
	.set _ZN7rocprim17ROCPRIM_400000_NS6detail17trampoline_kernelINS0_14default_configENS1_22reduce_config_selectorIlEEZNS1_11reduce_implILb1ES3_PlS7_lN6thrust23THRUST_200600_302600_NS4plusIlEEEE10hipError_tPvRmT1_T2_T3_mT4_P12ihipStream_tbEUlT_E1_NS1_11comp_targetILNS1_3genE5ELNS1_11target_archE942ELNS1_3gpuE9ELNS1_3repE0EEENS1_30default_config_static_selectorELNS0_4arch9wavefront6targetE1EEEvSF_.num_named_barrier, 0
	.set _ZN7rocprim17ROCPRIM_400000_NS6detail17trampoline_kernelINS0_14default_configENS1_22reduce_config_selectorIlEEZNS1_11reduce_implILb1ES3_PlS7_lN6thrust23THRUST_200600_302600_NS4plusIlEEEE10hipError_tPvRmT1_T2_T3_mT4_P12ihipStream_tbEUlT_E1_NS1_11comp_targetILNS1_3genE5ELNS1_11target_archE942ELNS1_3gpuE9ELNS1_3repE0EEENS1_30default_config_static_selectorELNS0_4arch9wavefront6targetE1EEEvSF_.private_seg_size, 0
	.set _ZN7rocprim17ROCPRIM_400000_NS6detail17trampoline_kernelINS0_14default_configENS1_22reduce_config_selectorIlEEZNS1_11reduce_implILb1ES3_PlS7_lN6thrust23THRUST_200600_302600_NS4plusIlEEEE10hipError_tPvRmT1_T2_T3_mT4_P12ihipStream_tbEUlT_E1_NS1_11comp_targetILNS1_3genE5ELNS1_11target_archE942ELNS1_3gpuE9ELNS1_3repE0EEENS1_30default_config_static_selectorELNS0_4arch9wavefront6targetE1EEEvSF_.uses_vcc, 0
	.set _ZN7rocprim17ROCPRIM_400000_NS6detail17trampoline_kernelINS0_14default_configENS1_22reduce_config_selectorIlEEZNS1_11reduce_implILb1ES3_PlS7_lN6thrust23THRUST_200600_302600_NS4plusIlEEEE10hipError_tPvRmT1_T2_T3_mT4_P12ihipStream_tbEUlT_E1_NS1_11comp_targetILNS1_3genE5ELNS1_11target_archE942ELNS1_3gpuE9ELNS1_3repE0EEENS1_30default_config_static_selectorELNS0_4arch9wavefront6targetE1EEEvSF_.uses_flat_scratch, 0
	.set _ZN7rocprim17ROCPRIM_400000_NS6detail17trampoline_kernelINS0_14default_configENS1_22reduce_config_selectorIlEEZNS1_11reduce_implILb1ES3_PlS7_lN6thrust23THRUST_200600_302600_NS4plusIlEEEE10hipError_tPvRmT1_T2_T3_mT4_P12ihipStream_tbEUlT_E1_NS1_11comp_targetILNS1_3genE5ELNS1_11target_archE942ELNS1_3gpuE9ELNS1_3repE0EEENS1_30default_config_static_selectorELNS0_4arch9wavefront6targetE1EEEvSF_.has_dyn_sized_stack, 0
	.set _ZN7rocprim17ROCPRIM_400000_NS6detail17trampoline_kernelINS0_14default_configENS1_22reduce_config_selectorIlEEZNS1_11reduce_implILb1ES3_PlS7_lN6thrust23THRUST_200600_302600_NS4plusIlEEEE10hipError_tPvRmT1_T2_T3_mT4_P12ihipStream_tbEUlT_E1_NS1_11comp_targetILNS1_3genE5ELNS1_11target_archE942ELNS1_3gpuE9ELNS1_3repE0EEENS1_30default_config_static_selectorELNS0_4arch9wavefront6targetE1EEEvSF_.has_recursion, 0
	.set _ZN7rocprim17ROCPRIM_400000_NS6detail17trampoline_kernelINS0_14default_configENS1_22reduce_config_selectorIlEEZNS1_11reduce_implILb1ES3_PlS7_lN6thrust23THRUST_200600_302600_NS4plusIlEEEE10hipError_tPvRmT1_T2_T3_mT4_P12ihipStream_tbEUlT_E1_NS1_11comp_targetILNS1_3genE5ELNS1_11target_archE942ELNS1_3gpuE9ELNS1_3repE0EEENS1_30default_config_static_selectorELNS0_4arch9wavefront6targetE1EEEvSF_.has_indirect_call, 0
	.section	.AMDGPU.csdata,"",@progbits
; Kernel info:
; codeLenInByte = 0
; TotalNumSgprs: 4
; NumVgprs: 0
; ScratchSize: 0
; MemoryBound: 0
; FloatMode: 240
; IeeeMode: 1
; LDSByteSize: 0 bytes/workgroup (compile time only)
; SGPRBlocks: 0
; VGPRBlocks: 0
; NumSGPRsForWavesPerEU: 4
; NumVGPRsForWavesPerEU: 1
; Occupancy: 10
; WaveLimiterHint : 0
; COMPUTE_PGM_RSRC2:SCRATCH_EN: 0
; COMPUTE_PGM_RSRC2:USER_SGPR: 6
; COMPUTE_PGM_RSRC2:TRAP_HANDLER: 0
; COMPUTE_PGM_RSRC2:TGID_X_EN: 1
; COMPUTE_PGM_RSRC2:TGID_Y_EN: 0
; COMPUTE_PGM_RSRC2:TGID_Z_EN: 0
; COMPUTE_PGM_RSRC2:TIDIG_COMP_CNT: 0
	.section	.text._ZN7rocprim17ROCPRIM_400000_NS6detail17trampoline_kernelINS0_14default_configENS1_22reduce_config_selectorIlEEZNS1_11reduce_implILb1ES3_PlS7_lN6thrust23THRUST_200600_302600_NS4plusIlEEEE10hipError_tPvRmT1_T2_T3_mT4_P12ihipStream_tbEUlT_E1_NS1_11comp_targetILNS1_3genE4ELNS1_11target_archE910ELNS1_3gpuE8ELNS1_3repE0EEENS1_30default_config_static_selectorELNS0_4arch9wavefront6targetE1EEEvSF_,"axG",@progbits,_ZN7rocprim17ROCPRIM_400000_NS6detail17trampoline_kernelINS0_14default_configENS1_22reduce_config_selectorIlEEZNS1_11reduce_implILb1ES3_PlS7_lN6thrust23THRUST_200600_302600_NS4plusIlEEEE10hipError_tPvRmT1_T2_T3_mT4_P12ihipStream_tbEUlT_E1_NS1_11comp_targetILNS1_3genE4ELNS1_11target_archE910ELNS1_3gpuE8ELNS1_3repE0EEENS1_30default_config_static_selectorELNS0_4arch9wavefront6targetE1EEEvSF_,comdat
	.protected	_ZN7rocprim17ROCPRIM_400000_NS6detail17trampoline_kernelINS0_14default_configENS1_22reduce_config_selectorIlEEZNS1_11reduce_implILb1ES3_PlS7_lN6thrust23THRUST_200600_302600_NS4plusIlEEEE10hipError_tPvRmT1_T2_T3_mT4_P12ihipStream_tbEUlT_E1_NS1_11comp_targetILNS1_3genE4ELNS1_11target_archE910ELNS1_3gpuE8ELNS1_3repE0EEENS1_30default_config_static_selectorELNS0_4arch9wavefront6targetE1EEEvSF_ ; -- Begin function _ZN7rocprim17ROCPRIM_400000_NS6detail17trampoline_kernelINS0_14default_configENS1_22reduce_config_selectorIlEEZNS1_11reduce_implILb1ES3_PlS7_lN6thrust23THRUST_200600_302600_NS4plusIlEEEE10hipError_tPvRmT1_T2_T3_mT4_P12ihipStream_tbEUlT_E1_NS1_11comp_targetILNS1_3genE4ELNS1_11target_archE910ELNS1_3gpuE8ELNS1_3repE0EEENS1_30default_config_static_selectorELNS0_4arch9wavefront6targetE1EEEvSF_
	.globl	_ZN7rocprim17ROCPRIM_400000_NS6detail17trampoline_kernelINS0_14default_configENS1_22reduce_config_selectorIlEEZNS1_11reduce_implILb1ES3_PlS7_lN6thrust23THRUST_200600_302600_NS4plusIlEEEE10hipError_tPvRmT1_T2_T3_mT4_P12ihipStream_tbEUlT_E1_NS1_11comp_targetILNS1_3genE4ELNS1_11target_archE910ELNS1_3gpuE8ELNS1_3repE0EEENS1_30default_config_static_selectorELNS0_4arch9wavefront6targetE1EEEvSF_
	.p2align	8
	.type	_ZN7rocprim17ROCPRIM_400000_NS6detail17trampoline_kernelINS0_14default_configENS1_22reduce_config_selectorIlEEZNS1_11reduce_implILb1ES3_PlS7_lN6thrust23THRUST_200600_302600_NS4plusIlEEEE10hipError_tPvRmT1_T2_T3_mT4_P12ihipStream_tbEUlT_E1_NS1_11comp_targetILNS1_3genE4ELNS1_11target_archE910ELNS1_3gpuE8ELNS1_3repE0EEENS1_30default_config_static_selectorELNS0_4arch9wavefront6targetE1EEEvSF_,@function
_ZN7rocprim17ROCPRIM_400000_NS6detail17trampoline_kernelINS0_14default_configENS1_22reduce_config_selectorIlEEZNS1_11reduce_implILb1ES3_PlS7_lN6thrust23THRUST_200600_302600_NS4plusIlEEEE10hipError_tPvRmT1_T2_T3_mT4_P12ihipStream_tbEUlT_E1_NS1_11comp_targetILNS1_3genE4ELNS1_11target_archE910ELNS1_3gpuE8ELNS1_3repE0EEENS1_30default_config_static_selectorELNS0_4arch9wavefront6targetE1EEEvSF_: ; @_ZN7rocprim17ROCPRIM_400000_NS6detail17trampoline_kernelINS0_14default_configENS1_22reduce_config_selectorIlEEZNS1_11reduce_implILb1ES3_PlS7_lN6thrust23THRUST_200600_302600_NS4plusIlEEEE10hipError_tPvRmT1_T2_T3_mT4_P12ihipStream_tbEUlT_E1_NS1_11comp_targetILNS1_3genE4ELNS1_11target_archE910ELNS1_3gpuE8ELNS1_3repE0EEENS1_30default_config_static_selectorELNS0_4arch9wavefront6targetE1EEEvSF_
; %bb.0:
	.section	.rodata,"a",@progbits
	.p2align	6, 0x0
	.amdhsa_kernel _ZN7rocprim17ROCPRIM_400000_NS6detail17trampoline_kernelINS0_14default_configENS1_22reduce_config_selectorIlEEZNS1_11reduce_implILb1ES3_PlS7_lN6thrust23THRUST_200600_302600_NS4plusIlEEEE10hipError_tPvRmT1_T2_T3_mT4_P12ihipStream_tbEUlT_E1_NS1_11comp_targetILNS1_3genE4ELNS1_11target_archE910ELNS1_3gpuE8ELNS1_3repE0EEENS1_30default_config_static_selectorELNS0_4arch9wavefront6targetE1EEEvSF_
		.amdhsa_group_segment_fixed_size 0
		.amdhsa_private_segment_fixed_size 0
		.amdhsa_kernarg_size 48
		.amdhsa_user_sgpr_count 6
		.amdhsa_user_sgpr_private_segment_buffer 1
		.amdhsa_user_sgpr_dispatch_ptr 0
		.amdhsa_user_sgpr_queue_ptr 0
		.amdhsa_user_sgpr_kernarg_segment_ptr 1
		.amdhsa_user_sgpr_dispatch_id 0
		.amdhsa_user_sgpr_flat_scratch_init 0
		.amdhsa_user_sgpr_private_segment_size 0
		.amdhsa_uses_dynamic_stack 0
		.amdhsa_system_sgpr_private_segment_wavefront_offset 0
		.amdhsa_system_sgpr_workgroup_id_x 1
		.amdhsa_system_sgpr_workgroup_id_y 0
		.amdhsa_system_sgpr_workgroup_id_z 0
		.amdhsa_system_sgpr_workgroup_info 0
		.amdhsa_system_vgpr_workitem_id 0
		.amdhsa_next_free_vgpr 1
		.amdhsa_next_free_sgpr 0
		.amdhsa_reserve_vcc 0
		.amdhsa_reserve_flat_scratch 0
		.amdhsa_float_round_mode_32 0
		.amdhsa_float_round_mode_16_64 0
		.amdhsa_float_denorm_mode_32 3
		.amdhsa_float_denorm_mode_16_64 3
		.amdhsa_dx10_clamp 1
		.amdhsa_ieee_mode 1
		.amdhsa_fp16_overflow 0
		.amdhsa_exception_fp_ieee_invalid_op 0
		.amdhsa_exception_fp_denorm_src 0
		.amdhsa_exception_fp_ieee_div_zero 0
		.amdhsa_exception_fp_ieee_overflow 0
		.amdhsa_exception_fp_ieee_underflow 0
		.amdhsa_exception_fp_ieee_inexact 0
		.amdhsa_exception_int_div_zero 0
	.end_amdhsa_kernel
	.section	.text._ZN7rocprim17ROCPRIM_400000_NS6detail17trampoline_kernelINS0_14default_configENS1_22reduce_config_selectorIlEEZNS1_11reduce_implILb1ES3_PlS7_lN6thrust23THRUST_200600_302600_NS4plusIlEEEE10hipError_tPvRmT1_T2_T3_mT4_P12ihipStream_tbEUlT_E1_NS1_11comp_targetILNS1_3genE4ELNS1_11target_archE910ELNS1_3gpuE8ELNS1_3repE0EEENS1_30default_config_static_selectorELNS0_4arch9wavefront6targetE1EEEvSF_,"axG",@progbits,_ZN7rocprim17ROCPRIM_400000_NS6detail17trampoline_kernelINS0_14default_configENS1_22reduce_config_selectorIlEEZNS1_11reduce_implILb1ES3_PlS7_lN6thrust23THRUST_200600_302600_NS4plusIlEEEE10hipError_tPvRmT1_T2_T3_mT4_P12ihipStream_tbEUlT_E1_NS1_11comp_targetILNS1_3genE4ELNS1_11target_archE910ELNS1_3gpuE8ELNS1_3repE0EEENS1_30default_config_static_selectorELNS0_4arch9wavefront6targetE1EEEvSF_,comdat
.Lfunc_end736:
	.size	_ZN7rocprim17ROCPRIM_400000_NS6detail17trampoline_kernelINS0_14default_configENS1_22reduce_config_selectorIlEEZNS1_11reduce_implILb1ES3_PlS7_lN6thrust23THRUST_200600_302600_NS4plusIlEEEE10hipError_tPvRmT1_T2_T3_mT4_P12ihipStream_tbEUlT_E1_NS1_11comp_targetILNS1_3genE4ELNS1_11target_archE910ELNS1_3gpuE8ELNS1_3repE0EEENS1_30default_config_static_selectorELNS0_4arch9wavefront6targetE1EEEvSF_, .Lfunc_end736-_ZN7rocprim17ROCPRIM_400000_NS6detail17trampoline_kernelINS0_14default_configENS1_22reduce_config_selectorIlEEZNS1_11reduce_implILb1ES3_PlS7_lN6thrust23THRUST_200600_302600_NS4plusIlEEEE10hipError_tPvRmT1_T2_T3_mT4_P12ihipStream_tbEUlT_E1_NS1_11comp_targetILNS1_3genE4ELNS1_11target_archE910ELNS1_3gpuE8ELNS1_3repE0EEENS1_30default_config_static_selectorELNS0_4arch9wavefront6targetE1EEEvSF_
                                        ; -- End function
	.set _ZN7rocprim17ROCPRIM_400000_NS6detail17trampoline_kernelINS0_14default_configENS1_22reduce_config_selectorIlEEZNS1_11reduce_implILb1ES3_PlS7_lN6thrust23THRUST_200600_302600_NS4plusIlEEEE10hipError_tPvRmT1_T2_T3_mT4_P12ihipStream_tbEUlT_E1_NS1_11comp_targetILNS1_3genE4ELNS1_11target_archE910ELNS1_3gpuE8ELNS1_3repE0EEENS1_30default_config_static_selectorELNS0_4arch9wavefront6targetE1EEEvSF_.num_vgpr, 0
	.set _ZN7rocprim17ROCPRIM_400000_NS6detail17trampoline_kernelINS0_14default_configENS1_22reduce_config_selectorIlEEZNS1_11reduce_implILb1ES3_PlS7_lN6thrust23THRUST_200600_302600_NS4plusIlEEEE10hipError_tPvRmT1_T2_T3_mT4_P12ihipStream_tbEUlT_E1_NS1_11comp_targetILNS1_3genE4ELNS1_11target_archE910ELNS1_3gpuE8ELNS1_3repE0EEENS1_30default_config_static_selectorELNS0_4arch9wavefront6targetE1EEEvSF_.num_agpr, 0
	.set _ZN7rocprim17ROCPRIM_400000_NS6detail17trampoline_kernelINS0_14default_configENS1_22reduce_config_selectorIlEEZNS1_11reduce_implILb1ES3_PlS7_lN6thrust23THRUST_200600_302600_NS4plusIlEEEE10hipError_tPvRmT1_T2_T3_mT4_P12ihipStream_tbEUlT_E1_NS1_11comp_targetILNS1_3genE4ELNS1_11target_archE910ELNS1_3gpuE8ELNS1_3repE0EEENS1_30default_config_static_selectorELNS0_4arch9wavefront6targetE1EEEvSF_.numbered_sgpr, 0
	.set _ZN7rocprim17ROCPRIM_400000_NS6detail17trampoline_kernelINS0_14default_configENS1_22reduce_config_selectorIlEEZNS1_11reduce_implILb1ES3_PlS7_lN6thrust23THRUST_200600_302600_NS4plusIlEEEE10hipError_tPvRmT1_T2_T3_mT4_P12ihipStream_tbEUlT_E1_NS1_11comp_targetILNS1_3genE4ELNS1_11target_archE910ELNS1_3gpuE8ELNS1_3repE0EEENS1_30default_config_static_selectorELNS0_4arch9wavefront6targetE1EEEvSF_.num_named_barrier, 0
	.set _ZN7rocprim17ROCPRIM_400000_NS6detail17trampoline_kernelINS0_14default_configENS1_22reduce_config_selectorIlEEZNS1_11reduce_implILb1ES3_PlS7_lN6thrust23THRUST_200600_302600_NS4plusIlEEEE10hipError_tPvRmT1_T2_T3_mT4_P12ihipStream_tbEUlT_E1_NS1_11comp_targetILNS1_3genE4ELNS1_11target_archE910ELNS1_3gpuE8ELNS1_3repE0EEENS1_30default_config_static_selectorELNS0_4arch9wavefront6targetE1EEEvSF_.private_seg_size, 0
	.set _ZN7rocprim17ROCPRIM_400000_NS6detail17trampoline_kernelINS0_14default_configENS1_22reduce_config_selectorIlEEZNS1_11reduce_implILb1ES3_PlS7_lN6thrust23THRUST_200600_302600_NS4plusIlEEEE10hipError_tPvRmT1_T2_T3_mT4_P12ihipStream_tbEUlT_E1_NS1_11comp_targetILNS1_3genE4ELNS1_11target_archE910ELNS1_3gpuE8ELNS1_3repE0EEENS1_30default_config_static_selectorELNS0_4arch9wavefront6targetE1EEEvSF_.uses_vcc, 0
	.set _ZN7rocprim17ROCPRIM_400000_NS6detail17trampoline_kernelINS0_14default_configENS1_22reduce_config_selectorIlEEZNS1_11reduce_implILb1ES3_PlS7_lN6thrust23THRUST_200600_302600_NS4plusIlEEEE10hipError_tPvRmT1_T2_T3_mT4_P12ihipStream_tbEUlT_E1_NS1_11comp_targetILNS1_3genE4ELNS1_11target_archE910ELNS1_3gpuE8ELNS1_3repE0EEENS1_30default_config_static_selectorELNS0_4arch9wavefront6targetE1EEEvSF_.uses_flat_scratch, 0
	.set _ZN7rocprim17ROCPRIM_400000_NS6detail17trampoline_kernelINS0_14default_configENS1_22reduce_config_selectorIlEEZNS1_11reduce_implILb1ES3_PlS7_lN6thrust23THRUST_200600_302600_NS4plusIlEEEE10hipError_tPvRmT1_T2_T3_mT4_P12ihipStream_tbEUlT_E1_NS1_11comp_targetILNS1_3genE4ELNS1_11target_archE910ELNS1_3gpuE8ELNS1_3repE0EEENS1_30default_config_static_selectorELNS0_4arch9wavefront6targetE1EEEvSF_.has_dyn_sized_stack, 0
	.set _ZN7rocprim17ROCPRIM_400000_NS6detail17trampoline_kernelINS0_14default_configENS1_22reduce_config_selectorIlEEZNS1_11reduce_implILb1ES3_PlS7_lN6thrust23THRUST_200600_302600_NS4plusIlEEEE10hipError_tPvRmT1_T2_T3_mT4_P12ihipStream_tbEUlT_E1_NS1_11comp_targetILNS1_3genE4ELNS1_11target_archE910ELNS1_3gpuE8ELNS1_3repE0EEENS1_30default_config_static_selectorELNS0_4arch9wavefront6targetE1EEEvSF_.has_recursion, 0
	.set _ZN7rocprim17ROCPRIM_400000_NS6detail17trampoline_kernelINS0_14default_configENS1_22reduce_config_selectorIlEEZNS1_11reduce_implILb1ES3_PlS7_lN6thrust23THRUST_200600_302600_NS4plusIlEEEE10hipError_tPvRmT1_T2_T3_mT4_P12ihipStream_tbEUlT_E1_NS1_11comp_targetILNS1_3genE4ELNS1_11target_archE910ELNS1_3gpuE8ELNS1_3repE0EEENS1_30default_config_static_selectorELNS0_4arch9wavefront6targetE1EEEvSF_.has_indirect_call, 0
	.section	.AMDGPU.csdata,"",@progbits
; Kernel info:
; codeLenInByte = 0
; TotalNumSgprs: 4
; NumVgprs: 0
; ScratchSize: 0
; MemoryBound: 0
; FloatMode: 240
; IeeeMode: 1
; LDSByteSize: 0 bytes/workgroup (compile time only)
; SGPRBlocks: 0
; VGPRBlocks: 0
; NumSGPRsForWavesPerEU: 4
; NumVGPRsForWavesPerEU: 1
; Occupancy: 10
; WaveLimiterHint : 0
; COMPUTE_PGM_RSRC2:SCRATCH_EN: 0
; COMPUTE_PGM_RSRC2:USER_SGPR: 6
; COMPUTE_PGM_RSRC2:TRAP_HANDLER: 0
; COMPUTE_PGM_RSRC2:TGID_X_EN: 1
; COMPUTE_PGM_RSRC2:TGID_Y_EN: 0
; COMPUTE_PGM_RSRC2:TGID_Z_EN: 0
; COMPUTE_PGM_RSRC2:TIDIG_COMP_CNT: 0
	.section	.text._ZN7rocprim17ROCPRIM_400000_NS6detail17trampoline_kernelINS0_14default_configENS1_22reduce_config_selectorIlEEZNS1_11reduce_implILb1ES3_PlS7_lN6thrust23THRUST_200600_302600_NS4plusIlEEEE10hipError_tPvRmT1_T2_T3_mT4_P12ihipStream_tbEUlT_E1_NS1_11comp_targetILNS1_3genE3ELNS1_11target_archE908ELNS1_3gpuE7ELNS1_3repE0EEENS1_30default_config_static_selectorELNS0_4arch9wavefront6targetE1EEEvSF_,"axG",@progbits,_ZN7rocprim17ROCPRIM_400000_NS6detail17trampoline_kernelINS0_14default_configENS1_22reduce_config_selectorIlEEZNS1_11reduce_implILb1ES3_PlS7_lN6thrust23THRUST_200600_302600_NS4plusIlEEEE10hipError_tPvRmT1_T2_T3_mT4_P12ihipStream_tbEUlT_E1_NS1_11comp_targetILNS1_3genE3ELNS1_11target_archE908ELNS1_3gpuE7ELNS1_3repE0EEENS1_30default_config_static_selectorELNS0_4arch9wavefront6targetE1EEEvSF_,comdat
	.protected	_ZN7rocprim17ROCPRIM_400000_NS6detail17trampoline_kernelINS0_14default_configENS1_22reduce_config_selectorIlEEZNS1_11reduce_implILb1ES3_PlS7_lN6thrust23THRUST_200600_302600_NS4plusIlEEEE10hipError_tPvRmT1_T2_T3_mT4_P12ihipStream_tbEUlT_E1_NS1_11comp_targetILNS1_3genE3ELNS1_11target_archE908ELNS1_3gpuE7ELNS1_3repE0EEENS1_30default_config_static_selectorELNS0_4arch9wavefront6targetE1EEEvSF_ ; -- Begin function _ZN7rocprim17ROCPRIM_400000_NS6detail17trampoline_kernelINS0_14default_configENS1_22reduce_config_selectorIlEEZNS1_11reduce_implILb1ES3_PlS7_lN6thrust23THRUST_200600_302600_NS4plusIlEEEE10hipError_tPvRmT1_T2_T3_mT4_P12ihipStream_tbEUlT_E1_NS1_11comp_targetILNS1_3genE3ELNS1_11target_archE908ELNS1_3gpuE7ELNS1_3repE0EEENS1_30default_config_static_selectorELNS0_4arch9wavefront6targetE1EEEvSF_
	.globl	_ZN7rocprim17ROCPRIM_400000_NS6detail17trampoline_kernelINS0_14default_configENS1_22reduce_config_selectorIlEEZNS1_11reduce_implILb1ES3_PlS7_lN6thrust23THRUST_200600_302600_NS4plusIlEEEE10hipError_tPvRmT1_T2_T3_mT4_P12ihipStream_tbEUlT_E1_NS1_11comp_targetILNS1_3genE3ELNS1_11target_archE908ELNS1_3gpuE7ELNS1_3repE0EEENS1_30default_config_static_selectorELNS0_4arch9wavefront6targetE1EEEvSF_
	.p2align	8
	.type	_ZN7rocprim17ROCPRIM_400000_NS6detail17trampoline_kernelINS0_14default_configENS1_22reduce_config_selectorIlEEZNS1_11reduce_implILb1ES3_PlS7_lN6thrust23THRUST_200600_302600_NS4plusIlEEEE10hipError_tPvRmT1_T2_T3_mT4_P12ihipStream_tbEUlT_E1_NS1_11comp_targetILNS1_3genE3ELNS1_11target_archE908ELNS1_3gpuE7ELNS1_3repE0EEENS1_30default_config_static_selectorELNS0_4arch9wavefront6targetE1EEEvSF_,@function
_ZN7rocprim17ROCPRIM_400000_NS6detail17trampoline_kernelINS0_14default_configENS1_22reduce_config_selectorIlEEZNS1_11reduce_implILb1ES3_PlS7_lN6thrust23THRUST_200600_302600_NS4plusIlEEEE10hipError_tPvRmT1_T2_T3_mT4_P12ihipStream_tbEUlT_E1_NS1_11comp_targetILNS1_3genE3ELNS1_11target_archE908ELNS1_3gpuE7ELNS1_3repE0EEENS1_30default_config_static_selectorELNS0_4arch9wavefront6targetE1EEEvSF_: ; @_ZN7rocprim17ROCPRIM_400000_NS6detail17trampoline_kernelINS0_14default_configENS1_22reduce_config_selectorIlEEZNS1_11reduce_implILb1ES3_PlS7_lN6thrust23THRUST_200600_302600_NS4plusIlEEEE10hipError_tPvRmT1_T2_T3_mT4_P12ihipStream_tbEUlT_E1_NS1_11comp_targetILNS1_3genE3ELNS1_11target_archE908ELNS1_3gpuE7ELNS1_3repE0EEENS1_30default_config_static_selectorELNS0_4arch9wavefront6targetE1EEEvSF_
; %bb.0:
	.section	.rodata,"a",@progbits
	.p2align	6, 0x0
	.amdhsa_kernel _ZN7rocprim17ROCPRIM_400000_NS6detail17trampoline_kernelINS0_14default_configENS1_22reduce_config_selectorIlEEZNS1_11reduce_implILb1ES3_PlS7_lN6thrust23THRUST_200600_302600_NS4plusIlEEEE10hipError_tPvRmT1_T2_T3_mT4_P12ihipStream_tbEUlT_E1_NS1_11comp_targetILNS1_3genE3ELNS1_11target_archE908ELNS1_3gpuE7ELNS1_3repE0EEENS1_30default_config_static_selectorELNS0_4arch9wavefront6targetE1EEEvSF_
		.amdhsa_group_segment_fixed_size 0
		.amdhsa_private_segment_fixed_size 0
		.amdhsa_kernarg_size 48
		.amdhsa_user_sgpr_count 6
		.amdhsa_user_sgpr_private_segment_buffer 1
		.amdhsa_user_sgpr_dispatch_ptr 0
		.amdhsa_user_sgpr_queue_ptr 0
		.amdhsa_user_sgpr_kernarg_segment_ptr 1
		.amdhsa_user_sgpr_dispatch_id 0
		.amdhsa_user_sgpr_flat_scratch_init 0
		.amdhsa_user_sgpr_private_segment_size 0
		.amdhsa_uses_dynamic_stack 0
		.amdhsa_system_sgpr_private_segment_wavefront_offset 0
		.amdhsa_system_sgpr_workgroup_id_x 1
		.amdhsa_system_sgpr_workgroup_id_y 0
		.amdhsa_system_sgpr_workgroup_id_z 0
		.amdhsa_system_sgpr_workgroup_info 0
		.amdhsa_system_vgpr_workitem_id 0
		.amdhsa_next_free_vgpr 1
		.amdhsa_next_free_sgpr 0
		.amdhsa_reserve_vcc 0
		.amdhsa_reserve_flat_scratch 0
		.amdhsa_float_round_mode_32 0
		.amdhsa_float_round_mode_16_64 0
		.amdhsa_float_denorm_mode_32 3
		.amdhsa_float_denorm_mode_16_64 3
		.amdhsa_dx10_clamp 1
		.amdhsa_ieee_mode 1
		.amdhsa_fp16_overflow 0
		.amdhsa_exception_fp_ieee_invalid_op 0
		.amdhsa_exception_fp_denorm_src 0
		.amdhsa_exception_fp_ieee_div_zero 0
		.amdhsa_exception_fp_ieee_overflow 0
		.amdhsa_exception_fp_ieee_underflow 0
		.amdhsa_exception_fp_ieee_inexact 0
		.amdhsa_exception_int_div_zero 0
	.end_amdhsa_kernel
	.section	.text._ZN7rocprim17ROCPRIM_400000_NS6detail17trampoline_kernelINS0_14default_configENS1_22reduce_config_selectorIlEEZNS1_11reduce_implILb1ES3_PlS7_lN6thrust23THRUST_200600_302600_NS4plusIlEEEE10hipError_tPvRmT1_T2_T3_mT4_P12ihipStream_tbEUlT_E1_NS1_11comp_targetILNS1_3genE3ELNS1_11target_archE908ELNS1_3gpuE7ELNS1_3repE0EEENS1_30default_config_static_selectorELNS0_4arch9wavefront6targetE1EEEvSF_,"axG",@progbits,_ZN7rocprim17ROCPRIM_400000_NS6detail17trampoline_kernelINS0_14default_configENS1_22reduce_config_selectorIlEEZNS1_11reduce_implILb1ES3_PlS7_lN6thrust23THRUST_200600_302600_NS4plusIlEEEE10hipError_tPvRmT1_T2_T3_mT4_P12ihipStream_tbEUlT_E1_NS1_11comp_targetILNS1_3genE3ELNS1_11target_archE908ELNS1_3gpuE7ELNS1_3repE0EEENS1_30default_config_static_selectorELNS0_4arch9wavefront6targetE1EEEvSF_,comdat
.Lfunc_end737:
	.size	_ZN7rocprim17ROCPRIM_400000_NS6detail17trampoline_kernelINS0_14default_configENS1_22reduce_config_selectorIlEEZNS1_11reduce_implILb1ES3_PlS7_lN6thrust23THRUST_200600_302600_NS4plusIlEEEE10hipError_tPvRmT1_T2_T3_mT4_P12ihipStream_tbEUlT_E1_NS1_11comp_targetILNS1_3genE3ELNS1_11target_archE908ELNS1_3gpuE7ELNS1_3repE0EEENS1_30default_config_static_selectorELNS0_4arch9wavefront6targetE1EEEvSF_, .Lfunc_end737-_ZN7rocprim17ROCPRIM_400000_NS6detail17trampoline_kernelINS0_14default_configENS1_22reduce_config_selectorIlEEZNS1_11reduce_implILb1ES3_PlS7_lN6thrust23THRUST_200600_302600_NS4plusIlEEEE10hipError_tPvRmT1_T2_T3_mT4_P12ihipStream_tbEUlT_E1_NS1_11comp_targetILNS1_3genE3ELNS1_11target_archE908ELNS1_3gpuE7ELNS1_3repE0EEENS1_30default_config_static_selectorELNS0_4arch9wavefront6targetE1EEEvSF_
                                        ; -- End function
	.set _ZN7rocprim17ROCPRIM_400000_NS6detail17trampoline_kernelINS0_14default_configENS1_22reduce_config_selectorIlEEZNS1_11reduce_implILb1ES3_PlS7_lN6thrust23THRUST_200600_302600_NS4plusIlEEEE10hipError_tPvRmT1_T2_T3_mT4_P12ihipStream_tbEUlT_E1_NS1_11comp_targetILNS1_3genE3ELNS1_11target_archE908ELNS1_3gpuE7ELNS1_3repE0EEENS1_30default_config_static_selectorELNS0_4arch9wavefront6targetE1EEEvSF_.num_vgpr, 0
	.set _ZN7rocprim17ROCPRIM_400000_NS6detail17trampoline_kernelINS0_14default_configENS1_22reduce_config_selectorIlEEZNS1_11reduce_implILb1ES3_PlS7_lN6thrust23THRUST_200600_302600_NS4plusIlEEEE10hipError_tPvRmT1_T2_T3_mT4_P12ihipStream_tbEUlT_E1_NS1_11comp_targetILNS1_3genE3ELNS1_11target_archE908ELNS1_3gpuE7ELNS1_3repE0EEENS1_30default_config_static_selectorELNS0_4arch9wavefront6targetE1EEEvSF_.num_agpr, 0
	.set _ZN7rocprim17ROCPRIM_400000_NS6detail17trampoline_kernelINS0_14default_configENS1_22reduce_config_selectorIlEEZNS1_11reduce_implILb1ES3_PlS7_lN6thrust23THRUST_200600_302600_NS4plusIlEEEE10hipError_tPvRmT1_T2_T3_mT4_P12ihipStream_tbEUlT_E1_NS1_11comp_targetILNS1_3genE3ELNS1_11target_archE908ELNS1_3gpuE7ELNS1_3repE0EEENS1_30default_config_static_selectorELNS0_4arch9wavefront6targetE1EEEvSF_.numbered_sgpr, 0
	.set _ZN7rocprim17ROCPRIM_400000_NS6detail17trampoline_kernelINS0_14default_configENS1_22reduce_config_selectorIlEEZNS1_11reduce_implILb1ES3_PlS7_lN6thrust23THRUST_200600_302600_NS4plusIlEEEE10hipError_tPvRmT1_T2_T3_mT4_P12ihipStream_tbEUlT_E1_NS1_11comp_targetILNS1_3genE3ELNS1_11target_archE908ELNS1_3gpuE7ELNS1_3repE0EEENS1_30default_config_static_selectorELNS0_4arch9wavefront6targetE1EEEvSF_.num_named_barrier, 0
	.set _ZN7rocprim17ROCPRIM_400000_NS6detail17trampoline_kernelINS0_14default_configENS1_22reduce_config_selectorIlEEZNS1_11reduce_implILb1ES3_PlS7_lN6thrust23THRUST_200600_302600_NS4plusIlEEEE10hipError_tPvRmT1_T2_T3_mT4_P12ihipStream_tbEUlT_E1_NS1_11comp_targetILNS1_3genE3ELNS1_11target_archE908ELNS1_3gpuE7ELNS1_3repE0EEENS1_30default_config_static_selectorELNS0_4arch9wavefront6targetE1EEEvSF_.private_seg_size, 0
	.set _ZN7rocprim17ROCPRIM_400000_NS6detail17trampoline_kernelINS0_14default_configENS1_22reduce_config_selectorIlEEZNS1_11reduce_implILb1ES3_PlS7_lN6thrust23THRUST_200600_302600_NS4plusIlEEEE10hipError_tPvRmT1_T2_T3_mT4_P12ihipStream_tbEUlT_E1_NS1_11comp_targetILNS1_3genE3ELNS1_11target_archE908ELNS1_3gpuE7ELNS1_3repE0EEENS1_30default_config_static_selectorELNS0_4arch9wavefront6targetE1EEEvSF_.uses_vcc, 0
	.set _ZN7rocprim17ROCPRIM_400000_NS6detail17trampoline_kernelINS0_14default_configENS1_22reduce_config_selectorIlEEZNS1_11reduce_implILb1ES3_PlS7_lN6thrust23THRUST_200600_302600_NS4plusIlEEEE10hipError_tPvRmT1_T2_T3_mT4_P12ihipStream_tbEUlT_E1_NS1_11comp_targetILNS1_3genE3ELNS1_11target_archE908ELNS1_3gpuE7ELNS1_3repE0EEENS1_30default_config_static_selectorELNS0_4arch9wavefront6targetE1EEEvSF_.uses_flat_scratch, 0
	.set _ZN7rocprim17ROCPRIM_400000_NS6detail17trampoline_kernelINS0_14default_configENS1_22reduce_config_selectorIlEEZNS1_11reduce_implILb1ES3_PlS7_lN6thrust23THRUST_200600_302600_NS4plusIlEEEE10hipError_tPvRmT1_T2_T3_mT4_P12ihipStream_tbEUlT_E1_NS1_11comp_targetILNS1_3genE3ELNS1_11target_archE908ELNS1_3gpuE7ELNS1_3repE0EEENS1_30default_config_static_selectorELNS0_4arch9wavefront6targetE1EEEvSF_.has_dyn_sized_stack, 0
	.set _ZN7rocprim17ROCPRIM_400000_NS6detail17trampoline_kernelINS0_14default_configENS1_22reduce_config_selectorIlEEZNS1_11reduce_implILb1ES3_PlS7_lN6thrust23THRUST_200600_302600_NS4plusIlEEEE10hipError_tPvRmT1_T2_T3_mT4_P12ihipStream_tbEUlT_E1_NS1_11comp_targetILNS1_3genE3ELNS1_11target_archE908ELNS1_3gpuE7ELNS1_3repE0EEENS1_30default_config_static_selectorELNS0_4arch9wavefront6targetE1EEEvSF_.has_recursion, 0
	.set _ZN7rocprim17ROCPRIM_400000_NS6detail17trampoline_kernelINS0_14default_configENS1_22reduce_config_selectorIlEEZNS1_11reduce_implILb1ES3_PlS7_lN6thrust23THRUST_200600_302600_NS4plusIlEEEE10hipError_tPvRmT1_T2_T3_mT4_P12ihipStream_tbEUlT_E1_NS1_11comp_targetILNS1_3genE3ELNS1_11target_archE908ELNS1_3gpuE7ELNS1_3repE0EEENS1_30default_config_static_selectorELNS0_4arch9wavefront6targetE1EEEvSF_.has_indirect_call, 0
	.section	.AMDGPU.csdata,"",@progbits
; Kernel info:
; codeLenInByte = 0
; TotalNumSgprs: 4
; NumVgprs: 0
; ScratchSize: 0
; MemoryBound: 0
; FloatMode: 240
; IeeeMode: 1
; LDSByteSize: 0 bytes/workgroup (compile time only)
; SGPRBlocks: 0
; VGPRBlocks: 0
; NumSGPRsForWavesPerEU: 4
; NumVGPRsForWavesPerEU: 1
; Occupancy: 10
; WaveLimiterHint : 0
; COMPUTE_PGM_RSRC2:SCRATCH_EN: 0
; COMPUTE_PGM_RSRC2:USER_SGPR: 6
; COMPUTE_PGM_RSRC2:TRAP_HANDLER: 0
; COMPUTE_PGM_RSRC2:TGID_X_EN: 1
; COMPUTE_PGM_RSRC2:TGID_Y_EN: 0
; COMPUTE_PGM_RSRC2:TGID_Z_EN: 0
; COMPUTE_PGM_RSRC2:TIDIG_COMP_CNT: 0
	.section	.text._ZN7rocprim17ROCPRIM_400000_NS6detail17trampoline_kernelINS0_14default_configENS1_22reduce_config_selectorIlEEZNS1_11reduce_implILb1ES3_PlS7_lN6thrust23THRUST_200600_302600_NS4plusIlEEEE10hipError_tPvRmT1_T2_T3_mT4_P12ihipStream_tbEUlT_E1_NS1_11comp_targetILNS1_3genE2ELNS1_11target_archE906ELNS1_3gpuE6ELNS1_3repE0EEENS1_30default_config_static_selectorELNS0_4arch9wavefront6targetE1EEEvSF_,"axG",@progbits,_ZN7rocprim17ROCPRIM_400000_NS6detail17trampoline_kernelINS0_14default_configENS1_22reduce_config_selectorIlEEZNS1_11reduce_implILb1ES3_PlS7_lN6thrust23THRUST_200600_302600_NS4plusIlEEEE10hipError_tPvRmT1_T2_T3_mT4_P12ihipStream_tbEUlT_E1_NS1_11comp_targetILNS1_3genE2ELNS1_11target_archE906ELNS1_3gpuE6ELNS1_3repE0EEENS1_30default_config_static_selectorELNS0_4arch9wavefront6targetE1EEEvSF_,comdat
	.protected	_ZN7rocprim17ROCPRIM_400000_NS6detail17trampoline_kernelINS0_14default_configENS1_22reduce_config_selectorIlEEZNS1_11reduce_implILb1ES3_PlS7_lN6thrust23THRUST_200600_302600_NS4plusIlEEEE10hipError_tPvRmT1_T2_T3_mT4_P12ihipStream_tbEUlT_E1_NS1_11comp_targetILNS1_3genE2ELNS1_11target_archE906ELNS1_3gpuE6ELNS1_3repE0EEENS1_30default_config_static_selectorELNS0_4arch9wavefront6targetE1EEEvSF_ ; -- Begin function _ZN7rocprim17ROCPRIM_400000_NS6detail17trampoline_kernelINS0_14default_configENS1_22reduce_config_selectorIlEEZNS1_11reduce_implILb1ES3_PlS7_lN6thrust23THRUST_200600_302600_NS4plusIlEEEE10hipError_tPvRmT1_T2_T3_mT4_P12ihipStream_tbEUlT_E1_NS1_11comp_targetILNS1_3genE2ELNS1_11target_archE906ELNS1_3gpuE6ELNS1_3repE0EEENS1_30default_config_static_selectorELNS0_4arch9wavefront6targetE1EEEvSF_
	.globl	_ZN7rocprim17ROCPRIM_400000_NS6detail17trampoline_kernelINS0_14default_configENS1_22reduce_config_selectorIlEEZNS1_11reduce_implILb1ES3_PlS7_lN6thrust23THRUST_200600_302600_NS4plusIlEEEE10hipError_tPvRmT1_T2_T3_mT4_P12ihipStream_tbEUlT_E1_NS1_11comp_targetILNS1_3genE2ELNS1_11target_archE906ELNS1_3gpuE6ELNS1_3repE0EEENS1_30default_config_static_selectorELNS0_4arch9wavefront6targetE1EEEvSF_
	.p2align	8
	.type	_ZN7rocprim17ROCPRIM_400000_NS6detail17trampoline_kernelINS0_14default_configENS1_22reduce_config_selectorIlEEZNS1_11reduce_implILb1ES3_PlS7_lN6thrust23THRUST_200600_302600_NS4plusIlEEEE10hipError_tPvRmT1_T2_T3_mT4_P12ihipStream_tbEUlT_E1_NS1_11comp_targetILNS1_3genE2ELNS1_11target_archE906ELNS1_3gpuE6ELNS1_3repE0EEENS1_30default_config_static_selectorELNS0_4arch9wavefront6targetE1EEEvSF_,@function
_ZN7rocprim17ROCPRIM_400000_NS6detail17trampoline_kernelINS0_14default_configENS1_22reduce_config_selectorIlEEZNS1_11reduce_implILb1ES3_PlS7_lN6thrust23THRUST_200600_302600_NS4plusIlEEEE10hipError_tPvRmT1_T2_T3_mT4_P12ihipStream_tbEUlT_E1_NS1_11comp_targetILNS1_3genE2ELNS1_11target_archE906ELNS1_3gpuE6ELNS1_3repE0EEENS1_30default_config_static_selectorELNS0_4arch9wavefront6targetE1EEEvSF_: ; @_ZN7rocprim17ROCPRIM_400000_NS6detail17trampoline_kernelINS0_14default_configENS1_22reduce_config_selectorIlEEZNS1_11reduce_implILb1ES3_PlS7_lN6thrust23THRUST_200600_302600_NS4plusIlEEEE10hipError_tPvRmT1_T2_T3_mT4_P12ihipStream_tbEUlT_E1_NS1_11comp_targetILNS1_3genE2ELNS1_11target_archE906ELNS1_3gpuE6ELNS1_3repE0EEENS1_30default_config_static_selectorELNS0_4arch9wavefront6targetE1EEEvSF_
; %bb.0:
	s_load_dword s26, s[4:5], 0x4
	s_load_dwordx8 s[16:23], s[4:5], 0x8
	s_waitcnt lgkmcnt(0)
	s_cmp_lt_i32 s26, 4
	s_cbranch_scc1 .LBB738_10
; %bb.1:
	s_cmp_gt_i32 s26, 7
	s_cbranch_scc0 .LBB738_11
; %bb.2:
	s_cmp_gt_i32 s26, 15
	s_cbranch_scc0 .LBB738_12
; %bb.3:
	s_mov_b64 s[0:1], 0
	s_cmp_eq_u32 s26, 16
	s_mov_b64 s[2:3], 0
                                        ; implicit-def: $vgpr1_vgpr2
                                        ; implicit-def: $vgpr3_vgpr4
	s_cbranch_scc0 .LBB738_13
; %bb.4:
	s_mov_b32 s7, 0
	s_lshl_b32 s4, s6, 12
	s_mov_b32 s5, s7
	s_lshr_b64 s[8:9], s[18:19], 12
	s_lshl_b64 s[2:3], s[4:5], 3
	s_add_u32 s2, s16, s2
	s_addc_u32 s3, s17, s3
	s_cmp_lg_u64 s[8:9], s[6:7]
	s_cbranch_scc0 .LBB738_21
; %bb.5:
	v_lshlrev_b32_e32 v5, 3, v0
	global_load_dwordx2 v[1:2], v5, s[2:3]
	global_load_dwordx2 v[3:4], v5, s[2:3] offset:2048
	v_mov_b32_e32 v6, s3
	v_add_co_u32_e32 v29, vcc, s2, v5
	v_addc_co_u32_e32 v33, vcc, 0, v6, vcc
	v_add_co_u32_e32 v5, vcc, 0x1000, v29
	v_addc_co_u32_e32 v6, vcc, 0, v33, vcc
	;; [unrolled: 2-line block ×4, first 2 shown]
	global_load_dwordx2 v[7:8], v[5:6], off
	global_load_dwordx2 v[11:12], v[9:10], off
	;; [unrolled: 1-line block ×3, first 2 shown]
	v_add_co_u32_e32 v17, vcc, 0x4000, v29
	v_addc_co_u32_e32 v18, vcc, 0, v33, vcc
	global_load_dwordx2 v[19:20], v[17:18], off
	v_add_co_u32_e32 v21, vcc, 0x5000, v29
	global_load_dwordx2 v[5:6], v[5:6], off offset:2048
	v_addc_co_u32_e32 v22, vcc, 0, v33, vcc
	global_load_dwordx2 v[9:10], v[9:10], off offset:2048
	v_add_co_u32_e32 v23, vcc, 0x6000, v29
	global_load_dwordx2 v[13:14], v[13:14], off offset:2048
	v_addc_co_u32_e32 v24, vcc, 0, v33, vcc
	global_load_dwordx2 v[17:18], v[17:18], off offset:2048
	s_nop 0
	global_load_dwordx2 v[25:26], v[21:22], off
	global_load_dwordx2 v[27:28], v[21:22], off offset:2048
	v_add_co_u32_e32 v21, vcc, 0x7000, v29
	global_load_dwordx2 v[29:30], v[23:24], off
	global_load_dwordx2 v[31:32], v[23:24], off offset:2048
	v_addc_co_u32_e32 v22, vcc, 0, v33, vcc
	s_waitcnt vmcnt(12)
	v_add_co_u32_e32 v23, vcc, v3, v1
	v_addc_co_u32_e32 v24, vcc, v4, v2, vcc
	global_load_dwordx2 v[1:2], v[21:22], off
	global_load_dwordx2 v[3:4], v[21:22], off offset:2048
	s_waitcnt vmcnt(13)
	v_add_co_u32_e32 v7, vcc, v23, v7
	v_addc_co_u32_e32 v8, vcc, v24, v8, vcc
	s_waitcnt vmcnt(9)
	v_add_co_u32_e32 v5, vcc, v7, v5
	v_addc_co_u32_e32 v6, vcc, v8, v6, vcc
	v_add_co_u32_e32 v5, vcc, v5, v11
	v_addc_co_u32_e32 v6, vcc, v6, v12, vcc
	s_waitcnt vmcnt(8)
	v_add_co_u32_e32 v5, vcc, v5, v9
	v_addc_co_u32_e32 v6, vcc, v6, v10, vcc
	;; [unrolled: 5-line block ×4, first 2 shown]
	s_waitcnt vmcnt(5)
	v_add_co_u32_e32 v5, vcc, v5, v25
	v_addc_co_u32_e32 v6, vcc, v6, v26, vcc
	s_waitcnt vmcnt(4)
	v_add_co_u32_e32 v5, vcc, v5, v27
	v_addc_co_u32_e32 v6, vcc, v6, v28, vcc
	;; [unrolled: 3-line block ×6, first 2 shown]
	s_nop 0
	v_mov_b32_dpp v4, v1 quad_perm:[1,0,3,2] row_mask:0xf bank_mask:0xf bound_ctrl:1
	v_add_co_u32_e32 v1, vcc, v1, v4
	v_mov_b32_dpp v5, v2 quad_perm:[1,0,3,2] row_mask:0xf bank_mask:0xf bound_ctrl:1
	v_addc_co_u32_e32 v2, vcc, 0, v2, vcc
	v_add_co_u32_e32 v4, vcc, 0, v1
	v_addc_co_u32_e32 v2, vcc, v5, v2, vcc
	v_mov_b32_dpp v1, v1 quad_perm:[2,3,0,1] row_mask:0xf bank_mask:0xf bound_ctrl:1
	v_add_co_u32_e32 v1, vcc, v4, v1
	v_mov_b32_dpp v5, v2 quad_perm:[2,3,0,1] row_mask:0xf bank_mask:0xf bound_ctrl:1
	v_addc_co_u32_e32 v2, vcc, 0, v2, vcc
	v_add_co_u32_e32 v4, vcc, 0, v1
	v_addc_co_u32_e32 v2, vcc, v2, v5, vcc
	v_mov_b32_dpp v1, v1 row_ror:4 row_mask:0xf bank_mask:0xf bound_ctrl:1
	v_add_co_u32_e32 v1, vcc, v4, v1
	v_mov_b32_dpp v5, v2 row_ror:4 row_mask:0xf bank_mask:0xf bound_ctrl:1
	v_addc_co_u32_e32 v2, vcc, 0, v2, vcc
	v_add_co_u32_e32 v4, vcc, 0, v1
	v_addc_co_u32_e32 v2, vcc, v2, v5, vcc
	v_mov_b32_dpp v1, v1 row_ror:8 row_mask:0xf bank_mask:0xf bound_ctrl:1
	v_add_co_u32_e32 v1, vcc, v4, v1
	v_mov_b32_dpp v5, v2 row_ror:8 row_mask:0xf bank_mask:0xf bound_ctrl:1
	v_addc_co_u32_e32 v2, vcc, 0, v2, vcc
	v_add_co_u32_e32 v4, vcc, 0, v1
	v_addc_co_u32_e32 v2, vcc, v2, v5, vcc
	v_mov_b32_dpp v1, v1 row_bcast:15 row_mask:0xf bank_mask:0xf bound_ctrl:1
	v_add_co_u32_e32 v1, vcc, v4, v1
	v_mov_b32_dpp v5, v2 row_bcast:15 row_mask:0xf bank_mask:0xf bound_ctrl:1
	v_addc_co_u32_e32 v2, vcc, 0, v2, vcc
	v_add_co_u32_e32 v4, vcc, 0, v1
	v_addc_co_u32_e32 v2, vcc, v2, v5, vcc
	v_mov_b32_dpp v1, v1 row_bcast:31 row_mask:0xf bank_mask:0xf bound_ctrl:1
	v_mbcnt_lo_u32_b32 v3, -1, 0
	v_add_co_u32_e32 v1, vcc, v4, v1
	v_mbcnt_hi_u32_b32 v3, -1, v3
	v_addc_co_u32_e32 v4, vcc, 0, v2, vcc
	v_cmp_eq_u32_e32 vcc, 0, v3
	s_nop 0
	v_add_u32_dpp v2, v2, v4 row_bcast:31 row_mask:0xf bank_mask:0xf bound_ctrl:1
	v_lshlrev_b32_e32 v4, 2, v3
	v_or_b32_e32 v5, 0xfc, v4
	ds_bpermute_b32 v1, v5, v1
	ds_bpermute_b32 v2, v5, v2
	s_and_saveexec_b64 s[8:9], vcc
	s_cbranch_execz .LBB738_7
; %bb.6:
	v_lshrrev_b32_e32 v5, 3, v0
	v_and_b32_e32 v5, 24, v5
	s_waitcnt lgkmcnt(0)
	ds_write_b64 v5, v[1:2]
.LBB738_7:
	s_or_b64 exec, exec, s[8:9]
	v_cmp_gt_u32_e32 vcc, 64, v0
	s_waitcnt lgkmcnt(0)
	s_barrier
	s_and_saveexec_b64 s[8:9], vcc
	s_cbranch_execz .LBB738_9
; %bb.8:
	v_and_b32_e32 v5, 3, v3
	v_lshlrev_b32_e32 v1, 3, v5
	ds_read_b64 v[1:2], v1
	v_cmp_ne_u32_e32 vcc, 3, v5
	v_addc_co_u32_e32 v3, vcc, 0, v3, vcc
	v_lshlrev_b32_e32 v3, 2, v3
	s_waitcnt lgkmcnt(0)
	ds_bpermute_b32 v5, v3, v1
	ds_bpermute_b32 v3, v3, v2
	v_or_b32_e32 v4, 8, v4
	s_waitcnt lgkmcnt(1)
	v_add_co_u32_e32 v1, vcc, v1, v5
	v_addc_co_u32_e32 v2, vcc, 0, v2, vcc
	ds_bpermute_b32 v5, v4, v1
	v_add_co_u32_e32 v1, vcc, 0, v1
	s_waitcnt lgkmcnt(1)
	v_addc_co_u32_e32 v2, vcc, v3, v2, vcc
	ds_bpermute_b32 v3, v4, v2
	s_waitcnt lgkmcnt(1)
	v_add_co_u32_e32 v1, vcc, v1, v5
	v_addc_co_u32_e32 v2, vcc, 0, v2, vcc
	v_add_co_u32_e32 v1, vcc, 0, v1
	s_waitcnt lgkmcnt(0)
	v_addc_co_u32_e32 v2, vcc, v2, v3, vcc
.LBB738_9:
	s_or_b64 exec, exec, s[8:9]
	s_mov_b64 s[8:9], 0
	s_branch .LBB738_22
.LBB738_10:
	s_mov_b64 s[2:3], 0
                                        ; implicit-def: $vgpr1_vgpr2
                                        ; implicit-def: $vgpr3_vgpr4
	s_cbranch_execnz .LBB738_145
	s_branch .LBB738_206
.LBB738_11:
	s_mov_b64 s[2:3], 0
                                        ; implicit-def: $vgpr1_vgpr2
                                        ; implicit-def: $vgpr3_vgpr4
	s_cbranch_execnz .LBB738_110
	s_branch .LBB738_144
.LBB738_12:
	s_mov_b64 s[0:1], -1
	s_mov_b64 s[2:3], 0
                                        ; implicit-def: $vgpr1_vgpr2
                                        ; implicit-def: $vgpr3_vgpr4
.LBB738_13:
	s_and_b64 vcc, exec, s[0:1]
	s_cbranch_vccz .LBB738_109
.LBB738_14:
	s_cmp_eq_u32 s26, 8
                                        ; implicit-def: $vgpr1_vgpr2
                                        ; implicit-def: $vgpr3_vgpr4
	s_cbranch_scc0 .LBB738_109
; %bb.15:
	s_mov_b32 s7, 0
	s_lshl_b32 s0, s6, 11
	s_mov_b32 s1, s7
	s_lshr_b64 s[2:3], s[18:19], 11
	s_lshl_b64 s[4:5], s[0:1], 3
	s_add_u32 s14, s16, s4
	s_addc_u32 s15, s17, s5
	s_cmp_lg_u64 s[2:3], s[6:7]
	s_cbranch_scc0 .LBB738_73
; %bb.16:
	v_lshlrev_b32_e32 v3, 3, v0
	v_mov_b32_e32 v1, s15
	v_add_co_u32_e32 v16, vcc, s14, v3
	v_addc_co_u32_e32 v17, vcc, 0, v1, vcc
	global_load_dwordx2 v[1:2], v3, s[14:15]
	global_load_dwordx2 v[4:5], v3, s[14:15] offset:2048
	v_add_co_u32_e32 v6, vcc, 0x1000, v16
	v_addc_co_u32_e32 v7, vcc, 0, v17, vcc
	global_load_dwordx2 v[8:9], v[6:7], off
	global_load_dwordx2 v[10:11], v[6:7], off offset:2048
	v_add_co_u32_e32 v6, vcc, 0x2000, v16
	v_addc_co_u32_e32 v7, vcc, 0, v17, vcc
	global_load_dwordx2 v[12:13], v[6:7], off
	global_load_dwordx2 v[14:15], v[6:7], off offset:2048
	;; [unrolled: 4-line block ×3, first 2 shown]
	v_mbcnt_lo_u32_b32 v3, -1, 0
	v_mbcnt_hi_u32_b32 v3, -1, v3
	s_waitcnt vmcnt(6)
	v_add_co_u32_e32 v1, vcc, v4, v1
	v_addc_co_u32_e32 v2, vcc, v5, v2, vcc
	s_waitcnt vmcnt(5)
	v_add_co_u32_e32 v1, vcc, v1, v8
	v_addc_co_u32_e32 v2, vcc, v2, v9, vcc
	;; [unrolled: 3-line block ×7, first 2 shown]
	s_nop 0
	v_mov_b32_dpp v4, v1 quad_perm:[1,0,3,2] row_mask:0xf bank_mask:0xf bound_ctrl:1
	v_add_co_u32_e32 v1, vcc, v1, v4
	v_mov_b32_dpp v5, v2 quad_perm:[1,0,3,2] row_mask:0xf bank_mask:0xf bound_ctrl:1
	v_addc_co_u32_e32 v2, vcc, 0, v2, vcc
	v_add_co_u32_e32 v4, vcc, 0, v1
	v_addc_co_u32_e32 v2, vcc, v5, v2, vcc
	v_mov_b32_dpp v1, v1 quad_perm:[2,3,0,1] row_mask:0xf bank_mask:0xf bound_ctrl:1
	v_add_co_u32_e32 v1, vcc, v4, v1
	v_mov_b32_dpp v5, v2 quad_perm:[2,3,0,1] row_mask:0xf bank_mask:0xf bound_ctrl:1
	v_addc_co_u32_e32 v2, vcc, 0, v2, vcc
	v_add_co_u32_e32 v4, vcc, 0, v1
	v_addc_co_u32_e32 v2, vcc, v2, v5, vcc
	v_mov_b32_dpp v1, v1 row_ror:4 row_mask:0xf bank_mask:0xf bound_ctrl:1
	v_add_co_u32_e32 v1, vcc, v4, v1
	v_mov_b32_dpp v5, v2 row_ror:4 row_mask:0xf bank_mask:0xf bound_ctrl:1
	v_addc_co_u32_e32 v2, vcc, 0, v2, vcc
	v_add_co_u32_e32 v4, vcc, 0, v1
	v_addc_co_u32_e32 v2, vcc, v2, v5, vcc
	v_mov_b32_dpp v1, v1 row_ror:8 row_mask:0xf bank_mask:0xf bound_ctrl:1
	v_add_co_u32_e32 v1, vcc, v4, v1
	v_mov_b32_dpp v5, v2 row_ror:8 row_mask:0xf bank_mask:0xf bound_ctrl:1
	v_addc_co_u32_e32 v2, vcc, 0, v2, vcc
	v_add_co_u32_e32 v4, vcc, 0, v1
	v_addc_co_u32_e32 v2, vcc, v2, v5, vcc
	v_mov_b32_dpp v1, v1 row_bcast:15 row_mask:0xf bank_mask:0xf bound_ctrl:1
	v_add_co_u32_e32 v1, vcc, v4, v1
	v_mov_b32_dpp v5, v2 row_bcast:15 row_mask:0xf bank_mask:0xf bound_ctrl:1
	v_addc_co_u32_e32 v2, vcc, 0, v2, vcc
	v_add_co_u32_e32 v4, vcc, 0, v1
	v_addc_co_u32_e32 v2, vcc, v2, v5, vcc
	v_mov_b32_dpp v1, v1 row_bcast:31 row_mask:0xf bank_mask:0xf bound_ctrl:1
	v_add_co_u32_e32 v1, vcc, v4, v1
	v_addc_co_u32_e32 v4, vcc, 0, v2, vcc
	v_cmp_eq_u32_e32 vcc, 0, v3
	s_nop 0
	v_add_u32_dpp v2, v2, v4 row_bcast:31 row_mask:0xf bank_mask:0xf bound_ctrl:1
	v_lshlrev_b32_e32 v4, 2, v3
	v_or_b32_e32 v5, 0xfc, v4
	ds_bpermute_b32 v1, v5, v1
	ds_bpermute_b32 v2, v5, v2
	s_and_saveexec_b64 s[2:3], vcc
	s_cbranch_execz .LBB738_18
; %bb.17:
	v_lshrrev_b32_e32 v5, 3, v0
	v_and_b32_e32 v5, 24, v5
	s_waitcnt lgkmcnt(0)
	ds_write_b64 v5, v[1:2] offset:128
.LBB738_18:
	s_or_b64 exec, exec, s[2:3]
	v_cmp_gt_u32_e32 vcc, 64, v0
	s_waitcnt lgkmcnt(0)
	s_barrier
	s_and_saveexec_b64 s[2:3], vcc
	s_cbranch_execz .LBB738_20
; %bb.19:
	v_and_b32_e32 v5, 3, v3
	v_lshlrev_b32_e32 v1, 3, v5
	ds_read_b64 v[1:2], v1 offset:128
	v_cmp_ne_u32_e32 vcc, 3, v5
	v_addc_co_u32_e32 v3, vcc, 0, v3, vcc
	v_lshlrev_b32_e32 v3, 2, v3
	s_waitcnt lgkmcnt(0)
	ds_bpermute_b32 v5, v3, v1
	ds_bpermute_b32 v3, v3, v2
	v_or_b32_e32 v4, 8, v4
	s_waitcnt lgkmcnt(1)
	v_add_co_u32_e32 v1, vcc, v1, v5
	v_addc_co_u32_e32 v2, vcc, 0, v2, vcc
	ds_bpermute_b32 v5, v4, v1
	v_add_co_u32_e32 v1, vcc, 0, v1
	s_waitcnt lgkmcnt(1)
	v_addc_co_u32_e32 v2, vcc, v3, v2, vcc
	ds_bpermute_b32 v3, v4, v2
	s_waitcnt lgkmcnt(1)
	v_add_co_u32_e32 v1, vcc, v1, v5
	v_addc_co_u32_e32 v2, vcc, 0, v2, vcc
	v_add_co_u32_e32 v1, vcc, 0, v1
	s_waitcnt lgkmcnt(0)
	v_addc_co_u32_e32 v2, vcc, v2, v3, vcc
.LBB738_20:
	s_or_b64 exec, exec, s[2:3]
	s_mov_b64 s[2:3], 0
	s_branch .LBB738_74
.LBB738_21:
	s_mov_b64 s[8:9], -1
                                        ; implicit-def: $vgpr1_vgpr2
.LBB738_22:
	s_and_b64 vcc, exec, s[8:9]
	s_cbranch_vccz .LBB738_72
; %bb.23:
	s_sub_i32 s8, s18, s4
	v_cmp_gt_u32_e32 vcc, s8, v0
                                        ; implicit-def: $vgpr1_vgpr2
	s_and_saveexec_b64 s[4:5], vcc
	s_cbranch_execz .LBB738_25
; %bb.24:
	v_lshlrev_b32_e32 v1, 3, v0
	global_load_dwordx2 v[1:2], v1, s[2:3]
.LBB738_25:
	s_or_b64 exec, exec, s[4:5]
	v_or_b32_e32 v7, 0x100, v0
	v_mov_b32_e32 v3, 0
	v_mov_b32_e32 v5, 0
	;; [unrolled: 1-line block ×4, first 2 shown]
	v_cmp_gt_u32_e32 vcc, s8, v7
	s_and_saveexec_b64 s[4:5], vcc
	s_cbranch_execz .LBB738_27
; %bb.26:
	v_lshlrev_b32_e32 v5, 3, v0
	global_load_dwordx2 v[5:6], v5, s[2:3] offset:2048
.LBB738_27:
	s_or_b64 exec, exec, s[4:5]
	v_or_b32_e32 v7, 0x200, v0
	v_cmp_gt_u32_e32 vcc, s8, v7
	s_and_saveexec_b64 s[4:5], vcc
	s_cbranch_execz .LBB738_29
; %bb.28:
	v_lshlrev_b32_e32 v3, 3, v7
	global_load_dwordx2 v[3:4], v3, s[2:3]
.LBB738_29:
	s_or_b64 exec, exec, s[4:5]
	v_or_b32_e32 v11, 0x300, v0
	v_mov_b32_e32 v7, 0
	v_mov_b32_e32 v9, 0
	v_mov_b32_e32 v8, 0
	v_mov_b32_e32 v10, 0
	v_cmp_gt_u32_e32 vcc, s8, v11
	s_and_saveexec_b64 s[4:5], vcc
	s_cbranch_execz .LBB738_31
; %bb.30:
	v_lshlrev_b32_e32 v9, 3, v11
	global_load_dwordx2 v[9:10], v9, s[2:3]
.LBB738_31:
	s_or_b64 exec, exec, s[4:5]
	v_or_b32_e32 v11, 0x400, v0
	v_cmp_gt_u32_e32 vcc, s8, v11
	s_and_saveexec_b64 s[4:5], vcc
	s_cbranch_execz .LBB738_33
; %bb.32:
	v_lshlrev_b32_e32 v7, 3, v11
	global_load_dwordx2 v[7:8], v7, s[2:3]
.LBB738_33:
	s_or_b64 exec, exec, s[4:5]
	v_or_b32_e32 v15, 0x500, v0
	v_mov_b32_e32 v11, 0
	v_mov_b32_e32 v13, 0
	v_mov_b32_e32 v12, 0
	v_mov_b32_e32 v14, 0
	v_cmp_gt_u32_e32 vcc, s8, v15
	s_and_saveexec_b64 s[4:5], vcc
	s_cbranch_execz .LBB738_35
; %bb.34:
	v_lshlrev_b32_e32 v13, 3, v15
	global_load_dwordx2 v[13:14], v13, s[2:3]
.LBB738_35:
	;; [unrolled: 22-line block ×6, first 2 shown]
	s_or_b64 exec, exec, s[4:5]
	v_or_b32_e32 v31, 0xe00, v0
	v_cmp_gt_u32_e32 vcc, s8, v31
	s_and_saveexec_b64 s[4:5], vcc
	s_cbranch_execz .LBB738_53
; %bb.52:
	v_lshlrev_b32_e32 v27, 3, v31
	global_load_dwordx2 v[27:28], v27, s[2:3]
.LBB738_53:
	s_or_b64 exec, exec, s[4:5]
	v_or_b32_e32 v33, 0xf00, v0
	v_mov_b32_e32 v31, 0
	v_mov_b32_e32 v32, 0
	v_cmp_gt_u32_e32 vcc, s8, v33
	s_and_saveexec_b64 s[4:5], vcc
	s_cbranch_execz .LBB738_55
; %bb.54:
	v_lshlrev_b32_e32 v31, 3, v33
	global_load_dwordx2 v[31:32], v31, s[2:3]
.LBB738_55:
	s_or_b64 exec, exec, s[4:5]
	s_waitcnt vmcnt(0)
	v_add_co_u32_e32 v1, vcc, v5, v1
	v_addc_co_u32_e32 v2, vcc, v6, v2, vcc
	v_add_co_u32_e32 v1, vcc, v1, v3
	v_addc_co_u32_e32 v2, vcc, v2, v4, vcc
	;; [unrolled: 2-line block ×14, first 2 shown]
	v_mbcnt_lo_u32_b32 v3, -1, 0
	v_add_co_u32_e32 v1, vcc, v1, v31
	v_mbcnt_hi_u32_b32 v3, -1, v3
	v_addc_co_u32_e32 v2, vcc, v2, v32, vcc
	v_and_b32_e32 v4, 63, v3
	v_cmp_ne_u32_e32 vcc, 63, v4
	v_addc_co_u32_e32 v6, vcc, 0, v3, vcc
	v_lshlrev_b32_e32 v6, 2, v6
	ds_bpermute_b32 v8, v6, v1
	ds_bpermute_b32 v7, v6, v2
	s_min_u32 s4, s8, 0x100
	v_and_b32_e32 v5, 0xc0, v0
	v_sub_u32_e64 v5, s4, v5 clamp
	v_add_u32_e32 v6, 1, v4
	v_cmp_lt_u32_e32 vcc, v6, v5
	v_mov_b32_e32 v6, v1
	s_and_saveexec_b64 s[2:3], vcc
	s_cbranch_execz .LBB738_57
; %bb.56:
	s_waitcnt lgkmcnt(1)
	v_add_co_u32_e32 v6, vcc, v1, v8
	v_addc_co_u32_e32 v2, vcc, 0, v2, vcc
	v_add_co_u32_e32 v1, vcc, 0, v6
	s_waitcnt lgkmcnt(0)
	v_addc_co_u32_e32 v2, vcc, v7, v2, vcc
.LBB738_57:
	s_or_b64 exec, exec, s[2:3]
	v_cmp_gt_u32_e32 vcc, 62, v4
	s_waitcnt lgkmcnt(0)
	v_cndmask_b32_e64 v7, 0, 2, vcc
	v_add_lshl_u32 v7, v7, v3, 2
	ds_bpermute_b32 v8, v7, v6
	ds_bpermute_b32 v7, v7, v2
	v_add_u32_e32 v9, 2, v4
	v_cmp_lt_u32_e32 vcc, v9, v5
	s_and_saveexec_b64 s[2:3], vcc
	s_cbranch_execz .LBB738_59
; %bb.58:
	s_waitcnt lgkmcnt(1)
	v_add_co_u32_e32 v6, vcc, v1, v8
	v_addc_co_u32_e32 v2, vcc, 0, v2, vcc
	v_add_co_u32_e32 v1, vcc, 0, v6
	s_waitcnt lgkmcnt(0)
	v_addc_co_u32_e32 v2, vcc, v7, v2, vcc
.LBB738_59:
	s_or_b64 exec, exec, s[2:3]
	v_cmp_gt_u32_e32 vcc, 60, v4
	s_waitcnt lgkmcnt(0)
	v_cndmask_b32_e64 v7, 0, 4, vcc
	v_add_lshl_u32 v7, v7, v3, 2
	ds_bpermute_b32 v8, v7, v6
	ds_bpermute_b32 v7, v7, v2
	v_add_u32_e32 v9, 4, v4
	v_cmp_lt_u32_e32 vcc, v9, v5
	;; [unrolled: 19-line block ×4, first 2 shown]
	s_and_saveexec_b64 s[2:3], vcc
	s_cbranch_execz .LBB738_65
; %bb.64:
	s_waitcnt lgkmcnt(1)
	v_add_co_u32_e32 v6, vcc, v1, v8
	v_addc_co_u32_e32 v2, vcc, 0, v2, vcc
	v_add_co_u32_e32 v1, vcc, 0, v6
	s_waitcnt lgkmcnt(0)
	v_addc_co_u32_e32 v2, vcc, v7, v2, vcc
.LBB738_65:
	s_or_b64 exec, exec, s[2:3]
	s_waitcnt lgkmcnt(0)
	v_lshlrev_b32_e32 v7, 2, v3
	v_or_b32_e32 v8, 0x80, v7
	ds_bpermute_b32 v6, v8, v6
	ds_bpermute_b32 v8, v8, v2
	v_add_u32_e32 v4, 32, v4
	s_waitcnt lgkmcnt(1)
	v_add_co_u32_e32 v6, vcc, v1, v6
	v_addc_co_u32_e32 v9, vcc, 0, v2, vcc
	v_add_co_u32_e32 v6, vcc, 0, v6
	s_waitcnt lgkmcnt(0)
	v_addc_co_u32_e32 v8, vcc, v9, v8, vcc
	v_cmp_lt_u32_e32 vcc, v4, v5
	v_cndmask_b32_e32 v2, v2, v8, vcc
	v_cndmask_b32_e32 v1, v1, v6, vcc
	v_cmp_eq_u32_e32 vcc, 0, v3
	s_and_saveexec_b64 s[2:3], vcc
; %bb.66:
	v_lshrrev_b32_e32 v4, 3, v0
	v_and_b32_e32 v4, 24, v4
	ds_write_b64 v4, v[1:2] offset:160
; %bb.67:
	s_or_b64 exec, exec, s[2:3]
	v_cmp_gt_u32_e32 vcc, 4, v0
	s_waitcnt lgkmcnt(0)
	s_barrier
	s_and_saveexec_b64 s[2:3], vcc
	s_cbranch_execz .LBB738_71
; %bb.68:
	v_lshlrev_b32_e32 v1, 3, v3
	ds_read_b64 v[1:2], v1 offset:160
	v_and_b32_e32 v4, 3, v3
	v_cmp_ne_u32_e32 vcc, 3, v4
	v_addc_co_u32_e32 v3, vcc, 0, v3, vcc
	v_lshlrev_b32_e32 v3, 2, v3
	s_waitcnt lgkmcnt(0)
	ds_bpermute_b32 v6, v3, v1
	ds_bpermute_b32 v5, v3, v2
	s_add_i32 s4, s4, 63
	s_lshr_b32 s8, s4, 6
	v_add_u32_e32 v3, 1, v4
	v_cmp_gt_u32_e32 vcc, s8, v3
	v_mov_b32_e32 v3, v1
	s_and_saveexec_b64 s[4:5], vcc
	s_cbranch_execz .LBB738_70
; %bb.69:
	s_waitcnt lgkmcnt(1)
	v_add_co_u32_e32 v3, vcc, v1, v6
	v_addc_co_u32_e32 v2, vcc, 0, v2, vcc
	v_add_co_u32_e32 v1, vcc, 0, v3
	s_waitcnt lgkmcnt(0)
	v_addc_co_u32_e32 v2, vcc, v5, v2, vcc
.LBB738_70:
	s_or_b64 exec, exec, s[4:5]
	s_waitcnt lgkmcnt(0)
	v_or_b32_e32 v5, 8, v7
	ds_bpermute_b32 v3, v5, v3
	ds_bpermute_b32 v5, v5, v2
	v_add_u32_e32 v4, 2, v4
	s_waitcnt lgkmcnt(1)
	v_add_co_u32_e32 v3, vcc, v1, v3
	v_addc_co_u32_e32 v6, vcc, 0, v2, vcc
	v_add_co_u32_e32 v3, vcc, 0, v3
	s_waitcnt lgkmcnt(0)
	v_addc_co_u32_e32 v5, vcc, v6, v5, vcc
	v_cmp_gt_u32_e32 vcc, s8, v4
	v_cndmask_b32_e32 v2, v2, v5, vcc
	v_cndmask_b32_e32 v1, v1, v3, vcc
.LBB738_71:
	s_or_b64 exec, exec, s[2:3]
.LBB738_72:
	v_mov_b32_e32 v3, s6
	v_cmp_eq_u32_e64 s[2:3], 0, v0
	v_mov_b32_e32 v4, s7
	s_and_b64 vcc, exec, s[0:1]
	s_cbranch_vccnz .LBB738_14
	s_branch .LBB738_109
.LBB738_73:
	s_mov_b64 s[2:3], -1
                                        ; implicit-def: $vgpr1_vgpr2
.LBB738_74:
	s_and_b64 vcc, exec, s[2:3]
	s_cbranch_vccz .LBB738_108
; %bb.75:
	s_sub_i32 s27, s18, s0
	v_mov_b32_e32 v1, 0
	v_cmp_gt_u32_e32 vcc, s27, v0
	v_mov_b32_e32 v2, v1
	v_mov_b32_e32 v3, v1
	;; [unrolled: 1-line block ×15, first 2 shown]
	s_and_saveexec_b64 s[0:1], vcc
	s_cbranch_execz .LBB738_77
; %bb.76:
	v_mov_b32_e32 v3, v1
	v_mov_b32_e32 v4, v1
	;; [unrolled: 1-line block ×14, first 2 shown]
	v_lshlrev_b32_e32 v1, 3, v0
	global_load_dwordx2 v[1:2], v1, s[14:15]
.LBB738_77:
	s_or_b64 exec, exec, s[0:1]
	v_or_b32_e32 v17, 0x100, v0
	v_cmp_gt_u32_e32 vcc, s27, v17
	s_and_saveexec_b64 s[0:1], vcc
	s_cbranch_execz .LBB738_79
; %bb.78:
	v_lshlrev_b32_e32 v3, 3, v0
	global_load_dwordx2 v[3:4], v3, s[14:15] offset:2048
.LBB738_79:
	s_or_b64 exec, exec, s[0:1]
	v_or_b32_e32 v17, 0x200, v0
	v_cmp_gt_u32_e64 s[0:1], s27, v17
	s_and_saveexec_b64 s[2:3], s[0:1]
	s_cbranch_execz .LBB738_81
; %bb.80:
	v_lshlrev_b32_e32 v5, 3, v17
	global_load_dwordx2 v[5:6], v5, s[14:15]
.LBB738_81:
	s_or_b64 exec, exec, s[2:3]
	v_or_b32_e32 v17, 0x300, v0
	v_cmp_gt_u32_e64 s[2:3], s27, v17
	s_and_saveexec_b64 s[4:5], s[2:3]
	s_cbranch_execz .LBB738_83
; %bb.82:
	v_lshlrev_b32_e32 v7, 3, v17
	global_load_dwordx2 v[7:8], v7, s[14:15]
.LBB738_83:
	;; [unrolled: 9-line block ×6, first 2 shown]
	s_or_b64 exec, exec, s[24:25]
	s_waitcnt vmcnt(0)
	v_cndmask_b32_e32 v3, 0, v3, vcc
	v_cndmask_b32_e32 v4, 0, v4, vcc
	v_add_co_u32_e32 v1, vcc, v3, v1
	v_addc_co_u32_e32 v2, vcc, v4, v2, vcc
	v_cndmask_b32_e64 v4, 0, v5, s[0:1]
	v_cndmask_b32_e64 v3, 0, v6, s[0:1]
	v_add_co_u32_e32 v1, vcc, v1, v4
	v_addc_co_u32_e32 v2, vcc, v2, v3, vcc
	v_cndmask_b32_e64 v4, 0, v7, s[2:3]
	v_cndmask_b32_e64 v3, 0, v8, s[2:3]
	;; [unrolled: 4-line block ×6, first 2 shown]
	v_add_co_u32_e32 v1, vcc, v1, v4
	v_addc_co_u32_e32 v2, vcc, v2, v3, vcc
	v_mbcnt_lo_u32_b32 v3, -1, 0
	v_mbcnt_hi_u32_b32 v3, -1, v3
	v_and_b32_e32 v4, 63, v3
	v_cmp_ne_u32_e32 vcc, 63, v4
	v_addc_co_u32_e32 v6, vcc, 0, v3, vcc
	v_lshlrev_b32_e32 v6, 2, v6
	ds_bpermute_b32 v8, v6, v1
	ds_bpermute_b32 v7, v6, v2
	s_min_u32 s2, s27, 0x100
	v_and_b32_e32 v5, 0xc0, v0
	v_sub_u32_e64 v5, s2, v5 clamp
	v_add_u32_e32 v6, 1, v4
	v_cmp_lt_u32_e32 vcc, v6, v5
	v_mov_b32_e32 v6, v1
	s_and_saveexec_b64 s[0:1], vcc
	s_cbranch_execz .LBB738_93
; %bb.92:
	s_waitcnt lgkmcnt(1)
	v_add_co_u32_e32 v6, vcc, v1, v8
	v_addc_co_u32_e32 v2, vcc, 0, v2, vcc
	v_add_co_u32_e32 v1, vcc, 0, v6
	s_waitcnt lgkmcnt(0)
	v_addc_co_u32_e32 v2, vcc, v2, v7, vcc
.LBB738_93:
	s_or_b64 exec, exec, s[0:1]
	v_cmp_gt_u32_e32 vcc, 62, v4
	s_waitcnt lgkmcnt(0)
	v_cndmask_b32_e64 v7, 0, 2, vcc
	v_add_lshl_u32 v7, v7, v3, 2
	ds_bpermute_b32 v8, v7, v6
	ds_bpermute_b32 v7, v7, v2
	v_add_u32_e32 v9, 2, v4
	v_cmp_lt_u32_e32 vcc, v9, v5
	s_and_saveexec_b64 s[0:1], vcc
	s_cbranch_execz .LBB738_95
; %bb.94:
	s_waitcnt lgkmcnt(1)
	v_add_co_u32_e32 v6, vcc, v1, v8
	v_addc_co_u32_e32 v2, vcc, 0, v2, vcc
	v_add_co_u32_e32 v1, vcc, 0, v6
	s_waitcnt lgkmcnt(0)
	v_addc_co_u32_e32 v2, vcc, v7, v2, vcc
.LBB738_95:
	s_or_b64 exec, exec, s[0:1]
	v_cmp_gt_u32_e32 vcc, 60, v4
	s_waitcnt lgkmcnt(0)
	v_cndmask_b32_e64 v7, 0, 4, vcc
	v_add_lshl_u32 v7, v7, v3, 2
	ds_bpermute_b32 v8, v7, v6
	ds_bpermute_b32 v7, v7, v2
	v_add_u32_e32 v9, 4, v4
	v_cmp_lt_u32_e32 vcc, v9, v5
	;; [unrolled: 19-line block ×4, first 2 shown]
	s_and_saveexec_b64 s[0:1], vcc
	s_cbranch_execz .LBB738_101
; %bb.100:
	s_waitcnt lgkmcnt(1)
	v_add_co_u32_e32 v6, vcc, v1, v8
	v_addc_co_u32_e32 v2, vcc, 0, v2, vcc
	v_add_co_u32_e32 v1, vcc, 0, v6
	s_waitcnt lgkmcnt(0)
	v_addc_co_u32_e32 v2, vcc, v7, v2, vcc
.LBB738_101:
	s_or_b64 exec, exec, s[0:1]
	s_waitcnt lgkmcnt(0)
	v_lshlrev_b32_e32 v7, 2, v3
	v_or_b32_e32 v8, 0x80, v7
	ds_bpermute_b32 v6, v8, v6
	ds_bpermute_b32 v8, v8, v2
	v_add_u32_e32 v4, 32, v4
	s_waitcnt lgkmcnt(1)
	v_add_co_u32_e32 v6, vcc, v1, v6
	v_addc_co_u32_e32 v9, vcc, 0, v2, vcc
	v_add_co_u32_e32 v6, vcc, 0, v6
	s_waitcnt lgkmcnt(0)
	v_addc_co_u32_e32 v8, vcc, v9, v8, vcc
	v_cmp_lt_u32_e32 vcc, v4, v5
	v_cndmask_b32_e32 v2, v2, v8, vcc
	v_cndmask_b32_e32 v1, v1, v6, vcc
	v_cmp_eq_u32_e32 vcc, 0, v3
	s_and_saveexec_b64 s[0:1], vcc
; %bb.102:
	v_lshrrev_b32_e32 v4, 3, v0
	v_and_b32_e32 v4, 24, v4
	ds_write_b64 v4, v[1:2] offset:160
; %bb.103:
	s_or_b64 exec, exec, s[0:1]
	v_cmp_gt_u32_e32 vcc, 4, v0
	s_waitcnt lgkmcnt(0)
	s_barrier
	s_and_saveexec_b64 s[0:1], vcc
	s_cbranch_execz .LBB738_107
; %bb.104:
	v_lshlrev_b32_e32 v1, 3, v3
	ds_read_b64 v[1:2], v1 offset:160
	v_and_b32_e32 v4, 3, v3
	v_cmp_ne_u32_e32 vcc, 3, v4
	v_addc_co_u32_e32 v3, vcc, 0, v3, vcc
	v_lshlrev_b32_e32 v3, 2, v3
	s_waitcnt lgkmcnt(0)
	ds_bpermute_b32 v6, v3, v1
	ds_bpermute_b32 v5, v3, v2
	s_add_i32 s2, s2, 63
	s_lshr_b32 s4, s2, 6
	v_add_u32_e32 v3, 1, v4
	v_cmp_gt_u32_e32 vcc, s4, v3
	v_mov_b32_e32 v3, v1
	s_and_saveexec_b64 s[2:3], vcc
	s_cbranch_execz .LBB738_106
; %bb.105:
	s_waitcnt lgkmcnt(1)
	v_add_co_u32_e32 v3, vcc, v1, v6
	v_addc_co_u32_e32 v2, vcc, 0, v2, vcc
	v_add_co_u32_e32 v1, vcc, 0, v3
	s_waitcnt lgkmcnt(0)
	v_addc_co_u32_e32 v2, vcc, v5, v2, vcc
.LBB738_106:
	s_or_b64 exec, exec, s[2:3]
	s_waitcnt lgkmcnt(0)
	v_or_b32_e32 v5, 8, v7
	ds_bpermute_b32 v3, v5, v3
	ds_bpermute_b32 v5, v5, v2
	v_add_u32_e32 v4, 2, v4
	s_waitcnt lgkmcnt(1)
	v_add_co_u32_e32 v3, vcc, v1, v3
	v_addc_co_u32_e32 v6, vcc, 0, v2, vcc
	v_add_co_u32_e32 v3, vcc, 0, v3
	s_waitcnt lgkmcnt(0)
	v_addc_co_u32_e32 v5, vcc, v6, v5, vcc
	v_cmp_gt_u32_e32 vcc, s4, v4
	v_cndmask_b32_e32 v2, v2, v5, vcc
	v_cndmask_b32_e32 v1, v1, v3, vcc
.LBB738_107:
	s_or_b64 exec, exec, s[0:1]
.LBB738_108:
	v_mov_b32_e32 v3, s6
	v_cmp_eq_u32_e64 s[2:3], 0, v0
	v_mov_b32_e32 v4, s7
.LBB738_109:
	s_branch .LBB738_144
.LBB738_110:
	s_cmp_eq_u32 s26, 4
                                        ; implicit-def: $vgpr1_vgpr2
                                        ; implicit-def: $vgpr3_vgpr4
	s_cbranch_scc0 .LBB738_144
; %bb.111:
	s_mov_b32 s7, 0
	s_lshl_b32 s0, s6, 10
	s_mov_b32 s1, s7
	s_lshr_b64 s[2:3], s[18:19], 10
	s_lshl_b64 s[4:5], s[0:1], 3
	s_add_u32 s4, s16, s4
	s_addc_u32 s5, s17, s5
	s_cmp_lg_u64 s[2:3], s[6:7]
	s_cbranch_scc0 .LBB738_117
; %bb.112:
	v_lshlrev_b32_e32 v3, 3, v0
	v_mov_b32_e32 v1, s5
	v_add_co_u32_e32 v4, vcc, s4, v3
	v_addc_co_u32_e32 v7, vcc, 0, v1, vcc
	global_load_dwordx2 v[1:2], v3, s[4:5]
	global_load_dwordx2 v[5:6], v3, s[4:5] offset:2048
	v_add_co_u32_e32 v3, vcc, 0x1000, v4
	v_addc_co_u32_e32 v4, vcc, 0, v7, vcc
	global_load_dwordx2 v[7:8], v[3:4], off
	global_load_dwordx2 v[9:10], v[3:4], off offset:2048
	v_mbcnt_lo_u32_b32 v3, -1, 0
	v_mbcnt_hi_u32_b32 v3, -1, v3
	v_lshlrev_b32_e32 v4, 2, v3
	v_or_b32_e32 v11, 0xfc, v4
	s_waitcnt vmcnt(2)
	v_add_co_u32_e32 v1, vcc, v5, v1
	v_addc_co_u32_e32 v2, vcc, v6, v2, vcc
	s_waitcnt vmcnt(1)
	v_add_co_u32_e32 v1, vcc, v1, v7
	v_addc_co_u32_e32 v2, vcc, v2, v8, vcc
	;; [unrolled: 3-line block ×3, first 2 shown]
	s_nop 0
	v_mov_b32_dpp v5, v1 quad_perm:[1,0,3,2] row_mask:0xf bank_mask:0xf bound_ctrl:1
	v_add_co_u32_e32 v1, vcc, v1, v5
	v_mov_b32_dpp v6, v2 quad_perm:[1,0,3,2] row_mask:0xf bank_mask:0xf bound_ctrl:1
	v_addc_co_u32_e32 v2, vcc, 0, v2, vcc
	v_add_co_u32_e32 v5, vcc, 0, v1
	v_addc_co_u32_e32 v2, vcc, v6, v2, vcc
	v_mov_b32_dpp v1, v1 quad_perm:[2,3,0,1] row_mask:0xf bank_mask:0xf bound_ctrl:1
	v_add_co_u32_e32 v1, vcc, v5, v1
	v_mov_b32_dpp v6, v2 quad_perm:[2,3,0,1] row_mask:0xf bank_mask:0xf bound_ctrl:1
	v_addc_co_u32_e32 v2, vcc, 0, v2, vcc
	v_add_co_u32_e32 v5, vcc, 0, v1
	v_addc_co_u32_e32 v2, vcc, v2, v6, vcc
	v_mov_b32_dpp v1, v1 row_ror:4 row_mask:0xf bank_mask:0xf bound_ctrl:1
	v_add_co_u32_e32 v1, vcc, v5, v1
	v_mov_b32_dpp v6, v2 row_ror:4 row_mask:0xf bank_mask:0xf bound_ctrl:1
	v_addc_co_u32_e32 v2, vcc, 0, v2, vcc
	v_add_co_u32_e32 v5, vcc, 0, v1
	v_addc_co_u32_e32 v2, vcc, v2, v6, vcc
	v_mov_b32_dpp v1, v1 row_ror:8 row_mask:0xf bank_mask:0xf bound_ctrl:1
	v_add_co_u32_e32 v1, vcc, v5, v1
	v_mov_b32_dpp v6, v2 row_ror:8 row_mask:0xf bank_mask:0xf bound_ctrl:1
	v_addc_co_u32_e32 v2, vcc, 0, v2, vcc
	v_add_co_u32_e32 v5, vcc, 0, v1
	v_addc_co_u32_e32 v2, vcc, v2, v6, vcc
	v_mov_b32_dpp v1, v1 row_bcast:15 row_mask:0xf bank_mask:0xf bound_ctrl:1
	v_add_co_u32_e32 v1, vcc, v5, v1
	v_mov_b32_dpp v6, v2 row_bcast:15 row_mask:0xf bank_mask:0xf bound_ctrl:1
	v_addc_co_u32_e32 v2, vcc, 0, v2, vcc
	v_add_co_u32_e32 v5, vcc, 0, v1
	v_addc_co_u32_e32 v2, vcc, v2, v6, vcc
	v_mov_b32_dpp v1, v1 row_bcast:31 row_mask:0xf bank_mask:0xf bound_ctrl:1
	v_add_co_u32_e32 v1, vcc, v5, v1
	v_addc_co_u32_e32 v5, vcc, 0, v2, vcc
	ds_bpermute_b32 v1, v11, v1
	s_nop 0
	v_add_u32_dpp v2, v2, v5 row_bcast:31 row_mask:0xf bank_mask:0xf bound_ctrl:1
	ds_bpermute_b32 v2, v11, v2
	v_cmp_eq_u32_e32 vcc, 0, v3
	s_and_saveexec_b64 s[2:3], vcc
	s_cbranch_execz .LBB738_114
; %bb.113:
	v_lshrrev_b32_e32 v5, 3, v0
	v_and_b32_e32 v5, 24, v5
	s_waitcnt lgkmcnt(0)
	ds_write_b64 v5, v[1:2] offset:96
.LBB738_114:
	s_or_b64 exec, exec, s[2:3]
	v_cmp_gt_u32_e32 vcc, 64, v0
	s_waitcnt lgkmcnt(0)
	s_barrier
	s_and_saveexec_b64 s[2:3], vcc
	s_cbranch_execz .LBB738_116
; %bb.115:
	v_and_b32_e32 v5, 3, v3
	v_lshlrev_b32_e32 v1, 3, v5
	ds_read_b64 v[1:2], v1 offset:96
	v_cmp_ne_u32_e32 vcc, 3, v5
	v_addc_co_u32_e32 v3, vcc, 0, v3, vcc
	v_lshlrev_b32_e32 v3, 2, v3
	s_waitcnt lgkmcnt(0)
	ds_bpermute_b32 v5, v3, v1
	ds_bpermute_b32 v3, v3, v2
	v_or_b32_e32 v4, 8, v4
	s_waitcnt lgkmcnt(1)
	v_add_co_u32_e32 v1, vcc, v1, v5
	v_addc_co_u32_e32 v2, vcc, 0, v2, vcc
	ds_bpermute_b32 v5, v4, v1
	v_add_co_u32_e32 v1, vcc, 0, v1
	s_waitcnt lgkmcnt(1)
	v_addc_co_u32_e32 v2, vcc, v3, v2, vcc
	ds_bpermute_b32 v3, v4, v2
	s_waitcnt lgkmcnt(1)
	v_add_co_u32_e32 v1, vcc, v1, v5
	v_addc_co_u32_e32 v2, vcc, 0, v2, vcc
	v_add_co_u32_e32 v1, vcc, 0, v1
	s_waitcnt lgkmcnt(0)
	v_addc_co_u32_e32 v2, vcc, v2, v3, vcc
.LBB738_116:
	s_or_b64 exec, exec, s[2:3]
	s_branch .LBB738_143
.LBB738_117:
                                        ; implicit-def: $vgpr1_vgpr2
	s_cbranch_execz .LBB738_143
; %bb.118:
	s_sub_i32 s10, s18, s0
	v_mov_b32_e32 v1, 0
	v_cmp_gt_u32_e32 vcc, s10, v0
	v_mov_b32_e32 v2, v1
	v_mov_b32_e32 v3, v1
	;; [unrolled: 1-line block ×7, first 2 shown]
	s_and_saveexec_b64 s[0:1], vcc
	s_cbranch_execz .LBB738_120
; %bb.119:
	v_lshlrev_b32_e32 v2, 3, v0
	global_load_dwordx2 v[2:3], v2, s[4:5]
	v_mov_b32_e32 v4, v1
	v_mov_b32_e32 v5, v1
	;; [unrolled: 1-line block ×6, first 2 shown]
	s_waitcnt vmcnt(0)
	v_mov_b32_e32 v1, v2
	v_mov_b32_e32 v2, v3
	;; [unrolled: 1-line block ×8, first 2 shown]
.LBB738_120:
	s_or_b64 exec, exec, s[0:1]
	v_or_b32_e32 v9, 0x100, v0
	v_cmp_gt_u32_e32 vcc, s10, v9
	s_and_saveexec_b64 s[0:1], vcc
	s_cbranch_execz .LBB738_122
; %bb.121:
	v_lshlrev_b32_e32 v3, 3, v0
	global_load_dwordx2 v[3:4], v3, s[4:5] offset:2048
.LBB738_122:
	s_or_b64 exec, exec, s[0:1]
	v_or_b32_e32 v9, 0x200, v0
	v_cmp_gt_u32_e64 s[0:1], s10, v9
	s_and_saveexec_b64 s[2:3], s[0:1]
	s_cbranch_execz .LBB738_124
; %bb.123:
	v_lshlrev_b32_e32 v5, 3, v9
	global_load_dwordx2 v[5:6], v5, s[4:5]
.LBB738_124:
	s_or_b64 exec, exec, s[2:3]
	v_or_b32_e32 v9, 0x300, v0
	v_cmp_gt_u32_e64 s[2:3], s10, v9
	s_and_saveexec_b64 s[8:9], s[2:3]
	s_cbranch_execz .LBB738_126
; %bb.125:
	v_lshlrev_b32_e32 v7, 3, v9
	global_load_dwordx2 v[7:8], v7, s[4:5]
.LBB738_126:
	s_or_b64 exec, exec, s[8:9]
	s_waitcnt vmcnt(0)
	v_cndmask_b32_e32 v3, 0, v3, vcc
	v_cndmask_b32_e32 v4, 0, v4, vcc
	v_add_co_u32_e32 v1, vcc, v3, v1
	v_addc_co_u32_e32 v2, vcc, v4, v2, vcc
	v_cndmask_b32_e64 v4, 0, v5, s[0:1]
	v_cndmask_b32_e64 v3, 0, v6, s[0:1]
	v_add_co_u32_e32 v1, vcc, v1, v4
	v_addc_co_u32_e32 v2, vcc, v2, v3, vcc
	v_cndmask_b32_e64 v4, 0, v7, s[2:3]
	v_cndmask_b32_e64 v3, 0, v8, s[2:3]
	v_add_co_u32_e32 v1, vcc, v1, v4
	v_addc_co_u32_e32 v2, vcc, v2, v3, vcc
	v_mbcnt_lo_u32_b32 v3, -1, 0
	v_mbcnt_hi_u32_b32 v3, -1, v3
	v_and_b32_e32 v4, 63, v3
	v_cmp_ne_u32_e32 vcc, 63, v4
	v_addc_co_u32_e32 v6, vcc, 0, v3, vcc
	v_lshlrev_b32_e32 v6, 2, v6
	ds_bpermute_b32 v8, v6, v1
	ds_bpermute_b32 v7, v6, v2
	s_min_u32 s2, s10, 0x100
	v_and_b32_e32 v5, 0xc0, v0
	v_sub_u32_e64 v5, s2, v5 clamp
	v_add_u32_e32 v6, 1, v4
	v_cmp_lt_u32_e32 vcc, v6, v5
	v_mov_b32_e32 v6, v1
	s_and_saveexec_b64 s[0:1], vcc
	s_cbranch_execz .LBB738_128
; %bb.127:
	s_waitcnt lgkmcnt(1)
	v_add_co_u32_e32 v6, vcc, v1, v8
	v_addc_co_u32_e32 v2, vcc, 0, v2, vcc
	v_add_co_u32_e32 v1, vcc, 0, v6
	s_waitcnt lgkmcnt(0)
	v_addc_co_u32_e32 v2, vcc, v7, v2, vcc
.LBB738_128:
	s_or_b64 exec, exec, s[0:1]
	v_cmp_gt_u32_e32 vcc, 62, v4
	s_waitcnt lgkmcnt(0)
	v_cndmask_b32_e64 v7, 0, 2, vcc
	v_add_lshl_u32 v7, v7, v3, 2
	ds_bpermute_b32 v8, v7, v6
	ds_bpermute_b32 v7, v7, v2
	v_add_u32_e32 v9, 2, v4
	v_cmp_lt_u32_e32 vcc, v9, v5
	s_and_saveexec_b64 s[0:1], vcc
	s_cbranch_execz .LBB738_130
; %bb.129:
	s_waitcnt lgkmcnt(1)
	v_add_co_u32_e32 v6, vcc, v1, v8
	v_addc_co_u32_e32 v2, vcc, 0, v2, vcc
	v_add_co_u32_e32 v1, vcc, 0, v6
	s_waitcnt lgkmcnt(0)
	v_addc_co_u32_e32 v2, vcc, v7, v2, vcc
.LBB738_130:
	s_or_b64 exec, exec, s[0:1]
	v_cmp_gt_u32_e32 vcc, 60, v4
	s_waitcnt lgkmcnt(0)
	v_cndmask_b32_e64 v7, 0, 4, vcc
	v_add_lshl_u32 v7, v7, v3, 2
	ds_bpermute_b32 v8, v7, v6
	ds_bpermute_b32 v7, v7, v2
	v_add_u32_e32 v9, 4, v4
	v_cmp_lt_u32_e32 vcc, v9, v5
	;; [unrolled: 19-line block ×4, first 2 shown]
	s_and_saveexec_b64 s[0:1], vcc
	s_cbranch_execz .LBB738_136
; %bb.135:
	s_waitcnt lgkmcnt(1)
	v_add_co_u32_e32 v6, vcc, v1, v8
	v_addc_co_u32_e32 v2, vcc, 0, v2, vcc
	v_add_co_u32_e32 v1, vcc, 0, v6
	s_waitcnt lgkmcnt(0)
	v_addc_co_u32_e32 v2, vcc, v7, v2, vcc
.LBB738_136:
	s_or_b64 exec, exec, s[0:1]
	s_waitcnt lgkmcnt(0)
	v_lshlrev_b32_e32 v7, 2, v3
	v_or_b32_e32 v8, 0x80, v7
	ds_bpermute_b32 v6, v8, v6
	ds_bpermute_b32 v8, v8, v2
	v_add_u32_e32 v4, 32, v4
	s_waitcnt lgkmcnt(1)
	v_add_co_u32_e32 v6, vcc, v1, v6
	v_addc_co_u32_e32 v9, vcc, 0, v2, vcc
	v_add_co_u32_e32 v6, vcc, 0, v6
	s_waitcnt lgkmcnt(0)
	v_addc_co_u32_e32 v8, vcc, v9, v8, vcc
	v_cmp_lt_u32_e32 vcc, v4, v5
	v_cndmask_b32_e32 v2, v2, v8, vcc
	v_cndmask_b32_e32 v1, v1, v6, vcc
	v_cmp_eq_u32_e32 vcc, 0, v3
	s_and_saveexec_b64 s[0:1], vcc
; %bb.137:
	v_lshrrev_b32_e32 v4, 3, v0
	v_and_b32_e32 v4, 24, v4
	ds_write_b64 v4, v[1:2] offset:160
; %bb.138:
	s_or_b64 exec, exec, s[0:1]
	v_cmp_gt_u32_e32 vcc, 4, v0
	s_waitcnt lgkmcnt(0)
	s_barrier
	s_and_saveexec_b64 s[0:1], vcc
	s_cbranch_execz .LBB738_142
; %bb.139:
	v_lshlrev_b32_e32 v1, 3, v3
	ds_read_b64 v[1:2], v1 offset:160
	v_and_b32_e32 v4, 3, v3
	v_cmp_ne_u32_e32 vcc, 3, v4
	v_addc_co_u32_e32 v3, vcc, 0, v3, vcc
	v_lshlrev_b32_e32 v3, 2, v3
	s_waitcnt lgkmcnt(0)
	ds_bpermute_b32 v6, v3, v1
	ds_bpermute_b32 v5, v3, v2
	s_add_i32 s2, s2, 63
	s_lshr_b32 s4, s2, 6
	v_add_u32_e32 v3, 1, v4
	v_cmp_gt_u32_e32 vcc, s4, v3
	v_mov_b32_e32 v3, v1
	s_and_saveexec_b64 s[2:3], vcc
	s_cbranch_execz .LBB738_141
; %bb.140:
	s_waitcnt lgkmcnt(1)
	v_add_co_u32_e32 v3, vcc, v1, v6
	v_addc_co_u32_e32 v2, vcc, 0, v2, vcc
	v_add_co_u32_e32 v1, vcc, 0, v3
	s_waitcnt lgkmcnt(0)
	v_addc_co_u32_e32 v2, vcc, v5, v2, vcc
.LBB738_141:
	s_or_b64 exec, exec, s[2:3]
	s_waitcnt lgkmcnt(0)
	v_or_b32_e32 v5, 8, v7
	ds_bpermute_b32 v3, v5, v3
	ds_bpermute_b32 v5, v5, v2
	v_add_u32_e32 v4, 2, v4
	s_waitcnt lgkmcnt(1)
	v_add_co_u32_e32 v3, vcc, v1, v3
	v_addc_co_u32_e32 v6, vcc, 0, v2, vcc
	v_add_co_u32_e32 v3, vcc, 0, v3
	s_waitcnt lgkmcnt(0)
	v_addc_co_u32_e32 v5, vcc, v6, v5, vcc
	v_cmp_gt_u32_e32 vcc, s4, v4
	v_cndmask_b32_e32 v2, v2, v5, vcc
	v_cndmask_b32_e32 v1, v1, v3, vcc
.LBB738_142:
	s_or_b64 exec, exec, s[0:1]
.LBB738_143:
	v_mov_b32_e32 v3, s6
	v_cmp_eq_u32_e64 s[2:3], 0, v0
	v_mov_b32_e32 v4, s7
.LBB738_144:
	s_branch .LBB738_206
.LBB738_145:
	s_cmp_gt_i32 s26, 1
	s_cbranch_scc0 .LBB738_153
; %bb.146:
	s_cmp_eq_u32 s26, 2
                                        ; implicit-def: $vgpr1_vgpr2
                                        ; implicit-def: $vgpr3_vgpr4
	s_cbranch_scc0 .LBB738_154
; %bb.147:
	s_mov_b32 s7, 0
	s_lshl_b32 s2, s6, 9
	s_mov_b32 s3, s7
	s_lshr_b64 s[4:5], s[18:19], 9
	s_lshl_b64 s[0:1], s[2:3], 3
	s_add_u32 s0, s16, s0
	s_addc_u32 s1, s17, s1
	s_cmp_lg_u64 s[4:5], s[6:7]
	s_cbranch_scc0 .LBB738_155
; %bb.148:
	v_lshlrev_b32_e32 v3, 3, v0
	global_load_dwordx2 v[1:2], v3, s[0:1]
	global_load_dwordx2 v[5:6], v3, s[0:1] offset:2048
	v_mbcnt_lo_u32_b32 v3, -1, 0
	v_mbcnt_hi_u32_b32 v3, -1, v3
	v_lshlrev_b32_e32 v4, 2, v3
	v_or_b32_e32 v7, 0xfc, v4
	s_waitcnt vmcnt(0)
	v_add_co_u32_e32 v1, vcc, v5, v1
	v_addc_co_u32_e32 v2, vcc, v6, v2, vcc
	s_nop 0
	v_mov_b32_dpp v5, v1 quad_perm:[1,0,3,2] row_mask:0xf bank_mask:0xf bound_ctrl:1
	v_add_co_u32_e32 v1, vcc, v1, v5
	v_mov_b32_dpp v6, v2 quad_perm:[1,0,3,2] row_mask:0xf bank_mask:0xf bound_ctrl:1
	v_addc_co_u32_e32 v2, vcc, 0, v2, vcc
	v_add_co_u32_e32 v5, vcc, 0, v1
	v_addc_co_u32_e32 v2, vcc, v6, v2, vcc
	v_mov_b32_dpp v1, v1 quad_perm:[2,3,0,1] row_mask:0xf bank_mask:0xf bound_ctrl:1
	v_add_co_u32_e32 v1, vcc, v5, v1
	v_mov_b32_dpp v6, v2 quad_perm:[2,3,0,1] row_mask:0xf bank_mask:0xf bound_ctrl:1
	v_addc_co_u32_e32 v2, vcc, 0, v2, vcc
	v_add_co_u32_e32 v5, vcc, 0, v1
	v_addc_co_u32_e32 v2, vcc, v2, v6, vcc
	v_mov_b32_dpp v1, v1 row_ror:4 row_mask:0xf bank_mask:0xf bound_ctrl:1
	v_add_co_u32_e32 v1, vcc, v5, v1
	v_mov_b32_dpp v6, v2 row_ror:4 row_mask:0xf bank_mask:0xf bound_ctrl:1
	v_addc_co_u32_e32 v2, vcc, 0, v2, vcc
	v_add_co_u32_e32 v5, vcc, 0, v1
	v_addc_co_u32_e32 v2, vcc, v2, v6, vcc
	v_mov_b32_dpp v1, v1 row_ror:8 row_mask:0xf bank_mask:0xf bound_ctrl:1
	v_add_co_u32_e32 v1, vcc, v5, v1
	v_mov_b32_dpp v6, v2 row_ror:8 row_mask:0xf bank_mask:0xf bound_ctrl:1
	v_addc_co_u32_e32 v2, vcc, 0, v2, vcc
	v_add_co_u32_e32 v5, vcc, 0, v1
	v_addc_co_u32_e32 v2, vcc, v2, v6, vcc
	v_mov_b32_dpp v1, v1 row_bcast:15 row_mask:0xf bank_mask:0xf bound_ctrl:1
	v_add_co_u32_e32 v1, vcc, v5, v1
	v_mov_b32_dpp v6, v2 row_bcast:15 row_mask:0xf bank_mask:0xf bound_ctrl:1
	v_addc_co_u32_e32 v2, vcc, 0, v2, vcc
	v_add_co_u32_e32 v5, vcc, 0, v1
	v_addc_co_u32_e32 v2, vcc, v2, v6, vcc
	v_mov_b32_dpp v1, v1 row_bcast:31 row_mask:0xf bank_mask:0xf bound_ctrl:1
	v_add_co_u32_e32 v1, vcc, v5, v1
	v_addc_co_u32_e32 v5, vcc, 0, v2, vcc
	ds_bpermute_b32 v1, v7, v1
	s_nop 0
	v_add_u32_dpp v2, v2, v5 row_bcast:31 row_mask:0xf bank_mask:0xf bound_ctrl:1
	ds_bpermute_b32 v2, v7, v2
	v_cmp_eq_u32_e32 vcc, 0, v3
	s_and_saveexec_b64 s[4:5], vcc
	s_cbranch_execz .LBB738_150
; %bb.149:
	v_lshrrev_b32_e32 v5, 3, v0
	v_and_b32_e32 v5, 24, v5
	s_waitcnt lgkmcnt(0)
	ds_write_b64 v5, v[1:2] offset:64
.LBB738_150:
	s_or_b64 exec, exec, s[4:5]
	v_cmp_gt_u32_e32 vcc, 64, v0
	s_waitcnt lgkmcnt(0)
	s_barrier
	s_and_saveexec_b64 s[4:5], vcc
	s_cbranch_execz .LBB738_152
; %bb.151:
	v_and_b32_e32 v5, 3, v3
	v_lshlrev_b32_e32 v1, 3, v5
	ds_read_b64 v[1:2], v1 offset:64
	v_cmp_ne_u32_e32 vcc, 3, v5
	v_addc_co_u32_e32 v3, vcc, 0, v3, vcc
	v_lshlrev_b32_e32 v3, 2, v3
	s_waitcnt lgkmcnt(0)
	ds_bpermute_b32 v5, v3, v1
	ds_bpermute_b32 v3, v3, v2
	v_or_b32_e32 v4, 8, v4
	s_waitcnt lgkmcnt(1)
	v_add_co_u32_e32 v1, vcc, v1, v5
	v_addc_co_u32_e32 v2, vcc, 0, v2, vcc
	ds_bpermute_b32 v5, v4, v1
	v_add_co_u32_e32 v1, vcc, 0, v1
	s_waitcnt lgkmcnt(1)
	v_addc_co_u32_e32 v2, vcc, v3, v2, vcc
	ds_bpermute_b32 v3, v4, v2
	s_waitcnt lgkmcnt(1)
	v_add_co_u32_e32 v1, vcc, v1, v5
	v_addc_co_u32_e32 v2, vcc, 0, v2, vcc
	v_add_co_u32_e32 v1, vcc, 0, v1
	s_waitcnt lgkmcnt(0)
	v_addc_co_u32_e32 v2, vcc, v2, v3, vcc
.LBB738_152:
	s_or_b64 exec, exec, s[4:5]
	s_branch .LBB738_177
.LBB738_153:
                                        ; implicit-def: $vgpr1_vgpr2
                                        ; implicit-def: $vgpr3_vgpr4
	s_cbranch_execnz .LBB738_178
	s_branch .LBB738_206
.LBB738_154:
	s_branch .LBB738_206
.LBB738_155:
                                        ; implicit-def: $vgpr1_vgpr2
	s_cbranch_execz .LBB738_177
; %bb.156:
	s_sub_i32 s4, s18, s2
	v_mov_b32_e32 v1, 0
	v_cmp_gt_u32_e32 vcc, s4, v0
	v_mov_b32_e32 v2, v1
	v_mov_b32_e32 v3, v1
	;; [unrolled: 1-line block ×3, first 2 shown]
	s_and_saveexec_b64 s[2:3], vcc
	s_cbranch_execz .LBB738_158
; %bb.157:
	v_lshlrev_b32_e32 v2, 3, v0
	global_load_dwordx2 v[2:3], v2, s[0:1]
	v_mov_b32_e32 v4, v1
	v_mov_b32_e32 v5, v1
	s_waitcnt vmcnt(0)
	v_mov_b32_e32 v1, v2
	v_mov_b32_e32 v2, v3
	;; [unrolled: 1-line block ×4, first 2 shown]
.LBB738_158:
	s_or_b64 exec, exec, s[2:3]
	v_or_b32_e32 v5, 0x100, v0
	v_cmp_gt_u32_e32 vcc, s4, v5
	s_and_saveexec_b64 s[2:3], vcc
	s_cbranch_execz .LBB738_160
; %bb.159:
	v_lshlrev_b32_e32 v3, 3, v0
	global_load_dwordx2 v[3:4], v3, s[0:1] offset:2048
.LBB738_160:
	s_or_b64 exec, exec, s[2:3]
	s_waitcnt vmcnt(0)
	v_cndmask_b32_e32 v3, 0, v3, vcc
	v_cndmask_b32_e32 v4, 0, v4, vcc
	v_add_co_u32_e32 v1, vcc, v3, v1
	v_mbcnt_lo_u32_b32 v3, -1, 0
	v_mbcnt_hi_u32_b32 v3, -1, v3
	v_addc_co_u32_e32 v2, vcc, v4, v2, vcc
	v_and_b32_e32 v4, 63, v3
	v_cmp_ne_u32_e32 vcc, 63, v4
	v_addc_co_u32_e32 v6, vcc, 0, v3, vcc
	v_lshlrev_b32_e32 v6, 2, v6
	ds_bpermute_b32 v8, v6, v1
	ds_bpermute_b32 v7, v6, v2
	s_min_u32 s2, s4, 0x100
	v_and_b32_e32 v5, 0xc0, v0
	v_sub_u32_e64 v5, s2, v5 clamp
	v_add_u32_e32 v6, 1, v4
	v_cmp_lt_u32_e32 vcc, v6, v5
	v_mov_b32_e32 v6, v1
	s_and_saveexec_b64 s[0:1], vcc
	s_cbranch_execz .LBB738_162
; %bb.161:
	s_waitcnt lgkmcnt(1)
	v_add_co_u32_e32 v6, vcc, v1, v8
	v_addc_co_u32_e32 v2, vcc, 0, v2, vcc
	v_add_co_u32_e32 v1, vcc, 0, v6
	s_waitcnt lgkmcnt(0)
	v_addc_co_u32_e32 v2, vcc, v7, v2, vcc
.LBB738_162:
	s_or_b64 exec, exec, s[0:1]
	v_cmp_gt_u32_e32 vcc, 62, v4
	s_waitcnt lgkmcnt(0)
	v_cndmask_b32_e64 v7, 0, 2, vcc
	v_add_lshl_u32 v7, v7, v3, 2
	ds_bpermute_b32 v8, v7, v6
	ds_bpermute_b32 v7, v7, v2
	v_add_u32_e32 v9, 2, v4
	v_cmp_lt_u32_e32 vcc, v9, v5
	s_and_saveexec_b64 s[0:1], vcc
	s_cbranch_execz .LBB738_164
; %bb.163:
	s_waitcnt lgkmcnt(1)
	v_add_co_u32_e32 v6, vcc, v1, v8
	v_addc_co_u32_e32 v2, vcc, 0, v2, vcc
	v_add_co_u32_e32 v1, vcc, 0, v6
	s_waitcnt lgkmcnt(0)
	v_addc_co_u32_e32 v2, vcc, v7, v2, vcc
.LBB738_164:
	s_or_b64 exec, exec, s[0:1]
	v_cmp_gt_u32_e32 vcc, 60, v4
	s_waitcnt lgkmcnt(0)
	v_cndmask_b32_e64 v7, 0, 4, vcc
	v_add_lshl_u32 v7, v7, v3, 2
	ds_bpermute_b32 v8, v7, v6
	ds_bpermute_b32 v7, v7, v2
	v_add_u32_e32 v9, 4, v4
	v_cmp_lt_u32_e32 vcc, v9, v5
	;; [unrolled: 19-line block ×4, first 2 shown]
	s_and_saveexec_b64 s[0:1], vcc
	s_cbranch_execz .LBB738_170
; %bb.169:
	s_waitcnt lgkmcnt(1)
	v_add_co_u32_e32 v6, vcc, v1, v8
	v_addc_co_u32_e32 v2, vcc, 0, v2, vcc
	v_add_co_u32_e32 v1, vcc, 0, v6
	s_waitcnt lgkmcnt(0)
	v_addc_co_u32_e32 v2, vcc, v7, v2, vcc
.LBB738_170:
	s_or_b64 exec, exec, s[0:1]
	s_waitcnt lgkmcnt(0)
	v_lshlrev_b32_e32 v7, 2, v3
	v_or_b32_e32 v8, 0x80, v7
	ds_bpermute_b32 v6, v8, v6
	ds_bpermute_b32 v8, v8, v2
	v_add_u32_e32 v4, 32, v4
	s_waitcnt lgkmcnt(1)
	v_add_co_u32_e32 v6, vcc, v1, v6
	v_addc_co_u32_e32 v9, vcc, 0, v2, vcc
	v_add_co_u32_e32 v6, vcc, 0, v6
	s_waitcnt lgkmcnt(0)
	v_addc_co_u32_e32 v8, vcc, v9, v8, vcc
	v_cmp_lt_u32_e32 vcc, v4, v5
	v_cndmask_b32_e32 v2, v2, v8, vcc
	v_cndmask_b32_e32 v1, v1, v6, vcc
	v_cmp_eq_u32_e32 vcc, 0, v3
	s_and_saveexec_b64 s[0:1], vcc
; %bb.171:
	v_lshrrev_b32_e32 v4, 3, v0
	v_and_b32_e32 v4, 24, v4
	ds_write_b64 v4, v[1:2] offset:160
; %bb.172:
	s_or_b64 exec, exec, s[0:1]
	v_cmp_gt_u32_e32 vcc, 4, v0
	s_waitcnt lgkmcnt(0)
	s_barrier
	s_and_saveexec_b64 s[0:1], vcc
	s_cbranch_execz .LBB738_176
; %bb.173:
	v_lshlrev_b32_e32 v1, 3, v3
	ds_read_b64 v[1:2], v1 offset:160
	v_and_b32_e32 v4, 3, v3
	v_cmp_ne_u32_e32 vcc, 3, v4
	v_addc_co_u32_e32 v3, vcc, 0, v3, vcc
	v_lshlrev_b32_e32 v3, 2, v3
	s_waitcnt lgkmcnt(0)
	ds_bpermute_b32 v6, v3, v1
	ds_bpermute_b32 v5, v3, v2
	s_add_i32 s2, s2, 63
	s_lshr_b32 s4, s2, 6
	v_add_u32_e32 v3, 1, v4
	v_cmp_gt_u32_e32 vcc, s4, v3
	v_mov_b32_e32 v3, v1
	s_and_saveexec_b64 s[2:3], vcc
	s_cbranch_execz .LBB738_175
; %bb.174:
	s_waitcnt lgkmcnt(1)
	v_add_co_u32_e32 v3, vcc, v1, v6
	v_addc_co_u32_e32 v2, vcc, 0, v2, vcc
	v_add_co_u32_e32 v1, vcc, 0, v3
	s_waitcnt lgkmcnt(0)
	v_addc_co_u32_e32 v2, vcc, v5, v2, vcc
.LBB738_175:
	s_or_b64 exec, exec, s[2:3]
	s_waitcnt lgkmcnt(0)
	v_or_b32_e32 v5, 8, v7
	ds_bpermute_b32 v3, v5, v3
	ds_bpermute_b32 v5, v5, v2
	v_add_u32_e32 v4, 2, v4
	s_waitcnt lgkmcnt(1)
	v_add_co_u32_e32 v3, vcc, v1, v3
	v_addc_co_u32_e32 v6, vcc, 0, v2, vcc
	v_add_co_u32_e32 v3, vcc, 0, v3
	s_waitcnt lgkmcnt(0)
	v_addc_co_u32_e32 v5, vcc, v6, v5, vcc
	v_cmp_gt_u32_e32 vcc, s4, v4
	v_cndmask_b32_e32 v2, v2, v5, vcc
	v_cndmask_b32_e32 v1, v1, v3, vcc
.LBB738_176:
	s_or_b64 exec, exec, s[0:1]
.LBB738_177:
	v_mov_b32_e32 v3, s6
	v_cmp_eq_u32_e64 s[2:3], 0, v0
	v_mov_b32_e32 v4, s7
	s_branch .LBB738_206
.LBB738_178:
	s_cmp_eq_u32 s26, 1
                                        ; implicit-def: $vgpr1_vgpr2
                                        ; implicit-def: $vgpr3_vgpr4
	s_cbranch_scc0 .LBB738_206
; %bb.179:
	s_mov_b32 s1, 0
	s_lshl_b32 s0, s6, 8
	s_mov_b32 s7, s1
	s_lshr_b64 s[2:3], s[18:19], 8
	s_cmp_lg_u64 s[2:3], s[6:7]
	v_mbcnt_lo_u32_b32 v3, -1, 0
	s_cbranch_scc0 .LBB738_185
; %bb.180:
	s_lshl_b64 s[2:3], s[0:1], 3
	s_add_u32 s2, s16, s2
	s_addc_u32 s3, s17, s3
	v_lshlrev_b32_e32 v1, 3, v0
	global_load_dwordx2 v[1:2], v1, s[2:3]
	v_mbcnt_hi_u32_b32 v4, -1, v3
	v_lshlrev_b32_e32 v5, 2, v4
	v_or_b32_e32 v6, 0xfc, v5
	s_waitcnt vmcnt(0)
	v_mov_b32_dpp v7, v1 quad_perm:[1,0,3,2] row_mask:0xf bank_mask:0xf bound_ctrl:1
	v_add_co_u32_e32 v1, vcc, v1, v7
	v_mov_b32_dpp v8, v2 quad_perm:[1,0,3,2] row_mask:0xf bank_mask:0xf bound_ctrl:1
	v_addc_co_u32_e32 v2, vcc, 0, v2, vcc
	v_add_co_u32_e32 v7, vcc, 0, v1
	v_addc_co_u32_e32 v2, vcc, v8, v2, vcc
	v_mov_b32_dpp v1, v1 quad_perm:[2,3,0,1] row_mask:0xf bank_mask:0xf bound_ctrl:1
	v_add_co_u32_e32 v1, vcc, v7, v1
	v_mov_b32_dpp v8, v2 quad_perm:[2,3,0,1] row_mask:0xf bank_mask:0xf bound_ctrl:1
	v_addc_co_u32_e32 v2, vcc, 0, v2, vcc
	v_add_co_u32_e32 v7, vcc, 0, v1
	v_addc_co_u32_e32 v2, vcc, v2, v8, vcc
	v_mov_b32_dpp v1, v1 row_ror:4 row_mask:0xf bank_mask:0xf bound_ctrl:1
	v_add_co_u32_e32 v1, vcc, v7, v1
	v_mov_b32_dpp v8, v2 row_ror:4 row_mask:0xf bank_mask:0xf bound_ctrl:1
	v_addc_co_u32_e32 v2, vcc, 0, v2, vcc
	v_add_co_u32_e32 v7, vcc, 0, v1
	v_addc_co_u32_e32 v2, vcc, v2, v8, vcc
	v_mov_b32_dpp v1, v1 row_ror:8 row_mask:0xf bank_mask:0xf bound_ctrl:1
	v_add_co_u32_e32 v1, vcc, v7, v1
	v_mov_b32_dpp v8, v2 row_ror:8 row_mask:0xf bank_mask:0xf bound_ctrl:1
	v_addc_co_u32_e32 v2, vcc, 0, v2, vcc
	v_add_co_u32_e32 v7, vcc, 0, v1
	v_addc_co_u32_e32 v2, vcc, v2, v8, vcc
	v_mov_b32_dpp v1, v1 row_bcast:15 row_mask:0xf bank_mask:0xf bound_ctrl:1
	v_add_co_u32_e32 v1, vcc, v7, v1
	v_mov_b32_dpp v8, v2 row_bcast:15 row_mask:0xf bank_mask:0xf bound_ctrl:1
	v_addc_co_u32_e32 v2, vcc, 0, v2, vcc
	v_add_co_u32_e32 v7, vcc, 0, v1
	v_addc_co_u32_e32 v2, vcc, v2, v8, vcc
	v_mov_b32_dpp v1, v1 row_bcast:31 row_mask:0xf bank_mask:0xf bound_ctrl:1
	v_add_co_u32_e32 v1, vcc, v7, v1
	v_addc_co_u32_e32 v7, vcc, 0, v2, vcc
	ds_bpermute_b32 v1, v6, v1
	s_nop 0
	v_add_u32_dpp v2, v2, v7 row_bcast:31 row_mask:0xf bank_mask:0xf bound_ctrl:1
	ds_bpermute_b32 v2, v6, v2
	v_cmp_eq_u32_e32 vcc, 0, v4
	s_and_saveexec_b64 s[2:3], vcc
	s_cbranch_execz .LBB738_182
; %bb.181:
	v_lshrrev_b32_e32 v6, 3, v0
	v_and_b32_e32 v6, 24, v6
	s_waitcnt lgkmcnt(0)
	ds_write_b64 v6, v[1:2] offset:32
.LBB738_182:
	s_or_b64 exec, exec, s[2:3]
	v_cmp_gt_u32_e32 vcc, 64, v0
	s_waitcnt lgkmcnt(0)
	s_barrier
	s_and_saveexec_b64 s[2:3], vcc
	s_cbranch_execz .LBB738_184
; %bb.183:
	v_and_b32_e32 v6, 3, v4
	v_lshlrev_b32_e32 v1, 3, v6
	ds_read_b64 v[1:2], v1 offset:32
	v_cmp_ne_u32_e32 vcc, 3, v6
	v_addc_co_u32_e32 v4, vcc, 0, v4, vcc
	v_lshlrev_b32_e32 v4, 2, v4
	s_waitcnt lgkmcnt(0)
	ds_bpermute_b32 v6, v4, v1
	ds_bpermute_b32 v4, v4, v2
	v_or_b32_e32 v5, 8, v5
	s_waitcnt lgkmcnt(1)
	v_add_co_u32_e32 v1, vcc, v1, v6
	v_addc_co_u32_e32 v2, vcc, 0, v2, vcc
	ds_bpermute_b32 v6, v5, v1
	v_add_co_u32_e32 v1, vcc, 0, v1
	s_waitcnt lgkmcnt(1)
	v_addc_co_u32_e32 v2, vcc, v4, v2, vcc
	ds_bpermute_b32 v4, v5, v2
	s_waitcnt lgkmcnt(1)
	v_add_co_u32_e32 v1, vcc, v1, v6
	v_addc_co_u32_e32 v2, vcc, 0, v2, vcc
	v_add_co_u32_e32 v1, vcc, 0, v1
	s_waitcnt lgkmcnt(0)
	v_addc_co_u32_e32 v2, vcc, v2, v4, vcc
.LBB738_184:
	s_or_b64 exec, exec, s[2:3]
	s_branch .LBB738_205
.LBB738_185:
                                        ; implicit-def: $vgpr1_vgpr2
	s_cbranch_execz .LBB738_205
; %bb.186:
	s_sub_i32 s4, s18, s0
	v_cmp_gt_u32_e32 vcc, s4, v0
                                        ; implicit-def: $vgpr1_vgpr2
	s_and_saveexec_b64 s[2:3], vcc
	s_cbranch_execz .LBB738_188
; %bb.187:
	s_lshl_b64 s[0:1], s[0:1], 3
	s_add_u32 s0, s16, s0
	s_addc_u32 s1, s17, s1
	v_lshlrev_b32_e32 v1, 3, v0
	global_load_dwordx2 v[1:2], v1, s[0:1]
.LBB738_188:
	s_or_b64 exec, exec, s[2:3]
	v_mbcnt_hi_u32_b32 v3, -1, v3
	v_and_b32_e32 v4, 63, v3
	v_cmp_ne_u32_e32 vcc, 63, v4
	v_addc_co_u32_e32 v6, vcc, 0, v3, vcc
	v_lshlrev_b32_e32 v6, 2, v6
	s_waitcnt vmcnt(0)
	ds_bpermute_b32 v8, v6, v1
	ds_bpermute_b32 v7, v6, v2
	s_min_u32 s2, s4, 0x100
	v_and_b32_e32 v5, 0xc0, v0
	v_sub_u32_e64 v5, s2, v5 clamp
	v_add_u32_e32 v6, 1, v4
	v_cmp_lt_u32_e32 vcc, v6, v5
	v_mov_b32_e32 v6, v1
	s_and_saveexec_b64 s[0:1], vcc
	s_cbranch_execz .LBB738_190
; %bb.189:
	s_waitcnt lgkmcnt(1)
	v_add_co_u32_e32 v6, vcc, v1, v8
	v_addc_co_u32_e32 v2, vcc, 0, v2, vcc
	v_add_co_u32_e32 v1, vcc, 0, v6
	s_waitcnt lgkmcnt(0)
	v_addc_co_u32_e32 v2, vcc, v7, v2, vcc
.LBB738_190:
	s_or_b64 exec, exec, s[0:1]
	v_cmp_gt_u32_e32 vcc, 62, v4
	s_waitcnt lgkmcnt(0)
	v_cndmask_b32_e64 v7, 0, 2, vcc
	v_add_lshl_u32 v7, v7, v3, 2
	ds_bpermute_b32 v8, v7, v6
	ds_bpermute_b32 v7, v7, v2
	v_add_u32_e32 v9, 2, v4
	v_cmp_lt_u32_e32 vcc, v9, v5
	s_and_saveexec_b64 s[0:1], vcc
	s_cbranch_execz .LBB738_192
; %bb.191:
	s_waitcnt lgkmcnt(1)
	v_add_co_u32_e32 v6, vcc, v1, v8
	v_addc_co_u32_e32 v2, vcc, 0, v2, vcc
	v_add_co_u32_e32 v1, vcc, 0, v6
	s_waitcnt lgkmcnt(0)
	v_addc_co_u32_e32 v2, vcc, v7, v2, vcc
.LBB738_192:
	s_or_b64 exec, exec, s[0:1]
	v_cmp_gt_u32_e32 vcc, 60, v4
	s_waitcnt lgkmcnt(0)
	v_cndmask_b32_e64 v7, 0, 4, vcc
	v_add_lshl_u32 v7, v7, v3, 2
	ds_bpermute_b32 v8, v7, v6
	ds_bpermute_b32 v7, v7, v2
	v_add_u32_e32 v9, 4, v4
	v_cmp_lt_u32_e32 vcc, v9, v5
	;; [unrolled: 19-line block ×4, first 2 shown]
	s_and_saveexec_b64 s[0:1], vcc
	s_cbranch_execz .LBB738_198
; %bb.197:
	s_waitcnt lgkmcnt(1)
	v_add_co_u32_e32 v6, vcc, v1, v8
	v_addc_co_u32_e32 v2, vcc, 0, v2, vcc
	v_add_co_u32_e32 v1, vcc, 0, v6
	s_waitcnt lgkmcnt(0)
	v_addc_co_u32_e32 v2, vcc, v7, v2, vcc
.LBB738_198:
	s_or_b64 exec, exec, s[0:1]
	s_waitcnt lgkmcnt(0)
	v_lshlrev_b32_e32 v7, 2, v3
	v_or_b32_e32 v8, 0x80, v7
	ds_bpermute_b32 v6, v8, v6
	ds_bpermute_b32 v8, v8, v2
	v_add_u32_e32 v4, 32, v4
	s_waitcnt lgkmcnt(1)
	v_add_co_u32_e32 v6, vcc, v1, v6
	v_addc_co_u32_e32 v9, vcc, 0, v2, vcc
	v_add_co_u32_e32 v6, vcc, 0, v6
	s_waitcnt lgkmcnt(0)
	v_addc_co_u32_e32 v8, vcc, v9, v8, vcc
	v_cmp_lt_u32_e32 vcc, v4, v5
	v_cndmask_b32_e32 v2, v2, v8, vcc
	v_cndmask_b32_e32 v1, v1, v6, vcc
	v_cmp_eq_u32_e32 vcc, 0, v3
	s_and_saveexec_b64 s[0:1], vcc
; %bb.199:
	v_lshrrev_b32_e32 v4, 3, v0
	v_and_b32_e32 v4, 24, v4
	ds_write_b64 v4, v[1:2] offset:160
; %bb.200:
	s_or_b64 exec, exec, s[0:1]
	v_cmp_gt_u32_e32 vcc, 4, v0
	s_waitcnt lgkmcnt(0)
	s_barrier
	s_and_saveexec_b64 s[0:1], vcc
	s_cbranch_execz .LBB738_204
; %bb.201:
	v_lshlrev_b32_e32 v1, 3, v3
	ds_read_b64 v[1:2], v1 offset:160
	v_and_b32_e32 v4, 3, v3
	v_cmp_ne_u32_e32 vcc, 3, v4
	v_addc_co_u32_e32 v3, vcc, 0, v3, vcc
	v_lshlrev_b32_e32 v3, 2, v3
	s_waitcnt lgkmcnt(0)
	ds_bpermute_b32 v6, v3, v1
	ds_bpermute_b32 v5, v3, v2
	s_add_i32 s2, s2, 63
	s_lshr_b32 s4, s2, 6
	v_add_u32_e32 v3, 1, v4
	v_cmp_gt_u32_e32 vcc, s4, v3
	v_mov_b32_e32 v3, v1
	s_and_saveexec_b64 s[2:3], vcc
	s_cbranch_execz .LBB738_203
; %bb.202:
	s_waitcnt lgkmcnt(1)
	v_add_co_u32_e32 v3, vcc, v1, v6
	v_addc_co_u32_e32 v2, vcc, 0, v2, vcc
	v_add_co_u32_e32 v1, vcc, 0, v3
	s_waitcnt lgkmcnt(0)
	v_addc_co_u32_e32 v2, vcc, v5, v2, vcc
.LBB738_203:
	s_or_b64 exec, exec, s[2:3]
	s_waitcnt lgkmcnt(0)
	v_or_b32_e32 v5, 8, v7
	ds_bpermute_b32 v3, v5, v3
	ds_bpermute_b32 v5, v5, v2
	v_add_u32_e32 v4, 2, v4
	s_waitcnt lgkmcnt(1)
	v_add_co_u32_e32 v3, vcc, v1, v3
	v_addc_co_u32_e32 v6, vcc, 0, v2, vcc
	v_add_co_u32_e32 v3, vcc, 0, v3
	s_waitcnt lgkmcnt(0)
	v_addc_co_u32_e32 v5, vcc, v6, v5, vcc
	v_cmp_gt_u32_e32 vcc, s4, v4
	v_cndmask_b32_e32 v2, v2, v5, vcc
	v_cndmask_b32_e32 v1, v1, v3, vcc
.LBB738_204:
	s_or_b64 exec, exec, s[0:1]
.LBB738_205:
	v_mov_b32_e32 v3, s6
	v_cmp_eq_u32_e64 s[2:3], 0, v0
	v_mov_b32_e32 v4, s7
.LBB738_206:
	s_and_saveexec_b64 s[0:1], s[2:3]
	s_cbranch_execz .LBB738_208
; %bb.207:
	v_lshlrev_b64 v[3:4], 3, v[3:4]
	v_mov_b32_e32 v0, s21
	v_add_co_u32_e32 v3, vcc, s20, v3
	v_addc_co_u32_e32 v4, vcc, v0, v4, vcc
	s_cmp_lg_u64 s[18:19], 0
	s_cselect_b64 vcc, -1, 0
	v_cndmask_b32_e32 v0, 0, v1, vcc
	v_cndmask_b32_e32 v2, 0, v2, vcc
	v_mov_b32_e32 v1, s23
	v_add_co_u32_e32 v0, vcc, s22, v0
	v_addc_co_u32_e32 v1, vcc, v2, v1, vcc
	global_store_dwordx2 v[3:4], v[0:1], off
.LBB738_208:
	s_endpgm
	.section	.rodata,"a",@progbits
	.p2align	6, 0x0
	.amdhsa_kernel _ZN7rocprim17ROCPRIM_400000_NS6detail17trampoline_kernelINS0_14default_configENS1_22reduce_config_selectorIlEEZNS1_11reduce_implILb1ES3_PlS7_lN6thrust23THRUST_200600_302600_NS4plusIlEEEE10hipError_tPvRmT1_T2_T3_mT4_P12ihipStream_tbEUlT_E1_NS1_11comp_targetILNS1_3genE2ELNS1_11target_archE906ELNS1_3gpuE6ELNS1_3repE0EEENS1_30default_config_static_selectorELNS0_4arch9wavefront6targetE1EEEvSF_
		.amdhsa_group_segment_fixed_size 192
		.amdhsa_private_segment_fixed_size 0
		.amdhsa_kernarg_size 48
		.amdhsa_user_sgpr_count 6
		.amdhsa_user_sgpr_private_segment_buffer 1
		.amdhsa_user_sgpr_dispatch_ptr 0
		.amdhsa_user_sgpr_queue_ptr 0
		.amdhsa_user_sgpr_kernarg_segment_ptr 1
		.amdhsa_user_sgpr_dispatch_id 0
		.amdhsa_user_sgpr_flat_scratch_init 0
		.amdhsa_user_sgpr_private_segment_size 0
		.amdhsa_uses_dynamic_stack 0
		.amdhsa_system_sgpr_private_segment_wavefront_offset 0
		.amdhsa_system_sgpr_workgroup_id_x 1
		.amdhsa_system_sgpr_workgroup_id_y 0
		.amdhsa_system_sgpr_workgroup_id_z 0
		.amdhsa_system_sgpr_workgroup_info 0
		.amdhsa_system_vgpr_workitem_id 0
		.amdhsa_next_free_vgpr 34
		.amdhsa_next_free_sgpr 28
		.amdhsa_reserve_vcc 1
		.amdhsa_reserve_flat_scratch 0
		.amdhsa_float_round_mode_32 0
		.amdhsa_float_round_mode_16_64 0
		.amdhsa_float_denorm_mode_32 3
		.amdhsa_float_denorm_mode_16_64 3
		.amdhsa_dx10_clamp 1
		.amdhsa_ieee_mode 1
		.amdhsa_fp16_overflow 0
		.amdhsa_exception_fp_ieee_invalid_op 0
		.amdhsa_exception_fp_denorm_src 0
		.amdhsa_exception_fp_ieee_div_zero 0
		.amdhsa_exception_fp_ieee_overflow 0
		.amdhsa_exception_fp_ieee_underflow 0
		.amdhsa_exception_fp_ieee_inexact 0
		.amdhsa_exception_int_div_zero 0
	.end_amdhsa_kernel
	.section	.text._ZN7rocprim17ROCPRIM_400000_NS6detail17trampoline_kernelINS0_14default_configENS1_22reduce_config_selectorIlEEZNS1_11reduce_implILb1ES3_PlS7_lN6thrust23THRUST_200600_302600_NS4plusIlEEEE10hipError_tPvRmT1_T2_T3_mT4_P12ihipStream_tbEUlT_E1_NS1_11comp_targetILNS1_3genE2ELNS1_11target_archE906ELNS1_3gpuE6ELNS1_3repE0EEENS1_30default_config_static_selectorELNS0_4arch9wavefront6targetE1EEEvSF_,"axG",@progbits,_ZN7rocprim17ROCPRIM_400000_NS6detail17trampoline_kernelINS0_14default_configENS1_22reduce_config_selectorIlEEZNS1_11reduce_implILb1ES3_PlS7_lN6thrust23THRUST_200600_302600_NS4plusIlEEEE10hipError_tPvRmT1_T2_T3_mT4_P12ihipStream_tbEUlT_E1_NS1_11comp_targetILNS1_3genE2ELNS1_11target_archE906ELNS1_3gpuE6ELNS1_3repE0EEENS1_30default_config_static_selectorELNS0_4arch9wavefront6targetE1EEEvSF_,comdat
.Lfunc_end738:
	.size	_ZN7rocprim17ROCPRIM_400000_NS6detail17trampoline_kernelINS0_14default_configENS1_22reduce_config_selectorIlEEZNS1_11reduce_implILb1ES3_PlS7_lN6thrust23THRUST_200600_302600_NS4plusIlEEEE10hipError_tPvRmT1_T2_T3_mT4_P12ihipStream_tbEUlT_E1_NS1_11comp_targetILNS1_3genE2ELNS1_11target_archE906ELNS1_3gpuE6ELNS1_3repE0EEENS1_30default_config_static_selectorELNS0_4arch9wavefront6targetE1EEEvSF_, .Lfunc_end738-_ZN7rocprim17ROCPRIM_400000_NS6detail17trampoline_kernelINS0_14default_configENS1_22reduce_config_selectorIlEEZNS1_11reduce_implILb1ES3_PlS7_lN6thrust23THRUST_200600_302600_NS4plusIlEEEE10hipError_tPvRmT1_T2_T3_mT4_P12ihipStream_tbEUlT_E1_NS1_11comp_targetILNS1_3genE2ELNS1_11target_archE906ELNS1_3gpuE6ELNS1_3repE0EEENS1_30default_config_static_selectorELNS0_4arch9wavefront6targetE1EEEvSF_
                                        ; -- End function
	.set _ZN7rocprim17ROCPRIM_400000_NS6detail17trampoline_kernelINS0_14default_configENS1_22reduce_config_selectorIlEEZNS1_11reduce_implILb1ES3_PlS7_lN6thrust23THRUST_200600_302600_NS4plusIlEEEE10hipError_tPvRmT1_T2_T3_mT4_P12ihipStream_tbEUlT_E1_NS1_11comp_targetILNS1_3genE2ELNS1_11target_archE906ELNS1_3gpuE6ELNS1_3repE0EEENS1_30default_config_static_selectorELNS0_4arch9wavefront6targetE1EEEvSF_.num_vgpr, 34
	.set _ZN7rocprim17ROCPRIM_400000_NS6detail17trampoline_kernelINS0_14default_configENS1_22reduce_config_selectorIlEEZNS1_11reduce_implILb1ES3_PlS7_lN6thrust23THRUST_200600_302600_NS4plusIlEEEE10hipError_tPvRmT1_T2_T3_mT4_P12ihipStream_tbEUlT_E1_NS1_11comp_targetILNS1_3genE2ELNS1_11target_archE906ELNS1_3gpuE6ELNS1_3repE0EEENS1_30default_config_static_selectorELNS0_4arch9wavefront6targetE1EEEvSF_.num_agpr, 0
	.set _ZN7rocprim17ROCPRIM_400000_NS6detail17trampoline_kernelINS0_14default_configENS1_22reduce_config_selectorIlEEZNS1_11reduce_implILb1ES3_PlS7_lN6thrust23THRUST_200600_302600_NS4plusIlEEEE10hipError_tPvRmT1_T2_T3_mT4_P12ihipStream_tbEUlT_E1_NS1_11comp_targetILNS1_3genE2ELNS1_11target_archE906ELNS1_3gpuE6ELNS1_3repE0EEENS1_30default_config_static_selectorELNS0_4arch9wavefront6targetE1EEEvSF_.numbered_sgpr, 28
	.set _ZN7rocprim17ROCPRIM_400000_NS6detail17trampoline_kernelINS0_14default_configENS1_22reduce_config_selectorIlEEZNS1_11reduce_implILb1ES3_PlS7_lN6thrust23THRUST_200600_302600_NS4plusIlEEEE10hipError_tPvRmT1_T2_T3_mT4_P12ihipStream_tbEUlT_E1_NS1_11comp_targetILNS1_3genE2ELNS1_11target_archE906ELNS1_3gpuE6ELNS1_3repE0EEENS1_30default_config_static_selectorELNS0_4arch9wavefront6targetE1EEEvSF_.num_named_barrier, 0
	.set _ZN7rocprim17ROCPRIM_400000_NS6detail17trampoline_kernelINS0_14default_configENS1_22reduce_config_selectorIlEEZNS1_11reduce_implILb1ES3_PlS7_lN6thrust23THRUST_200600_302600_NS4plusIlEEEE10hipError_tPvRmT1_T2_T3_mT4_P12ihipStream_tbEUlT_E1_NS1_11comp_targetILNS1_3genE2ELNS1_11target_archE906ELNS1_3gpuE6ELNS1_3repE0EEENS1_30default_config_static_selectorELNS0_4arch9wavefront6targetE1EEEvSF_.private_seg_size, 0
	.set _ZN7rocprim17ROCPRIM_400000_NS6detail17trampoline_kernelINS0_14default_configENS1_22reduce_config_selectorIlEEZNS1_11reduce_implILb1ES3_PlS7_lN6thrust23THRUST_200600_302600_NS4plusIlEEEE10hipError_tPvRmT1_T2_T3_mT4_P12ihipStream_tbEUlT_E1_NS1_11comp_targetILNS1_3genE2ELNS1_11target_archE906ELNS1_3gpuE6ELNS1_3repE0EEENS1_30default_config_static_selectorELNS0_4arch9wavefront6targetE1EEEvSF_.uses_vcc, 1
	.set _ZN7rocprim17ROCPRIM_400000_NS6detail17trampoline_kernelINS0_14default_configENS1_22reduce_config_selectorIlEEZNS1_11reduce_implILb1ES3_PlS7_lN6thrust23THRUST_200600_302600_NS4plusIlEEEE10hipError_tPvRmT1_T2_T3_mT4_P12ihipStream_tbEUlT_E1_NS1_11comp_targetILNS1_3genE2ELNS1_11target_archE906ELNS1_3gpuE6ELNS1_3repE0EEENS1_30default_config_static_selectorELNS0_4arch9wavefront6targetE1EEEvSF_.uses_flat_scratch, 0
	.set _ZN7rocprim17ROCPRIM_400000_NS6detail17trampoline_kernelINS0_14default_configENS1_22reduce_config_selectorIlEEZNS1_11reduce_implILb1ES3_PlS7_lN6thrust23THRUST_200600_302600_NS4plusIlEEEE10hipError_tPvRmT1_T2_T3_mT4_P12ihipStream_tbEUlT_E1_NS1_11comp_targetILNS1_3genE2ELNS1_11target_archE906ELNS1_3gpuE6ELNS1_3repE0EEENS1_30default_config_static_selectorELNS0_4arch9wavefront6targetE1EEEvSF_.has_dyn_sized_stack, 0
	.set _ZN7rocprim17ROCPRIM_400000_NS6detail17trampoline_kernelINS0_14default_configENS1_22reduce_config_selectorIlEEZNS1_11reduce_implILb1ES3_PlS7_lN6thrust23THRUST_200600_302600_NS4plusIlEEEE10hipError_tPvRmT1_T2_T3_mT4_P12ihipStream_tbEUlT_E1_NS1_11comp_targetILNS1_3genE2ELNS1_11target_archE906ELNS1_3gpuE6ELNS1_3repE0EEENS1_30default_config_static_selectorELNS0_4arch9wavefront6targetE1EEEvSF_.has_recursion, 0
	.set _ZN7rocprim17ROCPRIM_400000_NS6detail17trampoline_kernelINS0_14default_configENS1_22reduce_config_selectorIlEEZNS1_11reduce_implILb1ES3_PlS7_lN6thrust23THRUST_200600_302600_NS4plusIlEEEE10hipError_tPvRmT1_T2_T3_mT4_P12ihipStream_tbEUlT_E1_NS1_11comp_targetILNS1_3genE2ELNS1_11target_archE906ELNS1_3gpuE6ELNS1_3repE0EEENS1_30default_config_static_selectorELNS0_4arch9wavefront6targetE1EEEvSF_.has_indirect_call, 0
	.section	.AMDGPU.csdata,"",@progbits
; Kernel info:
; codeLenInByte = 8996
; TotalNumSgprs: 32
; NumVgprs: 34
; ScratchSize: 0
; MemoryBound: 0
; FloatMode: 240
; IeeeMode: 1
; LDSByteSize: 192 bytes/workgroup (compile time only)
; SGPRBlocks: 3
; VGPRBlocks: 8
; NumSGPRsForWavesPerEU: 32
; NumVGPRsForWavesPerEU: 34
; Occupancy: 7
; WaveLimiterHint : 1
; COMPUTE_PGM_RSRC2:SCRATCH_EN: 0
; COMPUTE_PGM_RSRC2:USER_SGPR: 6
; COMPUTE_PGM_RSRC2:TRAP_HANDLER: 0
; COMPUTE_PGM_RSRC2:TGID_X_EN: 1
; COMPUTE_PGM_RSRC2:TGID_Y_EN: 0
; COMPUTE_PGM_RSRC2:TGID_Z_EN: 0
; COMPUTE_PGM_RSRC2:TIDIG_COMP_CNT: 0
	.section	.text._ZN7rocprim17ROCPRIM_400000_NS6detail17trampoline_kernelINS0_14default_configENS1_22reduce_config_selectorIlEEZNS1_11reduce_implILb1ES3_PlS7_lN6thrust23THRUST_200600_302600_NS4plusIlEEEE10hipError_tPvRmT1_T2_T3_mT4_P12ihipStream_tbEUlT_E1_NS1_11comp_targetILNS1_3genE10ELNS1_11target_archE1201ELNS1_3gpuE5ELNS1_3repE0EEENS1_30default_config_static_selectorELNS0_4arch9wavefront6targetE1EEEvSF_,"axG",@progbits,_ZN7rocprim17ROCPRIM_400000_NS6detail17trampoline_kernelINS0_14default_configENS1_22reduce_config_selectorIlEEZNS1_11reduce_implILb1ES3_PlS7_lN6thrust23THRUST_200600_302600_NS4plusIlEEEE10hipError_tPvRmT1_T2_T3_mT4_P12ihipStream_tbEUlT_E1_NS1_11comp_targetILNS1_3genE10ELNS1_11target_archE1201ELNS1_3gpuE5ELNS1_3repE0EEENS1_30default_config_static_selectorELNS0_4arch9wavefront6targetE1EEEvSF_,comdat
	.protected	_ZN7rocprim17ROCPRIM_400000_NS6detail17trampoline_kernelINS0_14default_configENS1_22reduce_config_selectorIlEEZNS1_11reduce_implILb1ES3_PlS7_lN6thrust23THRUST_200600_302600_NS4plusIlEEEE10hipError_tPvRmT1_T2_T3_mT4_P12ihipStream_tbEUlT_E1_NS1_11comp_targetILNS1_3genE10ELNS1_11target_archE1201ELNS1_3gpuE5ELNS1_3repE0EEENS1_30default_config_static_selectorELNS0_4arch9wavefront6targetE1EEEvSF_ ; -- Begin function _ZN7rocprim17ROCPRIM_400000_NS6detail17trampoline_kernelINS0_14default_configENS1_22reduce_config_selectorIlEEZNS1_11reduce_implILb1ES3_PlS7_lN6thrust23THRUST_200600_302600_NS4plusIlEEEE10hipError_tPvRmT1_T2_T3_mT4_P12ihipStream_tbEUlT_E1_NS1_11comp_targetILNS1_3genE10ELNS1_11target_archE1201ELNS1_3gpuE5ELNS1_3repE0EEENS1_30default_config_static_selectorELNS0_4arch9wavefront6targetE1EEEvSF_
	.globl	_ZN7rocprim17ROCPRIM_400000_NS6detail17trampoline_kernelINS0_14default_configENS1_22reduce_config_selectorIlEEZNS1_11reduce_implILb1ES3_PlS7_lN6thrust23THRUST_200600_302600_NS4plusIlEEEE10hipError_tPvRmT1_T2_T3_mT4_P12ihipStream_tbEUlT_E1_NS1_11comp_targetILNS1_3genE10ELNS1_11target_archE1201ELNS1_3gpuE5ELNS1_3repE0EEENS1_30default_config_static_selectorELNS0_4arch9wavefront6targetE1EEEvSF_
	.p2align	8
	.type	_ZN7rocprim17ROCPRIM_400000_NS6detail17trampoline_kernelINS0_14default_configENS1_22reduce_config_selectorIlEEZNS1_11reduce_implILb1ES3_PlS7_lN6thrust23THRUST_200600_302600_NS4plusIlEEEE10hipError_tPvRmT1_T2_T3_mT4_P12ihipStream_tbEUlT_E1_NS1_11comp_targetILNS1_3genE10ELNS1_11target_archE1201ELNS1_3gpuE5ELNS1_3repE0EEENS1_30default_config_static_selectorELNS0_4arch9wavefront6targetE1EEEvSF_,@function
_ZN7rocprim17ROCPRIM_400000_NS6detail17trampoline_kernelINS0_14default_configENS1_22reduce_config_selectorIlEEZNS1_11reduce_implILb1ES3_PlS7_lN6thrust23THRUST_200600_302600_NS4plusIlEEEE10hipError_tPvRmT1_T2_T3_mT4_P12ihipStream_tbEUlT_E1_NS1_11comp_targetILNS1_3genE10ELNS1_11target_archE1201ELNS1_3gpuE5ELNS1_3repE0EEENS1_30default_config_static_selectorELNS0_4arch9wavefront6targetE1EEEvSF_: ; @_ZN7rocprim17ROCPRIM_400000_NS6detail17trampoline_kernelINS0_14default_configENS1_22reduce_config_selectorIlEEZNS1_11reduce_implILb1ES3_PlS7_lN6thrust23THRUST_200600_302600_NS4plusIlEEEE10hipError_tPvRmT1_T2_T3_mT4_P12ihipStream_tbEUlT_E1_NS1_11comp_targetILNS1_3genE10ELNS1_11target_archE1201ELNS1_3gpuE5ELNS1_3repE0EEENS1_30default_config_static_selectorELNS0_4arch9wavefront6targetE1EEEvSF_
; %bb.0:
	.section	.rodata,"a",@progbits
	.p2align	6, 0x0
	.amdhsa_kernel _ZN7rocprim17ROCPRIM_400000_NS6detail17trampoline_kernelINS0_14default_configENS1_22reduce_config_selectorIlEEZNS1_11reduce_implILb1ES3_PlS7_lN6thrust23THRUST_200600_302600_NS4plusIlEEEE10hipError_tPvRmT1_T2_T3_mT4_P12ihipStream_tbEUlT_E1_NS1_11comp_targetILNS1_3genE10ELNS1_11target_archE1201ELNS1_3gpuE5ELNS1_3repE0EEENS1_30default_config_static_selectorELNS0_4arch9wavefront6targetE1EEEvSF_
		.amdhsa_group_segment_fixed_size 0
		.amdhsa_private_segment_fixed_size 0
		.amdhsa_kernarg_size 48
		.amdhsa_user_sgpr_count 6
		.amdhsa_user_sgpr_private_segment_buffer 1
		.amdhsa_user_sgpr_dispatch_ptr 0
		.amdhsa_user_sgpr_queue_ptr 0
		.amdhsa_user_sgpr_kernarg_segment_ptr 1
		.amdhsa_user_sgpr_dispatch_id 0
		.amdhsa_user_sgpr_flat_scratch_init 0
		.amdhsa_user_sgpr_private_segment_size 0
		.amdhsa_uses_dynamic_stack 0
		.amdhsa_system_sgpr_private_segment_wavefront_offset 0
		.amdhsa_system_sgpr_workgroup_id_x 1
		.amdhsa_system_sgpr_workgroup_id_y 0
		.amdhsa_system_sgpr_workgroup_id_z 0
		.amdhsa_system_sgpr_workgroup_info 0
		.amdhsa_system_vgpr_workitem_id 0
		.amdhsa_next_free_vgpr 1
		.amdhsa_next_free_sgpr 0
		.amdhsa_reserve_vcc 0
		.amdhsa_reserve_flat_scratch 0
		.amdhsa_float_round_mode_32 0
		.amdhsa_float_round_mode_16_64 0
		.amdhsa_float_denorm_mode_32 3
		.amdhsa_float_denorm_mode_16_64 3
		.amdhsa_dx10_clamp 1
		.amdhsa_ieee_mode 1
		.amdhsa_fp16_overflow 0
		.amdhsa_exception_fp_ieee_invalid_op 0
		.amdhsa_exception_fp_denorm_src 0
		.amdhsa_exception_fp_ieee_div_zero 0
		.amdhsa_exception_fp_ieee_overflow 0
		.amdhsa_exception_fp_ieee_underflow 0
		.amdhsa_exception_fp_ieee_inexact 0
		.amdhsa_exception_int_div_zero 0
	.end_amdhsa_kernel
	.section	.text._ZN7rocprim17ROCPRIM_400000_NS6detail17trampoline_kernelINS0_14default_configENS1_22reduce_config_selectorIlEEZNS1_11reduce_implILb1ES3_PlS7_lN6thrust23THRUST_200600_302600_NS4plusIlEEEE10hipError_tPvRmT1_T2_T3_mT4_P12ihipStream_tbEUlT_E1_NS1_11comp_targetILNS1_3genE10ELNS1_11target_archE1201ELNS1_3gpuE5ELNS1_3repE0EEENS1_30default_config_static_selectorELNS0_4arch9wavefront6targetE1EEEvSF_,"axG",@progbits,_ZN7rocprim17ROCPRIM_400000_NS6detail17trampoline_kernelINS0_14default_configENS1_22reduce_config_selectorIlEEZNS1_11reduce_implILb1ES3_PlS7_lN6thrust23THRUST_200600_302600_NS4plusIlEEEE10hipError_tPvRmT1_T2_T3_mT4_P12ihipStream_tbEUlT_E1_NS1_11comp_targetILNS1_3genE10ELNS1_11target_archE1201ELNS1_3gpuE5ELNS1_3repE0EEENS1_30default_config_static_selectorELNS0_4arch9wavefront6targetE1EEEvSF_,comdat
.Lfunc_end739:
	.size	_ZN7rocprim17ROCPRIM_400000_NS6detail17trampoline_kernelINS0_14default_configENS1_22reduce_config_selectorIlEEZNS1_11reduce_implILb1ES3_PlS7_lN6thrust23THRUST_200600_302600_NS4plusIlEEEE10hipError_tPvRmT1_T2_T3_mT4_P12ihipStream_tbEUlT_E1_NS1_11comp_targetILNS1_3genE10ELNS1_11target_archE1201ELNS1_3gpuE5ELNS1_3repE0EEENS1_30default_config_static_selectorELNS0_4arch9wavefront6targetE1EEEvSF_, .Lfunc_end739-_ZN7rocprim17ROCPRIM_400000_NS6detail17trampoline_kernelINS0_14default_configENS1_22reduce_config_selectorIlEEZNS1_11reduce_implILb1ES3_PlS7_lN6thrust23THRUST_200600_302600_NS4plusIlEEEE10hipError_tPvRmT1_T2_T3_mT4_P12ihipStream_tbEUlT_E1_NS1_11comp_targetILNS1_3genE10ELNS1_11target_archE1201ELNS1_3gpuE5ELNS1_3repE0EEENS1_30default_config_static_selectorELNS0_4arch9wavefront6targetE1EEEvSF_
                                        ; -- End function
	.set _ZN7rocprim17ROCPRIM_400000_NS6detail17trampoline_kernelINS0_14default_configENS1_22reduce_config_selectorIlEEZNS1_11reduce_implILb1ES3_PlS7_lN6thrust23THRUST_200600_302600_NS4plusIlEEEE10hipError_tPvRmT1_T2_T3_mT4_P12ihipStream_tbEUlT_E1_NS1_11comp_targetILNS1_3genE10ELNS1_11target_archE1201ELNS1_3gpuE5ELNS1_3repE0EEENS1_30default_config_static_selectorELNS0_4arch9wavefront6targetE1EEEvSF_.num_vgpr, 0
	.set _ZN7rocprim17ROCPRIM_400000_NS6detail17trampoline_kernelINS0_14default_configENS1_22reduce_config_selectorIlEEZNS1_11reduce_implILb1ES3_PlS7_lN6thrust23THRUST_200600_302600_NS4plusIlEEEE10hipError_tPvRmT1_T2_T3_mT4_P12ihipStream_tbEUlT_E1_NS1_11comp_targetILNS1_3genE10ELNS1_11target_archE1201ELNS1_3gpuE5ELNS1_3repE0EEENS1_30default_config_static_selectorELNS0_4arch9wavefront6targetE1EEEvSF_.num_agpr, 0
	.set _ZN7rocprim17ROCPRIM_400000_NS6detail17trampoline_kernelINS0_14default_configENS1_22reduce_config_selectorIlEEZNS1_11reduce_implILb1ES3_PlS7_lN6thrust23THRUST_200600_302600_NS4plusIlEEEE10hipError_tPvRmT1_T2_T3_mT4_P12ihipStream_tbEUlT_E1_NS1_11comp_targetILNS1_3genE10ELNS1_11target_archE1201ELNS1_3gpuE5ELNS1_3repE0EEENS1_30default_config_static_selectorELNS0_4arch9wavefront6targetE1EEEvSF_.numbered_sgpr, 0
	.set _ZN7rocprim17ROCPRIM_400000_NS6detail17trampoline_kernelINS0_14default_configENS1_22reduce_config_selectorIlEEZNS1_11reduce_implILb1ES3_PlS7_lN6thrust23THRUST_200600_302600_NS4plusIlEEEE10hipError_tPvRmT1_T2_T3_mT4_P12ihipStream_tbEUlT_E1_NS1_11comp_targetILNS1_3genE10ELNS1_11target_archE1201ELNS1_3gpuE5ELNS1_3repE0EEENS1_30default_config_static_selectorELNS0_4arch9wavefront6targetE1EEEvSF_.num_named_barrier, 0
	.set _ZN7rocprim17ROCPRIM_400000_NS6detail17trampoline_kernelINS0_14default_configENS1_22reduce_config_selectorIlEEZNS1_11reduce_implILb1ES3_PlS7_lN6thrust23THRUST_200600_302600_NS4plusIlEEEE10hipError_tPvRmT1_T2_T3_mT4_P12ihipStream_tbEUlT_E1_NS1_11comp_targetILNS1_3genE10ELNS1_11target_archE1201ELNS1_3gpuE5ELNS1_3repE0EEENS1_30default_config_static_selectorELNS0_4arch9wavefront6targetE1EEEvSF_.private_seg_size, 0
	.set _ZN7rocprim17ROCPRIM_400000_NS6detail17trampoline_kernelINS0_14default_configENS1_22reduce_config_selectorIlEEZNS1_11reduce_implILb1ES3_PlS7_lN6thrust23THRUST_200600_302600_NS4plusIlEEEE10hipError_tPvRmT1_T2_T3_mT4_P12ihipStream_tbEUlT_E1_NS1_11comp_targetILNS1_3genE10ELNS1_11target_archE1201ELNS1_3gpuE5ELNS1_3repE0EEENS1_30default_config_static_selectorELNS0_4arch9wavefront6targetE1EEEvSF_.uses_vcc, 0
	.set _ZN7rocprim17ROCPRIM_400000_NS6detail17trampoline_kernelINS0_14default_configENS1_22reduce_config_selectorIlEEZNS1_11reduce_implILb1ES3_PlS7_lN6thrust23THRUST_200600_302600_NS4plusIlEEEE10hipError_tPvRmT1_T2_T3_mT4_P12ihipStream_tbEUlT_E1_NS1_11comp_targetILNS1_3genE10ELNS1_11target_archE1201ELNS1_3gpuE5ELNS1_3repE0EEENS1_30default_config_static_selectorELNS0_4arch9wavefront6targetE1EEEvSF_.uses_flat_scratch, 0
	.set _ZN7rocprim17ROCPRIM_400000_NS6detail17trampoline_kernelINS0_14default_configENS1_22reduce_config_selectorIlEEZNS1_11reduce_implILb1ES3_PlS7_lN6thrust23THRUST_200600_302600_NS4plusIlEEEE10hipError_tPvRmT1_T2_T3_mT4_P12ihipStream_tbEUlT_E1_NS1_11comp_targetILNS1_3genE10ELNS1_11target_archE1201ELNS1_3gpuE5ELNS1_3repE0EEENS1_30default_config_static_selectorELNS0_4arch9wavefront6targetE1EEEvSF_.has_dyn_sized_stack, 0
	.set _ZN7rocprim17ROCPRIM_400000_NS6detail17trampoline_kernelINS0_14default_configENS1_22reduce_config_selectorIlEEZNS1_11reduce_implILb1ES3_PlS7_lN6thrust23THRUST_200600_302600_NS4plusIlEEEE10hipError_tPvRmT1_T2_T3_mT4_P12ihipStream_tbEUlT_E1_NS1_11comp_targetILNS1_3genE10ELNS1_11target_archE1201ELNS1_3gpuE5ELNS1_3repE0EEENS1_30default_config_static_selectorELNS0_4arch9wavefront6targetE1EEEvSF_.has_recursion, 0
	.set _ZN7rocprim17ROCPRIM_400000_NS6detail17trampoline_kernelINS0_14default_configENS1_22reduce_config_selectorIlEEZNS1_11reduce_implILb1ES3_PlS7_lN6thrust23THRUST_200600_302600_NS4plusIlEEEE10hipError_tPvRmT1_T2_T3_mT4_P12ihipStream_tbEUlT_E1_NS1_11comp_targetILNS1_3genE10ELNS1_11target_archE1201ELNS1_3gpuE5ELNS1_3repE0EEENS1_30default_config_static_selectorELNS0_4arch9wavefront6targetE1EEEvSF_.has_indirect_call, 0
	.section	.AMDGPU.csdata,"",@progbits
; Kernel info:
; codeLenInByte = 0
; TotalNumSgprs: 4
; NumVgprs: 0
; ScratchSize: 0
; MemoryBound: 0
; FloatMode: 240
; IeeeMode: 1
; LDSByteSize: 0 bytes/workgroup (compile time only)
; SGPRBlocks: 0
; VGPRBlocks: 0
; NumSGPRsForWavesPerEU: 4
; NumVGPRsForWavesPerEU: 1
; Occupancy: 10
; WaveLimiterHint : 0
; COMPUTE_PGM_RSRC2:SCRATCH_EN: 0
; COMPUTE_PGM_RSRC2:USER_SGPR: 6
; COMPUTE_PGM_RSRC2:TRAP_HANDLER: 0
; COMPUTE_PGM_RSRC2:TGID_X_EN: 1
; COMPUTE_PGM_RSRC2:TGID_Y_EN: 0
; COMPUTE_PGM_RSRC2:TGID_Z_EN: 0
; COMPUTE_PGM_RSRC2:TIDIG_COMP_CNT: 0
	.section	.text._ZN7rocprim17ROCPRIM_400000_NS6detail17trampoline_kernelINS0_14default_configENS1_22reduce_config_selectorIlEEZNS1_11reduce_implILb1ES3_PlS7_lN6thrust23THRUST_200600_302600_NS4plusIlEEEE10hipError_tPvRmT1_T2_T3_mT4_P12ihipStream_tbEUlT_E1_NS1_11comp_targetILNS1_3genE10ELNS1_11target_archE1200ELNS1_3gpuE4ELNS1_3repE0EEENS1_30default_config_static_selectorELNS0_4arch9wavefront6targetE1EEEvSF_,"axG",@progbits,_ZN7rocprim17ROCPRIM_400000_NS6detail17trampoline_kernelINS0_14default_configENS1_22reduce_config_selectorIlEEZNS1_11reduce_implILb1ES3_PlS7_lN6thrust23THRUST_200600_302600_NS4plusIlEEEE10hipError_tPvRmT1_T2_T3_mT4_P12ihipStream_tbEUlT_E1_NS1_11comp_targetILNS1_3genE10ELNS1_11target_archE1200ELNS1_3gpuE4ELNS1_3repE0EEENS1_30default_config_static_selectorELNS0_4arch9wavefront6targetE1EEEvSF_,comdat
	.protected	_ZN7rocprim17ROCPRIM_400000_NS6detail17trampoline_kernelINS0_14default_configENS1_22reduce_config_selectorIlEEZNS1_11reduce_implILb1ES3_PlS7_lN6thrust23THRUST_200600_302600_NS4plusIlEEEE10hipError_tPvRmT1_T2_T3_mT4_P12ihipStream_tbEUlT_E1_NS1_11comp_targetILNS1_3genE10ELNS1_11target_archE1200ELNS1_3gpuE4ELNS1_3repE0EEENS1_30default_config_static_selectorELNS0_4arch9wavefront6targetE1EEEvSF_ ; -- Begin function _ZN7rocprim17ROCPRIM_400000_NS6detail17trampoline_kernelINS0_14default_configENS1_22reduce_config_selectorIlEEZNS1_11reduce_implILb1ES3_PlS7_lN6thrust23THRUST_200600_302600_NS4plusIlEEEE10hipError_tPvRmT1_T2_T3_mT4_P12ihipStream_tbEUlT_E1_NS1_11comp_targetILNS1_3genE10ELNS1_11target_archE1200ELNS1_3gpuE4ELNS1_3repE0EEENS1_30default_config_static_selectorELNS0_4arch9wavefront6targetE1EEEvSF_
	.globl	_ZN7rocprim17ROCPRIM_400000_NS6detail17trampoline_kernelINS0_14default_configENS1_22reduce_config_selectorIlEEZNS1_11reduce_implILb1ES3_PlS7_lN6thrust23THRUST_200600_302600_NS4plusIlEEEE10hipError_tPvRmT1_T2_T3_mT4_P12ihipStream_tbEUlT_E1_NS1_11comp_targetILNS1_3genE10ELNS1_11target_archE1200ELNS1_3gpuE4ELNS1_3repE0EEENS1_30default_config_static_selectorELNS0_4arch9wavefront6targetE1EEEvSF_
	.p2align	8
	.type	_ZN7rocprim17ROCPRIM_400000_NS6detail17trampoline_kernelINS0_14default_configENS1_22reduce_config_selectorIlEEZNS1_11reduce_implILb1ES3_PlS7_lN6thrust23THRUST_200600_302600_NS4plusIlEEEE10hipError_tPvRmT1_T2_T3_mT4_P12ihipStream_tbEUlT_E1_NS1_11comp_targetILNS1_3genE10ELNS1_11target_archE1200ELNS1_3gpuE4ELNS1_3repE0EEENS1_30default_config_static_selectorELNS0_4arch9wavefront6targetE1EEEvSF_,@function
_ZN7rocprim17ROCPRIM_400000_NS6detail17trampoline_kernelINS0_14default_configENS1_22reduce_config_selectorIlEEZNS1_11reduce_implILb1ES3_PlS7_lN6thrust23THRUST_200600_302600_NS4plusIlEEEE10hipError_tPvRmT1_T2_T3_mT4_P12ihipStream_tbEUlT_E1_NS1_11comp_targetILNS1_3genE10ELNS1_11target_archE1200ELNS1_3gpuE4ELNS1_3repE0EEENS1_30default_config_static_selectorELNS0_4arch9wavefront6targetE1EEEvSF_: ; @_ZN7rocprim17ROCPRIM_400000_NS6detail17trampoline_kernelINS0_14default_configENS1_22reduce_config_selectorIlEEZNS1_11reduce_implILb1ES3_PlS7_lN6thrust23THRUST_200600_302600_NS4plusIlEEEE10hipError_tPvRmT1_T2_T3_mT4_P12ihipStream_tbEUlT_E1_NS1_11comp_targetILNS1_3genE10ELNS1_11target_archE1200ELNS1_3gpuE4ELNS1_3repE0EEENS1_30default_config_static_selectorELNS0_4arch9wavefront6targetE1EEEvSF_
; %bb.0:
	.section	.rodata,"a",@progbits
	.p2align	6, 0x0
	.amdhsa_kernel _ZN7rocprim17ROCPRIM_400000_NS6detail17trampoline_kernelINS0_14default_configENS1_22reduce_config_selectorIlEEZNS1_11reduce_implILb1ES3_PlS7_lN6thrust23THRUST_200600_302600_NS4plusIlEEEE10hipError_tPvRmT1_T2_T3_mT4_P12ihipStream_tbEUlT_E1_NS1_11comp_targetILNS1_3genE10ELNS1_11target_archE1200ELNS1_3gpuE4ELNS1_3repE0EEENS1_30default_config_static_selectorELNS0_4arch9wavefront6targetE1EEEvSF_
		.amdhsa_group_segment_fixed_size 0
		.amdhsa_private_segment_fixed_size 0
		.amdhsa_kernarg_size 48
		.amdhsa_user_sgpr_count 6
		.amdhsa_user_sgpr_private_segment_buffer 1
		.amdhsa_user_sgpr_dispatch_ptr 0
		.amdhsa_user_sgpr_queue_ptr 0
		.amdhsa_user_sgpr_kernarg_segment_ptr 1
		.amdhsa_user_sgpr_dispatch_id 0
		.amdhsa_user_sgpr_flat_scratch_init 0
		.amdhsa_user_sgpr_private_segment_size 0
		.amdhsa_uses_dynamic_stack 0
		.amdhsa_system_sgpr_private_segment_wavefront_offset 0
		.amdhsa_system_sgpr_workgroup_id_x 1
		.amdhsa_system_sgpr_workgroup_id_y 0
		.amdhsa_system_sgpr_workgroup_id_z 0
		.amdhsa_system_sgpr_workgroup_info 0
		.amdhsa_system_vgpr_workitem_id 0
		.amdhsa_next_free_vgpr 1
		.amdhsa_next_free_sgpr 0
		.amdhsa_reserve_vcc 0
		.amdhsa_reserve_flat_scratch 0
		.amdhsa_float_round_mode_32 0
		.amdhsa_float_round_mode_16_64 0
		.amdhsa_float_denorm_mode_32 3
		.amdhsa_float_denorm_mode_16_64 3
		.amdhsa_dx10_clamp 1
		.amdhsa_ieee_mode 1
		.amdhsa_fp16_overflow 0
		.amdhsa_exception_fp_ieee_invalid_op 0
		.amdhsa_exception_fp_denorm_src 0
		.amdhsa_exception_fp_ieee_div_zero 0
		.amdhsa_exception_fp_ieee_overflow 0
		.amdhsa_exception_fp_ieee_underflow 0
		.amdhsa_exception_fp_ieee_inexact 0
		.amdhsa_exception_int_div_zero 0
	.end_amdhsa_kernel
	.section	.text._ZN7rocprim17ROCPRIM_400000_NS6detail17trampoline_kernelINS0_14default_configENS1_22reduce_config_selectorIlEEZNS1_11reduce_implILb1ES3_PlS7_lN6thrust23THRUST_200600_302600_NS4plusIlEEEE10hipError_tPvRmT1_T2_T3_mT4_P12ihipStream_tbEUlT_E1_NS1_11comp_targetILNS1_3genE10ELNS1_11target_archE1200ELNS1_3gpuE4ELNS1_3repE0EEENS1_30default_config_static_selectorELNS0_4arch9wavefront6targetE1EEEvSF_,"axG",@progbits,_ZN7rocprim17ROCPRIM_400000_NS6detail17trampoline_kernelINS0_14default_configENS1_22reduce_config_selectorIlEEZNS1_11reduce_implILb1ES3_PlS7_lN6thrust23THRUST_200600_302600_NS4plusIlEEEE10hipError_tPvRmT1_T2_T3_mT4_P12ihipStream_tbEUlT_E1_NS1_11comp_targetILNS1_3genE10ELNS1_11target_archE1200ELNS1_3gpuE4ELNS1_3repE0EEENS1_30default_config_static_selectorELNS0_4arch9wavefront6targetE1EEEvSF_,comdat
.Lfunc_end740:
	.size	_ZN7rocprim17ROCPRIM_400000_NS6detail17trampoline_kernelINS0_14default_configENS1_22reduce_config_selectorIlEEZNS1_11reduce_implILb1ES3_PlS7_lN6thrust23THRUST_200600_302600_NS4plusIlEEEE10hipError_tPvRmT1_T2_T3_mT4_P12ihipStream_tbEUlT_E1_NS1_11comp_targetILNS1_3genE10ELNS1_11target_archE1200ELNS1_3gpuE4ELNS1_3repE0EEENS1_30default_config_static_selectorELNS0_4arch9wavefront6targetE1EEEvSF_, .Lfunc_end740-_ZN7rocprim17ROCPRIM_400000_NS6detail17trampoline_kernelINS0_14default_configENS1_22reduce_config_selectorIlEEZNS1_11reduce_implILb1ES3_PlS7_lN6thrust23THRUST_200600_302600_NS4plusIlEEEE10hipError_tPvRmT1_T2_T3_mT4_P12ihipStream_tbEUlT_E1_NS1_11comp_targetILNS1_3genE10ELNS1_11target_archE1200ELNS1_3gpuE4ELNS1_3repE0EEENS1_30default_config_static_selectorELNS0_4arch9wavefront6targetE1EEEvSF_
                                        ; -- End function
	.set _ZN7rocprim17ROCPRIM_400000_NS6detail17trampoline_kernelINS0_14default_configENS1_22reduce_config_selectorIlEEZNS1_11reduce_implILb1ES3_PlS7_lN6thrust23THRUST_200600_302600_NS4plusIlEEEE10hipError_tPvRmT1_T2_T3_mT4_P12ihipStream_tbEUlT_E1_NS1_11comp_targetILNS1_3genE10ELNS1_11target_archE1200ELNS1_3gpuE4ELNS1_3repE0EEENS1_30default_config_static_selectorELNS0_4arch9wavefront6targetE1EEEvSF_.num_vgpr, 0
	.set _ZN7rocprim17ROCPRIM_400000_NS6detail17trampoline_kernelINS0_14default_configENS1_22reduce_config_selectorIlEEZNS1_11reduce_implILb1ES3_PlS7_lN6thrust23THRUST_200600_302600_NS4plusIlEEEE10hipError_tPvRmT1_T2_T3_mT4_P12ihipStream_tbEUlT_E1_NS1_11comp_targetILNS1_3genE10ELNS1_11target_archE1200ELNS1_3gpuE4ELNS1_3repE0EEENS1_30default_config_static_selectorELNS0_4arch9wavefront6targetE1EEEvSF_.num_agpr, 0
	.set _ZN7rocprim17ROCPRIM_400000_NS6detail17trampoline_kernelINS0_14default_configENS1_22reduce_config_selectorIlEEZNS1_11reduce_implILb1ES3_PlS7_lN6thrust23THRUST_200600_302600_NS4plusIlEEEE10hipError_tPvRmT1_T2_T3_mT4_P12ihipStream_tbEUlT_E1_NS1_11comp_targetILNS1_3genE10ELNS1_11target_archE1200ELNS1_3gpuE4ELNS1_3repE0EEENS1_30default_config_static_selectorELNS0_4arch9wavefront6targetE1EEEvSF_.numbered_sgpr, 0
	.set _ZN7rocprim17ROCPRIM_400000_NS6detail17trampoline_kernelINS0_14default_configENS1_22reduce_config_selectorIlEEZNS1_11reduce_implILb1ES3_PlS7_lN6thrust23THRUST_200600_302600_NS4plusIlEEEE10hipError_tPvRmT1_T2_T3_mT4_P12ihipStream_tbEUlT_E1_NS1_11comp_targetILNS1_3genE10ELNS1_11target_archE1200ELNS1_3gpuE4ELNS1_3repE0EEENS1_30default_config_static_selectorELNS0_4arch9wavefront6targetE1EEEvSF_.num_named_barrier, 0
	.set _ZN7rocprim17ROCPRIM_400000_NS6detail17trampoline_kernelINS0_14default_configENS1_22reduce_config_selectorIlEEZNS1_11reduce_implILb1ES3_PlS7_lN6thrust23THRUST_200600_302600_NS4plusIlEEEE10hipError_tPvRmT1_T2_T3_mT4_P12ihipStream_tbEUlT_E1_NS1_11comp_targetILNS1_3genE10ELNS1_11target_archE1200ELNS1_3gpuE4ELNS1_3repE0EEENS1_30default_config_static_selectorELNS0_4arch9wavefront6targetE1EEEvSF_.private_seg_size, 0
	.set _ZN7rocprim17ROCPRIM_400000_NS6detail17trampoline_kernelINS0_14default_configENS1_22reduce_config_selectorIlEEZNS1_11reduce_implILb1ES3_PlS7_lN6thrust23THRUST_200600_302600_NS4plusIlEEEE10hipError_tPvRmT1_T2_T3_mT4_P12ihipStream_tbEUlT_E1_NS1_11comp_targetILNS1_3genE10ELNS1_11target_archE1200ELNS1_3gpuE4ELNS1_3repE0EEENS1_30default_config_static_selectorELNS0_4arch9wavefront6targetE1EEEvSF_.uses_vcc, 0
	.set _ZN7rocprim17ROCPRIM_400000_NS6detail17trampoline_kernelINS0_14default_configENS1_22reduce_config_selectorIlEEZNS1_11reduce_implILb1ES3_PlS7_lN6thrust23THRUST_200600_302600_NS4plusIlEEEE10hipError_tPvRmT1_T2_T3_mT4_P12ihipStream_tbEUlT_E1_NS1_11comp_targetILNS1_3genE10ELNS1_11target_archE1200ELNS1_3gpuE4ELNS1_3repE0EEENS1_30default_config_static_selectorELNS0_4arch9wavefront6targetE1EEEvSF_.uses_flat_scratch, 0
	.set _ZN7rocprim17ROCPRIM_400000_NS6detail17trampoline_kernelINS0_14default_configENS1_22reduce_config_selectorIlEEZNS1_11reduce_implILb1ES3_PlS7_lN6thrust23THRUST_200600_302600_NS4plusIlEEEE10hipError_tPvRmT1_T2_T3_mT4_P12ihipStream_tbEUlT_E1_NS1_11comp_targetILNS1_3genE10ELNS1_11target_archE1200ELNS1_3gpuE4ELNS1_3repE0EEENS1_30default_config_static_selectorELNS0_4arch9wavefront6targetE1EEEvSF_.has_dyn_sized_stack, 0
	.set _ZN7rocprim17ROCPRIM_400000_NS6detail17trampoline_kernelINS0_14default_configENS1_22reduce_config_selectorIlEEZNS1_11reduce_implILb1ES3_PlS7_lN6thrust23THRUST_200600_302600_NS4plusIlEEEE10hipError_tPvRmT1_T2_T3_mT4_P12ihipStream_tbEUlT_E1_NS1_11comp_targetILNS1_3genE10ELNS1_11target_archE1200ELNS1_3gpuE4ELNS1_3repE0EEENS1_30default_config_static_selectorELNS0_4arch9wavefront6targetE1EEEvSF_.has_recursion, 0
	.set _ZN7rocprim17ROCPRIM_400000_NS6detail17trampoline_kernelINS0_14default_configENS1_22reduce_config_selectorIlEEZNS1_11reduce_implILb1ES3_PlS7_lN6thrust23THRUST_200600_302600_NS4plusIlEEEE10hipError_tPvRmT1_T2_T3_mT4_P12ihipStream_tbEUlT_E1_NS1_11comp_targetILNS1_3genE10ELNS1_11target_archE1200ELNS1_3gpuE4ELNS1_3repE0EEENS1_30default_config_static_selectorELNS0_4arch9wavefront6targetE1EEEvSF_.has_indirect_call, 0
	.section	.AMDGPU.csdata,"",@progbits
; Kernel info:
; codeLenInByte = 0
; TotalNumSgprs: 4
; NumVgprs: 0
; ScratchSize: 0
; MemoryBound: 0
; FloatMode: 240
; IeeeMode: 1
; LDSByteSize: 0 bytes/workgroup (compile time only)
; SGPRBlocks: 0
; VGPRBlocks: 0
; NumSGPRsForWavesPerEU: 4
; NumVGPRsForWavesPerEU: 1
; Occupancy: 10
; WaveLimiterHint : 0
; COMPUTE_PGM_RSRC2:SCRATCH_EN: 0
; COMPUTE_PGM_RSRC2:USER_SGPR: 6
; COMPUTE_PGM_RSRC2:TRAP_HANDLER: 0
; COMPUTE_PGM_RSRC2:TGID_X_EN: 1
; COMPUTE_PGM_RSRC2:TGID_Y_EN: 0
; COMPUTE_PGM_RSRC2:TGID_Z_EN: 0
; COMPUTE_PGM_RSRC2:TIDIG_COMP_CNT: 0
	.section	.text._ZN7rocprim17ROCPRIM_400000_NS6detail17trampoline_kernelINS0_14default_configENS1_22reduce_config_selectorIlEEZNS1_11reduce_implILb1ES3_PlS7_lN6thrust23THRUST_200600_302600_NS4plusIlEEEE10hipError_tPvRmT1_T2_T3_mT4_P12ihipStream_tbEUlT_E1_NS1_11comp_targetILNS1_3genE9ELNS1_11target_archE1100ELNS1_3gpuE3ELNS1_3repE0EEENS1_30default_config_static_selectorELNS0_4arch9wavefront6targetE1EEEvSF_,"axG",@progbits,_ZN7rocprim17ROCPRIM_400000_NS6detail17trampoline_kernelINS0_14default_configENS1_22reduce_config_selectorIlEEZNS1_11reduce_implILb1ES3_PlS7_lN6thrust23THRUST_200600_302600_NS4plusIlEEEE10hipError_tPvRmT1_T2_T3_mT4_P12ihipStream_tbEUlT_E1_NS1_11comp_targetILNS1_3genE9ELNS1_11target_archE1100ELNS1_3gpuE3ELNS1_3repE0EEENS1_30default_config_static_selectorELNS0_4arch9wavefront6targetE1EEEvSF_,comdat
	.protected	_ZN7rocprim17ROCPRIM_400000_NS6detail17trampoline_kernelINS0_14default_configENS1_22reduce_config_selectorIlEEZNS1_11reduce_implILb1ES3_PlS7_lN6thrust23THRUST_200600_302600_NS4plusIlEEEE10hipError_tPvRmT1_T2_T3_mT4_P12ihipStream_tbEUlT_E1_NS1_11comp_targetILNS1_3genE9ELNS1_11target_archE1100ELNS1_3gpuE3ELNS1_3repE0EEENS1_30default_config_static_selectorELNS0_4arch9wavefront6targetE1EEEvSF_ ; -- Begin function _ZN7rocprim17ROCPRIM_400000_NS6detail17trampoline_kernelINS0_14default_configENS1_22reduce_config_selectorIlEEZNS1_11reduce_implILb1ES3_PlS7_lN6thrust23THRUST_200600_302600_NS4plusIlEEEE10hipError_tPvRmT1_T2_T3_mT4_P12ihipStream_tbEUlT_E1_NS1_11comp_targetILNS1_3genE9ELNS1_11target_archE1100ELNS1_3gpuE3ELNS1_3repE0EEENS1_30default_config_static_selectorELNS0_4arch9wavefront6targetE1EEEvSF_
	.globl	_ZN7rocprim17ROCPRIM_400000_NS6detail17trampoline_kernelINS0_14default_configENS1_22reduce_config_selectorIlEEZNS1_11reduce_implILb1ES3_PlS7_lN6thrust23THRUST_200600_302600_NS4plusIlEEEE10hipError_tPvRmT1_T2_T3_mT4_P12ihipStream_tbEUlT_E1_NS1_11comp_targetILNS1_3genE9ELNS1_11target_archE1100ELNS1_3gpuE3ELNS1_3repE0EEENS1_30default_config_static_selectorELNS0_4arch9wavefront6targetE1EEEvSF_
	.p2align	8
	.type	_ZN7rocprim17ROCPRIM_400000_NS6detail17trampoline_kernelINS0_14default_configENS1_22reduce_config_selectorIlEEZNS1_11reduce_implILb1ES3_PlS7_lN6thrust23THRUST_200600_302600_NS4plusIlEEEE10hipError_tPvRmT1_T2_T3_mT4_P12ihipStream_tbEUlT_E1_NS1_11comp_targetILNS1_3genE9ELNS1_11target_archE1100ELNS1_3gpuE3ELNS1_3repE0EEENS1_30default_config_static_selectorELNS0_4arch9wavefront6targetE1EEEvSF_,@function
_ZN7rocprim17ROCPRIM_400000_NS6detail17trampoline_kernelINS0_14default_configENS1_22reduce_config_selectorIlEEZNS1_11reduce_implILb1ES3_PlS7_lN6thrust23THRUST_200600_302600_NS4plusIlEEEE10hipError_tPvRmT1_T2_T3_mT4_P12ihipStream_tbEUlT_E1_NS1_11comp_targetILNS1_3genE9ELNS1_11target_archE1100ELNS1_3gpuE3ELNS1_3repE0EEENS1_30default_config_static_selectorELNS0_4arch9wavefront6targetE1EEEvSF_: ; @_ZN7rocprim17ROCPRIM_400000_NS6detail17trampoline_kernelINS0_14default_configENS1_22reduce_config_selectorIlEEZNS1_11reduce_implILb1ES3_PlS7_lN6thrust23THRUST_200600_302600_NS4plusIlEEEE10hipError_tPvRmT1_T2_T3_mT4_P12ihipStream_tbEUlT_E1_NS1_11comp_targetILNS1_3genE9ELNS1_11target_archE1100ELNS1_3gpuE3ELNS1_3repE0EEENS1_30default_config_static_selectorELNS0_4arch9wavefront6targetE1EEEvSF_
; %bb.0:
	.section	.rodata,"a",@progbits
	.p2align	6, 0x0
	.amdhsa_kernel _ZN7rocprim17ROCPRIM_400000_NS6detail17trampoline_kernelINS0_14default_configENS1_22reduce_config_selectorIlEEZNS1_11reduce_implILb1ES3_PlS7_lN6thrust23THRUST_200600_302600_NS4plusIlEEEE10hipError_tPvRmT1_T2_T3_mT4_P12ihipStream_tbEUlT_E1_NS1_11comp_targetILNS1_3genE9ELNS1_11target_archE1100ELNS1_3gpuE3ELNS1_3repE0EEENS1_30default_config_static_selectorELNS0_4arch9wavefront6targetE1EEEvSF_
		.amdhsa_group_segment_fixed_size 0
		.amdhsa_private_segment_fixed_size 0
		.amdhsa_kernarg_size 48
		.amdhsa_user_sgpr_count 6
		.amdhsa_user_sgpr_private_segment_buffer 1
		.amdhsa_user_sgpr_dispatch_ptr 0
		.amdhsa_user_sgpr_queue_ptr 0
		.amdhsa_user_sgpr_kernarg_segment_ptr 1
		.amdhsa_user_sgpr_dispatch_id 0
		.amdhsa_user_sgpr_flat_scratch_init 0
		.amdhsa_user_sgpr_private_segment_size 0
		.amdhsa_uses_dynamic_stack 0
		.amdhsa_system_sgpr_private_segment_wavefront_offset 0
		.amdhsa_system_sgpr_workgroup_id_x 1
		.amdhsa_system_sgpr_workgroup_id_y 0
		.amdhsa_system_sgpr_workgroup_id_z 0
		.amdhsa_system_sgpr_workgroup_info 0
		.amdhsa_system_vgpr_workitem_id 0
		.amdhsa_next_free_vgpr 1
		.amdhsa_next_free_sgpr 0
		.amdhsa_reserve_vcc 0
		.amdhsa_reserve_flat_scratch 0
		.amdhsa_float_round_mode_32 0
		.amdhsa_float_round_mode_16_64 0
		.amdhsa_float_denorm_mode_32 3
		.amdhsa_float_denorm_mode_16_64 3
		.amdhsa_dx10_clamp 1
		.amdhsa_ieee_mode 1
		.amdhsa_fp16_overflow 0
		.amdhsa_exception_fp_ieee_invalid_op 0
		.amdhsa_exception_fp_denorm_src 0
		.amdhsa_exception_fp_ieee_div_zero 0
		.amdhsa_exception_fp_ieee_overflow 0
		.amdhsa_exception_fp_ieee_underflow 0
		.amdhsa_exception_fp_ieee_inexact 0
		.amdhsa_exception_int_div_zero 0
	.end_amdhsa_kernel
	.section	.text._ZN7rocprim17ROCPRIM_400000_NS6detail17trampoline_kernelINS0_14default_configENS1_22reduce_config_selectorIlEEZNS1_11reduce_implILb1ES3_PlS7_lN6thrust23THRUST_200600_302600_NS4plusIlEEEE10hipError_tPvRmT1_T2_T3_mT4_P12ihipStream_tbEUlT_E1_NS1_11comp_targetILNS1_3genE9ELNS1_11target_archE1100ELNS1_3gpuE3ELNS1_3repE0EEENS1_30default_config_static_selectorELNS0_4arch9wavefront6targetE1EEEvSF_,"axG",@progbits,_ZN7rocprim17ROCPRIM_400000_NS6detail17trampoline_kernelINS0_14default_configENS1_22reduce_config_selectorIlEEZNS1_11reduce_implILb1ES3_PlS7_lN6thrust23THRUST_200600_302600_NS4plusIlEEEE10hipError_tPvRmT1_T2_T3_mT4_P12ihipStream_tbEUlT_E1_NS1_11comp_targetILNS1_3genE9ELNS1_11target_archE1100ELNS1_3gpuE3ELNS1_3repE0EEENS1_30default_config_static_selectorELNS0_4arch9wavefront6targetE1EEEvSF_,comdat
.Lfunc_end741:
	.size	_ZN7rocprim17ROCPRIM_400000_NS6detail17trampoline_kernelINS0_14default_configENS1_22reduce_config_selectorIlEEZNS1_11reduce_implILb1ES3_PlS7_lN6thrust23THRUST_200600_302600_NS4plusIlEEEE10hipError_tPvRmT1_T2_T3_mT4_P12ihipStream_tbEUlT_E1_NS1_11comp_targetILNS1_3genE9ELNS1_11target_archE1100ELNS1_3gpuE3ELNS1_3repE0EEENS1_30default_config_static_selectorELNS0_4arch9wavefront6targetE1EEEvSF_, .Lfunc_end741-_ZN7rocprim17ROCPRIM_400000_NS6detail17trampoline_kernelINS0_14default_configENS1_22reduce_config_selectorIlEEZNS1_11reduce_implILb1ES3_PlS7_lN6thrust23THRUST_200600_302600_NS4plusIlEEEE10hipError_tPvRmT1_T2_T3_mT4_P12ihipStream_tbEUlT_E1_NS1_11comp_targetILNS1_3genE9ELNS1_11target_archE1100ELNS1_3gpuE3ELNS1_3repE0EEENS1_30default_config_static_selectorELNS0_4arch9wavefront6targetE1EEEvSF_
                                        ; -- End function
	.set _ZN7rocprim17ROCPRIM_400000_NS6detail17trampoline_kernelINS0_14default_configENS1_22reduce_config_selectorIlEEZNS1_11reduce_implILb1ES3_PlS7_lN6thrust23THRUST_200600_302600_NS4plusIlEEEE10hipError_tPvRmT1_T2_T3_mT4_P12ihipStream_tbEUlT_E1_NS1_11comp_targetILNS1_3genE9ELNS1_11target_archE1100ELNS1_3gpuE3ELNS1_3repE0EEENS1_30default_config_static_selectorELNS0_4arch9wavefront6targetE1EEEvSF_.num_vgpr, 0
	.set _ZN7rocprim17ROCPRIM_400000_NS6detail17trampoline_kernelINS0_14default_configENS1_22reduce_config_selectorIlEEZNS1_11reduce_implILb1ES3_PlS7_lN6thrust23THRUST_200600_302600_NS4plusIlEEEE10hipError_tPvRmT1_T2_T3_mT4_P12ihipStream_tbEUlT_E1_NS1_11comp_targetILNS1_3genE9ELNS1_11target_archE1100ELNS1_3gpuE3ELNS1_3repE0EEENS1_30default_config_static_selectorELNS0_4arch9wavefront6targetE1EEEvSF_.num_agpr, 0
	.set _ZN7rocprim17ROCPRIM_400000_NS6detail17trampoline_kernelINS0_14default_configENS1_22reduce_config_selectorIlEEZNS1_11reduce_implILb1ES3_PlS7_lN6thrust23THRUST_200600_302600_NS4plusIlEEEE10hipError_tPvRmT1_T2_T3_mT4_P12ihipStream_tbEUlT_E1_NS1_11comp_targetILNS1_3genE9ELNS1_11target_archE1100ELNS1_3gpuE3ELNS1_3repE0EEENS1_30default_config_static_selectorELNS0_4arch9wavefront6targetE1EEEvSF_.numbered_sgpr, 0
	.set _ZN7rocprim17ROCPRIM_400000_NS6detail17trampoline_kernelINS0_14default_configENS1_22reduce_config_selectorIlEEZNS1_11reduce_implILb1ES3_PlS7_lN6thrust23THRUST_200600_302600_NS4plusIlEEEE10hipError_tPvRmT1_T2_T3_mT4_P12ihipStream_tbEUlT_E1_NS1_11comp_targetILNS1_3genE9ELNS1_11target_archE1100ELNS1_3gpuE3ELNS1_3repE0EEENS1_30default_config_static_selectorELNS0_4arch9wavefront6targetE1EEEvSF_.num_named_barrier, 0
	.set _ZN7rocprim17ROCPRIM_400000_NS6detail17trampoline_kernelINS0_14default_configENS1_22reduce_config_selectorIlEEZNS1_11reduce_implILb1ES3_PlS7_lN6thrust23THRUST_200600_302600_NS4plusIlEEEE10hipError_tPvRmT1_T2_T3_mT4_P12ihipStream_tbEUlT_E1_NS1_11comp_targetILNS1_3genE9ELNS1_11target_archE1100ELNS1_3gpuE3ELNS1_3repE0EEENS1_30default_config_static_selectorELNS0_4arch9wavefront6targetE1EEEvSF_.private_seg_size, 0
	.set _ZN7rocprim17ROCPRIM_400000_NS6detail17trampoline_kernelINS0_14default_configENS1_22reduce_config_selectorIlEEZNS1_11reduce_implILb1ES3_PlS7_lN6thrust23THRUST_200600_302600_NS4plusIlEEEE10hipError_tPvRmT1_T2_T3_mT4_P12ihipStream_tbEUlT_E1_NS1_11comp_targetILNS1_3genE9ELNS1_11target_archE1100ELNS1_3gpuE3ELNS1_3repE0EEENS1_30default_config_static_selectorELNS0_4arch9wavefront6targetE1EEEvSF_.uses_vcc, 0
	.set _ZN7rocprim17ROCPRIM_400000_NS6detail17trampoline_kernelINS0_14default_configENS1_22reduce_config_selectorIlEEZNS1_11reduce_implILb1ES3_PlS7_lN6thrust23THRUST_200600_302600_NS4plusIlEEEE10hipError_tPvRmT1_T2_T3_mT4_P12ihipStream_tbEUlT_E1_NS1_11comp_targetILNS1_3genE9ELNS1_11target_archE1100ELNS1_3gpuE3ELNS1_3repE0EEENS1_30default_config_static_selectorELNS0_4arch9wavefront6targetE1EEEvSF_.uses_flat_scratch, 0
	.set _ZN7rocprim17ROCPRIM_400000_NS6detail17trampoline_kernelINS0_14default_configENS1_22reduce_config_selectorIlEEZNS1_11reduce_implILb1ES3_PlS7_lN6thrust23THRUST_200600_302600_NS4plusIlEEEE10hipError_tPvRmT1_T2_T3_mT4_P12ihipStream_tbEUlT_E1_NS1_11comp_targetILNS1_3genE9ELNS1_11target_archE1100ELNS1_3gpuE3ELNS1_3repE0EEENS1_30default_config_static_selectorELNS0_4arch9wavefront6targetE1EEEvSF_.has_dyn_sized_stack, 0
	.set _ZN7rocprim17ROCPRIM_400000_NS6detail17trampoline_kernelINS0_14default_configENS1_22reduce_config_selectorIlEEZNS1_11reduce_implILb1ES3_PlS7_lN6thrust23THRUST_200600_302600_NS4plusIlEEEE10hipError_tPvRmT1_T2_T3_mT4_P12ihipStream_tbEUlT_E1_NS1_11comp_targetILNS1_3genE9ELNS1_11target_archE1100ELNS1_3gpuE3ELNS1_3repE0EEENS1_30default_config_static_selectorELNS0_4arch9wavefront6targetE1EEEvSF_.has_recursion, 0
	.set _ZN7rocprim17ROCPRIM_400000_NS6detail17trampoline_kernelINS0_14default_configENS1_22reduce_config_selectorIlEEZNS1_11reduce_implILb1ES3_PlS7_lN6thrust23THRUST_200600_302600_NS4plusIlEEEE10hipError_tPvRmT1_T2_T3_mT4_P12ihipStream_tbEUlT_E1_NS1_11comp_targetILNS1_3genE9ELNS1_11target_archE1100ELNS1_3gpuE3ELNS1_3repE0EEENS1_30default_config_static_selectorELNS0_4arch9wavefront6targetE1EEEvSF_.has_indirect_call, 0
	.section	.AMDGPU.csdata,"",@progbits
; Kernel info:
; codeLenInByte = 0
; TotalNumSgprs: 4
; NumVgprs: 0
; ScratchSize: 0
; MemoryBound: 0
; FloatMode: 240
; IeeeMode: 1
; LDSByteSize: 0 bytes/workgroup (compile time only)
; SGPRBlocks: 0
; VGPRBlocks: 0
; NumSGPRsForWavesPerEU: 4
; NumVGPRsForWavesPerEU: 1
; Occupancy: 10
; WaveLimiterHint : 0
; COMPUTE_PGM_RSRC2:SCRATCH_EN: 0
; COMPUTE_PGM_RSRC2:USER_SGPR: 6
; COMPUTE_PGM_RSRC2:TRAP_HANDLER: 0
; COMPUTE_PGM_RSRC2:TGID_X_EN: 1
; COMPUTE_PGM_RSRC2:TGID_Y_EN: 0
; COMPUTE_PGM_RSRC2:TGID_Z_EN: 0
; COMPUTE_PGM_RSRC2:TIDIG_COMP_CNT: 0
	.section	.text._ZN7rocprim17ROCPRIM_400000_NS6detail17trampoline_kernelINS0_14default_configENS1_22reduce_config_selectorIlEEZNS1_11reduce_implILb1ES3_PlS7_lN6thrust23THRUST_200600_302600_NS4plusIlEEEE10hipError_tPvRmT1_T2_T3_mT4_P12ihipStream_tbEUlT_E1_NS1_11comp_targetILNS1_3genE8ELNS1_11target_archE1030ELNS1_3gpuE2ELNS1_3repE0EEENS1_30default_config_static_selectorELNS0_4arch9wavefront6targetE1EEEvSF_,"axG",@progbits,_ZN7rocprim17ROCPRIM_400000_NS6detail17trampoline_kernelINS0_14default_configENS1_22reduce_config_selectorIlEEZNS1_11reduce_implILb1ES3_PlS7_lN6thrust23THRUST_200600_302600_NS4plusIlEEEE10hipError_tPvRmT1_T2_T3_mT4_P12ihipStream_tbEUlT_E1_NS1_11comp_targetILNS1_3genE8ELNS1_11target_archE1030ELNS1_3gpuE2ELNS1_3repE0EEENS1_30default_config_static_selectorELNS0_4arch9wavefront6targetE1EEEvSF_,comdat
	.protected	_ZN7rocprim17ROCPRIM_400000_NS6detail17trampoline_kernelINS0_14default_configENS1_22reduce_config_selectorIlEEZNS1_11reduce_implILb1ES3_PlS7_lN6thrust23THRUST_200600_302600_NS4plusIlEEEE10hipError_tPvRmT1_T2_T3_mT4_P12ihipStream_tbEUlT_E1_NS1_11comp_targetILNS1_3genE8ELNS1_11target_archE1030ELNS1_3gpuE2ELNS1_3repE0EEENS1_30default_config_static_selectorELNS0_4arch9wavefront6targetE1EEEvSF_ ; -- Begin function _ZN7rocprim17ROCPRIM_400000_NS6detail17trampoline_kernelINS0_14default_configENS1_22reduce_config_selectorIlEEZNS1_11reduce_implILb1ES3_PlS7_lN6thrust23THRUST_200600_302600_NS4plusIlEEEE10hipError_tPvRmT1_T2_T3_mT4_P12ihipStream_tbEUlT_E1_NS1_11comp_targetILNS1_3genE8ELNS1_11target_archE1030ELNS1_3gpuE2ELNS1_3repE0EEENS1_30default_config_static_selectorELNS0_4arch9wavefront6targetE1EEEvSF_
	.globl	_ZN7rocprim17ROCPRIM_400000_NS6detail17trampoline_kernelINS0_14default_configENS1_22reduce_config_selectorIlEEZNS1_11reduce_implILb1ES3_PlS7_lN6thrust23THRUST_200600_302600_NS4plusIlEEEE10hipError_tPvRmT1_T2_T3_mT4_P12ihipStream_tbEUlT_E1_NS1_11comp_targetILNS1_3genE8ELNS1_11target_archE1030ELNS1_3gpuE2ELNS1_3repE0EEENS1_30default_config_static_selectorELNS0_4arch9wavefront6targetE1EEEvSF_
	.p2align	8
	.type	_ZN7rocprim17ROCPRIM_400000_NS6detail17trampoline_kernelINS0_14default_configENS1_22reduce_config_selectorIlEEZNS1_11reduce_implILb1ES3_PlS7_lN6thrust23THRUST_200600_302600_NS4plusIlEEEE10hipError_tPvRmT1_T2_T3_mT4_P12ihipStream_tbEUlT_E1_NS1_11comp_targetILNS1_3genE8ELNS1_11target_archE1030ELNS1_3gpuE2ELNS1_3repE0EEENS1_30default_config_static_selectorELNS0_4arch9wavefront6targetE1EEEvSF_,@function
_ZN7rocprim17ROCPRIM_400000_NS6detail17trampoline_kernelINS0_14default_configENS1_22reduce_config_selectorIlEEZNS1_11reduce_implILb1ES3_PlS7_lN6thrust23THRUST_200600_302600_NS4plusIlEEEE10hipError_tPvRmT1_T2_T3_mT4_P12ihipStream_tbEUlT_E1_NS1_11comp_targetILNS1_3genE8ELNS1_11target_archE1030ELNS1_3gpuE2ELNS1_3repE0EEENS1_30default_config_static_selectorELNS0_4arch9wavefront6targetE1EEEvSF_: ; @_ZN7rocprim17ROCPRIM_400000_NS6detail17trampoline_kernelINS0_14default_configENS1_22reduce_config_selectorIlEEZNS1_11reduce_implILb1ES3_PlS7_lN6thrust23THRUST_200600_302600_NS4plusIlEEEE10hipError_tPvRmT1_T2_T3_mT4_P12ihipStream_tbEUlT_E1_NS1_11comp_targetILNS1_3genE8ELNS1_11target_archE1030ELNS1_3gpuE2ELNS1_3repE0EEENS1_30default_config_static_selectorELNS0_4arch9wavefront6targetE1EEEvSF_
; %bb.0:
	.section	.rodata,"a",@progbits
	.p2align	6, 0x0
	.amdhsa_kernel _ZN7rocprim17ROCPRIM_400000_NS6detail17trampoline_kernelINS0_14default_configENS1_22reduce_config_selectorIlEEZNS1_11reduce_implILb1ES3_PlS7_lN6thrust23THRUST_200600_302600_NS4plusIlEEEE10hipError_tPvRmT1_T2_T3_mT4_P12ihipStream_tbEUlT_E1_NS1_11comp_targetILNS1_3genE8ELNS1_11target_archE1030ELNS1_3gpuE2ELNS1_3repE0EEENS1_30default_config_static_selectorELNS0_4arch9wavefront6targetE1EEEvSF_
		.amdhsa_group_segment_fixed_size 0
		.amdhsa_private_segment_fixed_size 0
		.amdhsa_kernarg_size 48
		.amdhsa_user_sgpr_count 6
		.amdhsa_user_sgpr_private_segment_buffer 1
		.amdhsa_user_sgpr_dispatch_ptr 0
		.amdhsa_user_sgpr_queue_ptr 0
		.amdhsa_user_sgpr_kernarg_segment_ptr 1
		.amdhsa_user_sgpr_dispatch_id 0
		.amdhsa_user_sgpr_flat_scratch_init 0
		.amdhsa_user_sgpr_private_segment_size 0
		.amdhsa_uses_dynamic_stack 0
		.amdhsa_system_sgpr_private_segment_wavefront_offset 0
		.amdhsa_system_sgpr_workgroup_id_x 1
		.amdhsa_system_sgpr_workgroup_id_y 0
		.amdhsa_system_sgpr_workgroup_id_z 0
		.amdhsa_system_sgpr_workgroup_info 0
		.amdhsa_system_vgpr_workitem_id 0
		.amdhsa_next_free_vgpr 1
		.amdhsa_next_free_sgpr 0
		.amdhsa_reserve_vcc 0
		.amdhsa_reserve_flat_scratch 0
		.amdhsa_float_round_mode_32 0
		.amdhsa_float_round_mode_16_64 0
		.amdhsa_float_denorm_mode_32 3
		.amdhsa_float_denorm_mode_16_64 3
		.amdhsa_dx10_clamp 1
		.amdhsa_ieee_mode 1
		.amdhsa_fp16_overflow 0
		.amdhsa_exception_fp_ieee_invalid_op 0
		.amdhsa_exception_fp_denorm_src 0
		.amdhsa_exception_fp_ieee_div_zero 0
		.amdhsa_exception_fp_ieee_overflow 0
		.amdhsa_exception_fp_ieee_underflow 0
		.amdhsa_exception_fp_ieee_inexact 0
		.amdhsa_exception_int_div_zero 0
	.end_amdhsa_kernel
	.section	.text._ZN7rocprim17ROCPRIM_400000_NS6detail17trampoline_kernelINS0_14default_configENS1_22reduce_config_selectorIlEEZNS1_11reduce_implILb1ES3_PlS7_lN6thrust23THRUST_200600_302600_NS4plusIlEEEE10hipError_tPvRmT1_T2_T3_mT4_P12ihipStream_tbEUlT_E1_NS1_11comp_targetILNS1_3genE8ELNS1_11target_archE1030ELNS1_3gpuE2ELNS1_3repE0EEENS1_30default_config_static_selectorELNS0_4arch9wavefront6targetE1EEEvSF_,"axG",@progbits,_ZN7rocprim17ROCPRIM_400000_NS6detail17trampoline_kernelINS0_14default_configENS1_22reduce_config_selectorIlEEZNS1_11reduce_implILb1ES3_PlS7_lN6thrust23THRUST_200600_302600_NS4plusIlEEEE10hipError_tPvRmT1_T2_T3_mT4_P12ihipStream_tbEUlT_E1_NS1_11comp_targetILNS1_3genE8ELNS1_11target_archE1030ELNS1_3gpuE2ELNS1_3repE0EEENS1_30default_config_static_selectorELNS0_4arch9wavefront6targetE1EEEvSF_,comdat
.Lfunc_end742:
	.size	_ZN7rocprim17ROCPRIM_400000_NS6detail17trampoline_kernelINS0_14default_configENS1_22reduce_config_selectorIlEEZNS1_11reduce_implILb1ES3_PlS7_lN6thrust23THRUST_200600_302600_NS4plusIlEEEE10hipError_tPvRmT1_T2_T3_mT4_P12ihipStream_tbEUlT_E1_NS1_11comp_targetILNS1_3genE8ELNS1_11target_archE1030ELNS1_3gpuE2ELNS1_3repE0EEENS1_30default_config_static_selectorELNS0_4arch9wavefront6targetE1EEEvSF_, .Lfunc_end742-_ZN7rocprim17ROCPRIM_400000_NS6detail17trampoline_kernelINS0_14default_configENS1_22reduce_config_selectorIlEEZNS1_11reduce_implILb1ES3_PlS7_lN6thrust23THRUST_200600_302600_NS4plusIlEEEE10hipError_tPvRmT1_T2_T3_mT4_P12ihipStream_tbEUlT_E1_NS1_11comp_targetILNS1_3genE8ELNS1_11target_archE1030ELNS1_3gpuE2ELNS1_3repE0EEENS1_30default_config_static_selectorELNS0_4arch9wavefront6targetE1EEEvSF_
                                        ; -- End function
	.set _ZN7rocprim17ROCPRIM_400000_NS6detail17trampoline_kernelINS0_14default_configENS1_22reduce_config_selectorIlEEZNS1_11reduce_implILb1ES3_PlS7_lN6thrust23THRUST_200600_302600_NS4plusIlEEEE10hipError_tPvRmT1_T2_T3_mT4_P12ihipStream_tbEUlT_E1_NS1_11comp_targetILNS1_3genE8ELNS1_11target_archE1030ELNS1_3gpuE2ELNS1_3repE0EEENS1_30default_config_static_selectorELNS0_4arch9wavefront6targetE1EEEvSF_.num_vgpr, 0
	.set _ZN7rocprim17ROCPRIM_400000_NS6detail17trampoline_kernelINS0_14default_configENS1_22reduce_config_selectorIlEEZNS1_11reduce_implILb1ES3_PlS7_lN6thrust23THRUST_200600_302600_NS4plusIlEEEE10hipError_tPvRmT1_T2_T3_mT4_P12ihipStream_tbEUlT_E1_NS1_11comp_targetILNS1_3genE8ELNS1_11target_archE1030ELNS1_3gpuE2ELNS1_3repE0EEENS1_30default_config_static_selectorELNS0_4arch9wavefront6targetE1EEEvSF_.num_agpr, 0
	.set _ZN7rocprim17ROCPRIM_400000_NS6detail17trampoline_kernelINS0_14default_configENS1_22reduce_config_selectorIlEEZNS1_11reduce_implILb1ES3_PlS7_lN6thrust23THRUST_200600_302600_NS4plusIlEEEE10hipError_tPvRmT1_T2_T3_mT4_P12ihipStream_tbEUlT_E1_NS1_11comp_targetILNS1_3genE8ELNS1_11target_archE1030ELNS1_3gpuE2ELNS1_3repE0EEENS1_30default_config_static_selectorELNS0_4arch9wavefront6targetE1EEEvSF_.numbered_sgpr, 0
	.set _ZN7rocprim17ROCPRIM_400000_NS6detail17trampoline_kernelINS0_14default_configENS1_22reduce_config_selectorIlEEZNS1_11reduce_implILb1ES3_PlS7_lN6thrust23THRUST_200600_302600_NS4plusIlEEEE10hipError_tPvRmT1_T2_T3_mT4_P12ihipStream_tbEUlT_E1_NS1_11comp_targetILNS1_3genE8ELNS1_11target_archE1030ELNS1_3gpuE2ELNS1_3repE0EEENS1_30default_config_static_selectorELNS0_4arch9wavefront6targetE1EEEvSF_.num_named_barrier, 0
	.set _ZN7rocprim17ROCPRIM_400000_NS6detail17trampoline_kernelINS0_14default_configENS1_22reduce_config_selectorIlEEZNS1_11reduce_implILb1ES3_PlS7_lN6thrust23THRUST_200600_302600_NS4plusIlEEEE10hipError_tPvRmT1_T2_T3_mT4_P12ihipStream_tbEUlT_E1_NS1_11comp_targetILNS1_3genE8ELNS1_11target_archE1030ELNS1_3gpuE2ELNS1_3repE0EEENS1_30default_config_static_selectorELNS0_4arch9wavefront6targetE1EEEvSF_.private_seg_size, 0
	.set _ZN7rocprim17ROCPRIM_400000_NS6detail17trampoline_kernelINS0_14default_configENS1_22reduce_config_selectorIlEEZNS1_11reduce_implILb1ES3_PlS7_lN6thrust23THRUST_200600_302600_NS4plusIlEEEE10hipError_tPvRmT1_T2_T3_mT4_P12ihipStream_tbEUlT_E1_NS1_11comp_targetILNS1_3genE8ELNS1_11target_archE1030ELNS1_3gpuE2ELNS1_3repE0EEENS1_30default_config_static_selectorELNS0_4arch9wavefront6targetE1EEEvSF_.uses_vcc, 0
	.set _ZN7rocprim17ROCPRIM_400000_NS6detail17trampoline_kernelINS0_14default_configENS1_22reduce_config_selectorIlEEZNS1_11reduce_implILb1ES3_PlS7_lN6thrust23THRUST_200600_302600_NS4plusIlEEEE10hipError_tPvRmT1_T2_T3_mT4_P12ihipStream_tbEUlT_E1_NS1_11comp_targetILNS1_3genE8ELNS1_11target_archE1030ELNS1_3gpuE2ELNS1_3repE0EEENS1_30default_config_static_selectorELNS0_4arch9wavefront6targetE1EEEvSF_.uses_flat_scratch, 0
	.set _ZN7rocprim17ROCPRIM_400000_NS6detail17trampoline_kernelINS0_14default_configENS1_22reduce_config_selectorIlEEZNS1_11reduce_implILb1ES3_PlS7_lN6thrust23THRUST_200600_302600_NS4plusIlEEEE10hipError_tPvRmT1_T2_T3_mT4_P12ihipStream_tbEUlT_E1_NS1_11comp_targetILNS1_3genE8ELNS1_11target_archE1030ELNS1_3gpuE2ELNS1_3repE0EEENS1_30default_config_static_selectorELNS0_4arch9wavefront6targetE1EEEvSF_.has_dyn_sized_stack, 0
	.set _ZN7rocprim17ROCPRIM_400000_NS6detail17trampoline_kernelINS0_14default_configENS1_22reduce_config_selectorIlEEZNS1_11reduce_implILb1ES3_PlS7_lN6thrust23THRUST_200600_302600_NS4plusIlEEEE10hipError_tPvRmT1_T2_T3_mT4_P12ihipStream_tbEUlT_E1_NS1_11comp_targetILNS1_3genE8ELNS1_11target_archE1030ELNS1_3gpuE2ELNS1_3repE0EEENS1_30default_config_static_selectorELNS0_4arch9wavefront6targetE1EEEvSF_.has_recursion, 0
	.set _ZN7rocprim17ROCPRIM_400000_NS6detail17trampoline_kernelINS0_14default_configENS1_22reduce_config_selectorIlEEZNS1_11reduce_implILb1ES3_PlS7_lN6thrust23THRUST_200600_302600_NS4plusIlEEEE10hipError_tPvRmT1_T2_T3_mT4_P12ihipStream_tbEUlT_E1_NS1_11comp_targetILNS1_3genE8ELNS1_11target_archE1030ELNS1_3gpuE2ELNS1_3repE0EEENS1_30default_config_static_selectorELNS0_4arch9wavefront6targetE1EEEvSF_.has_indirect_call, 0
	.section	.AMDGPU.csdata,"",@progbits
; Kernel info:
; codeLenInByte = 0
; TotalNumSgprs: 4
; NumVgprs: 0
; ScratchSize: 0
; MemoryBound: 0
; FloatMode: 240
; IeeeMode: 1
; LDSByteSize: 0 bytes/workgroup (compile time only)
; SGPRBlocks: 0
; VGPRBlocks: 0
; NumSGPRsForWavesPerEU: 4
; NumVGPRsForWavesPerEU: 1
; Occupancy: 10
; WaveLimiterHint : 0
; COMPUTE_PGM_RSRC2:SCRATCH_EN: 0
; COMPUTE_PGM_RSRC2:USER_SGPR: 6
; COMPUTE_PGM_RSRC2:TRAP_HANDLER: 0
; COMPUTE_PGM_RSRC2:TGID_X_EN: 1
; COMPUTE_PGM_RSRC2:TGID_Y_EN: 0
; COMPUTE_PGM_RSRC2:TGID_Z_EN: 0
; COMPUTE_PGM_RSRC2:TIDIG_COMP_CNT: 0
	.section	.text._ZN7rocprim17ROCPRIM_400000_NS6detail17trampoline_kernelINS0_14default_configENS1_22reduce_config_selectorIlEEZNS1_11reduce_implILb1ES3_N6thrust23THRUST_200600_302600_NS11hip_rocprim26transform_input_iterator_tIlNS8_12zip_iteratorINS8_5tupleINS8_6detail15normal_iteratorINS8_10device_ptrIdEEEESH_NS8_9null_typeESI_SI_SI_SI_SI_SI_SI_EEEENS9_21zip_adj_not_predicateINS8_8equal_toIdEEEEEEPllNS8_4plusIlEEEE10hipError_tPvRmT1_T2_T3_mT4_P12ihipStream_tbEUlT_E0_NS1_11comp_targetILNS1_3genE0ELNS1_11target_archE4294967295ELNS1_3gpuE0ELNS1_3repE0EEENS1_30default_config_static_selectorELNS0_4arch9wavefront6targetE1EEEvSW_,"axG",@progbits,_ZN7rocprim17ROCPRIM_400000_NS6detail17trampoline_kernelINS0_14default_configENS1_22reduce_config_selectorIlEEZNS1_11reduce_implILb1ES3_N6thrust23THRUST_200600_302600_NS11hip_rocprim26transform_input_iterator_tIlNS8_12zip_iteratorINS8_5tupleINS8_6detail15normal_iteratorINS8_10device_ptrIdEEEESH_NS8_9null_typeESI_SI_SI_SI_SI_SI_SI_EEEENS9_21zip_adj_not_predicateINS8_8equal_toIdEEEEEEPllNS8_4plusIlEEEE10hipError_tPvRmT1_T2_T3_mT4_P12ihipStream_tbEUlT_E0_NS1_11comp_targetILNS1_3genE0ELNS1_11target_archE4294967295ELNS1_3gpuE0ELNS1_3repE0EEENS1_30default_config_static_selectorELNS0_4arch9wavefront6targetE1EEEvSW_,comdat
	.protected	_ZN7rocprim17ROCPRIM_400000_NS6detail17trampoline_kernelINS0_14default_configENS1_22reduce_config_selectorIlEEZNS1_11reduce_implILb1ES3_N6thrust23THRUST_200600_302600_NS11hip_rocprim26transform_input_iterator_tIlNS8_12zip_iteratorINS8_5tupleINS8_6detail15normal_iteratorINS8_10device_ptrIdEEEESH_NS8_9null_typeESI_SI_SI_SI_SI_SI_SI_EEEENS9_21zip_adj_not_predicateINS8_8equal_toIdEEEEEEPllNS8_4plusIlEEEE10hipError_tPvRmT1_T2_T3_mT4_P12ihipStream_tbEUlT_E0_NS1_11comp_targetILNS1_3genE0ELNS1_11target_archE4294967295ELNS1_3gpuE0ELNS1_3repE0EEENS1_30default_config_static_selectorELNS0_4arch9wavefront6targetE1EEEvSW_ ; -- Begin function _ZN7rocprim17ROCPRIM_400000_NS6detail17trampoline_kernelINS0_14default_configENS1_22reduce_config_selectorIlEEZNS1_11reduce_implILb1ES3_N6thrust23THRUST_200600_302600_NS11hip_rocprim26transform_input_iterator_tIlNS8_12zip_iteratorINS8_5tupleINS8_6detail15normal_iteratorINS8_10device_ptrIdEEEESH_NS8_9null_typeESI_SI_SI_SI_SI_SI_SI_EEEENS9_21zip_adj_not_predicateINS8_8equal_toIdEEEEEEPllNS8_4plusIlEEEE10hipError_tPvRmT1_T2_T3_mT4_P12ihipStream_tbEUlT_E0_NS1_11comp_targetILNS1_3genE0ELNS1_11target_archE4294967295ELNS1_3gpuE0ELNS1_3repE0EEENS1_30default_config_static_selectorELNS0_4arch9wavefront6targetE1EEEvSW_
	.globl	_ZN7rocprim17ROCPRIM_400000_NS6detail17trampoline_kernelINS0_14default_configENS1_22reduce_config_selectorIlEEZNS1_11reduce_implILb1ES3_N6thrust23THRUST_200600_302600_NS11hip_rocprim26transform_input_iterator_tIlNS8_12zip_iteratorINS8_5tupleINS8_6detail15normal_iteratorINS8_10device_ptrIdEEEESH_NS8_9null_typeESI_SI_SI_SI_SI_SI_SI_EEEENS9_21zip_adj_not_predicateINS8_8equal_toIdEEEEEEPllNS8_4plusIlEEEE10hipError_tPvRmT1_T2_T3_mT4_P12ihipStream_tbEUlT_E0_NS1_11comp_targetILNS1_3genE0ELNS1_11target_archE4294967295ELNS1_3gpuE0ELNS1_3repE0EEENS1_30default_config_static_selectorELNS0_4arch9wavefront6targetE1EEEvSW_
	.p2align	8
	.type	_ZN7rocprim17ROCPRIM_400000_NS6detail17trampoline_kernelINS0_14default_configENS1_22reduce_config_selectorIlEEZNS1_11reduce_implILb1ES3_N6thrust23THRUST_200600_302600_NS11hip_rocprim26transform_input_iterator_tIlNS8_12zip_iteratorINS8_5tupleINS8_6detail15normal_iteratorINS8_10device_ptrIdEEEESH_NS8_9null_typeESI_SI_SI_SI_SI_SI_SI_EEEENS9_21zip_adj_not_predicateINS8_8equal_toIdEEEEEEPllNS8_4plusIlEEEE10hipError_tPvRmT1_T2_T3_mT4_P12ihipStream_tbEUlT_E0_NS1_11comp_targetILNS1_3genE0ELNS1_11target_archE4294967295ELNS1_3gpuE0ELNS1_3repE0EEENS1_30default_config_static_selectorELNS0_4arch9wavefront6targetE1EEEvSW_,@function
_ZN7rocprim17ROCPRIM_400000_NS6detail17trampoline_kernelINS0_14default_configENS1_22reduce_config_selectorIlEEZNS1_11reduce_implILb1ES3_N6thrust23THRUST_200600_302600_NS11hip_rocprim26transform_input_iterator_tIlNS8_12zip_iteratorINS8_5tupleINS8_6detail15normal_iteratorINS8_10device_ptrIdEEEESH_NS8_9null_typeESI_SI_SI_SI_SI_SI_SI_EEEENS9_21zip_adj_not_predicateINS8_8equal_toIdEEEEEEPllNS8_4plusIlEEEE10hipError_tPvRmT1_T2_T3_mT4_P12ihipStream_tbEUlT_E0_NS1_11comp_targetILNS1_3genE0ELNS1_11target_archE4294967295ELNS1_3gpuE0ELNS1_3repE0EEENS1_30default_config_static_selectorELNS0_4arch9wavefront6targetE1EEEvSW_: ; @_ZN7rocprim17ROCPRIM_400000_NS6detail17trampoline_kernelINS0_14default_configENS1_22reduce_config_selectorIlEEZNS1_11reduce_implILb1ES3_N6thrust23THRUST_200600_302600_NS11hip_rocprim26transform_input_iterator_tIlNS8_12zip_iteratorINS8_5tupleINS8_6detail15normal_iteratorINS8_10device_ptrIdEEEESH_NS8_9null_typeESI_SI_SI_SI_SI_SI_SI_EEEENS9_21zip_adj_not_predicateINS8_8equal_toIdEEEEEEPllNS8_4plusIlEEEE10hipError_tPvRmT1_T2_T3_mT4_P12ihipStream_tbEUlT_E0_NS1_11comp_targetILNS1_3genE0ELNS1_11target_archE4294967295ELNS1_3gpuE0ELNS1_3repE0EEENS1_30default_config_static_selectorELNS0_4arch9wavefront6targetE1EEEvSW_
; %bb.0:
	.section	.rodata,"a",@progbits
	.p2align	6, 0x0
	.amdhsa_kernel _ZN7rocprim17ROCPRIM_400000_NS6detail17trampoline_kernelINS0_14default_configENS1_22reduce_config_selectorIlEEZNS1_11reduce_implILb1ES3_N6thrust23THRUST_200600_302600_NS11hip_rocprim26transform_input_iterator_tIlNS8_12zip_iteratorINS8_5tupleINS8_6detail15normal_iteratorINS8_10device_ptrIdEEEESH_NS8_9null_typeESI_SI_SI_SI_SI_SI_SI_EEEENS9_21zip_adj_not_predicateINS8_8equal_toIdEEEEEEPllNS8_4plusIlEEEE10hipError_tPvRmT1_T2_T3_mT4_P12ihipStream_tbEUlT_E0_NS1_11comp_targetILNS1_3genE0ELNS1_11target_archE4294967295ELNS1_3gpuE0ELNS1_3repE0EEENS1_30default_config_static_selectorELNS0_4arch9wavefront6targetE1EEEvSW_
		.amdhsa_group_segment_fixed_size 0
		.amdhsa_private_segment_fixed_size 0
		.amdhsa_kernarg_size 80
		.amdhsa_user_sgpr_count 6
		.amdhsa_user_sgpr_private_segment_buffer 1
		.amdhsa_user_sgpr_dispatch_ptr 0
		.amdhsa_user_sgpr_queue_ptr 0
		.amdhsa_user_sgpr_kernarg_segment_ptr 1
		.amdhsa_user_sgpr_dispatch_id 0
		.amdhsa_user_sgpr_flat_scratch_init 0
		.amdhsa_user_sgpr_private_segment_size 0
		.amdhsa_uses_dynamic_stack 0
		.amdhsa_system_sgpr_private_segment_wavefront_offset 0
		.amdhsa_system_sgpr_workgroup_id_x 1
		.amdhsa_system_sgpr_workgroup_id_y 0
		.amdhsa_system_sgpr_workgroup_id_z 0
		.amdhsa_system_sgpr_workgroup_info 0
		.amdhsa_system_vgpr_workitem_id 0
		.amdhsa_next_free_vgpr 1
		.amdhsa_next_free_sgpr 0
		.amdhsa_reserve_vcc 0
		.amdhsa_reserve_flat_scratch 0
		.amdhsa_float_round_mode_32 0
		.amdhsa_float_round_mode_16_64 0
		.amdhsa_float_denorm_mode_32 3
		.amdhsa_float_denorm_mode_16_64 3
		.amdhsa_dx10_clamp 1
		.amdhsa_ieee_mode 1
		.amdhsa_fp16_overflow 0
		.amdhsa_exception_fp_ieee_invalid_op 0
		.amdhsa_exception_fp_denorm_src 0
		.amdhsa_exception_fp_ieee_div_zero 0
		.amdhsa_exception_fp_ieee_overflow 0
		.amdhsa_exception_fp_ieee_underflow 0
		.amdhsa_exception_fp_ieee_inexact 0
		.amdhsa_exception_int_div_zero 0
	.end_amdhsa_kernel
	.section	.text._ZN7rocprim17ROCPRIM_400000_NS6detail17trampoline_kernelINS0_14default_configENS1_22reduce_config_selectorIlEEZNS1_11reduce_implILb1ES3_N6thrust23THRUST_200600_302600_NS11hip_rocprim26transform_input_iterator_tIlNS8_12zip_iteratorINS8_5tupleINS8_6detail15normal_iteratorINS8_10device_ptrIdEEEESH_NS8_9null_typeESI_SI_SI_SI_SI_SI_SI_EEEENS9_21zip_adj_not_predicateINS8_8equal_toIdEEEEEEPllNS8_4plusIlEEEE10hipError_tPvRmT1_T2_T3_mT4_P12ihipStream_tbEUlT_E0_NS1_11comp_targetILNS1_3genE0ELNS1_11target_archE4294967295ELNS1_3gpuE0ELNS1_3repE0EEENS1_30default_config_static_selectorELNS0_4arch9wavefront6targetE1EEEvSW_,"axG",@progbits,_ZN7rocprim17ROCPRIM_400000_NS6detail17trampoline_kernelINS0_14default_configENS1_22reduce_config_selectorIlEEZNS1_11reduce_implILb1ES3_N6thrust23THRUST_200600_302600_NS11hip_rocprim26transform_input_iterator_tIlNS8_12zip_iteratorINS8_5tupleINS8_6detail15normal_iteratorINS8_10device_ptrIdEEEESH_NS8_9null_typeESI_SI_SI_SI_SI_SI_SI_EEEENS9_21zip_adj_not_predicateINS8_8equal_toIdEEEEEEPllNS8_4plusIlEEEE10hipError_tPvRmT1_T2_T3_mT4_P12ihipStream_tbEUlT_E0_NS1_11comp_targetILNS1_3genE0ELNS1_11target_archE4294967295ELNS1_3gpuE0ELNS1_3repE0EEENS1_30default_config_static_selectorELNS0_4arch9wavefront6targetE1EEEvSW_,comdat
.Lfunc_end743:
	.size	_ZN7rocprim17ROCPRIM_400000_NS6detail17trampoline_kernelINS0_14default_configENS1_22reduce_config_selectorIlEEZNS1_11reduce_implILb1ES3_N6thrust23THRUST_200600_302600_NS11hip_rocprim26transform_input_iterator_tIlNS8_12zip_iteratorINS8_5tupleINS8_6detail15normal_iteratorINS8_10device_ptrIdEEEESH_NS8_9null_typeESI_SI_SI_SI_SI_SI_SI_EEEENS9_21zip_adj_not_predicateINS8_8equal_toIdEEEEEEPllNS8_4plusIlEEEE10hipError_tPvRmT1_T2_T3_mT4_P12ihipStream_tbEUlT_E0_NS1_11comp_targetILNS1_3genE0ELNS1_11target_archE4294967295ELNS1_3gpuE0ELNS1_3repE0EEENS1_30default_config_static_selectorELNS0_4arch9wavefront6targetE1EEEvSW_, .Lfunc_end743-_ZN7rocprim17ROCPRIM_400000_NS6detail17trampoline_kernelINS0_14default_configENS1_22reduce_config_selectorIlEEZNS1_11reduce_implILb1ES3_N6thrust23THRUST_200600_302600_NS11hip_rocprim26transform_input_iterator_tIlNS8_12zip_iteratorINS8_5tupleINS8_6detail15normal_iteratorINS8_10device_ptrIdEEEESH_NS8_9null_typeESI_SI_SI_SI_SI_SI_SI_EEEENS9_21zip_adj_not_predicateINS8_8equal_toIdEEEEEEPllNS8_4plusIlEEEE10hipError_tPvRmT1_T2_T3_mT4_P12ihipStream_tbEUlT_E0_NS1_11comp_targetILNS1_3genE0ELNS1_11target_archE4294967295ELNS1_3gpuE0ELNS1_3repE0EEENS1_30default_config_static_selectorELNS0_4arch9wavefront6targetE1EEEvSW_
                                        ; -- End function
	.set _ZN7rocprim17ROCPRIM_400000_NS6detail17trampoline_kernelINS0_14default_configENS1_22reduce_config_selectorIlEEZNS1_11reduce_implILb1ES3_N6thrust23THRUST_200600_302600_NS11hip_rocprim26transform_input_iterator_tIlNS8_12zip_iteratorINS8_5tupleINS8_6detail15normal_iteratorINS8_10device_ptrIdEEEESH_NS8_9null_typeESI_SI_SI_SI_SI_SI_SI_EEEENS9_21zip_adj_not_predicateINS8_8equal_toIdEEEEEEPllNS8_4plusIlEEEE10hipError_tPvRmT1_T2_T3_mT4_P12ihipStream_tbEUlT_E0_NS1_11comp_targetILNS1_3genE0ELNS1_11target_archE4294967295ELNS1_3gpuE0ELNS1_3repE0EEENS1_30default_config_static_selectorELNS0_4arch9wavefront6targetE1EEEvSW_.num_vgpr, 0
	.set _ZN7rocprim17ROCPRIM_400000_NS6detail17trampoline_kernelINS0_14default_configENS1_22reduce_config_selectorIlEEZNS1_11reduce_implILb1ES3_N6thrust23THRUST_200600_302600_NS11hip_rocprim26transform_input_iterator_tIlNS8_12zip_iteratorINS8_5tupleINS8_6detail15normal_iteratorINS8_10device_ptrIdEEEESH_NS8_9null_typeESI_SI_SI_SI_SI_SI_SI_EEEENS9_21zip_adj_not_predicateINS8_8equal_toIdEEEEEEPllNS8_4plusIlEEEE10hipError_tPvRmT1_T2_T3_mT4_P12ihipStream_tbEUlT_E0_NS1_11comp_targetILNS1_3genE0ELNS1_11target_archE4294967295ELNS1_3gpuE0ELNS1_3repE0EEENS1_30default_config_static_selectorELNS0_4arch9wavefront6targetE1EEEvSW_.num_agpr, 0
	.set _ZN7rocprim17ROCPRIM_400000_NS6detail17trampoline_kernelINS0_14default_configENS1_22reduce_config_selectorIlEEZNS1_11reduce_implILb1ES3_N6thrust23THRUST_200600_302600_NS11hip_rocprim26transform_input_iterator_tIlNS8_12zip_iteratorINS8_5tupleINS8_6detail15normal_iteratorINS8_10device_ptrIdEEEESH_NS8_9null_typeESI_SI_SI_SI_SI_SI_SI_EEEENS9_21zip_adj_not_predicateINS8_8equal_toIdEEEEEEPllNS8_4plusIlEEEE10hipError_tPvRmT1_T2_T3_mT4_P12ihipStream_tbEUlT_E0_NS1_11comp_targetILNS1_3genE0ELNS1_11target_archE4294967295ELNS1_3gpuE0ELNS1_3repE0EEENS1_30default_config_static_selectorELNS0_4arch9wavefront6targetE1EEEvSW_.numbered_sgpr, 0
	.set _ZN7rocprim17ROCPRIM_400000_NS6detail17trampoline_kernelINS0_14default_configENS1_22reduce_config_selectorIlEEZNS1_11reduce_implILb1ES3_N6thrust23THRUST_200600_302600_NS11hip_rocprim26transform_input_iterator_tIlNS8_12zip_iteratorINS8_5tupleINS8_6detail15normal_iteratorINS8_10device_ptrIdEEEESH_NS8_9null_typeESI_SI_SI_SI_SI_SI_SI_EEEENS9_21zip_adj_not_predicateINS8_8equal_toIdEEEEEEPllNS8_4plusIlEEEE10hipError_tPvRmT1_T2_T3_mT4_P12ihipStream_tbEUlT_E0_NS1_11comp_targetILNS1_3genE0ELNS1_11target_archE4294967295ELNS1_3gpuE0ELNS1_3repE0EEENS1_30default_config_static_selectorELNS0_4arch9wavefront6targetE1EEEvSW_.num_named_barrier, 0
	.set _ZN7rocprim17ROCPRIM_400000_NS6detail17trampoline_kernelINS0_14default_configENS1_22reduce_config_selectorIlEEZNS1_11reduce_implILb1ES3_N6thrust23THRUST_200600_302600_NS11hip_rocprim26transform_input_iterator_tIlNS8_12zip_iteratorINS8_5tupleINS8_6detail15normal_iteratorINS8_10device_ptrIdEEEESH_NS8_9null_typeESI_SI_SI_SI_SI_SI_SI_EEEENS9_21zip_adj_not_predicateINS8_8equal_toIdEEEEEEPllNS8_4plusIlEEEE10hipError_tPvRmT1_T2_T3_mT4_P12ihipStream_tbEUlT_E0_NS1_11comp_targetILNS1_3genE0ELNS1_11target_archE4294967295ELNS1_3gpuE0ELNS1_3repE0EEENS1_30default_config_static_selectorELNS0_4arch9wavefront6targetE1EEEvSW_.private_seg_size, 0
	.set _ZN7rocprim17ROCPRIM_400000_NS6detail17trampoline_kernelINS0_14default_configENS1_22reduce_config_selectorIlEEZNS1_11reduce_implILb1ES3_N6thrust23THRUST_200600_302600_NS11hip_rocprim26transform_input_iterator_tIlNS8_12zip_iteratorINS8_5tupleINS8_6detail15normal_iteratorINS8_10device_ptrIdEEEESH_NS8_9null_typeESI_SI_SI_SI_SI_SI_SI_EEEENS9_21zip_adj_not_predicateINS8_8equal_toIdEEEEEEPllNS8_4plusIlEEEE10hipError_tPvRmT1_T2_T3_mT4_P12ihipStream_tbEUlT_E0_NS1_11comp_targetILNS1_3genE0ELNS1_11target_archE4294967295ELNS1_3gpuE0ELNS1_3repE0EEENS1_30default_config_static_selectorELNS0_4arch9wavefront6targetE1EEEvSW_.uses_vcc, 0
	.set _ZN7rocprim17ROCPRIM_400000_NS6detail17trampoline_kernelINS0_14default_configENS1_22reduce_config_selectorIlEEZNS1_11reduce_implILb1ES3_N6thrust23THRUST_200600_302600_NS11hip_rocprim26transform_input_iterator_tIlNS8_12zip_iteratorINS8_5tupleINS8_6detail15normal_iteratorINS8_10device_ptrIdEEEESH_NS8_9null_typeESI_SI_SI_SI_SI_SI_SI_EEEENS9_21zip_adj_not_predicateINS8_8equal_toIdEEEEEEPllNS8_4plusIlEEEE10hipError_tPvRmT1_T2_T3_mT4_P12ihipStream_tbEUlT_E0_NS1_11comp_targetILNS1_3genE0ELNS1_11target_archE4294967295ELNS1_3gpuE0ELNS1_3repE0EEENS1_30default_config_static_selectorELNS0_4arch9wavefront6targetE1EEEvSW_.uses_flat_scratch, 0
	.set _ZN7rocprim17ROCPRIM_400000_NS6detail17trampoline_kernelINS0_14default_configENS1_22reduce_config_selectorIlEEZNS1_11reduce_implILb1ES3_N6thrust23THRUST_200600_302600_NS11hip_rocprim26transform_input_iterator_tIlNS8_12zip_iteratorINS8_5tupleINS8_6detail15normal_iteratorINS8_10device_ptrIdEEEESH_NS8_9null_typeESI_SI_SI_SI_SI_SI_SI_EEEENS9_21zip_adj_not_predicateINS8_8equal_toIdEEEEEEPllNS8_4plusIlEEEE10hipError_tPvRmT1_T2_T3_mT4_P12ihipStream_tbEUlT_E0_NS1_11comp_targetILNS1_3genE0ELNS1_11target_archE4294967295ELNS1_3gpuE0ELNS1_3repE0EEENS1_30default_config_static_selectorELNS0_4arch9wavefront6targetE1EEEvSW_.has_dyn_sized_stack, 0
	.set _ZN7rocprim17ROCPRIM_400000_NS6detail17trampoline_kernelINS0_14default_configENS1_22reduce_config_selectorIlEEZNS1_11reduce_implILb1ES3_N6thrust23THRUST_200600_302600_NS11hip_rocprim26transform_input_iterator_tIlNS8_12zip_iteratorINS8_5tupleINS8_6detail15normal_iteratorINS8_10device_ptrIdEEEESH_NS8_9null_typeESI_SI_SI_SI_SI_SI_SI_EEEENS9_21zip_adj_not_predicateINS8_8equal_toIdEEEEEEPllNS8_4plusIlEEEE10hipError_tPvRmT1_T2_T3_mT4_P12ihipStream_tbEUlT_E0_NS1_11comp_targetILNS1_3genE0ELNS1_11target_archE4294967295ELNS1_3gpuE0ELNS1_3repE0EEENS1_30default_config_static_selectorELNS0_4arch9wavefront6targetE1EEEvSW_.has_recursion, 0
	.set _ZN7rocprim17ROCPRIM_400000_NS6detail17trampoline_kernelINS0_14default_configENS1_22reduce_config_selectorIlEEZNS1_11reduce_implILb1ES3_N6thrust23THRUST_200600_302600_NS11hip_rocprim26transform_input_iterator_tIlNS8_12zip_iteratorINS8_5tupleINS8_6detail15normal_iteratorINS8_10device_ptrIdEEEESH_NS8_9null_typeESI_SI_SI_SI_SI_SI_SI_EEEENS9_21zip_adj_not_predicateINS8_8equal_toIdEEEEEEPllNS8_4plusIlEEEE10hipError_tPvRmT1_T2_T3_mT4_P12ihipStream_tbEUlT_E0_NS1_11comp_targetILNS1_3genE0ELNS1_11target_archE4294967295ELNS1_3gpuE0ELNS1_3repE0EEENS1_30default_config_static_selectorELNS0_4arch9wavefront6targetE1EEEvSW_.has_indirect_call, 0
	.section	.AMDGPU.csdata,"",@progbits
; Kernel info:
; codeLenInByte = 0
; TotalNumSgprs: 4
; NumVgprs: 0
; ScratchSize: 0
; MemoryBound: 0
; FloatMode: 240
; IeeeMode: 1
; LDSByteSize: 0 bytes/workgroup (compile time only)
; SGPRBlocks: 0
; VGPRBlocks: 0
; NumSGPRsForWavesPerEU: 4
; NumVGPRsForWavesPerEU: 1
; Occupancy: 10
; WaveLimiterHint : 0
; COMPUTE_PGM_RSRC2:SCRATCH_EN: 0
; COMPUTE_PGM_RSRC2:USER_SGPR: 6
; COMPUTE_PGM_RSRC2:TRAP_HANDLER: 0
; COMPUTE_PGM_RSRC2:TGID_X_EN: 1
; COMPUTE_PGM_RSRC2:TGID_Y_EN: 0
; COMPUTE_PGM_RSRC2:TGID_Z_EN: 0
; COMPUTE_PGM_RSRC2:TIDIG_COMP_CNT: 0
	.section	.text._ZN7rocprim17ROCPRIM_400000_NS6detail17trampoline_kernelINS0_14default_configENS1_22reduce_config_selectorIlEEZNS1_11reduce_implILb1ES3_N6thrust23THRUST_200600_302600_NS11hip_rocprim26transform_input_iterator_tIlNS8_12zip_iteratorINS8_5tupleINS8_6detail15normal_iteratorINS8_10device_ptrIdEEEESH_NS8_9null_typeESI_SI_SI_SI_SI_SI_SI_EEEENS9_21zip_adj_not_predicateINS8_8equal_toIdEEEEEEPllNS8_4plusIlEEEE10hipError_tPvRmT1_T2_T3_mT4_P12ihipStream_tbEUlT_E0_NS1_11comp_targetILNS1_3genE5ELNS1_11target_archE942ELNS1_3gpuE9ELNS1_3repE0EEENS1_30default_config_static_selectorELNS0_4arch9wavefront6targetE1EEEvSW_,"axG",@progbits,_ZN7rocprim17ROCPRIM_400000_NS6detail17trampoline_kernelINS0_14default_configENS1_22reduce_config_selectorIlEEZNS1_11reduce_implILb1ES3_N6thrust23THRUST_200600_302600_NS11hip_rocprim26transform_input_iterator_tIlNS8_12zip_iteratorINS8_5tupleINS8_6detail15normal_iteratorINS8_10device_ptrIdEEEESH_NS8_9null_typeESI_SI_SI_SI_SI_SI_SI_EEEENS9_21zip_adj_not_predicateINS8_8equal_toIdEEEEEEPllNS8_4plusIlEEEE10hipError_tPvRmT1_T2_T3_mT4_P12ihipStream_tbEUlT_E0_NS1_11comp_targetILNS1_3genE5ELNS1_11target_archE942ELNS1_3gpuE9ELNS1_3repE0EEENS1_30default_config_static_selectorELNS0_4arch9wavefront6targetE1EEEvSW_,comdat
	.protected	_ZN7rocprim17ROCPRIM_400000_NS6detail17trampoline_kernelINS0_14default_configENS1_22reduce_config_selectorIlEEZNS1_11reduce_implILb1ES3_N6thrust23THRUST_200600_302600_NS11hip_rocprim26transform_input_iterator_tIlNS8_12zip_iteratorINS8_5tupleINS8_6detail15normal_iteratorINS8_10device_ptrIdEEEESH_NS8_9null_typeESI_SI_SI_SI_SI_SI_SI_EEEENS9_21zip_adj_not_predicateINS8_8equal_toIdEEEEEEPllNS8_4plusIlEEEE10hipError_tPvRmT1_T2_T3_mT4_P12ihipStream_tbEUlT_E0_NS1_11comp_targetILNS1_3genE5ELNS1_11target_archE942ELNS1_3gpuE9ELNS1_3repE0EEENS1_30default_config_static_selectorELNS0_4arch9wavefront6targetE1EEEvSW_ ; -- Begin function _ZN7rocprim17ROCPRIM_400000_NS6detail17trampoline_kernelINS0_14default_configENS1_22reduce_config_selectorIlEEZNS1_11reduce_implILb1ES3_N6thrust23THRUST_200600_302600_NS11hip_rocprim26transform_input_iterator_tIlNS8_12zip_iteratorINS8_5tupleINS8_6detail15normal_iteratorINS8_10device_ptrIdEEEESH_NS8_9null_typeESI_SI_SI_SI_SI_SI_SI_EEEENS9_21zip_adj_not_predicateINS8_8equal_toIdEEEEEEPllNS8_4plusIlEEEE10hipError_tPvRmT1_T2_T3_mT4_P12ihipStream_tbEUlT_E0_NS1_11comp_targetILNS1_3genE5ELNS1_11target_archE942ELNS1_3gpuE9ELNS1_3repE0EEENS1_30default_config_static_selectorELNS0_4arch9wavefront6targetE1EEEvSW_
	.globl	_ZN7rocprim17ROCPRIM_400000_NS6detail17trampoline_kernelINS0_14default_configENS1_22reduce_config_selectorIlEEZNS1_11reduce_implILb1ES3_N6thrust23THRUST_200600_302600_NS11hip_rocprim26transform_input_iterator_tIlNS8_12zip_iteratorINS8_5tupleINS8_6detail15normal_iteratorINS8_10device_ptrIdEEEESH_NS8_9null_typeESI_SI_SI_SI_SI_SI_SI_EEEENS9_21zip_adj_not_predicateINS8_8equal_toIdEEEEEEPllNS8_4plusIlEEEE10hipError_tPvRmT1_T2_T3_mT4_P12ihipStream_tbEUlT_E0_NS1_11comp_targetILNS1_3genE5ELNS1_11target_archE942ELNS1_3gpuE9ELNS1_3repE0EEENS1_30default_config_static_selectorELNS0_4arch9wavefront6targetE1EEEvSW_
	.p2align	8
	.type	_ZN7rocprim17ROCPRIM_400000_NS6detail17trampoline_kernelINS0_14default_configENS1_22reduce_config_selectorIlEEZNS1_11reduce_implILb1ES3_N6thrust23THRUST_200600_302600_NS11hip_rocprim26transform_input_iterator_tIlNS8_12zip_iteratorINS8_5tupleINS8_6detail15normal_iteratorINS8_10device_ptrIdEEEESH_NS8_9null_typeESI_SI_SI_SI_SI_SI_SI_EEEENS9_21zip_adj_not_predicateINS8_8equal_toIdEEEEEEPllNS8_4plusIlEEEE10hipError_tPvRmT1_T2_T3_mT4_P12ihipStream_tbEUlT_E0_NS1_11comp_targetILNS1_3genE5ELNS1_11target_archE942ELNS1_3gpuE9ELNS1_3repE0EEENS1_30default_config_static_selectorELNS0_4arch9wavefront6targetE1EEEvSW_,@function
_ZN7rocprim17ROCPRIM_400000_NS6detail17trampoline_kernelINS0_14default_configENS1_22reduce_config_selectorIlEEZNS1_11reduce_implILb1ES3_N6thrust23THRUST_200600_302600_NS11hip_rocprim26transform_input_iterator_tIlNS8_12zip_iteratorINS8_5tupleINS8_6detail15normal_iteratorINS8_10device_ptrIdEEEESH_NS8_9null_typeESI_SI_SI_SI_SI_SI_SI_EEEENS9_21zip_adj_not_predicateINS8_8equal_toIdEEEEEEPllNS8_4plusIlEEEE10hipError_tPvRmT1_T2_T3_mT4_P12ihipStream_tbEUlT_E0_NS1_11comp_targetILNS1_3genE5ELNS1_11target_archE942ELNS1_3gpuE9ELNS1_3repE0EEENS1_30default_config_static_selectorELNS0_4arch9wavefront6targetE1EEEvSW_: ; @_ZN7rocprim17ROCPRIM_400000_NS6detail17trampoline_kernelINS0_14default_configENS1_22reduce_config_selectorIlEEZNS1_11reduce_implILb1ES3_N6thrust23THRUST_200600_302600_NS11hip_rocprim26transform_input_iterator_tIlNS8_12zip_iteratorINS8_5tupleINS8_6detail15normal_iteratorINS8_10device_ptrIdEEEESH_NS8_9null_typeESI_SI_SI_SI_SI_SI_SI_EEEENS9_21zip_adj_not_predicateINS8_8equal_toIdEEEEEEPllNS8_4plusIlEEEE10hipError_tPvRmT1_T2_T3_mT4_P12ihipStream_tbEUlT_E0_NS1_11comp_targetILNS1_3genE5ELNS1_11target_archE942ELNS1_3gpuE9ELNS1_3repE0EEENS1_30default_config_static_selectorELNS0_4arch9wavefront6targetE1EEEvSW_
; %bb.0:
	.section	.rodata,"a",@progbits
	.p2align	6, 0x0
	.amdhsa_kernel _ZN7rocprim17ROCPRIM_400000_NS6detail17trampoline_kernelINS0_14default_configENS1_22reduce_config_selectorIlEEZNS1_11reduce_implILb1ES3_N6thrust23THRUST_200600_302600_NS11hip_rocprim26transform_input_iterator_tIlNS8_12zip_iteratorINS8_5tupleINS8_6detail15normal_iteratorINS8_10device_ptrIdEEEESH_NS8_9null_typeESI_SI_SI_SI_SI_SI_SI_EEEENS9_21zip_adj_not_predicateINS8_8equal_toIdEEEEEEPllNS8_4plusIlEEEE10hipError_tPvRmT1_T2_T3_mT4_P12ihipStream_tbEUlT_E0_NS1_11comp_targetILNS1_3genE5ELNS1_11target_archE942ELNS1_3gpuE9ELNS1_3repE0EEENS1_30default_config_static_selectorELNS0_4arch9wavefront6targetE1EEEvSW_
		.amdhsa_group_segment_fixed_size 0
		.amdhsa_private_segment_fixed_size 0
		.amdhsa_kernarg_size 80
		.amdhsa_user_sgpr_count 6
		.amdhsa_user_sgpr_private_segment_buffer 1
		.amdhsa_user_sgpr_dispatch_ptr 0
		.amdhsa_user_sgpr_queue_ptr 0
		.amdhsa_user_sgpr_kernarg_segment_ptr 1
		.amdhsa_user_sgpr_dispatch_id 0
		.amdhsa_user_sgpr_flat_scratch_init 0
		.amdhsa_user_sgpr_private_segment_size 0
		.amdhsa_uses_dynamic_stack 0
		.amdhsa_system_sgpr_private_segment_wavefront_offset 0
		.amdhsa_system_sgpr_workgroup_id_x 1
		.amdhsa_system_sgpr_workgroup_id_y 0
		.amdhsa_system_sgpr_workgroup_id_z 0
		.amdhsa_system_sgpr_workgroup_info 0
		.amdhsa_system_vgpr_workitem_id 0
		.amdhsa_next_free_vgpr 1
		.amdhsa_next_free_sgpr 0
		.amdhsa_reserve_vcc 0
		.amdhsa_reserve_flat_scratch 0
		.amdhsa_float_round_mode_32 0
		.amdhsa_float_round_mode_16_64 0
		.amdhsa_float_denorm_mode_32 3
		.amdhsa_float_denorm_mode_16_64 3
		.amdhsa_dx10_clamp 1
		.amdhsa_ieee_mode 1
		.amdhsa_fp16_overflow 0
		.amdhsa_exception_fp_ieee_invalid_op 0
		.amdhsa_exception_fp_denorm_src 0
		.amdhsa_exception_fp_ieee_div_zero 0
		.amdhsa_exception_fp_ieee_overflow 0
		.amdhsa_exception_fp_ieee_underflow 0
		.amdhsa_exception_fp_ieee_inexact 0
		.amdhsa_exception_int_div_zero 0
	.end_amdhsa_kernel
	.section	.text._ZN7rocprim17ROCPRIM_400000_NS6detail17trampoline_kernelINS0_14default_configENS1_22reduce_config_selectorIlEEZNS1_11reduce_implILb1ES3_N6thrust23THRUST_200600_302600_NS11hip_rocprim26transform_input_iterator_tIlNS8_12zip_iteratorINS8_5tupleINS8_6detail15normal_iteratorINS8_10device_ptrIdEEEESH_NS8_9null_typeESI_SI_SI_SI_SI_SI_SI_EEEENS9_21zip_adj_not_predicateINS8_8equal_toIdEEEEEEPllNS8_4plusIlEEEE10hipError_tPvRmT1_T2_T3_mT4_P12ihipStream_tbEUlT_E0_NS1_11comp_targetILNS1_3genE5ELNS1_11target_archE942ELNS1_3gpuE9ELNS1_3repE0EEENS1_30default_config_static_selectorELNS0_4arch9wavefront6targetE1EEEvSW_,"axG",@progbits,_ZN7rocprim17ROCPRIM_400000_NS6detail17trampoline_kernelINS0_14default_configENS1_22reduce_config_selectorIlEEZNS1_11reduce_implILb1ES3_N6thrust23THRUST_200600_302600_NS11hip_rocprim26transform_input_iterator_tIlNS8_12zip_iteratorINS8_5tupleINS8_6detail15normal_iteratorINS8_10device_ptrIdEEEESH_NS8_9null_typeESI_SI_SI_SI_SI_SI_SI_EEEENS9_21zip_adj_not_predicateINS8_8equal_toIdEEEEEEPllNS8_4plusIlEEEE10hipError_tPvRmT1_T2_T3_mT4_P12ihipStream_tbEUlT_E0_NS1_11comp_targetILNS1_3genE5ELNS1_11target_archE942ELNS1_3gpuE9ELNS1_3repE0EEENS1_30default_config_static_selectorELNS0_4arch9wavefront6targetE1EEEvSW_,comdat
.Lfunc_end744:
	.size	_ZN7rocprim17ROCPRIM_400000_NS6detail17trampoline_kernelINS0_14default_configENS1_22reduce_config_selectorIlEEZNS1_11reduce_implILb1ES3_N6thrust23THRUST_200600_302600_NS11hip_rocprim26transform_input_iterator_tIlNS8_12zip_iteratorINS8_5tupleINS8_6detail15normal_iteratorINS8_10device_ptrIdEEEESH_NS8_9null_typeESI_SI_SI_SI_SI_SI_SI_EEEENS9_21zip_adj_not_predicateINS8_8equal_toIdEEEEEEPllNS8_4plusIlEEEE10hipError_tPvRmT1_T2_T3_mT4_P12ihipStream_tbEUlT_E0_NS1_11comp_targetILNS1_3genE5ELNS1_11target_archE942ELNS1_3gpuE9ELNS1_3repE0EEENS1_30default_config_static_selectorELNS0_4arch9wavefront6targetE1EEEvSW_, .Lfunc_end744-_ZN7rocprim17ROCPRIM_400000_NS6detail17trampoline_kernelINS0_14default_configENS1_22reduce_config_selectorIlEEZNS1_11reduce_implILb1ES3_N6thrust23THRUST_200600_302600_NS11hip_rocprim26transform_input_iterator_tIlNS8_12zip_iteratorINS8_5tupleINS8_6detail15normal_iteratorINS8_10device_ptrIdEEEESH_NS8_9null_typeESI_SI_SI_SI_SI_SI_SI_EEEENS9_21zip_adj_not_predicateINS8_8equal_toIdEEEEEEPllNS8_4plusIlEEEE10hipError_tPvRmT1_T2_T3_mT4_P12ihipStream_tbEUlT_E0_NS1_11comp_targetILNS1_3genE5ELNS1_11target_archE942ELNS1_3gpuE9ELNS1_3repE0EEENS1_30default_config_static_selectorELNS0_4arch9wavefront6targetE1EEEvSW_
                                        ; -- End function
	.set _ZN7rocprim17ROCPRIM_400000_NS6detail17trampoline_kernelINS0_14default_configENS1_22reduce_config_selectorIlEEZNS1_11reduce_implILb1ES3_N6thrust23THRUST_200600_302600_NS11hip_rocprim26transform_input_iterator_tIlNS8_12zip_iteratorINS8_5tupleINS8_6detail15normal_iteratorINS8_10device_ptrIdEEEESH_NS8_9null_typeESI_SI_SI_SI_SI_SI_SI_EEEENS9_21zip_adj_not_predicateINS8_8equal_toIdEEEEEEPllNS8_4plusIlEEEE10hipError_tPvRmT1_T2_T3_mT4_P12ihipStream_tbEUlT_E0_NS1_11comp_targetILNS1_3genE5ELNS1_11target_archE942ELNS1_3gpuE9ELNS1_3repE0EEENS1_30default_config_static_selectorELNS0_4arch9wavefront6targetE1EEEvSW_.num_vgpr, 0
	.set _ZN7rocprim17ROCPRIM_400000_NS6detail17trampoline_kernelINS0_14default_configENS1_22reduce_config_selectorIlEEZNS1_11reduce_implILb1ES3_N6thrust23THRUST_200600_302600_NS11hip_rocprim26transform_input_iterator_tIlNS8_12zip_iteratorINS8_5tupleINS8_6detail15normal_iteratorINS8_10device_ptrIdEEEESH_NS8_9null_typeESI_SI_SI_SI_SI_SI_SI_EEEENS9_21zip_adj_not_predicateINS8_8equal_toIdEEEEEEPllNS8_4plusIlEEEE10hipError_tPvRmT1_T2_T3_mT4_P12ihipStream_tbEUlT_E0_NS1_11comp_targetILNS1_3genE5ELNS1_11target_archE942ELNS1_3gpuE9ELNS1_3repE0EEENS1_30default_config_static_selectorELNS0_4arch9wavefront6targetE1EEEvSW_.num_agpr, 0
	.set _ZN7rocprim17ROCPRIM_400000_NS6detail17trampoline_kernelINS0_14default_configENS1_22reduce_config_selectorIlEEZNS1_11reduce_implILb1ES3_N6thrust23THRUST_200600_302600_NS11hip_rocprim26transform_input_iterator_tIlNS8_12zip_iteratorINS8_5tupleINS8_6detail15normal_iteratorINS8_10device_ptrIdEEEESH_NS8_9null_typeESI_SI_SI_SI_SI_SI_SI_EEEENS9_21zip_adj_not_predicateINS8_8equal_toIdEEEEEEPllNS8_4plusIlEEEE10hipError_tPvRmT1_T2_T3_mT4_P12ihipStream_tbEUlT_E0_NS1_11comp_targetILNS1_3genE5ELNS1_11target_archE942ELNS1_3gpuE9ELNS1_3repE0EEENS1_30default_config_static_selectorELNS0_4arch9wavefront6targetE1EEEvSW_.numbered_sgpr, 0
	.set _ZN7rocprim17ROCPRIM_400000_NS6detail17trampoline_kernelINS0_14default_configENS1_22reduce_config_selectorIlEEZNS1_11reduce_implILb1ES3_N6thrust23THRUST_200600_302600_NS11hip_rocprim26transform_input_iterator_tIlNS8_12zip_iteratorINS8_5tupleINS8_6detail15normal_iteratorINS8_10device_ptrIdEEEESH_NS8_9null_typeESI_SI_SI_SI_SI_SI_SI_EEEENS9_21zip_adj_not_predicateINS8_8equal_toIdEEEEEEPllNS8_4plusIlEEEE10hipError_tPvRmT1_T2_T3_mT4_P12ihipStream_tbEUlT_E0_NS1_11comp_targetILNS1_3genE5ELNS1_11target_archE942ELNS1_3gpuE9ELNS1_3repE0EEENS1_30default_config_static_selectorELNS0_4arch9wavefront6targetE1EEEvSW_.num_named_barrier, 0
	.set _ZN7rocprim17ROCPRIM_400000_NS6detail17trampoline_kernelINS0_14default_configENS1_22reduce_config_selectorIlEEZNS1_11reduce_implILb1ES3_N6thrust23THRUST_200600_302600_NS11hip_rocprim26transform_input_iterator_tIlNS8_12zip_iteratorINS8_5tupleINS8_6detail15normal_iteratorINS8_10device_ptrIdEEEESH_NS8_9null_typeESI_SI_SI_SI_SI_SI_SI_EEEENS9_21zip_adj_not_predicateINS8_8equal_toIdEEEEEEPllNS8_4plusIlEEEE10hipError_tPvRmT1_T2_T3_mT4_P12ihipStream_tbEUlT_E0_NS1_11comp_targetILNS1_3genE5ELNS1_11target_archE942ELNS1_3gpuE9ELNS1_3repE0EEENS1_30default_config_static_selectorELNS0_4arch9wavefront6targetE1EEEvSW_.private_seg_size, 0
	.set _ZN7rocprim17ROCPRIM_400000_NS6detail17trampoline_kernelINS0_14default_configENS1_22reduce_config_selectorIlEEZNS1_11reduce_implILb1ES3_N6thrust23THRUST_200600_302600_NS11hip_rocprim26transform_input_iterator_tIlNS8_12zip_iteratorINS8_5tupleINS8_6detail15normal_iteratorINS8_10device_ptrIdEEEESH_NS8_9null_typeESI_SI_SI_SI_SI_SI_SI_EEEENS9_21zip_adj_not_predicateINS8_8equal_toIdEEEEEEPllNS8_4plusIlEEEE10hipError_tPvRmT1_T2_T3_mT4_P12ihipStream_tbEUlT_E0_NS1_11comp_targetILNS1_3genE5ELNS1_11target_archE942ELNS1_3gpuE9ELNS1_3repE0EEENS1_30default_config_static_selectorELNS0_4arch9wavefront6targetE1EEEvSW_.uses_vcc, 0
	.set _ZN7rocprim17ROCPRIM_400000_NS6detail17trampoline_kernelINS0_14default_configENS1_22reduce_config_selectorIlEEZNS1_11reduce_implILb1ES3_N6thrust23THRUST_200600_302600_NS11hip_rocprim26transform_input_iterator_tIlNS8_12zip_iteratorINS8_5tupleINS8_6detail15normal_iteratorINS8_10device_ptrIdEEEESH_NS8_9null_typeESI_SI_SI_SI_SI_SI_SI_EEEENS9_21zip_adj_not_predicateINS8_8equal_toIdEEEEEEPllNS8_4plusIlEEEE10hipError_tPvRmT1_T2_T3_mT4_P12ihipStream_tbEUlT_E0_NS1_11comp_targetILNS1_3genE5ELNS1_11target_archE942ELNS1_3gpuE9ELNS1_3repE0EEENS1_30default_config_static_selectorELNS0_4arch9wavefront6targetE1EEEvSW_.uses_flat_scratch, 0
	.set _ZN7rocprim17ROCPRIM_400000_NS6detail17trampoline_kernelINS0_14default_configENS1_22reduce_config_selectorIlEEZNS1_11reduce_implILb1ES3_N6thrust23THRUST_200600_302600_NS11hip_rocprim26transform_input_iterator_tIlNS8_12zip_iteratorINS8_5tupleINS8_6detail15normal_iteratorINS8_10device_ptrIdEEEESH_NS8_9null_typeESI_SI_SI_SI_SI_SI_SI_EEEENS9_21zip_adj_not_predicateINS8_8equal_toIdEEEEEEPllNS8_4plusIlEEEE10hipError_tPvRmT1_T2_T3_mT4_P12ihipStream_tbEUlT_E0_NS1_11comp_targetILNS1_3genE5ELNS1_11target_archE942ELNS1_3gpuE9ELNS1_3repE0EEENS1_30default_config_static_selectorELNS0_4arch9wavefront6targetE1EEEvSW_.has_dyn_sized_stack, 0
	.set _ZN7rocprim17ROCPRIM_400000_NS6detail17trampoline_kernelINS0_14default_configENS1_22reduce_config_selectorIlEEZNS1_11reduce_implILb1ES3_N6thrust23THRUST_200600_302600_NS11hip_rocprim26transform_input_iterator_tIlNS8_12zip_iteratorINS8_5tupleINS8_6detail15normal_iteratorINS8_10device_ptrIdEEEESH_NS8_9null_typeESI_SI_SI_SI_SI_SI_SI_EEEENS9_21zip_adj_not_predicateINS8_8equal_toIdEEEEEEPllNS8_4plusIlEEEE10hipError_tPvRmT1_T2_T3_mT4_P12ihipStream_tbEUlT_E0_NS1_11comp_targetILNS1_3genE5ELNS1_11target_archE942ELNS1_3gpuE9ELNS1_3repE0EEENS1_30default_config_static_selectorELNS0_4arch9wavefront6targetE1EEEvSW_.has_recursion, 0
	.set _ZN7rocprim17ROCPRIM_400000_NS6detail17trampoline_kernelINS0_14default_configENS1_22reduce_config_selectorIlEEZNS1_11reduce_implILb1ES3_N6thrust23THRUST_200600_302600_NS11hip_rocprim26transform_input_iterator_tIlNS8_12zip_iteratorINS8_5tupleINS8_6detail15normal_iteratorINS8_10device_ptrIdEEEESH_NS8_9null_typeESI_SI_SI_SI_SI_SI_SI_EEEENS9_21zip_adj_not_predicateINS8_8equal_toIdEEEEEEPllNS8_4plusIlEEEE10hipError_tPvRmT1_T2_T3_mT4_P12ihipStream_tbEUlT_E0_NS1_11comp_targetILNS1_3genE5ELNS1_11target_archE942ELNS1_3gpuE9ELNS1_3repE0EEENS1_30default_config_static_selectorELNS0_4arch9wavefront6targetE1EEEvSW_.has_indirect_call, 0
	.section	.AMDGPU.csdata,"",@progbits
; Kernel info:
; codeLenInByte = 0
; TotalNumSgprs: 4
; NumVgprs: 0
; ScratchSize: 0
; MemoryBound: 0
; FloatMode: 240
; IeeeMode: 1
; LDSByteSize: 0 bytes/workgroup (compile time only)
; SGPRBlocks: 0
; VGPRBlocks: 0
; NumSGPRsForWavesPerEU: 4
; NumVGPRsForWavesPerEU: 1
; Occupancy: 10
; WaveLimiterHint : 0
; COMPUTE_PGM_RSRC2:SCRATCH_EN: 0
; COMPUTE_PGM_RSRC2:USER_SGPR: 6
; COMPUTE_PGM_RSRC2:TRAP_HANDLER: 0
; COMPUTE_PGM_RSRC2:TGID_X_EN: 1
; COMPUTE_PGM_RSRC2:TGID_Y_EN: 0
; COMPUTE_PGM_RSRC2:TGID_Z_EN: 0
; COMPUTE_PGM_RSRC2:TIDIG_COMP_CNT: 0
	.section	.text._ZN7rocprim17ROCPRIM_400000_NS6detail17trampoline_kernelINS0_14default_configENS1_22reduce_config_selectorIlEEZNS1_11reduce_implILb1ES3_N6thrust23THRUST_200600_302600_NS11hip_rocprim26transform_input_iterator_tIlNS8_12zip_iteratorINS8_5tupleINS8_6detail15normal_iteratorINS8_10device_ptrIdEEEESH_NS8_9null_typeESI_SI_SI_SI_SI_SI_SI_EEEENS9_21zip_adj_not_predicateINS8_8equal_toIdEEEEEEPllNS8_4plusIlEEEE10hipError_tPvRmT1_T2_T3_mT4_P12ihipStream_tbEUlT_E0_NS1_11comp_targetILNS1_3genE4ELNS1_11target_archE910ELNS1_3gpuE8ELNS1_3repE0EEENS1_30default_config_static_selectorELNS0_4arch9wavefront6targetE1EEEvSW_,"axG",@progbits,_ZN7rocprim17ROCPRIM_400000_NS6detail17trampoline_kernelINS0_14default_configENS1_22reduce_config_selectorIlEEZNS1_11reduce_implILb1ES3_N6thrust23THRUST_200600_302600_NS11hip_rocprim26transform_input_iterator_tIlNS8_12zip_iteratorINS8_5tupleINS8_6detail15normal_iteratorINS8_10device_ptrIdEEEESH_NS8_9null_typeESI_SI_SI_SI_SI_SI_SI_EEEENS9_21zip_adj_not_predicateINS8_8equal_toIdEEEEEEPllNS8_4plusIlEEEE10hipError_tPvRmT1_T2_T3_mT4_P12ihipStream_tbEUlT_E0_NS1_11comp_targetILNS1_3genE4ELNS1_11target_archE910ELNS1_3gpuE8ELNS1_3repE0EEENS1_30default_config_static_selectorELNS0_4arch9wavefront6targetE1EEEvSW_,comdat
	.protected	_ZN7rocprim17ROCPRIM_400000_NS6detail17trampoline_kernelINS0_14default_configENS1_22reduce_config_selectorIlEEZNS1_11reduce_implILb1ES3_N6thrust23THRUST_200600_302600_NS11hip_rocprim26transform_input_iterator_tIlNS8_12zip_iteratorINS8_5tupleINS8_6detail15normal_iteratorINS8_10device_ptrIdEEEESH_NS8_9null_typeESI_SI_SI_SI_SI_SI_SI_EEEENS9_21zip_adj_not_predicateINS8_8equal_toIdEEEEEEPllNS8_4plusIlEEEE10hipError_tPvRmT1_T2_T3_mT4_P12ihipStream_tbEUlT_E0_NS1_11comp_targetILNS1_3genE4ELNS1_11target_archE910ELNS1_3gpuE8ELNS1_3repE0EEENS1_30default_config_static_selectorELNS0_4arch9wavefront6targetE1EEEvSW_ ; -- Begin function _ZN7rocprim17ROCPRIM_400000_NS6detail17trampoline_kernelINS0_14default_configENS1_22reduce_config_selectorIlEEZNS1_11reduce_implILb1ES3_N6thrust23THRUST_200600_302600_NS11hip_rocprim26transform_input_iterator_tIlNS8_12zip_iteratorINS8_5tupleINS8_6detail15normal_iteratorINS8_10device_ptrIdEEEESH_NS8_9null_typeESI_SI_SI_SI_SI_SI_SI_EEEENS9_21zip_adj_not_predicateINS8_8equal_toIdEEEEEEPllNS8_4plusIlEEEE10hipError_tPvRmT1_T2_T3_mT4_P12ihipStream_tbEUlT_E0_NS1_11comp_targetILNS1_3genE4ELNS1_11target_archE910ELNS1_3gpuE8ELNS1_3repE0EEENS1_30default_config_static_selectorELNS0_4arch9wavefront6targetE1EEEvSW_
	.globl	_ZN7rocprim17ROCPRIM_400000_NS6detail17trampoline_kernelINS0_14default_configENS1_22reduce_config_selectorIlEEZNS1_11reduce_implILb1ES3_N6thrust23THRUST_200600_302600_NS11hip_rocprim26transform_input_iterator_tIlNS8_12zip_iteratorINS8_5tupleINS8_6detail15normal_iteratorINS8_10device_ptrIdEEEESH_NS8_9null_typeESI_SI_SI_SI_SI_SI_SI_EEEENS9_21zip_adj_not_predicateINS8_8equal_toIdEEEEEEPllNS8_4plusIlEEEE10hipError_tPvRmT1_T2_T3_mT4_P12ihipStream_tbEUlT_E0_NS1_11comp_targetILNS1_3genE4ELNS1_11target_archE910ELNS1_3gpuE8ELNS1_3repE0EEENS1_30default_config_static_selectorELNS0_4arch9wavefront6targetE1EEEvSW_
	.p2align	8
	.type	_ZN7rocprim17ROCPRIM_400000_NS6detail17trampoline_kernelINS0_14default_configENS1_22reduce_config_selectorIlEEZNS1_11reduce_implILb1ES3_N6thrust23THRUST_200600_302600_NS11hip_rocprim26transform_input_iterator_tIlNS8_12zip_iteratorINS8_5tupleINS8_6detail15normal_iteratorINS8_10device_ptrIdEEEESH_NS8_9null_typeESI_SI_SI_SI_SI_SI_SI_EEEENS9_21zip_adj_not_predicateINS8_8equal_toIdEEEEEEPllNS8_4plusIlEEEE10hipError_tPvRmT1_T2_T3_mT4_P12ihipStream_tbEUlT_E0_NS1_11comp_targetILNS1_3genE4ELNS1_11target_archE910ELNS1_3gpuE8ELNS1_3repE0EEENS1_30default_config_static_selectorELNS0_4arch9wavefront6targetE1EEEvSW_,@function
_ZN7rocprim17ROCPRIM_400000_NS6detail17trampoline_kernelINS0_14default_configENS1_22reduce_config_selectorIlEEZNS1_11reduce_implILb1ES3_N6thrust23THRUST_200600_302600_NS11hip_rocprim26transform_input_iterator_tIlNS8_12zip_iteratorINS8_5tupleINS8_6detail15normal_iteratorINS8_10device_ptrIdEEEESH_NS8_9null_typeESI_SI_SI_SI_SI_SI_SI_EEEENS9_21zip_adj_not_predicateINS8_8equal_toIdEEEEEEPllNS8_4plusIlEEEE10hipError_tPvRmT1_T2_T3_mT4_P12ihipStream_tbEUlT_E0_NS1_11comp_targetILNS1_3genE4ELNS1_11target_archE910ELNS1_3gpuE8ELNS1_3repE0EEENS1_30default_config_static_selectorELNS0_4arch9wavefront6targetE1EEEvSW_: ; @_ZN7rocprim17ROCPRIM_400000_NS6detail17trampoline_kernelINS0_14default_configENS1_22reduce_config_selectorIlEEZNS1_11reduce_implILb1ES3_N6thrust23THRUST_200600_302600_NS11hip_rocprim26transform_input_iterator_tIlNS8_12zip_iteratorINS8_5tupleINS8_6detail15normal_iteratorINS8_10device_ptrIdEEEESH_NS8_9null_typeESI_SI_SI_SI_SI_SI_SI_EEEENS9_21zip_adj_not_predicateINS8_8equal_toIdEEEEEEPllNS8_4plusIlEEEE10hipError_tPvRmT1_T2_T3_mT4_P12ihipStream_tbEUlT_E0_NS1_11comp_targetILNS1_3genE4ELNS1_11target_archE910ELNS1_3gpuE8ELNS1_3repE0EEENS1_30default_config_static_selectorELNS0_4arch9wavefront6targetE1EEEvSW_
; %bb.0:
	.section	.rodata,"a",@progbits
	.p2align	6, 0x0
	.amdhsa_kernel _ZN7rocprim17ROCPRIM_400000_NS6detail17trampoline_kernelINS0_14default_configENS1_22reduce_config_selectorIlEEZNS1_11reduce_implILb1ES3_N6thrust23THRUST_200600_302600_NS11hip_rocprim26transform_input_iterator_tIlNS8_12zip_iteratorINS8_5tupleINS8_6detail15normal_iteratorINS8_10device_ptrIdEEEESH_NS8_9null_typeESI_SI_SI_SI_SI_SI_SI_EEEENS9_21zip_adj_not_predicateINS8_8equal_toIdEEEEEEPllNS8_4plusIlEEEE10hipError_tPvRmT1_T2_T3_mT4_P12ihipStream_tbEUlT_E0_NS1_11comp_targetILNS1_3genE4ELNS1_11target_archE910ELNS1_3gpuE8ELNS1_3repE0EEENS1_30default_config_static_selectorELNS0_4arch9wavefront6targetE1EEEvSW_
		.amdhsa_group_segment_fixed_size 0
		.amdhsa_private_segment_fixed_size 0
		.amdhsa_kernarg_size 80
		.amdhsa_user_sgpr_count 6
		.amdhsa_user_sgpr_private_segment_buffer 1
		.amdhsa_user_sgpr_dispatch_ptr 0
		.amdhsa_user_sgpr_queue_ptr 0
		.amdhsa_user_sgpr_kernarg_segment_ptr 1
		.amdhsa_user_sgpr_dispatch_id 0
		.amdhsa_user_sgpr_flat_scratch_init 0
		.amdhsa_user_sgpr_private_segment_size 0
		.amdhsa_uses_dynamic_stack 0
		.amdhsa_system_sgpr_private_segment_wavefront_offset 0
		.amdhsa_system_sgpr_workgroup_id_x 1
		.amdhsa_system_sgpr_workgroup_id_y 0
		.amdhsa_system_sgpr_workgroup_id_z 0
		.amdhsa_system_sgpr_workgroup_info 0
		.amdhsa_system_vgpr_workitem_id 0
		.amdhsa_next_free_vgpr 1
		.amdhsa_next_free_sgpr 0
		.amdhsa_reserve_vcc 0
		.amdhsa_reserve_flat_scratch 0
		.amdhsa_float_round_mode_32 0
		.amdhsa_float_round_mode_16_64 0
		.amdhsa_float_denorm_mode_32 3
		.amdhsa_float_denorm_mode_16_64 3
		.amdhsa_dx10_clamp 1
		.amdhsa_ieee_mode 1
		.amdhsa_fp16_overflow 0
		.amdhsa_exception_fp_ieee_invalid_op 0
		.amdhsa_exception_fp_denorm_src 0
		.amdhsa_exception_fp_ieee_div_zero 0
		.amdhsa_exception_fp_ieee_overflow 0
		.amdhsa_exception_fp_ieee_underflow 0
		.amdhsa_exception_fp_ieee_inexact 0
		.amdhsa_exception_int_div_zero 0
	.end_amdhsa_kernel
	.section	.text._ZN7rocprim17ROCPRIM_400000_NS6detail17trampoline_kernelINS0_14default_configENS1_22reduce_config_selectorIlEEZNS1_11reduce_implILb1ES3_N6thrust23THRUST_200600_302600_NS11hip_rocprim26transform_input_iterator_tIlNS8_12zip_iteratorINS8_5tupleINS8_6detail15normal_iteratorINS8_10device_ptrIdEEEESH_NS8_9null_typeESI_SI_SI_SI_SI_SI_SI_EEEENS9_21zip_adj_not_predicateINS8_8equal_toIdEEEEEEPllNS8_4plusIlEEEE10hipError_tPvRmT1_T2_T3_mT4_P12ihipStream_tbEUlT_E0_NS1_11comp_targetILNS1_3genE4ELNS1_11target_archE910ELNS1_3gpuE8ELNS1_3repE0EEENS1_30default_config_static_selectorELNS0_4arch9wavefront6targetE1EEEvSW_,"axG",@progbits,_ZN7rocprim17ROCPRIM_400000_NS6detail17trampoline_kernelINS0_14default_configENS1_22reduce_config_selectorIlEEZNS1_11reduce_implILb1ES3_N6thrust23THRUST_200600_302600_NS11hip_rocprim26transform_input_iterator_tIlNS8_12zip_iteratorINS8_5tupleINS8_6detail15normal_iteratorINS8_10device_ptrIdEEEESH_NS8_9null_typeESI_SI_SI_SI_SI_SI_SI_EEEENS9_21zip_adj_not_predicateINS8_8equal_toIdEEEEEEPllNS8_4plusIlEEEE10hipError_tPvRmT1_T2_T3_mT4_P12ihipStream_tbEUlT_E0_NS1_11comp_targetILNS1_3genE4ELNS1_11target_archE910ELNS1_3gpuE8ELNS1_3repE0EEENS1_30default_config_static_selectorELNS0_4arch9wavefront6targetE1EEEvSW_,comdat
.Lfunc_end745:
	.size	_ZN7rocprim17ROCPRIM_400000_NS6detail17trampoline_kernelINS0_14default_configENS1_22reduce_config_selectorIlEEZNS1_11reduce_implILb1ES3_N6thrust23THRUST_200600_302600_NS11hip_rocprim26transform_input_iterator_tIlNS8_12zip_iteratorINS8_5tupleINS8_6detail15normal_iteratorINS8_10device_ptrIdEEEESH_NS8_9null_typeESI_SI_SI_SI_SI_SI_SI_EEEENS9_21zip_adj_not_predicateINS8_8equal_toIdEEEEEEPllNS8_4plusIlEEEE10hipError_tPvRmT1_T2_T3_mT4_P12ihipStream_tbEUlT_E0_NS1_11comp_targetILNS1_3genE4ELNS1_11target_archE910ELNS1_3gpuE8ELNS1_3repE0EEENS1_30default_config_static_selectorELNS0_4arch9wavefront6targetE1EEEvSW_, .Lfunc_end745-_ZN7rocprim17ROCPRIM_400000_NS6detail17trampoline_kernelINS0_14default_configENS1_22reduce_config_selectorIlEEZNS1_11reduce_implILb1ES3_N6thrust23THRUST_200600_302600_NS11hip_rocprim26transform_input_iterator_tIlNS8_12zip_iteratorINS8_5tupleINS8_6detail15normal_iteratorINS8_10device_ptrIdEEEESH_NS8_9null_typeESI_SI_SI_SI_SI_SI_SI_EEEENS9_21zip_adj_not_predicateINS8_8equal_toIdEEEEEEPllNS8_4plusIlEEEE10hipError_tPvRmT1_T2_T3_mT4_P12ihipStream_tbEUlT_E0_NS1_11comp_targetILNS1_3genE4ELNS1_11target_archE910ELNS1_3gpuE8ELNS1_3repE0EEENS1_30default_config_static_selectorELNS0_4arch9wavefront6targetE1EEEvSW_
                                        ; -- End function
	.set _ZN7rocprim17ROCPRIM_400000_NS6detail17trampoline_kernelINS0_14default_configENS1_22reduce_config_selectorIlEEZNS1_11reduce_implILb1ES3_N6thrust23THRUST_200600_302600_NS11hip_rocprim26transform_input_iterator_tIlNS8_12zip_iteratorINS8_5tupleINS8_6detail15normal_iteratorINS8_10device_ptrIdEEEESH_NS8_9null_typeESI_SI_SI_SI_SI_SI_SI_EEEENS9_21zip_adj_not_predicateINS8_8equal_toIdEEEEEEPllNS8_4plusIlEEEE10hipError_tPvRmT1_T2_T3_mT4_P12ihipStream_tbEUlT_E0_NS1_11comp_targetILNS1_3genE4ELNS1_11target_archE910ELNS1_3gpuE8ELNS1_3repE0EEENS1_30default_config_static_selectorELNS0_4arch9wavefront6targetE1EEEvSW_.num_vgpr, 0
	.set _ZN7rocprim17ROCPRIM_400000_NS6detail17trampoline_kernelINS0_14default_configENS1_22reduce_config_selectorIlEEZNS1_11reduce_implILb1ES3_N6thrust23THRUST_200600_302600_NS11hip_rocprim26transform_input_iterator_tIlNS8_12zip_iteratorINS8_5tupleINS8_6detail15normal_iteratorINS8_10device_ptrIdEEEESH_NS8_9null_typeESI_SI_SI_SI_SI_SI_SI_EEEENS9_21zip_adj_not_predicateINS8_8equal_toIdEEEEEEPllNS8_4plusIlEEEE10hipError_tPvRmT1_T2_T3_mT4_P12ihipStream_tbEUlT_E0_NS1_11comp_targetILNS1_3genE4ELNS1_11target_archE910ELNS1_3gpuE8ELNS1_3repE0EEENS1_30default_config_static_selectorELNS0_4arch9wavefront6targetE1EEEvSW_.num_agpr, 0
	.set _ZN7rocprim17ROCPRIM_400000_NS6detail17trampoline_kernelINS0_14default_configENS1_22reduce_config_selectorIlEEZNS1_11reduce_implILb1ES3_N6thrust23THRUST_200600_302600_NS11hip_rocprim26transform_input_iterator_tIlNS8_12zip_iteratorINS8_5tupleINS8_6detail15normal_iteratorINS8_10device_ptrIdEEEESH_NS8_9null_typeESI_SI_SI_SI_SI_SI_SI_EEEENS9_21zip_adj_not_predicateINS8_8equal_toIdEEEEEEPllNS8_4plusIlEEEE10hipError_tPvRmT1_T2_T3_mT4_P12ihipStream_tbEUlT_E0_NS1_11comp_targetILNS1_3genE4ELNS1_11target_archE910ELNS1_3gpuE8ELNS1_3repE0EEENS1_30default_config_static_selectorELNS0_4arch9wavefront6targetE1EEEvSW_.numbered_sgpr, 0
	.set _ZN7rocprim17ROCPRIM_400000_NS6detail17trampoline_kernelINS0_14default_configENS1_22reduce_config_selectorIlEEZNS1_11reduce_implILb1ES3_N6thrust23THRUST_200600_302600_NS11hip_rocprim26transform_input_iterator_tIlNS8_12zip_iteratorINS8_5tupleINS8_6detail15normal_iteratorINS8_10device_ptrIdEEEESH_NS8_9null_typeESI_SI_SI_SI_SI_SI_SI_EEEENS9_21zip_adj_not_predicateINS8_8equal_toIdEEEEEEPllNS8_4plusIlEEEE10hipError_tPvRmT1_T2_T3_mT4_P12ihipStream_tbEUlT_E0_NS1_11comp_targetILNS1_3genE4ELNS1_11target_archE910ELNS1_3gpuE8ELNS1_3repE0EEENS1_30default_config_static_selectorELNS0_4arch9wavefront6targetE1EEEvSW_.num_named_barrier, 0
	.set _ZN7rocprim17ROCPRIM_400000_NS6detail17trampoline_kernelINS0_14default_configENS1_22reduce_config_selectorIlEEZNS1_11reduce_implILb1ES3_N6thrust23THRUST_200600_302600_NS11hip_rocprim26transform_input_iterator_tIlNS8_12zip_iteratorINS8_5tupleINS8_6detail15normal_iteratorINS8_10device_ptrIdEEEESH_NS8_9null_typeESI_SI_SI_SI_SI_SI_SI_EEEENS9_21zip_adj_not_predicateINS8_8equal_toIdEEEEEEPllNS8_4plusIlEEEE10hipError_tPvRmT1_T2_T3_mT4_P12ihipStream_tbEUlT_E0_NS1_11comp_targetILNS1_3genE4ELNS1_11target_archE910ELNS1_3gpuE8ELNS1_3repE0EEENS1_30default_config_static_selectorELNS0_4arch9wavefront6targetE1EEEvSW_.private_seg_size, 0
	.set _ZN7rocprim17ROCPRIM_400000_NS6detail17trampoline_kernelINS0_14default_configENS1_22reduce_config_selectorIlEEZNS1_11reduce_implILb1ES3_N6thrust23THRUST_200600_302600_NS11hip_rocprim26transform_input_iterator_tIlNS8_12zip_iteratorINS8_5tupleINS8_6detail15normal_iteratorINS8_10device_ptrIdEEEESH_NS8_9null_typeESI_SI_SI_SI_SI_SI_SI_EEEENS9_21zip_adj_not_predicateINS8_8equal_toIdEEEEEEPllNS8_4plusIlEEEE10hipError_tPvRmT1_T2_T3_mT4_P12ihipStream_tbEUlT_E0_NS1_11comp_targetILNS1_3genE4ELNS1_11target_archE910ELNS1_3gpuE8ELNS1_3repE0EEENS1_30default_config_static_selectorELNS0_4arch9wavefront6targetE1EEEvSW_.uses_vcc, 0
	.set _ZN7rocprim17ROCPRIM_400000_NS6detail17trampoline_kernelINS0_14default_configENS1_22reduce_config_selectorIlEEZNS1_11reduce_implILb1ES3_N6thrust23THRUST_200600_302600_NS11hip_rocprim26transform_input_iterator_tIlNS8_12zip_iteratorINS8_5tupleINS8_6detail15normal_iteratorINS8_10device_ptrIdEEEESH_NS8_9null_typeESI_SI_SI_SI_SI_SI_SI_EEEENS9_21zip_adj_not_predicateINS8_8equal_toIdEEEEEEPllNS8_4plusIlEEEE10hipError_tPvRmT1_T2_T3_mT4_P12ihipStream_tbEUlT_E0_NS1_11comp_targetILNS1_3genE4ELNS1_11target_archE910ELNS1_3gpuE8ELNS1_3repE0EEENS1_30default_config_static_selectorELNS0_4arch9wavefront6targetE1EEEvSW_.uses_flat_scratch, 0
	.set _ZN7rocprim17ROCPRIM_400000_NS6detail17trampoline_kernelINS0_14default_configENS1_22reduce_config_selectorIlEEZNS1_11reduce_implILb1ES3_N6thrust23THRUST_200600_302600_NS11hip_rocprim26transform_input_iterator_tIlNS8_12zip_iteratorINS8_5tupleINS8_6detail15normal_iteratorINS8_10device_ptrIdEEEESH_NS8_9null_typeESI_SI_SI_SI_SI_SI_SI_EEEENS9_21zip_adj_not_predicateINS8_8equal_toIdEEEEEEPllNS8_4plusIlEEEE10hipError_tPvRmT1_T2_T3_mT4_P12ihipStream_tbEUlT_E0_NS1_11comp_targetILNS1_3genE4ELNS1_11target_archE910ELNS1_3gpuE8ELNS1_3repE0EEENS1_30default_config_static_selectorELNS0_4arch9wavefront6targetE1EEEvSW_.has_dyn_sized_stack, 0
	.set _ZN7rocprim17ROCPRIM_400000_NS6detail17trampoline_kernelINS0_14default_configENS1_22reduce_config_selectorIlEEZNS1_11reduce_implILb1ES3_N6thrust23THRUST_200600_302600_NS11hip_rocprim26transform_input_iterator_tIlNS8_12zip_iteratorINS8_5tupleINS8_6detail15normal_iteratorINS8_10device_ptrIdEEEESH_NS8_9null_typeESI_SI_SI_SI_SI_SI_SI_EEEENS9_21zip_adj_not_predicateINS8_8equal_toIdEEEEEEPllNS8_4plusIlEEEE10hipError_tPvRmT1_T2_T3_mT4_P12ihipStream_tbEUlT_E0_NS1_11comp_targetILNS1_3genE4ELNS1_11target_archE910ELNS1_3gpuE8ELNS1_3repE0EEENS1_30default_config_static_selectorELNS0_4arch9wavefront6targetE1EEEvSW_.has_recursion, 0
	.set _ZN7rocprim17ROCPRIM_400000_NS6detail17trampoline_kernelINS0_14default_configENS1_22reduce_config_selectorIlEEZNS1_11reduce_implILb1ES3_N6thrust23THRUST_200600_302600_NS11hip_rocprim26transform_input_iterator_tIlNS8_12zip_iteratorINS8_5tupleINS8_6detail15normal_iteratorINS8_10device_ptrIdEEEESH_NS8_9null_typeESI_SI_SI_SI_SI_SI_SI_EEEENS9_21zip_adj_not_predicateINS8_8equal_toIdEEEEEEPllNS8_4plusIlEEEE10hipError_tPvRmT1_T2_T3_mT4_P12ihipStream_tbEUlT_E0_NS1_11comp_targetILNS1_3genE4ELNS1_11target_archE910ELNS1_3gpuE8ELNS1_3repE0EEENS1_30default_config_static_selectorELNS0_4arch9wavefront6targetE1EEEvSW_.has_indirect_call, 0
	.section	.AMDGPU.csdata,"",@progbits
; Kernel info:
; codeLenInByte = 0
; TotalNumSgprs: 4
; NumVgprs: 0
; ScratchSize: 0
; MemoryBound: 0
; FloatMode: 240
; IeeeMode: 1
; LDSByteSize: 0 bytes/workgroup (compile time only)
; SGPRBlocks: 0
; VGPRBlocks: 0
; NumSGPRsForWavesPerEU: 4
; NumVGPRsForWavesPerEU: 1
; Occupancy: 10
; WaveLimiterHint : 0
; COMPUTE_PGM_RSRC2:SCRATCH_EN: 0
; COMPUTE_PGM_RSRC2:USER_SGPR: 6
; COMPUTE_PGM_RSRC2:TRAP_HANDLER: 0
; COMPUTE_PGM_RSRC2:TGID_X_EN: 1
; COMPUTE_PGM_RSRC2:TGID_Y_EN: 0
; COMPUTE_PGM_RSRC2:TGID_Z_EN: 0
; COMPUTE_PGM_RSRC2:TIDIG_COMP_CNT: 0
	.section	.text._ZN7rocprim17ROCPRIM_400000_NS6detail17trampoline_kernelINS0_14default_configENS1_22reduce_config_selectorIlEEZNS1_11reduce_implILb1ES3_N6thrust23THRUST_200600_302600_NS11hip_rocprim26transform_input_iterator_tIlNS8_12zip_iteratorINS8_5tupleINS8_6detail15normal_iteratorINS8_10device_ptrIdEEEESH_NS8_9null_typeESI_SI_SI_SI_SI_SI_SI_EEEENS9_21zip_adj_not_predicateINS8_8equal_toIdEEEEEEPllNS8_4plusIlEEEE10hipError_tPvRmT1_T2_T3_mT4_P12ihipStream_tbEUlT_E0_NS1_11comp_targetILNS1_3genE3ELNS1_11target_archE908ELNS1_3gpuE7ELNS1_3repE0EEENS1_30default_config_static_selectorELNS0_4arch9wavefront6targetE1EEEvSW_,"axG",@progbits,_ZN7rocprim17ROCPRIM_400000_NS6detail17trampoline_kernelINS0_14default_configENS1_22reduce_config_selectorIlEEZNS1_11reduce_implILb1ES3_N6thrust23THRUST_200600_302600_NS11hip_rocprim26transform_input_iterator_tIlNS8_12zip_iteratorINS8_5tupleINS8_6detail15normal_iteratorINS8_10device_ptrIdEEEESH_NS8_9null_typeESI_SI_SI_SI_SI_SI_SI_EEEENS9_21zip_adj_not_predicateINS8_8equal_toIdEEEEEEPllNS8_4plusIlEEEE10hipError_tPvRmT1_T2_T3_mT4_P12ihipStream_tbEUlT_E0_NS1_11comp_targetILNS1_3genE3ELNS1_11target_archE908ELNS1_3gpuE7ELNS1_3repE0EEENS1_30default_config_static_selectorELNS0_4arch9wavefront6targetE1EEEvSW_,comdat
	.protected	_ZN7rocprim17ROCPRIM_400000_NS6detail17trampoline_kernelINS0_14default_configENS1_22reduce_config_selectorIlEEZNS1_11reduce_implILb1ES3_N6thrust23THRUST_200600_302600_NS11hip_rocprim26transform_input_iterator_tIlNS8_12zip_iteratorINS8_5tupleINS8_6detail15normal_iteratorINS8_10device_ptrIdEEEESH_NS8_9null_typeESI_SI_SI_SI_SI_SI_SI_EEEENS9_21zip_adj_not_predicateINS8_8equal_toIdEEEEEEPllNS8_4plusIlEEEE10hipError_tPvRmT1_T2_T3_mT4_P12ihipStream_tbEUlT_E0_NS1_11comp_targetILNS1_3genE3ELNS1_11target_archE908ELNS1_3gpuE7ELNS1_3repE0EEENS1_30default_config_static_selectorELNS0_4arch9wavefront6targetE1EEEvSW_ ; -- Begin function _ZN7rocprim17ROCPRIM_400000_NS6detail17trampoline_kernelINS0_14default_configENS1_22reduce_config_selectorIlEEZNS1_11reduce_implILb1ES3_N6thrust23THRUST_200600_302600_NS11hip_rocprim26transform_input_iterator_tIlNS8_12zip_iteratorINS8_5tupleINS8_6detail15normal_iteratorINS8_10device_ptrIdEEEESH_NS8_9null_typeESI_SI_SI_SI_SI_SI_SI_EEEENS9_21zip_adj_not_predicateINS8_8equal_toIdEEEEEEPllNS8_4plusIlEEEE10hipError_tPvRmT1_T2_T3_mT4_P12ihipStream_tbEUlT_E0_NS1_11comp_targetILNS1_3genE3ELNS1_11target_archE908ELNS1_3gpuE7ELNS1_3repE0EEENS1_30default_config_static_selectorELNS0_4arch9wavefront6targetE1EEEvSW_
	.globl	_ZN7rocprim17ROCPRIM_400000_NS6detail17trampoline_kernelINS0_14default_configENS1_22reduce_config_selectorIlEEZNS1_11reduce_implILb1ES3_N6thrust23THRUST_200600_302600_NS11hip_rocprim26transform_input_iterator_tIlNS8_12zip_iteratorINS8_5tupleINS8_6detail15normal_iteratorINS8_10device_ptrIdEEEESH_NS8_9null_typeESI_SI_SI_SI_SI_SI_SI_EEEENS9_21zip_adj_not_predicateINS8_8equal_toIdEEEEEEPllNS8_4plusIlEEEE10hipError_tPvRmT1_T2_T3_mT4_P12ihipStream_tbEUlT_E0_NS1_11comp_targetILNS1_3genE3ELNS1_11target_archE908ELNS1_3gpuE7ELNS1_3repE0EEENS1_30default_config_static_selectorELNS0_4arch9wavefront6targetE1EEEvSW_
	.p2align	8
	.type	_ZN7rocprim17ROCPRIM_400000_NS6detail17trampoline_kernelINS0_14default_configENS1_22reduce_config_selectorIlEEZNS1_11reduce_implILb1ES3_N6thrust23THRUST_200600_302600_NS11hip_rocprim26transform_input_iterator_tIlNS8_12zip_iteratorINS8_5tupleINS8_6detail15normal_iteratorINS8_10device_ptrIdEEEESH_NS8_9null_typeESI_SI_SI_SI_SI_SI_SI_EEEENS9_21zip_adj_not_predicateINS8_8equal_toIdEEEEEEPllNS8_4plusIlEEEE10hipError_tPvRmT1_T2_T3_mT4_P12ihipStream_tbEUlT_E0_NS1_11comp_targetILNS1_3genE3ELNS1_11target_archE908ELNS1_3gpuE7ELNS1_3repE0EEENS1_30default_config_static_selectorELNS0_4arch9wavefront6targetE1EEEvSW_,@function
_ZN7rocprim17ROCPRIM_400000_NS6detail17trampoline_kernelINS0_14default_configENS1_22reduce_config_selectorIlEEZNS1_11reduce_implILb1ES3_N6thrust23THRUST_200600_302600_NS11hip_rocprim26transform_input_iterator_tIlNS8_12zip_iteratorINS8_5tupleINS8_6detail15normal_iteratorINS8_10device_ptrIdEEEESH_NS8_9null_typeESI_SI_SI_SI_SI_SI_SI_EEEENS9_21zip_adj_not_predicateINS8_8equal_toIdEEEEEEPllNS8_4plusIlEEEE10hipError_tPvRmT1_T2_T3_mT4_P12ihipStream_tbEUlT_E0_NS1_11comp_targetILNS1_3genE3ELNS1_11target_archE908ELNS1_3gpuE7ELNS1_3repE0EEENS1_30default_config_static_selectorELNS0_4arch9wavefront6targetE1EEEvSW_: ; @_ZN7rocprim17ROCPRIM_400000_NS6detail17trampoline_kernelINS0_14default_configENS1_22reduce_config_selectorIlEEZNS1_11reduce_implILb1ES3_N6thrust23THRUST_200600_302600_NS11hip_rocprim26transform_input_iterator_tIlNS8_12zip_iteratorINS8_5tupleINS8_6detail15normal_iteratorINS8_10device_ptrIdEEEESH_NS8_9null_typeESI_SI_SI_SI_SI_SI_SI_EEEENS9_21zip_adj_not_predicateINS8_8equal_toIdEEEEEEPllNS8_4plusIlEEEE10hipError_tPvRmT1_T2_T3_mT4_P12ihipStream_tbEUlT_E0_NS1_11comp_targetILNS1_3genE3ELNS1_11target_archE908ELNS1_3gpuE7ELNS1_3repE0EEENS1_30default_config_static_selectorELNS0_4arch9wavefront6targetE1EEEvSW_
; %bb.0:
	.section	.rodata,"a",@progbits
	.p2align	6, 0x0
	.amdhsa_kernel _ZN7rocprim17ROCPRIM_400000_NS6detail17trampoline_kernelINS0_14default_configENS1_22reduce_config_selectorIlEEZNS1_11reduce_implILb1ES3_N6thrust23THRUST_200600_302600_NS11hip_rocprim26transform_input_iterator_tIlNS8_12zip_iteratorINS8_5tupleINS8_6detail15normal_iteratorINS8_10device_ptrIdEEEESH_NS8_9null_typeESI_SI_SI_SI_SI_SI_SI_EEEENS9_21zip_adj_not_predicateINS8_8equal_toIdEEEEEEPllNS8_4plusIlEEEE10hipError_tPvRmT1_T2_T3_mT4_P12ihipStream_tbEUlT_E0_NS1_11comp_targetILNS1_3genE3ELNS1_11target_archE908ELNS1_3gpuE7ELNS1_3repE0EEENS1_30default_config_static_selectorELNS0_4arch9wavefront6targetE1EEEvSW_
		.amdhsa_group_segment_fixed_size 0
		.amdhsa_private_segment_fixed_size 0
		.amdhsa_kernarg_size 80
		.amdhsa_user_sgpr_count 6
		.amdhsa_user_sgpr_private_segment_buffer 1
		.amdhsa_user_sgpr_dispatch_ptr 0
		.amdhsa_user_sgpr_queue_ptr 0
		.amdhsa_user_sgpr_kernarg_segment_ptr 1
		.amdhsa_user_sgpr_dispatch_id 0
		.amdhsa_user_sgpr_flat_scratch_init 0
		.amdhsa_user_sgpr_private_segment_size 0
		.amdhsa_uses_dynamic_stack 0
		.amdhsa_system_sgpr_private_segment_wavefront_offset 0
		.amdhsa_system_sgpr_workgroup_id_x 1
		.amdhsa_system_sgpr_workgroup_id_y 0
		.amdhsa_system_sgpr_workgroup_id_z 0
		.amdhsa_system_sgpr_workgroup_info 0
		.amdhsa_system_vgpr_workitem_id 0
		.amdhsa_next_free_vgpr 1
		.amdhsa_next_free_sgpr 0
		.amdhsa_reserve_vcc 0
		.amdhsa_reserve_flat_scratch 0
		.amdhsa_float_round_mode_32 0
		.amdhsa_float_round_mode_16_64 0
		.amdhsa_float_denorm_mode_32 3
		.amdhsa_float_denorm_mode_16_64 3
		.amdhsa_dx10_clamp 1
		.amdhsa_ieee_mode 1
		.amdhsa_fp16_overflow 0
		.amdhsa_exception_fp_ieee_invalid_op 0
		.amdhsa_exception_fp_denorm_src 0
		.amdhsa_exception_fp_ieee_div_zero 0
		.amdhsa_exception_fp_ieee_overflow 0
		.amdhsa_exception_fp_ieee_underflow 0
		.amdhsa_exception_fp_ieee_inexact 0
		.amdhsa_exception_int_div_zero 0
	.end_amdhsa_kernel
	.section	.text._ZN7rocprim17ROCPRIM_400000_NS6detail17trampoline_kernelINS0_14default_configENS1_22reduce_config_selectorIlEEZNS1_11reduce_implILb1ES3_N6thrust23THRUST_200600_302600_NS11hip_rocprim26transform_input_iterator_tIlNS8_12zip_iteratorINS8_5tupleINS8_6detail15normal_iteratorINS8_10device_ptrIdEEEESH_NS8_9null_typeESI_SI_SI_SI_SI_SI_SI_EEEENS9_21zip_adj_not_predicateINS8_8equal_toIdEEEEEEPllNS8_4plusIlEEEE10hipError_tPvRmT1_T2_T3_mT4_P12ihipStream_tbEUlT_E0_NS1_11comp_targetILNS1_3genE3ELNS1_11target_archE908ELNS1_3gpuE7ELNS1_3repE0EEENS1_30default_config_static_selectorELNS0_4arch9wavefront6targetE1EEEvSW_,"axG",@progbits,_ZN7rocprim17ROCPRIM_400000_NS6detail17trampoline_kernelINS0_14default_configENS1_22reduce_config_selectorIlEEZNS1_11reduce_implILb1ES3_N6thrust23THRUST_200600_302600_NS11hip_rocprim26transform_input_iterator_tIlNS8_12zip_iteratorINS8_5tupleINS8_6detail15normal_iteratorINS8_10device_ptrIdEEEESH_NS8_9null_typeESI_SI_SI_SI_SI_SI_SI_EEEENS9_21zip_adj_not_predicateINS8_8equal_toIdEEEEEEPllNS8_4plusIlEEEE10hipError_tPvRmT1_T2_T3_mT4_P12ihipStream_tbEUlT_E0_NS1_11comp_targetILNS1_3genE3ELNS1_11target_archE908ELNS1_3gpuE7ELNS1_3repE0EEENS1_30default_config_static_selectorELNS0_4arch9wavefront6targetE1EEEvSW_,comdat
.Lfunc_end746:
	.size	_ZN7rocprim17ROCPRIM_400000_NS6detail17trampoline_kernelINS0_14default_configENS1_22reduce_config_selectorIlEEZNS1_11reduce_implILb1ES3_N6thrust23THRUST_200600_302600_NS11hip_rocprim26transform_input_iterator_tIlNS8_12zip_iteratorINS8_5tupleINS8_6detail15normal_iteratorINS8_10device_ptrIdEEEESH_NS8_9null_typeESI_SI_SI_SI_SI_SI_SI_EEEENS9_21zip_adj_not_predicateINS8_8equal_toIdEEEEEEPllNS8_4plusIlEEEE10hipError_tPvRmT1_T2_T3_mT4_P12ihipStream_tbEUlT_E0_NS1_11comp_targetILNS1_3genE3ELNS1_11target_archE908ELNS1_3gpuE7ELNS1_3repE0EEENS1_30default_config_static_selectorELNS0_4arch9wavefront6targetE1EEEvSW_, .Lfunc_end746-_ZN7rocprim17ROCPRIM_400000_NS6detail17trampoline_kernelINS0_14default_configENS1_22reduce_config_selectorIlEEZNS1_11reduce_implILb1ES3_N6thrust23THRUST_200600_302600_NS11hip_rocprim26transform_input_iterator_tIlNS8_12zip_iteratorINS8_5tupleINS8_6detail15normal_iteratorINS8_10device_ptrIdEEEESH_NS8_9null_typeESI_SI_SI_SI_SI_SI_SI_EEEENS9_21zip_adj_not_predicateINS8_8equal_toIdEEEEEEPllNS8_4plusIlEEEE10hipError_tPvRmT1_T2_T3_mT4_P12ihipStream_tbEUlT_E0_NS1_11comp_targetILNS1_3genE3ELNS1_11target_archE908ELNS1_3gpuE7ELNS1_3repE0EEENS1_30default_config_static_selectorELNS0_4arch9wavefront6targetE1EEEvSW_
                                        ; -- End function
	.set _ZN7rocprim17ROCPRIM_400000_NS6detail17trampoline_kernelINS0_14default_configENS1_22reduce_config_selectorIlEEZNS1_11reduce_implILb1ES3_N6thrust23THRUST_200600_302600_NS11hip_rocprim26transform_input_iterator_tIlNS8_12zip_iteratorINS8_5tupleINS8_6detail15normal_iteratorINS8_10device_ptrIdEEEESH_NS8_9null_typeESI_SI_SI_SI_SI_SI_SI_EEEENS9_21zip_adj_not_predicateINS8_8equal_toIdEEEEEEPllNS8_4plusIlEEEE10hipError_tPvRmT1_T2_T3_mT4_P12ihipStream_tbEUlT_E0_NS1_11comp_targetILNS1_3genE3ELNS1_11target_archE908ELNS1_3gpuE7ELNS1_3repE0EEENS1_30default_config_static_selectorELNS0_4arch9wavefront6targetE1EEEvSW_.num_vgpr, 0
	.set _ZN7rocprim17ROCPRIM_400000_NS6detail17trampoline_kernelINS0_14default_configENS1_22reduce_config_selectorIlEEZNS1_11reduce_implILb1ES3_N6thrust23THRUST_200600_302600_NS11hip_rocprim26transform_input_iterator_tIlNS8_12zip_iteratorINS8_5tupleINS8_6detail15normal_iteratorINS8_10device_ptrIdEEEESH_NS8_9null_typeESI_SI_SI_SI_SI_SI_SI_EEEENS9_21zip_adj_not_predicateINS8_8equal_toIdEEEEEEPllNS8_4plusIlEEEE10hipError_tPvRmT1_T2_T3_mT4_P12ihipStream_tbEUlT_E0_NS1_11comp_targetILNS1_3genE3ELNS1_11target_archE908ELNS1_3gpuE7ELNS1_3repE0EEENS1_30default_config_static_selectorELNS0_4arch9wavefront6targetE1EEEvSW_.num_agpr, 0
	.set _ZN7rocprim17ROCPRIM_400000_NS6detail17trampoline_kernelINS0_14default_configENS1_22reduce_config_selectorIlEEZNS1_11reduce_implILb1ES3_N6thrust23THRUST_200600_302600_NS11hip_rocprim26transform_input_iterator_tIlNS8_12zip_iteratorINS8_5tupleINS8_6detail15normal_iteratorINS8_10device_ptrIdEEEESH_NS8_9null_typeESI_SI_SI_SI_SI_SI_SI_EEEENS9_21zip_adj_not_predicateINS8_8equal_toIdEEEEEEPllNS8_4plusIlEEEE10hipError_tPvRmT1_T2_T3_mT4_P12ihipStream_tbEUlT_E0_NS1_11comp_targetILNS1_3genE3ELNS1_11target_archE908ELNS1_3gpuE7ELNS1_3repE0EEENS1_30default_config_static_selectorELNS0_4arch9wavefront6targetE1EEEvSW_.numbered_sgpr, 0
	.set _ZN7rocprim17ROCPRIM_400000_NS6detail17trampoline_kernelINS0_14default_configENS1_22reduce_config_selectorIlEEZNS1_11reduce_implILb1ES3_N6thrust23THRUST_200600_302600_NS11hip_rocprim26transform_input_iterator_tIlNS8_12zip_iteratorINS8_5tupleINS8_6detail15normal_iteratorINS8_10device_ptrIdEEEESH_NS8_9null_typeESI_SI_SI_SI_SI_SI_SI_EEEENS9_21zip_adj_not_predicateINS8_8equal_toIdEEEEEEPllNS8_4plusIlEEEE10hipError_tPvRmT1_T2_T3_mT4_P12ihipStream_tbEUlT_E0_NS1_11comp_targetILNS1_3genE3ELNS1_11target_archE908ELNS1_3gpuE7ELNS1_3repE0EEENS1_30default_config_static_selectorELNS0_4arch9wavefront6targetE1EEEvSW_.num_named_barrier, 0
	.set _ZN7rocprim17ROCPRIM_400000_NS6detail17trampoline_kernelINS0_14default_configENS1_22reduce_config_selectorIlEEZNS1_11reduce_implILb1ES3_N6thrust23THRUST_200600_302600_NS11hip_rocprim26transform_input_iterator_tIlNS8_12zip_iteratorINS8_5tupleINS8_6detail15normal_iteratorINS8_10device_ptrIdEEEESH_NS8_9null_typeESI_SI_SI_SI_SI_SI_SI_EEEENS9_21zip_adj_not_predicateINS8_8equal_toIdEEEEEEPllNS8_4plusIlEEEE10hipError_tPvRmT1_T2_T3_mT4_P12ihipStream_tbEUlT_E0_NS1_11comp_targetILNS1_3genE3ELNS1_11target_archE908ELNS1_3gpuE7ELNS1_3repE0EEENS1_30default_config_static_selectorELNS0_4arch9wavefront6targetE1EEEvSW_.private_seg_size, 0
	.set _ZN7rocprim17ROCPRIM_400000_NS6detail17trampoline_kernelINS0_14default_configENS1_22reduce_config_selectorIlEEZNS1_11reduce_implILb1ES3_N6thrust23THRUST_200600_302600_NS11hip_rocprim26transform_input_iterator_tIlNS8_12zip_iteratorINS8_5tupleINS8_6detail15normal_iteratorINS8_10device_ptrIdEEEESH_NS8_9null_typeESI_SI_SI_SI_SI_SI_SI_EEEENS9_21zip_adj_not_predicateINS8_8equal_toIdEEEEEEPllNS8_4plusIlEEEE10hipError_tPvRmT1_T2_T3_mT4_P12ihipStream_tbEUlT_E0_NS1_11comp_targetILNS1_3genE3ELNS1_11target_archE908ELNS1_3gpuE7ELNS1_3repE0EEENS1_30default_config_static_selectorELNS0_4arch9wavefront6targetE1EEEvSW_.uses_vcc, 0
	.set _ZN7rocprim17ROCPRIM_400000_NS6detail17trampoline_kernelINS0_14default_configENS1_22reduce_config_selectorIlEEZNS1_11reduce_implILb1ES3_N6thrust23THRUST_200600_302600_NS11hip_rocprim26transform_input_iterator_tIlNS8_12zip_iteratorINS8_5tupleINS8_6detail15normal_iteratorINS8_10device_ptrIdEEEESH_NS8_9null_typeESI_SI_SI_SI_SI_SI_SI_EEEENS9_21zip_adj_not_predicateINS8_8equal_toIdEEEEEEPllNS8_4plusIlEEEE10hipError_tPvRmT1_T2_T3_mT4_P12ihipStream_tbEUlT_E0_NS1_11comp_targetILNS1_3genE3ELNS1_11target_archE908ELNS1_3gpuE7ELNS1_3repE0EEENS1_30default_config_static_selectorELNS0_4arch9wavefront6targetE1EEEvSW_.uses_flat_scratch, 0
	.set _ZN7rocprim17ROCPRIM_400000_NS6detail17trampoline_kernelINS0_14default_configENS1_22reduce_config_selectorIlEEZNS1_11reduce_implILb1ES3_N6thrust23THRUST_200600_302600_NS11hip_rocprim26transform_input_iterator_tIlNS8_12zip_iteratorINS8_5tupleINS8_6detail15normal_iteratorINS8_10device_ptrIdEEEESH_NS8_9null_typeESI_SI_SI_SI_SI_SI_SI_EEEENS9_21zip_adj_not_predicateINS8_8equal_toIdEEEEEEPllNS8_4plusIlEEEE10hipError_tPvRmT1_T2_T3_mT4_P12ihipStream_tbEUlT_E0_NS1_11comp_targetILNS1_3genE3ELNS1_11target_archE908ELNS1_3gpuE7ELNS1_3repE0EEENS1_30default_config_static_selectorELNS0_4arch9wavefront6targetE1EEEvSW_.has_dyn_sized_stack, 0
	.set _ZN7rocprim17ROCPRIM_400000_NS6detail17trampoline_kernelINS0_14default_configENS1_22reduce_config_selectorIlEEZNS1_11reduce_implILb1ES3_N6thrust23THRUST_200600_302600_NS11hip_rocprim26transform_input_iterator_tIlNS8_12zip_iteratorINS8_5tupleINS8_6detail15normal_iteratorINS8_10device_ptrIdEEEESH_NS8_9null_typeESI_SI_SI_SI_SI_SI_SI_EEEENS9_21zip_adj_not_predicateINS8_8equal_toIdEEEEEEPllNS8_4plusIlEEEE10hipError_tPvRmT1_T2_T3_mT4_P12ihipStream_tbEUlT_E0_NS1_11comp_targetILNS1_3genE3ELNS1_11target_archE908ELNS1_3gpuE7ELNS1_3repE0EEENS1_30default_config_static_selectorELNS0_4arch9wavefront6targetE1EEEvSW_.has_recursion, 0
	.set _ZN7rocprim17ROCPRIM_400000_NS6detail17trampoline_kernelINS0_14default_configENS1_22reduce_config_selectorIlEEZNS1_11reduce_implILb1ES3_N6thrust23THRUST_200600_302600_NS11hip_rocprim26transform_input_iterator_tIlNS8_12zip_iteratorINS8_5tupleINS8_6detail15normal_iteratorINS8_10device_ptrIdEEEESH_NS8_9null_typeESI_SI_SI_SI_SI_SI_SI_EEEENS9_21zip_adj_not_predicateINS8_8equal_toIdEEEEEEPllNS8_4plusIlEEEE10hipError_tPvRmT1_T2_T3_mT4_P12ihipStream_tbEUlT_E0_NS1_11comp_targetILNS1_3genE3ELNS1_11target_archE908ELNS1_3gpuE7ELNS1_3repE0EEENS1_30default_config_static_selectorELNS0_4arch9wavefront6targetE1EEEvSW_.has_indirect_call, 0
	.section	.AMDGPU.csdata,"",@progbits
; Kernel info:
; codeLenInByte = 0
; TotalNumSgprs: 4
; NumVgprs: 0
; ScratchSize: 0
; MemoryBound: 0
; FloatMode: 240
; IeeeMode: 1
; LDSByteSize: 0 bytes/workgroup (compile time only)
; SGPRBlocks: 0
; VGPRBlocks: 0
; NumSGPRsForWavesPerEU: 4
; NumVGPRsForWavesPerEU: 1
; Occupancy: 10
; WaveLimiterHint : 0
; COMPUTE_PGM_RSRC2:SCRATCH_EN: 0
; COMPUTE_PGM_RSRC2:USER_SGPR: 6
; COMPUTE_PGM_RSRC2:TRAP_HANDLER: 0
; COMPUTE_PGM_RSRC2:TGID_X_EN: 1
; COMPUTE_PGM_RSRC2:TGID_Y_EN: 0
; COMPUTE_PGM_RSRC2:TGID_Z_EN: 0
; COMPUTE_PGM_RSRC2:TIDIG_COMP_CNT: 0
	.section	.text._ZN7rocprim17ROCPRIM_400000_NS6detail17trampoline_kernelINS0_14default_configENS1_22reduce_config_selectorIlEEZNS1_11reduce_implILb1ES3_N6thrust23THRUST_200600_302600_NS11hip_rocprim26transform_input_iterator_tIlNS8_12zip_iteratorINS8_5tupleINS8_6detail15normal_iteratorINS8_10device_ptrIdEEEESH_NS8_9null_typeESI_SI_SI_SI_SI_SI_SI_EEEENS9_21zip_adj_not_predicateINS8_8equal_toIdEEEEEEPllNS8_4plusIlEEEE10hipError_tPvRmT1_T2_T3_mT4_P12ihipStream_tbEUlT_E0_NS1_11comp_targetILNS1_3genE2ELNS1_11target_archE906ELNS1_3gpuE6ELNS1_3repE0EEENS1_30default_config_static_selectorELNS0_4arch9wavefront6targetE1EEEvSW_,"axG",@progbits,_ZN7rocprim17ROCPRIM_400000_NS6detail17trampoline_kernelINS0_14default_configENS1_22reduce_config_selectorIlEEZNS1_11reduce_implILb1ES3_N6thrust23THRUST_200600_302600_NS11hip_rocprim26transform_input_iterator_tIlNS8_12zip_iteratorINS8_5tupleINS8_6detail15normal_iteratorINS8_10device_ptrIdEEEESH_NS8_9null_typeESI_SI_SI_SI_SI_SI_SI_EEEENS9_21zip_adj_not_predicateINS8_8equal_toIdEEEEEEPllNS8_4plusIlEEEE10hipError_tPvRmT1_T2_T3_mT4_P12ihipStream_tbEUlT_E0_NS1_11comp_targetILNS1_3genE2ELNS1_11target_archE906ELNS1_3gpuE6ELNS1_3repE0EEENS1_30default_config_static_selectorELNS0_4arch9wavefront6targetE1EEEvSW_,comdat
	.protected	_ZN7rocprim17ROCPRIM_400000_NS6detail17trampoline_kernelINS0_14default_configENS1_22reduce_config_selectorIlEEZNS1_11reduce_implILb1ES3_N6thrust23THRUST_200600_302600_NS11hip_rocprim26transform_input_iterator_tIlNS8_12zip_iteratorINS8_5tupleINS8_6detail15normal_iteratorINS8_10device_ptrIdEEEESH_NS8_9null_typeESI_SI_SI_SI_SI_SI_SI_EEEENS9_21zip_adj_not_predicateINS8_8equal_toIdEEEEEEPllNS8_4plusIlEEEE10hipError_tPvRmT1_T2_T3_mT4_P12ihipStream_tbEUlT_E0_NS1_11comp_targetILNS1_3genE2ELNS1_11target_archE906ELNS1_3gpuE6ELNS1_3repE0EEENS1_30default_config_static_selectorELNS0_4arch9wavefront6targetE1EEEvSW_ ; -- Begin function _ZN7rocprim17ROCPRIM_400000_NS6detail17trampoline_kernelINS0_14default_configENS1_22reduce_config_selectorIlEEZNS1_11reduce_implILb1ES3_N6thrust23THRUST_200600_302600_NS11hip_rocprim26transform_input_iterator_tIlNS8_12zip_iteratorINS8_5tupleINS8_6detail15normal_iteratorINS8_10device_ptrIdEEEESH_NS8_9null_typeESI_SI_SI_SI_SI_SI_SI_EEEENS9_21zip_adj_not_predicateINS8_8equal_toIdEEEEEEPllNS8_4plusIlEEEE10hipError_tPvRmT1_T2_T3_mT4_P12ihipStream_tbEUlT_E0_NS1_11comp_targetILNS1_3genE2ELNS1_11target_archE906ELNS1_3gpuE6ELNS1_3repE0EEENS1_30default_config_static_selectorELNS0_4arch9wavefront6targetE1EEEvSW_
	.globl	_ZN7rocprim17ROCPRIM_400000_NS6detail17trampoline_kernelINS0_14default_configENS1_22reduce_config_selectorIlEEZNS1_11reduce_implILb1ES3_N6thrust23THRUST_200600_302600_NS11hip_rocprim26transform_input_iterator_tIlNS8_12zip_iteratorINS8_5tupleINS8_6detail15normal_iteratorINS8_10device_ptrIdEEEESH_NS8_9null_typeESI_SI_SI_SI_SI_SI_SI_EEEENS9_21zip_adj_not_predicateINS8_8equal_toIdEEEEEEPllNS8_4plusIlEEEE10hipError_tPvRmT1_T2_T3_mT4_P12ihipStream_tbEUlT_E0_NS1_11comp_targetILNS1_3genE2ELNS1_11target_archE906ELNS1_3gpuE6ELNS1_3repE0EEENS1_30default_config_static_selectorELNS0_4arch9wavefront6targetE1EEEvSW_
	.p2align	8
	.type	_ZN7rocprim17ROCPRIM_400000_NS6detail17trampoline_kernelINS0_14default_configENS1_22reduce_config_selectorIlEEZNS1_11reduce_implILb1ES3_N6thrust23THRUST_200600_302600_NS11hip_rocprim26transform_input_iterator_tIlNS8_12zip_iteratorINS8_5tupleINS8_6detail15normal_iteratorINS8_10device_ptrIdEEEESH_NS8_9null_typeESI_SI_SI_SI_SI_SI_SI_EEEENS9_21zip_adj_not_predicateINS8_8equal_toIdEEEEEEPllNS8_4plusIlEEEE10hipError_tPvRmT1_T2_T3_mT4_P12ihipStream_tbEUlT_E0_NS1_11comp_targetILNS1_3genE2ELNS1_11target_archE906ELNS1_3gpuE6ELNS1_3repE0EEENS1_30default_config_static_selectorELNS0_4arch9wavefront6targetE1EEEvSW_,@function
_ZN7rocprim17ROCPRIM_400000_NS6detail17trampoline_kernelINS0_14default_configENS1_22reduce_config_selectorIlEEZNS1_11reduce_implILb1ES3_N6thrust23THRUST_200600_302600_NS11hip_rocprim26transform_input_iterator_tIlNS8_12zip_iteratorINS8_5tupleINS8_6detail15normal_iteratorINS8_10device_ptrIdEEEESH_NS8_9null_typeESI_SI_SI_SI_SI_SI_SI_EEEENS9_21zip_adj_not_predicateINS8_8equal_toIdEEEEEEPllNS8_4plusIlEEEE10hipError_tPvRmT1_T2_T3_mT4_P12ihipStream_tbEUlT_E0_NS1_11comp_targetILNS1_3genE2ELNS1_11target_archE906ELNS1_3gpuE6ELNS1_3repE0EEENS1_30default_config_static_selectorELNS0_4arch9wavefront6targetE1EEEvSW_: ; @_ZN7rocprim17ROCPRIM_400000_NS6detail17trampoline_kernelINS0_14default_configENS1_22reduce_config_selectorIlEEZNS1_11reduce_implILb1ES3_N6thrust23THRUST_200600_302600_NS11hip_rocprim26transform_input_iterator_tIlNS8_12zip_iteratorINS8_5tupleINS8_6detail15normal_iteratorINS8_10device_ptrIdEEEESH_NS8_9null_typeESI_SI_SI_SI_SI_SI_SI_EEEENS9_21zip_adj_not_predicateINS8_8equal_toIdEEEEEEPllNS8_4plusIlEEEE10hipError_tPvRmT1_T2_T3_mT4_P12ihipStream_tbEUlT_E0_NS1_11comp_targetILNS1_3genE2ELNS1_11target_archE906ELNS1_3gpuE6ELNS1_3repE0EEENS1_30default_config_static_selectorELNS0_4arch9wavefront6targetE1EEEvSW_
; %bb.0:
	s_load_dwordx8 s[8:15], s[4:5], 0x18
	s_load_dwordx4 s[0:3], s[4:5], 0x0
	s_load_dwordx4 s[16:19], s[4:5], 0x38
	v_lshlrev_b32_e32 v6, 3, v0
	v_mbcnt_lo_u32_b32 v5, -1, 0
	s_waitcnt lgkmcnt(0)
	s_lshl_b64 s[4:5], s[8:9], 3
	s_add_u32 s0, s0, s4
	s_addc_u32 s1, s1, s5
	s_add_u32 s20, s2, s4
	s_addc_u32 s21, s3, s5
	s_lshl_b32 s4, s6, 9
	s_mov_b32 s5, 0
	s_lshr_b64 s[8:9], s[10:11], 9
	s_lshl_b64 s[2:3], s[4:5], 3
	s_add_u32 s0, s0, s2
	s_addc_u32 s1, s1, s3
	s_add_u32 s2, s20, s2
	s_mov_b32 s7, s5
	s_addc_u32 s3, s21, s3
	s_cmp_lg_u64 s[8:9], s[6:7]
	s_cbranch_scc0 .LBB747_6
; %bb.1:
	global_load_dwordx2 v[1:2], v6, s[0:1]
	global_load_dwordx2 v[7:8], v6, s[2:3]
	global_load_dwordx2 v[9:10], v6, s[2:3] offset:2048
	global_load_dwordx2 v[11:12], v6, s[0:1] offset:2048
	v_mov_b32_e32 v4, 0
	v_mbcnt_hi_u32_b32 v3, -1, v5
	s_waitcnt vmcnt(2)
	v_cmp_neq_f64_e32 vcc, v[1:2], v[7:8]
	v_mov_b32_dpp v13, v4 quad_perm:[1,0,3,2] row_mask:0xf bank_mask:0xf bound_ctrl:1
	v_lshlrev_b32_e32 v4, 2, v3
	v_or_b32_e32 v14, 0xfc, v4
	v_cndmask_b32_e64 v1, 0, 1, vcc
	s_waitcnt vmcnt(0)
	v_cmp_neq_f64_e32 vcc, v[11:12], v[9:10]
	v_addc_co_u32_e32 v1, vcc, 0, v1, vcc
	s_nop 1
	v_mov_b32_dpp v2, v1 quad_perm:[1,0,3,2] row_mask:0xf bank_mask:0xf bound_ctrl:1
	v_add_co_u32_e32 v1, vcc, v1, v2
	v_addc_co_u32_e64 v2, s[8:9], 0, 0, vcc
	v_add_co_u32_e32 v7, vcc, 0, v1
	v_addc_co_u32_e32 v2, vcc, v13, v2, vcc
	v_mov_b32_dpp v1, v1 quad_perm:[2,3,0,1] row_mask:0xf bank_mask:0xf bound_ctrl:1
	v_add_co_u32_e32 v1, vcc, v7, v1
	v_mov_b32_dpp v8, v2 quad_perm:[2,3,0,1] row_mask:0xf bank_mask:0xf bound_ctrl:1
	v_addc_co_u32_e32 v2, vcc, 0, v2, vcc
	v_add_co_u32_e32 v7, vcc, 0, v1
	v_addc_co_u32_e32 v2, vcc, v2, v8, vcc
	v_mov_b32_dpp v1, v1 row_ror:4 row_mask:0xf bank_mask:0xf bound_ctrl:1
	v_add_co_u32_e32 v1, vcc, v7, v1
	v_mov_b32_dpp v8, v2 row_ror:4 row_mask:0xf bank_mask:0xf bound_ctrl:1
	v_addc_co_u32_e32 v2, vcc, 0, v2, vcc
	v_add_co_u32_e32 v7, vcc, 0, v1
	v_addc_co_u32_e32 v2, vcc, v2, v8, vcc
	v_mov_b32_dpp v1, v1 row_ror:8 row_mask:0xf bank_mask:0xf bound_ctrl:1
	v_add_co_u32_e32 v1, vcc, v7, v1
	v_mov_b32_dpp v8, v2 row_ror:8 row_mask:0xf bank_mask:0xf bound_ctrl:1
	v_addc_co_u32_e32 v2, vcc, 0, v2, vcc
	v_add_co_u32_e32 v7, vcc, 0, v1
	v_addc_co_u32_e32 v2, vcc, v2, v8, vcc
	v_mov_b32_dpp v1, v1 row_bcast:15 row_mask:0xf bank_mask:0xf bound_ctrl:1
	v_add_co_u32_e32 v1, vcc, v7, v1
	v_mov_b32_dpp v8, v2 row_bcast:15 row_mask:0xf bank_mask:0xf bound_ctrl:1
	v_addc_co_u32_e32 v2, vcc, 0, v2, vcc
	v_add_co_u32_e32 v7, vcc, 0, v1
	v_addc_co_u32_e32 v2, vcc, v2, v8, vcc
	v_mov_b32_dpp v1, v1 row_bcast:31 row_mask:0xf bank_mask:0xf bound_ctrl:1
	v_add_co_u32_e32 v1, vcc, v7, v1
	v_addc_co_u32_e32 v7, vcc, 0, v2, vcc
	ds_bpermute_b32 v1, v14, v1
	s_nop 0
	v_add_u32_dpp v2, v2, v7 row_bcast:31 row_mask:0xf bank_mask:0xf bound_ctrl:1
	ds_bpermute_b32 v2, v14, v2
	v_cmp_eq_u32_e32 vcc, 0, v3
	s_and_saveexec_b64 s[8:9], vcc
	s_cbranch_execz .LBB747_3
; %bb.2:
	v_lshrrev_b32_e32 v7, 3, v0
	v_and_b32_e32 v7, 24, v7
	s_waitcnt lgkmcnt(0)
	ds_write_b64 v7, v[1:2]
.LBB747_3:
	s_or_b64 exec, exec, s[8:9]
	v_cmp_gt_u32_e32 vcc, 64, v0
	s_waitcnt lgkmcnt(0)
	s_barrier
	s_and_saveexec_b64 s[8:9], vcc
	s_cbranch_execz .LBB747_5
; %bb.4:
	v_and_b32_e32 v7, 3, v3
	v_lshlrev_b32_e32 v1, 3, v7
	ds_read_b64 v[1:2], v1
	v_cmp_ne_u32_e32 vcc, 3, v7
	v_addc_co_u32_e32 v3, vcc, 0, v3, vcc
	v_lshlrev_b32_e32 v3, 2, v3
	s_waitcnt lgkmcnt(0)
	ds_bpermute_b32 v7, v3, v1
	ds_bpermute_b32 v3, v3, v2
	v_or_b32_e32 v4, 8, v4
	s_waitcnt lgkmcnt(1)
	v_add_co_u32_e32 v1, vcc, v1, v7
	v_addc_co_u32_e32 v2, vcc, 0, v2, vcc
	ds_bpermute_b32 v7, v4, v1
	v_add_co_u32_e32 v1, vcc, 0, v1
	s_waitcnt lgkmcnt(1)
	v_addc_co_u32_e32 v2, vcc, v3, v2, vcc
	ds_bpermute_b32 v3, v4, v2
	s_waitcnt lgkmcnt(1)
	v_add_co_u32_e32 v1, vcc, v1, v7
	v_addc_co_u32_e32 v2, vcc, 0, v2, vcc
	v_add_co_u32_e32 v1, vcc, 0, v1
	s_waitcnt lgkmcnt(0)
	v_addc_co_u32_e32 v2, vcc, v2, v3, vcc
.LBB747_5:
	s_or_b64 exec, exec, s[8:9]
	s_branch .LBB747_28
.LBB747_6:
                                        ; implicit-def: $vgpr1_vgpr2
	s_cbranch_execz .LBB747_28
; %bb.7:
	s_sub_i32 s8, s10, s4
	v_mov_b32_e32 v1, 0
	v_cmp_gt_u32_e32 vcc, s8, v0
	v_mov_b32_e32 v2, v1
	v_mov_b32_e32 v3, v1
	;; [unrolled: 1-line block ×3, first 2 shown]
	s_and_saveexec_b64 s[4:5], vcc
	s_cbranch_execz .LBB747_9
; %bb.8:
	global_load_dwordx2 v[2:3], v6, s[0:1]
	global_load_dwordx2 v[10:11], v6, s[2:3]
	v_mov_b32_e32 v8, v1
	v_mov_b32_e32 v9, v1
	s_waitcnt vmcnt(0)
	v_cmp_neq_f64_e32 vcc, v[2:3], v[10:11]
	v_mov_b32_e32 v10, v1
	v_cndmask_b32_e64 v2, 0, 1, vcc
	v_and_b32_e32 v7, 0xffff, v2
	v_mov_b32_e32 v1, v7
	v_mov_b32_e32 v2, v8
	;; [unrolled: 1-line block ×4, first 2 shown]
.LBB747_9:
	s_or_b64 exec, exec, s[4:5]
	v_or_b32_e32 v7, 0x100, v0
	v_cmp_gt_u32_e32 vcc, s8, v7
	s_and_saveexec_b64 s[4:5], vcc
	s_cbranch_execz .LBB747_11
; %bb.10:
	global_load_dwordx2 v[3:4], v6, s[0:1] offset:2048
	global_load_dwordx2 v[7:8], v6, s[2:3] offset:2048
	s_mov_b32 s2, 0
	s_waitcnt vmcnt(0)
	v_cmp_neq_f64_e64 s[0:1], v[3:4], v[7:8]
	v_mov_b32_e32 v4, s2
	v_cndmask_b32_e64 v3, 0, 1, s[0:1]
.LBB747_11:
	s_or_b64 exec, exec, s[4:5]
	v_cndmask_b32_e32 v3, 0, v3, vcc
	v_cndmask_b32_e32 v4, 0, v4, vcc
	v_add_co_u32_e32 v1, vcc, v3, v1
	v_mbcnt_hi_u32_b32 v3, -1, v5
	v_addc_co_u32_e32 v2, vcc, v4, v2, vcc
	v_and_b32_e32 v4, 63, v3
	v_cmp_ne_u32_e32 vcc, 63, v4
	v_addc_co_u32_e32 v6, vcc, 0, v3, vcc
	v_lshlrev_b32_e32 v6, 2, v6
	ds_bpermute_b32 v8, v6, v1
	ds_bpermute_b32 v7, v6, v2
	s_min_u32 s2, s8, 0x100
	v_and_b32_e32 v5, 0xc0, v0
	v_sub_u32_e64 v5, s2, v5 clamp
	v_add_u32_e32 v6, 1, v4
	v_cmp_lt_u32_e32 vcc, v6, v5
	v_mov_b32_e32 v6, v1
	s_and_saveexec_b64 s[0:1], vcc
	s_cbranch_execz .LBB747_13
; %bb.12:
	s_waitcnt lgkmcnt(1)
	v_add_co_u32_e32 v6, vcc, v1, v8
	v_addc_co_u32_e32 v2, vcc, 0, v2, vcc
	v_add_co_u32_e32 v1, vcc, 0, v6
	s_waitcnt lgkmcnt(0)
	v_addc_co_u32_e32 v2, vcc, v7, v2, vcc
.LBB747_13:
	s_or_b64 exec, exec, s[0:1]
	v_cmp_gt_u32_e32 vcc, 62, v4
	s_waitcnt lgkmcnt(0)
	v_cndmask_b32_e64 v7, 0, 2, vcc
	v_add_lshl_u32 v7, v7, v3, 2
	ds_bpermute_b32 v8, v7, v6
	ds_bpermute_b32 v7, v7, v2
	v_add_u32_e32 v9, 2, v4
	v_cmp_lt_u32_e32 vcc, v9, v5
	s_and_saveexec_b64 s[0:1], vcc
	s_cbranch_execz .LBB747_15
; %bb.14:
	s_waitcnt lgkmcnt(1)
	v_add_co_u32_e32 v6, vcc, v1, v8
	v_addc_co_u32_e32 v2, vcc, 0, v2, vcc
	v_add_co_u32_e32 v1, vcc, 0, v6
	s_waitcnt lgkmcnt(0)
	v_addc_co_u32_e32 v2, vcc, v7, v2, vcc
.LBB747_15:
	s_or_b64 exec, exec, s[0:1]
	v_cmp_gt_u32_e32 vcc, 60, v4
	s_waitcnt lgkmcnt(0)
	v_cndmask_b32_e64 v7, 0, 4, vcc
	v_add_lshl_u32 v7, v7, v3, 2
	ds_bpermute_b32 v8, v7, v6
	ds_bpermute_b32 v7, v7, v2
	v_add_u32_e32 v9, 4, v4
	v_cmp_lt_u32_e32 vcc, v9, v5
	;; [unrolled: 19-line block ×4, first 2 shown]
	s_and_saveexec_b64 s[0:1], vcc
	s_cbranch_execz .LBB747_21
; %bb.20:
	s_waitcnt lgkmcnt(1)
	v_add_co_u32_e32 v6, vcc, v1, v8
	v_addc_co_u32_e32 v2, vcc, 0, v2, vcc
	v_add_co_u32_e32 v1, vcc, 0, v6
	s_waitcnt lgkmcnt(0)
	v_addc_co_u32_e32 v2, vcc, v7, v2, vcc
.LBB747_21:
	s_or_b64 exec, exec, s[0:1]
	s_waitcnt lgkmcnt(0)
	v_lshlrev_b32_e32 v7, 2, v3
	v_or_b32_e32 v8, 0x80, v7
	ds_bpermute_b32 v6, v8, v6
	ds_bpermute_b32 v8, v8, v2
	v_add_u32_e32 v4, 32, v4
	s_waitcnt lgkmcnt(1)
	v_add_co_u32_e32 v6, vcc, v1, v6
	v_addc_co_u32_e32 v9, vcc, 0, v2, vcc
	v_add_co_u32_e32 v6, vcc, 0, v6
	s_waitcnt lgkmcnt(0)
	v_addc_co_u32_e32 v8, vcc, v9, v8, vcc
	v_cmp_lt_u32_e32 vcc, v4, v5
	v_cndmask_b32_e32 v2, v2, v8, vcc
	v_cndmask_b32_e32 v1, v1, v6, vcc
	v_cmp_eq_u32_e32 vcc, 0, v3
	s_and_saveexec_b64 s[0:1], vcc
; %bb.22:
	v_lshrrev_b32_e32 v4, 3, v0
	v_and_b32_e32 v4, 24, v4
	ds_write_b64 v4, v[1:2] offset:32
; %bb.23:
	s_or_b64 exec, exec, s[0:1]
	v_cmp_gt_u32_e32 vcc, 4, v0
	s_waitcnt lgkmcnt(0)
	s_barrier
	s_and_saveexec_b64 s[0:1], vcc
	s_cbranch_execz .LBB747_27
; %bb.24:
	v_lshlrev_b32_e32 v1, 3, v3
	ds_read_b64 v[1:2], v1 offset:32
	v_and_b32_e32 v4, 3, v3
	v_cmp_ne_u32_e32 vcc, 3, v4
	v_addc_co_u32_e32 v3, vcc, 0, v3, vcc
	v_lshlrev_b32_e32 v3, 2, v3
	s_waitcnt lgkmcnt(0)
	ds_bpermute_b32 v6, v3, v1
	ds_bpermute_b32 v5, v3, v2
	s_add_i32 s2, s2, 63
	s_lshr_b32 s4, s2, 6
	v_add_u32_e32 v3, 1, v4
	v_cmp_gt_u32_e32 vcc, s4, v3
	v_mov_b32_e32 v3, v1
	s_and_saveexec_b64 s[2:3], vcc
	s_cbranch_execz .LBB747_26
; %bb.25:
	s_waitcnt lgkmcnt(1)
	v_add_co_u32_e32 v3, vcc, v1, v6
	v_addc_co_u32_e32 v2, vcc, 0, v2, vcc
	v_add_co_u32_e32 v1, vcc, 0, v3
	s_waitcnt lgkmcnt(0)
	v_addc_co_u32_e32 v2, vcc, v5, v2, vcc
.LBB747_26:
	s_or_b64 exec, exec, s[2:3]
	s_waitcnt lgkmcnt(0)
	v_or_b32_e32 v5, 8, v7
	ds_bpermute_b32 v3, v5, v3
	ds_bpermute_b32 v5, v5, v2
	v_add_u32_e32 v4, 2, v4
	s_waitcnt lgkmcnt(1)
	v_add_co_u32_e32 v3, vcc, v1, v3
	v_addc_co_u32_e32 v6, vcc, 0, v2, vcc
	v_add_co_u32_e32 v3, vcc, 0, v3
	s_waitcnt lgkmcnt(0)
	v_addc_co_u32_e32 v5, vcc, v6, v5, vcc
	v_cmp_gt_u32_e32 vcc, s4, v4
	v_cndmask_b32_e32 v2, v2, v5, vcc
	v_cndmask_b32_e32 v1, v1, v3, vcc
.LBB747_27:
	s_or_b64 exec, exec, s[0:1]
.LBB747_28:
	v_cmp_eq_u32_e32 vcc, 0, v0
	s_and_saveexec_b64 s[0:1], vcc
	s_cbranch_execnz .LBB747_30
; %bb.29:
	s_endpgm
.LBB747_30:
	s_mul_i32 s0, s16, s15
	s_mul_hi_u32 s1, s16, s14
	s_add_i32 s0, s1, s0
	s_mul_i32 s1, s17, s14
	s_add_i32 s1, s0, s1
	s_mul_i32 s0, s16, s14
	s_lshl_b64 s[0:1], s[0:1], 3
	s_add_u32 s2, s12, s0
	s_addc_u32 s3, s13, s1
	s_cmp_eq_u64 s[10:11], 0
	v_mov_b32_e32 v0, s19
	s_cselect_b64 vcc, -1, 0
	s_lshl_b64 s[0:1], s[6:7], 3
	v_cndmask_b32_e32 v2, v2, v0, vcc
	v_mov_b32_e32 v0, s18
	s_add_u32 s0, s2, s0
	v_cndmask_b32_e32 v1, v1, v0, vcc
	s_addc_u32 s1, s3, s1
	v_mov_b32_e32 v0, 0
	global_store_dwordx2 v0, v[1:2], s[0:1]
	s_endpgm
	.section	.rodata,"a",@progbits
	.p2align	6, 0x0
	.amdhsa_kernel _ZN7rocprim17ROCPRIM_400000_NS6detail17trampoline_kernelINS0_14default_configENS1_22reduce_config_selectorIlEEZNS1_11reduce_implILb1ES3_N6thrust23THRUST_200600_302600_NS11hip_rocprim26transform_input_iterator_tIlNS8_12zip_iteratorINS8_5tupleINS8_6detail15normal_iteratorINS8_10device_ptrIdEEEESH_NS8_9null_typeESI_SI_SI_SI_SI_SI_SI_EEEENS9_21zip_adj_not_predicateINS8_8equal_toIdEEEEEEPllNS8_4plusIlEEEE10hipError_tPvRmT1_T2_T3_mT4_P12ihipStream_tbEUlT_E0_NS1_11comp_targetILNS1_3genE2ELNS1_11target_archE906ELNS1_3gpuE6ELNS1_3repE0EEENS1_30default_config_static_selectorELNS0_4arch9wavefront6targetE1EEEvSW_
		.amdhsa_group_segment_fixed_size 64
		.amdhsa_private_segment_fixed_size 0
		.amdhsa_kernarg_size 80
		.amdhsa_user_sgpr_count 6
		.amdhsa_user_sgpr_private_segment_buffer 1
		.amdhsa_user_sgpr_dispatch_ptr 0
		.amdhsa_user_sgpr_queue_ptr 0
		.amdhsa_user_sgpr_kernarg_segment_ptr 1
		.amdhsa_user_sgpr_dispatch_id 0
		.amdhsa_user_sgpr_flat_scratch_init 0
		.amdhsa_user_sgpr_private_segment_size 0
		.amdhsa_uses_dynamic_stack 0
		.amdhsa_system_sgpr_private_segment_wavefront_offset 0
		.amdhsa_system_sgpr_workgroup_id_x 1
		.amdhsa_system_sgpr_workgroup_id_y 0
		.amdhsa_system_sgpr_workgroup_id_z 0
		.amdhsa_system_sgpr_workgroup_info 0
		.amdhsa_system_vgpr_workitem_id 0
		.amdhsa_next_free_vgpr 15
		.amdhsa_next_free_sgpr 22
		.amdhsa_reserve_vcc 1
		.amdhsa_reserve_flat_scratch 0
		.amdhsa_float_round_mode_32 0
		.amdhsa_float_round_mode_16_64 0
		.amdhsa_float_denorm_mode_32 3
		.amdhsa_float_denorm_mode_16_64 3
		.amdhsa_dx10_clamp 1
		.amdhsa_ieee_mode 1
		.amdhsa_fp16_overflow 0
		.amdhsa_exception_fp_ieee_invalid_op 0
		.amdhsa_exception_fp_denorm_src 0
		.amdhsa_exception_fp_ieee_div_zero 0
		.amdhsa_exception_fp_ieee_overflow 0
		.amdhsa_exception_fp_ieee_underflow 0
		.amdhsa_exception_fp_ieee_inexact 0
		.amdhsa_exception_int_div_zero 0
	.end_amdhsa_kernel
	.section	.text._ZN7rocprim17ROCPRIM_400000_NS6detail17trampoline_kernelINS0_14default_configENS1_22reduce_config_selectorIlEEZNS1_11reduce_implILb1ES3_N6thrust23THRUST_200600_302600_NS11hip_rocprim26transform_input_iterator_tIlNS8_12zip_iteratorINS8_5tupleINS8_6detail15normal_iteratorINS8_10device_ptrIdEEEESH_NS8_9null_typeESI_SI_SI_SI_SI_SI_SI_EEEENS9_21zip_adj_not_predicateINS8_8equal_toIdEEEEEEPllNS8_4plusIlEEEE10hipError_tPvRmT1_T2_T3_mT4_P12ihipStream_tbEUlT_E0_NS1_11comp_targetILNS1_3genE2ELNS1_11target_archE906ELNS1_3gpuE6ELNS1_3repE0EEENS1_30default_config_static_selectorELNS0_4arch9wavefront6targetE1EEEvSW_,"axG",@progbits,_ZN7rocprim17ROCPRIM_400000_NS6detail17trampoline_kernelINS0_14default_configENS1_22reduce_config_selectorIlEEZNS1_11reduce_implILb1ES3_N6thrust23THRUST_200600_302600_NS11hip_rocprim26transform_input_iterator_tIlNS8_12zip_iteratorINS8_5tupleINS8_6detail15normal_iteratorINS8_10device_ptrIdEEEESH_NS8_9null_typeESI_SI_SI_SI_SI_SI_SI_EEEENS9_21zip_adj_not_predicateINS8_8equal_toIdEEEEEEPllNS8_4plusIlEEEE10hipError_tPvRmT1_T2_T3_mT4_P12ihipStream_tbEUlT_E0_NS1_11comp_targetILNS1_3genE2ELNS1_11target_archE906ELNS1_3gpuE6ELNS1_3repE0EEENS1_30default_config_static_selectorELNS0_4arch9wavefront6targetE1EEEvSW_,comdat
.Lfunc_end747:
	.size	_ZN7rocprim17ROCPRIM_400000_NS6detail17trampoline_kernelINS0_14default_configENS1_22reduce_config_selectorIlEEZNS1_11reduce_implILb1ES3_N6thrust23THRUST_200600_302600_NS11hip_rocprim26transform_input_iterator_tIlNS8_12zip_iteratorINS8_5tupleINS8_6detail15normal_iteratorINS8_10device_ptrIdEEEESH_NS8_9null_typeESI_SI_SI_SI_SI_SI_SI_EEEENS9_21zip_adj_not_predicateINS8_8equal_toIdEEEEEEPllNS8_4plusIlEEEE10hipError_tPvRmT1_T2_T3_mT4_P12ihipStream_tbEUlT_E0_NS1_11comp_targetILNS1_3genE2ELNS1_11target_archE906ELNS1_3gpuE6ELNS1_3repE0EEENS1_30default_config_static_selectorELNS0_4arch9wavefront6targetE1EEEvSW_, .Lfunc_end747-_ZN7rocprim17ROCPRIM_400000_NS6detail17trampoline_kernelINS0_14default_configENS1_22reduce_config_selectorIlEEZNS1_11reduce_implILb1ES3_N6thrust23THRUST_200600_302600_NS11hip_rocprim26transform_input_iterator_tIlNS8_12zip_iteratorINS8_5tupleINS8_6detail15normal_iteratorINS8_10device_ptrIdEEEESH_NS8_9null_typeESI_SI_SI_SI_SI_SI_SI_EEEENS9_21zip_adj_not_predicateINS8_8equal_toIdEEEEEEPllNS8_4plusIlEEEE10hipError_tPvRmT1_T2_T3_mT4_P12ihipStream_tbEUlT_E0_NS1_11comp_targetILNS1_3genE2ELNS1_11target_archE906ELNS1_3gpuE6ELNS1_3repE0EEENS1_30default_config_static_selectorELNS0_4arch9wavefront6targetE1EEEvSW_
                                        ; -- End function
	.set _ZN7rocprim17ROCPRIM_400000_NS6detail17trampoline_kernelINS0_14default_configENS1_22reduce_config_selectorIlEEZNS1_11reduce_implILb1ES3_N6thrust23THRUST_200600_302600_NS11hip_rocprim26transform_input_iterator_tIlNS8_12zip_iteratorINS8_5tupleINS8_6detail15normal_iteratorINS8_10device_ptrIdEEEESH_NS8_9null_typeESI_SI_SI_SI_SI_SI_SI_EEEENS9_21zip_adj_not_predicateINS8_8equal_toIdEEEEEEPllNS8_4plusIlEEEE10hipError_tPvRmT1_T2_T3_mT4_P12ihipStream_tbEUlT_E0_NS1_11comp_targetILNS1_3genE2ELNS1_11target_archE906ELNS1_3gpuE6ELNS1_3repE0EEENS1_30default_config_static_selectorELNS0_4arch9wavefront6targetE1EEEvSW_.num_vgpr, 15
	.set _ZN7rocprim17ROCPRIM_400000_NS6detail17trampoline_kernelINS0_14default_configENS1_22reduce_config_selectorIlEEZNS1_11reduce_implILb1ES3_N6thrust23THRUST_200600_302600_NS11hip_rocprim26transform_input_iterator_tIlNS8_12zip_iteratorINS8_5tupleINS8_6detail15normal_iteratorINS8_10device_ptrIdEEEESH_NS8_9null_typeESI_SI_SI_SI_SI_SI_SI_EEEENS9_21zip_adj_not_predicateINS8_8equal_toIdEEEEEEPllNS8_4plusIlEEEE10hipError_tPvRmT1_T2_T3_mT4_P12ihipStream_tbEUlT_E0_NS1_11comp_targetILNS1_3genE2ELNS1_11target_archE906ELNS1_3gpuE6ELNS1_3repE0EEENS1_30default_config_static_selectorELNS0_4arch9wavefront6targetE1EEEvSW_.num_agpr, 0
	.set _ZN7rocprim17ROCPRIM_400000_NS6detail17trampoline_kernelINS0_14default_configENS1_22reduce_config_selectorIlEEZNS1_11reduce_implILb1ES3_N6thrust23THRUST_200600_302600_NS11hip_rocprim26transform_input_iterator_tIlNS8_12zip_iteratorINS8_5tupleINS8_6detail15normal_iteratorINS8_10device_ptrIdEEEESH_NS8_9null_typeESI_SI_SI_SI_SI_SI_SI_EEEENS9_21zip_adj_not_predicateINS8_8equal_toIdEEEEEEPllNS8_4plusIlEEEE10hipError_tPvRmT1_T2_T3_mT4_P12ihipStream_tbEUlT_E0_NS1_11comp_targetILNS1_3genE2ELNS1_11target_archE906ELNS1_3gpuE6ELNS1_3repE0EEENS1_30default_config_static_selectorELNS0_4arch9wavefront6targetE1EEEvSW_.numbered_sgpr, 22
	.set _ZN7rocprim17ROCPRIM_400000_NS6detail17trampoline_kernelINS0_14default_configENS1_22reduce_config_selectorIlEEZNS1_11reduce_implILb1ES3_N6thrust23THRUST_200600_302600_NS11hip_rocprim26transform_input_iterator_tIlNS8_12zip_iteratorINS8_5tupleINS8_6detail15normal_iteratorINS8_10device_ptrIdEEEESH_NS8_9null_typeESI_SI_SI_SI_SI_SI_SI_EEEENS9_21zip_adj_not_predicateINS8_8equal_toIdEEEEEEPllNS8_4plusIlEEEE10hipError_tPvRmT1_T2_T3_mT4_P12ihipStream_tbEUlT_E0_NS1_11comp_targetILNS1_3genE2ELNS1_11target_archE906ELNS1_3gpuE6ELNS1_3repE0EEENS1_30default_config_static_selectorELNS0_4arch9wavefront6targetE1EEEvSW_.num_named_barrier, 0
	.set _ZN7rocprim17ROCPRIM_400000_NS6detail17trampoline_kernelINS0_14default_configENS1_22reduce_config_selectorIlEEZNS1_11reduce_implILb1ES3_N6thrust23THRUST_200600_302600_NS11hip_rocprim26transform_input_iterator_tIlNS8_12zip_iteratorINS8_5tupleINS8_6detail15normal_iteratorINS8_10device_ptrIdEEEESH_NS8_9null_typeESI_SI_SI_SI_SI_SI_SI_EEEENS9_21zip_adj_not_predicateINS8_8equal_toIdEEEEEEPllNS8_4plusIlEEEE10hipError_tPvRmT1_T2_T3_mT4_P12ihipStream_tbEUlT_E0_NS1_11comp_targetILNS1_3genE2ELNS1_11target_archE906ELNS1_3gpuE6ELNS1_3repE0EEENS1_30default_config_static_selectorELNS0_4arch9wavefront6targetE1EEEvSW_.private_seg_size, 0
	.set _ZN7rocprim17ROCPRIM_400000_NS6detail17trampoline_kernelINS0_14default_configENS1_22reduce_config_selectorIlEEZNS1_11reduce_implILb1ES3_N6thrust23THRUST_200600_302600_NS11hip_rocprim26transform_input_iterator_tIlNS8_12zip_iteratorINS8_5tupleINS8_6detail15normal_iteratorINS8_10device_ptrIdEEEESH_NS8_9null_typeESI_SI_SI_SI_SI_SI_SI_EEEENS9_21zip_adj_not_predicateINS8_8equal_toIdEEEEEEPllNS8_4plusIlEEEE10hipError_tPvRmT1_T2_T3_mT4_P12ihipStream_tbEUlT_E0_NS1_11comp_targetILNS1_3genE2ELNS1_11target_archE906ELNS1_3gpuE6ELNS1_3repE0EEENS1_30default_config_static_selectorELNS0_4arch9wavefront6targetE1EEEvSW_.uses_vcc, 1
	.set _ZN7rocprim17ROCPRIM_400000_NS6detail17trampoline_kernelINS0_14default_configENS1_22reduce_config_selectorIlEEZNS1_11reduce_implILb1ES3_N6thrust23THRUST_200600_302600_NS11hip_rocprim26transform_input_iterator_tIlNS8_12zip_iteratorINS8_5tupleINS8_6detail15normal_iteratorINS8_10device_ptrIdEEEESH_NS8_9null_typeESI_SI_SI_SI_SI_SI_SI_EEEENS9_21zip_adj_not_predicateINS8_8equal_toIdEEEEEEPllNS8_4plusIlEEEE10hipError_tPvRmT1_T2_T3_mT4_P12ihipStream_tbEUlT_E0_NS1_11comp_targetILNS1_3genE2ELNS1_11target_archE906ELNS1_3gpuE6ELNS1_3repE0EEENS1_30default_config_static_selectorELNS0_4arch9wavefront6targetE1EEEvSW_.uses_flat_scratch, 0
	.set _ZN7rocprim17ROCPRIM_400000_NS6detail17trampoline_kernelINS0_14default_configENS1_22reduce_config_selectorIlEEZNS1_11reduce_implILb1ES3_N6thrust23THRUST_200600_302600_NS11hip_rocprim26transform_input_iterator_tIlNS8_12zip_iteratorINS8_5tupleINS8_6detail15normal_iteratorINS8_10device_ptrIdEEEESH_NS8_9null_typeESI_SI_SI_SI_SI_SI_SI_EEEENS9_21zip_adj_not_predicateINS8_8equal_toIdEEEEEEPllNS8_4plusIlEEEE10hipError_tPvRmT1_T2_T3_mT4_P12ihipStream_tbEUlT_E0_NS1_11comp_targetILNS1_3genE2ELNS1_11target_archE906ELNS1_3gpuE6ELNS1_3repE0EEENS1_30default_config_static_selectorELNS0_4arch9wavefront6targetE1EEEvSW_.has_dyn_sized_stack, 0
	.set _ZN7rocprim17ROCPRIM_400000_NS6detail17trampoline_kernelINS0_14default_configENS1_22reduce_config_selectorIlEEZNS1_11reduce_implILb1ES3_N6thrust23THRUST_200600_302600_NS11hip_rocprim26transform_input_iterator_tIlNS8_12zip_iteratorINS8_5tupleINS8_6detail15normal_iteratorINS8_10device_ptrIdEEEESH_NS8_9null_typeESI_SI_SI_SI_SI_SI_SI_EEEENS9_21zip_adj_not_predicateINS8_8equal_toIdEEEEEEPllNS8_4plusIlEEEE10hipError_tPvRmT1_T2_T3_mT4_P12ihipStream_tbEUlT_E0_NS1_11comp_targetILNS1_3genE2ELNS1_11target_archE906ELNS1_3gpuE6ELNS1_3repE0EEENS1_30default_config_static_selectorELNS0_4arch9wavefront6targetE1EEEvSW_.has_recursion, 0
	.set _ZN7rocprim17ROCPRIM_400000_NS6detail17trampoline_kernelINS0_14default_configENS1_22reduce_config_selectorIlEEZNS1_11reduce_implILb1ES3_N6thrust23THRUST_200600_302600_NS11hip_rocprim26transform_input_iterator_tIlNS8_12zip_iteratorINS8_5tupleINS8_6detail15normal_iteratorINS8_10device_ptrIdEEEESH_NS8_9null_typeESI_SI_SI_SI_SI_SI_SI_EEEENS9_21zip_adj_not_predicateINS8_8equal_toIdEEEEEEPllNS8_4plusIlEEEE10hipError_tPvRmT1_T2_T3_mT4_P12ihipStream_tbEUlT_E0_NS1_11comp_targetILNS1_3genE2ELNS1_11target_archE906ELNS1_3gpuE6ELNS1_3repE0EEENS1_30default_config_static_selectorELNS0_4arch9wavefront6targetE1EEEvSW_.has_indirect_call, 0
	.section	.AMDGPU.csdata,"",@progbits
; Kernel info:
; codeLenInByte = 1616
; TotalNumSgprs: 26
; NumVgprs: 15
; ScratchSize: 0
; MemoryBound: 0
; FloatMode: 240
; IeeeMode: 1
; LDSByteSize: 64 bytes/workgroup (compile time only)
; SGPRBlocks: 3
; VGPRBlocks: 3
; NumSGPRsForWavesPerEU: 26
; NumVGPRsForWavesPerEU: 15
; Occupancy: 10
; WaveLimiterHint : 0
; COMPUTE_PGM_RSRC2:SCRATCH_EN: 0
; COMPUTE_PGM_RSRC2:USER_SGPR: 6
; COMPUTE_PGM_RSRC2:TRAP_HANDLER: 0
; COMPUTE_PGM_RSRC2:TGID_X_EN: 1
; COMPUTE_PGM_RSRC2:TGID_Y_EN: 0
; COMPUTE_PGM_RSRC2:TGID_Z_EN: 0
; COMPUTE_PGM_RSRC2:TIDIG_COMP_CNT: 0
	.section	.text._ZN7rocprim17ROCPRIM_400000_NS6detail17trampoline_kernelINS0_14default_configENS1_22reduce_config_selectorIlEEZNS1_11reduce_implILb1ES3_N6thrust23THRUST_200600_302600_NS11hip_rocprim26transform_input_iterator_tIlNS8_12zip_iteratorINS8_5tupleINS8_6detail15normal_iteratorINS8_10device_ptrIdEEEESH_NS8_9null_typeESI_SI_SI_SI_SI_SI_SI_EEEENS9_21zip_adj_not_predicateINS8_8equal_toIdEEEEEEPllNS8_4plusIlEEEE10hipError_tPvRmT1_T2_T3_mT4_P12ihipStream_tbEUlT_E0_NS1_11comp_targetILNS1_3genE10ELNS1_11target_archE1201ELNS1_3gpuE5ELNS1_3repE0EEENS1_30default_config_static_selectorELNS0_4arch9wavefront6targetE1EEEvSW_,"axG",@progbits,_ZN7rocprim17ROCPRIM_400000_NS6detail17trampoline_kernelINS0_14default_configENS1_22reduce_config_selectorIlEEZNS1_11reduce_implILb1ES3_N6thrust23THRUST_200600_302600_NS11hip_rocprim26transform_input_iterator_tIlNS8_12zip_iteratorINS8_5tupleINS8_6detail15normal_iteratorINS8_10device_ptrIdEEEESH_NS8_9null_typeESI_SI_SI_SI_SI_SI_SI_EEEENS9_21zip_adj_not_predicateINS8_8equal_toIdEEEEEEPllNS8_4plusIlEEEE10hipError_tPvRmT1_T2_T3_mT4_P12ihipStream_tbEUlT_E0_NS1_11comp_targetILNS1_3genE10ELNS1_11target_archE1201ELNS1_3gpuE5ELNS1_3repE0EEENS1_30default_config_static_selectorELNS0_4arch9wavefront6targetE1EEEvSW_,comdat
	.protected	_ZN7rocprim17ROCPRIM_400000_NS6detail17trampoline_kernelINS0_14default_configENS1_22reduce_config_selectorIlEEZNS1_11reduce_implILb1ES3_N6thrust23THRUST_200600_302600_NS11hip_rocprim26transform_input_iterator_tIlNS8_12zip_iteratorINS8_5tupleINS8_6detail15normal_iteratorINS8_10device_ptrIdEEEESH_NS8_9null_typeESI_SI_SI_SI_SI_SI_SI_EEEENS9_21zip_adj_not_predicateINS8_8equal_toIdEEEEEEPllNS8_4plusIlEEEE10hipError_tPvRmT1_T2_T3_mT4_P12ihipStream_tbEUlT_E0_NS1_11comp_targetILNS1_3genE10ELNS1_11target_archE1201ELNS1_3gpuE5ELNS1_3repE0EEENS1_30default_config_static_selectorELNS0_4arch9wavefront6targetE1EEEvSW_ ; -- Begin function _ZN7rocprim17ROCPRIM_400000_NS6detail17trampoline_kernelINS0_14default_configENS1_22reduce_config_selectorIlEEZNS1_11reduce_implILb1ES3_N6thrust23THRUST_200600_302600_NS11hip_rocprim26transform_input_iterator_tIlNS8_12zip_iteratorINS8_5tupleINS8_6detail15normal_iteratorINS8_10device_ptrIdEEEESH_NS8_9null_typeESI_SI_SI_SI_SI_SI_SI_EEEENS9_21zip_adj_not_predicateINS8_8equal_toIdEEEEEEPllNS8_4plusIlEEEE10hipError_tPvRmT1_T2_T3_mT4_P12ihipStream_tbEUlT_E0_NS1_11comp_targetILNS1_3genE10ELNS1_11target_archE1201ELNS1_3gpuE5ELNS1_3repE0EEENS1_30default_config_static_selectorELNS0_4arch9wavefront6targetE1EEEvSW_
	.globl	_ZN7rocprim17ROCPRIM_400000_NS6detail17trampoline_kernelINS0_14default_configENS1_22reduce_config_selectorIlEEZNS1_11reduce_implILb1ES3_N6thrust23THRUST_200600_302600_NS11hip_rocprim26transform_input_iterator_tIlNS8_12zip_iteratorINS8_5tupleINS8_6detail15normal_iteratorINS8_10device_ptrIdEEEESH_NS8_9null_typeESI_SI_SI_SI_SI_SI_SI_EEEENS9_21zip_adj_not_predicateINS8_8equal_toIdEEEEEEPllNS8_4plusIlEEEE10hipError_tPvRmT1_T2_T3_mT4_P12ihipStream_tbEUlT_E0_NS1_11comp_targetILNS1_3genE10ELNS1_11target_archE1201ELNS1_3gpuE5ELNS1_3repE0EEENS1_30default_config_static_selectorELNS0_4arch9wavefront6targetE1EEEvSW_
	.p2align	8
	.type	_ZN7rocprim17ROCPRIM_400000_NS6detail17trampoline_kernelINS0_14default_configENS1_22reduce_config_selectorIlEEZNS1_11reduce_implILb1ES3_N6thrust23THRUST_200600_302600_NS11hip_rocprim26transform_input_iterator_tIlNS8_12zip_iteratorINS8_5tupleINS8_6detail15normal_iteratorINS8_10device_ptrIdEEEESH_NS8_9null_typeESI_SI_SI_SI_SI_SI_SI_EEEENS9_21zip_adj_not_predicateINS8_8equal_toIdEEEEEEPllNS8_4plusIlEEEE10hipError_tPvRmT1_T2_T3_mT4_P12ihipStream_tbEUlT_E0_NS1_11comp_targetILNS1_3genE10ELNS1_11target_archE1201ELNS1_3gpuE5ELNS1_3repE0EEENS1_30default_config_static_selectorELNS0_4arch9wavefront6targetE1EEEvSW_,@function
_ZN7rocprim17ROCPRIM_400000_NS6detail17trampoline_kernelINS0_14default_configENS1_22reduce_config_selectorIlEEZNS1_11reduce_implILb1ES3_N6thrust23THRUST_200600_302600_NS11hip_rocprim26transform_input_iterator_tIlNS8_12zip_iteratorINS8_5tupleINS8_6detail15normal_iteratorINS8_10device_ptrIdEEEESH_NS8_9null_typeESI_SI_SI_SI_SI_SI_SI_EEEENS9_21zip_adj_not_predicateINS8_8equal_toIdEEEEEEPllNS8_4plusIlEEEE10hipError_tPvRmT1_T2_T3_mT4_P12ihipStream_tbEUlT_E0_NS1_11comp_targetILNS1_3genE10ELNS1_11target_archE1201ELNS1_3gpuE5ELNS1_3repE0EEENS1_30default_config_static_selectorELNS0_4arch9wavefront6targetE1EEEvSW_: ; @_ZN7rocprim17ROCPRIM_400000_NS6detail17trampoline_kernelINS0_14default_configENS1_22reduce_config_selectorIlEEZNS1_11reduce_implILb1ES3_N6thrust23THRUST_200600_302600_NS11hip_rocprim26transform_input_iterator_tIlNS8_12zip_iteratorINS8_5tupleINS8_6detail15normal_iteratorINS8_10device_ptrIdEEEESH_NS8_9null_typeESI_SI_SI_SI_SI_SI_SI_EEEENS9_21zip_adj_not_predicateINS8_8equal_toIdEEEEEEPllNS8_4plusIlEEEE10hipError_tPvRmT1_T2_T3_mT4_P12ihipStream_tbEUlT_E0_NS1_11comp_targetILNS1_3genE10ELNS1_11target_archE1201ELNS1_3gpuE5ELNS1_3repE0EEENS1_30default_config_static_selectorELNS0_4arch9wavefront6targetE1EEEvSW_
; %bb.0:
	.section	.rodata,"a",@progbits
	.p2align	6, 0x0
	.amdhsa_kernel _ZN7rocprim17ROCPRIM_400000_NS6detail17trampoline_kernelINS0_14default_configENS1_22reduce_config_selectorIlEEZNS1_11reduce_implILb1ES3_N6thrust23THRUST_200600_302600_NS11hip_rocprim26transform_input_iterator_tIlNS8_12zip_iteratorINS8_5tupleINS8_6detail15normal_iteratorINS8_10device_ptrIdEEEESH_NS8_9null_typeESI_SI_SI_SI_SI_SI_SI_EEEENS9_21zip_adj_not_predicateINS8_8equal_toIdEEEEEEPllNS8_4plusIlEEEE10hipError_tPvRmT1_T2_T3_mT4_P12ihipStream_tbEUlT_E0_NS1_11comp_targetILNS1_3genE10ELNS1_11target_archE1201ELNS1_3gpuE5ELNS1_3repE0EEENS1_30default_config_static_selectorELNS0_4arch9wavefront6targetE1EEEvSW_
		.amdhsa_group_segment_fixed_size 0
		.amdhsa_private_segment_fixed_size 0
		.amdhsa_kernarg_size 80
		.amdhsa_user_sgpr_count 6
		.amdhsa_user_sgpr_private_segment_buffer 1
		.amdhsa_user_sgpr_dispatch_ptr 0
		.amdhsa_user_sgpr_queue_ptr 0
		.amdhsa_user_sgpr_kernarg_segment_ptr 1
		.amdhsa_user_sgpr_dispatch_id 0
		.amdhsa_user_sgpr_flat_scratch_init 0
		.amdhsa_user_sgpr_private_segment_size 0
		.amdhsa_uses_dynamic_stack 0
		.amdhsa_system_sgpr_private_segment_wavefront_offset 0
		.amdhsa_system_sgpr_workgroup_id_x 1
		.amdhsa_system_sgpr_workgroup_id_y 0
		.amdhsa_system_sgpr_workgroup_id_z 0
		.amdhsa_system_sgpr_workgroup_info 0
		.amdhsa_system_vgpr_workitem_id 0
		.amdhsa_next_free_vgpr 1
		.amdhsa_next_free_sgpr 0
		.amdhsa_reserve_vcc 0
		.amdhsa_reserve_flat_scratch 0
		.amdhsa_float_round_mode_32 0
		.amdhsa_float_round_mode_16_64 0
		.amdhsa_float_denorm_mode_32 3
		.amdhsa_float_denorm_mode_16_64 3
		.amdhsa_dx10_clamp 1
		.amdhsa_ieee_mode 1
		.amdhsa_fp16_overflow 0
		.amdhsa_exception_fp_ieee_invalid_op 0
		.amdhsa_exception_fp_denorm_src 0
		.amdhsa_exception_fp_ieee_div_zero 0
		.amdhsa_exception_fp_ieee_overflow 0
		.amdhsa_exception_fp_ieee_underflow 0
		.amdhsa_exception_fp_ieee_inexact 0
		.amdhsa_exception_int_div_zero 0
	.end_amdhsa_kernel
	.section	.text._ZN7rocprim17ROCPRIM_400000_NS6detail17trampoline_kernelINS0_14default_configENS1_22reduce_config_selectorIlEEZNS1_11reduce_implILb1ES3_N6thrust23THRUST_200600_302600_NS11hip_rocprim26transform_input_iterator_tIlNS8_12zip_iteratorINS8_5tupleINS8_6detail15normal_iteratorINS8_10device_ptrIdEEEESH_NS8_9null_typeESI_SI_SI_SI_SI_SI_SI_EEEENS9_21zip_adj_not_predicateINS8_8equal_toIdEEEEEEPllNS8_4plusIlEEEE10hipError_tPvRmT1_T2_T3_mT4_P12ihipStream_tbEUlT_E0_NS1_11comp_targetILNS1_3genE10ELNS1_11target_archE1201ELNS1_3gpuE5ELNS1_3repE0EEENS1_30default_config_static_selectorELNS0_4arch9wavefront6targetE1EEEvSW_,"axG",@progbits,_ZN7rocprim17ROCPRIM_400000_NS6detail17trampoline_kernelINS0_14default_configENS1_22reduce_config_selectorIlEEZNS1_11reduce_implILb1ES3_N6thrust23THRUST_200600_302600_NS11hip_rocprim26transform_input_iterator_tIlNS8_12zip_iteratorINS8_5tupleINS8_6detail15normal_iteratorINS8_10device_ptrIdEEEESH_NS8_9null_typeESI_SI_SI_SI_SI_SI_SI_EEEENS9_21zip_adj_not_predicateINS8_8equal_toIdEEEEEEPllNS8_4plusIlEEEE10hipError_tPvRmT1_T2_T3_mT4_P12ihipStream_tbEUlT_E0_NS1_11comp_targetILNS1_3genE10ELNS1_11target_archE1201ELNS1_3gpuE5ELNS1_3repE0EEENS1_30default_config_static_selectorELNS0_4arch9wavefront6targetE1EEEvSW_,comdat
.Lfunc_end748:
	.size	_ZN7rocprim17ROCPRIM_400000_NS6detail17trampoline_kernelINS0_14default_configENS1_22reduce_config_selectorIlEEZNS1_11reduce_implILb1ES3_N6thrust23THRUST_200600_302600_NS11hip_rocprim26transform_input_iterator_tIlNS8_12zip_iteratorINS8_5tupleINS8_6detail15normal_iteratorINS8_10device_ptrIdEEEESH_NS8_9null_typeESI_SI_SI_SI_SI_SI_SI_EEEENS9_21zip_adj_not_predicateINS8_8equal_toIdEEEEEEPllNS8_4plusIlEEEE10hipError_tPvRmT1_T2_T3_mT4_P12ihipStream_tbEUlT_E0_NS1_11comp_targetILNS1_3genE10ELNS1_11target_archE1201ELNS1_3gpuE5ELNS1_3repE0EEENS1_30default_config_static_selectorELNS0_4arch9wavefront6targetE1EEEvSW_, .Lfunc_end748-_ZN7rocprim17ROCPRIM_400000_NS6detail17trampoline_kernelINS0_14default_configENS1_22reduce_config_selectorIlEEZNS1_11reduce_implILb1ES3_N6thrust23THRUST_200600_302600_NS11hip_rocprim26transform_input_iterator_tIlNS8_12zip_iteratorINS8_5tupleINS8_6detail15normal_iteratorINS8_10device_ptrIdEEEESH_NS8_9null_typeESI_SI_SI_SI_SI_SI_SI_EEEENS9_21zip_adj_not_predicateINS8_8equal_toIdEEEEEEPllNS8_4plusIlEEEE10hipError_tPvRmT1_T2_T3_mT4_P12ihipStream_tbEUlT_E0_NS1_11comp_targetILNS1_3genE10ELNS1_11target_archE1201ELNS1_3gpuE5ELNS1_3repE0EEENS1_30default_config_static_selectorELNS0_4arch9wavefront6targetE1EEEvSW_
                                        ; -- End function
	.set _ZN7rocprim17ROCPRIM_400000_NS6detail17trampoline_kernelINS0_14default_configENS1_22reduce_config_selectorIlEEZNS1_11reduce_implILb1ES3_N6thrust23THRUST_200600_302600_NS11hip_rocprim26transform_input_iterator_tIlNS8_12zip_iteratorINS8_5tupleINS8_6detail15normal_iteratorINS8_10device_ptrIdEEEESH_NS8_9null_typeESI_SI_SI_SI_SI_SI_SI_EEEENS9_21zip_adj_not_predicateINS8_8equal_toIdEEEEEEPllNS8_4plusIlEEEE10hipError_tPvRmT1_T2_T3_mT4_P12ihipStream_tbEUlT_E0_NS1_11comp_targetILNS1_3genE10ELNS1_11target_archE1201ELNS1_3gpuE5ELNS1_3repE0EEENS1_30default_config_static_selectorELNS0_4arch9wavefront6targetE1EEEvSW_.num_vgpr, 0
	.set _ZN7rocprim17ROCPRIM_400000_NS6detail17trampoline_kernelINS0_14default_configENS1_22reduce_config_selectorIlEEZNS1_11reduce_implILb1ES3_N6thrust23THRUST_200600_302600_NS11hip_rocprim26transform_input_iterator_tIlNS8_12zip_iteratorINS8_5tupleINS8_6detail15normal_iteratorINS8_10device_ptrIdEEEESH_NS8_9null_typeESI_SI_SI_SI_SI_SI_SI_EEEENS9_21zip_adj_not_predicateINS8_8equal_toIdEEEEEEPllNS8_4plusIlEEEE10hipError_tPvRmT1_T2_T3_mT4_P12ihipStream_tbEUlT_E0_NS1_11comp_targetILNS1_3genE10ELNS1_11target_archE1201ELNS1_3gpuE5ELNS1_3repE0EEENS1_30default_config_static_selectorELNS0_4arch9wavefront6targetE1EEEvSW_.num_agpr, 0
	.set _ZN7rocprim17ROCPRIM_400000_NS6detail17trampoline_kernelINS0_14default_configENS1_22reduce_config_selectorIlEEZNS1_11reduce_implILb1ES3_N6thrust23THRUST_200600_302600_NS11hip_rocprim26transform_input_iterator_tIlNS8_12zip_iteratorINS8_5tupleINS8_6detail15normal_iteratorINS8_10device_ptrIdEEEESH_NS8_9null_typeESI_SI_SI_SI_SI_SI_SI_EEEENS9_21zip_adj_not_predicateINS8_8equal_toIdEEEEEEPllNS8_4plusIlEEEE10hipError_tPvRmT1_T2_T3_mT4_P12ihipStream_tbEUlT_E0_NS1_11comp_targetILNS1_3genE10ELNS1_11target_archE1201ELNS1_3gpuE5ELNS1_3repE0EEENS1_30default_config_static_selectorELNS0_4arch9wavefront6targetE1EEEvSW_.numbered_sgpr, 0
	.set _ZN7rocprim17ROCPRIM_400000_NS6detail17trampoline_kernelINS0_14default_configENS1_22reduce_config_selectorIlEEZNS1_11reduce_implILb1ES3_N6thrust23THRUST_200600_302600_NS11hip_rocprim26transform_input_iterator_tIlNS8_12zip_iteratorINS8_5tupleINS8_6detail15normal_iteratorINS8_10device_ptrIdEEEESH_NS8_9null_typeESI_SI_SI_SI_SI_SI_SI_EEEENS9_21zip_adj_not_predicateINS8_8equal_toIdEEEEEEPllNS8_4plusIlEEEE10hipError_tPvRmT1_T2_T3_mT4_P12ihipStream_tbEUlT_E0_NS1_11comp_targetILNS1_3genE10ELNS1_11target_archE1201ELNS1_3gpuE5ELNS1_3repE0EEENS1_30default_config_static_selectorELNS0_4arch9wavefront6targetE1EEEvSW_.num_named_barrier, 0
	.set _ZN7rocprim17ROCPRIM_400000_NS6detail17trampoline_kernelINS0_14default_configENS1_22reduce_config_selectorIlEEZNS1_11reduce_implILb1ES3_N6thrust23THRUST_200600_302600_NS11hip_rocprim26transform_input_iterator_tIlNS8_12zip_iteratorINS8_5tupleINS8_6detail15normal_iteratorINS8_10device_ptrIdEEEESH_NS8_9null_typeESI_SI_SI_SI_SI_SI_SI_EEEENS9_21zip_adj_not_predicateINS8_8equal_toIdEEEEEEPllNS8_4plusIlEEEE10hipError_tPvRmT1_T2_T3_mT4_P12ihipStream_tbEUlT_E0_NS1_11comp_targetILNS1_3genE10ELNS1_11target_archE1201ELNS1_3gpuE5ELNS1_3repE0EEENS1_30default_config_static_selectorELNS0_4arch9wavefront6targetE1EEEvSW_.private_seg_size, 0
	.set _ZN7rocprim17ROCPRIM_400000_NS6detail17trampoline_kernelINS0_14default_configENS1_22reduce_config_selectorIlEEZNS1_11reduce_implILb1ES3_N6thrust23THRUST_200600_302600_NS11hip_rocprim26transform_input_iterator_tIlNS8_12zip_iteratorINS8_5tupleINS8_6detail15normal_iteratorINS8_10device_ptrIdEEEESH_NS8_9null_typeESI_SI_SI_SI_SI_SI_SI_EEEENS9_21zip_adj_not_predicateINS8_8equal_toIdEEEEEEPllNS8_4plusIlEEEE10hipError_tPvRmT1_T2_T3_mT4_P12ihipStream_tbEUlT_E0_NS1_11comp_targetILNS1_3genE10ELNS1_11target_archE1201ELNS1_3gpuE5ELNS1_3repE0EEENS1_30default_config_static_selectorELNS0_4arch9wavefront6targetE1EEEvSW_.uses_vcc, 0
	.set _ZN7rocprim17ROCPRIM_400000_NS6detail17trampoline_kernelINS0_14default_configENS1_22reduce_config_selectorIlEEZNS1_11reduce_implILb1ES3_N6thrust23THRUST_200600_302600_NS11hip_rocprim26transform_input_iterator_tIlNS8_12zip_iteratorINS8_5tupleINS8_6detail15normal_iteratorINS8_10device_ptrIdEEEESH_NS8_9null_typeESI_SI_SI_SI_SI_SI_SI_EEEENS9_21zip_adj_not_predicateINS8_8equal_toIdEEEEEEPllNS8_4plusIlEEEE10hipError_tPvRmT1_T2_T3_mT4_P12ihipStream_tbEUlT_E0_NS1_11comp_targetILNS1_3genE10ELNS1_11target_archE1201ELNS1_3gpuE5ELNS1_3repE0EEENS1_30default_config_static_selectorELNS0_4arch9wavefront6targetE1EEEvSW_.uses_flat_scratch, 0
	.set _ZN7rocprim17ROCPRIM_400000_NS6detail17trampoline_kernelINS0_14default_configENS1_22reduce_config_selectorIlEEZNS1_11reduce_implILb1ES3_N6thrust23THRUST_200600_302600_NS11hip_rocprim26transform_input_iterator_tIlNS8_12zip_iteratorINS8_5tupleINS8_6detail15normal_iteratorINS8_10device_ptrIdEEEESH_NS8_9null_typeESI_SI_SI_SI_SI_SI_SI_EEEENS9_21zip_adj_not_predicateINS8_8equal_toIdEEEEEEPllNS8_4plusIlEEEE10hipError_tPvRmT1_T2_T3_mT4_P12ihipStream_tbEUlT_E0_NS1_11comp_targetILNS1_3genE10ELNS1_11target_archE1201ELNS1_3gpuE5ELNS1_3repE0EEENS1_30default_config_static_selectorELNS0_4arch9wavefront6targetE1EEEvSW_.has_dyn_sized_stack, 0
	.set _ZN7rocprim17ROCPRIM_400000_NS6detail17trampoline_kernelINS0_14default_configENS1_22reduce_config_selectorIlEEZNS1_11reduce_implILb1ES3_N6thrust23THRUST_200600_302600_NS11hip_rocprim26transform_input_iterator_tIlNS8_12zip_iteratorINS8_5tupleINS8_6detail15normal_iteratorINS8_10device_ptrIdEEEESH_NS8_9null_typeESI_SI_SI_SI_SI_SI_SI_EEEENS9_21zip_adj_not_predicateINS8_8equal_toIdEEEEEEPllNS8_4plusIlEEEE10hipError_tPvRmT1_T2_T3_mT4_P12ihipStream_tbEUlT_E0_NS1_11comp_targetILNS1_3genE10ELNS1_11target_archE1201ELNS1_3gpuE5ELNS1_3repE0EEENS1_30default_config_static_selectorELNS0_4arch9wavefront6targetE1EEEvSW_.has_recursion, 0
	.set _ZN7rocprim17ROCPRIM_400000_NS6detail17trampoline_kernelINS0_14default_configENS1_22reduce_config_selectorIlEEZNS1_11reduce_implILb1ES3_N6thrust23THRUST_200600_302600_NS11hip_rocprim26transform_input_iterator_tIlNS8_12zip_iteratorINS8_5tupleINS8_6detail15normal_iteratorINS8_10device_ptrIdEEEESH_NS8_9null_typeESI_SI_SI_SI_SI_SI_SI_EEEENS9_21zip_adj_not_predicateINS8_8equal_toIdEEEEEEPllNS8_4plusIlEEEE10hipError_tPvRmT1_T2_T3_mT4_P12ihipStream_tbEUlT_E0_NS1_11comp_targetILNS1_3genE10ELNS1_11target_archE1201ELNS1_3gpuE5ELNS1_3repE0EEENS1_30default_config_static_selectorELNS0_4arch9wavefront6targetE1EEEvSW_.has_indirect_call, 0
	.section	.AMDGPU.csdata,"",@progbits
; Kernel info:
; codeLenInByte = 0
; TotalNumSgprs: 4
; NumVgprs: 0
; ScratchSize: 0
; MemoryBound: 0
; FloatMode: 240
; IeeeMode: 1
; LDSByteSize: 0 bytes/workgroup (compile time only)
; SGPRBlocks: 0
; VGPRBlocks: 0
; NumSGPRsForWavesPerEU: 4
; NumVGPRsForWavesPerEU: 1
; Occupancy: 10
; WaveLimiterHint : 0
; COMPUTE_PGM_RSRC2:SCRATCH_EN: 0
; COMPUTE_PGM_RSRC2:USER_SGPR: 6
; COMPUTE_PGM_RSRC2:TRAP_HANDLER: 0
; COMPUTE_PGM_RSRC2:TGID_X_EN: 1
; COMPUTE_PGM_RSRC2:TGID_Y_EN: 0
; COMPUTE_PGM_RSRC2:TGID_Z_EN: 0
; COMPUTE_PGM_RSRC2:TIDIG_COMP_CNT: 0
	.section	.text._ZN7rocprim17ROCPRIM_400000_NS6detail17trampoline_kernelINS0_14default_configENS1_22reduce_config_selectorIlEEZNS1_11reduce_implILb1ES3_N6thrust23THRUST_200600_302600_NS11hip_rocprim26transform_input_iterator_tIlNS8_12zip_iteratorINS8_5tupleINS8_6detail15normal_iteratorINS8_10device_ptrIdEEEESH_NS8_9null_typeESI_SI_SI_SI_SI_SI_SI_EEEENS9_21zip_adj_not_predicateINS8_8equal_toIdEEEEEEPllNS8_4plusIlEEEE10hipError_tPvRmT1_T2_T3_mT4_P12ihipStream_tbEUlT_E0_NS1_11comp_targetILNS1_3genE10ELNS1_11target_archE1200ELNS1_3gpuE4ELNS1_3repE0EEENS1_30default_config_static_selectorELNS0_4arch9wavefront6targetE1EEEvSW_,"axG",@progbits,_ZN7rocprim17ROCPRIM_400000_NS6detail17trampoline_kernelINS0_14default_configENS1_22reduce_config_selectorIlEEZNS1_11reduce_implILb1ES3_N6thrust23THRUST_200600_302600_NS11hip_rocprim26transform_input_iterator_tIlNS8_12zip_iteratorINS8_5tupleINS8_6detail15normal_iteratorINS8_10device_ptrIdEEEESH_NS8_9null_typeESI_SI_SI_SI_SI_SI_SI_EEEENS9_21zip_adj_not_predicateINS8_8equal_toIdEEEEEEPllNS8_4plusIlEEEE10hipError_tPvRmT1_T2_T3_mT4_P12ihipStream_tbEUlT_E0_NS1_11comp_targetILNS1_3genE10ELNS1_11target_archE1200ELNS1_3gpuE4ELNS1_3repE0EEENS1_30default_config_static_selectorELNS0_4arch9wavefront6targetE1EEEvSW_,comdat
	.protected	_ZN7rocprim17ROCPRIM_400000_NS6detail17trampoline_kernelINS0_14default_configENS1_22reduce_config_selectorIlEEZNS1_11reduce_implILb1ES3_N6thrust23THRUST_200600_302600_NS11hip_rocprim26transform_input_iterator_tIlNS8_12zip_iteratorINS8_5tupleINS8_6detail15normal_iteratorINS8_10device_ptrIdEEEESH_NS8_9null_typeESI_SI_SI_SI_SI_SI_SI_EEEENS9_21zip_adj_not_predicateINS8_8equal_toIdEEEEEEPllNS8_4plusIlEEEE10hipError_tPvRmT1_T2_T3_mT4_P12ihipStream_tbEUlT_E0_NS1_11comp_targetILNS1_3genE10ELNS1_11target_archE1200ELNS1_3gpuE4ELNS1_3repE0EEENS1_30default_config_static_selectorELNS0_4arch9wavefront6targetE1EEEvSW_ ; -- Begin function _ZN7rocprim17ROCPRIM_400000_NS6detail17trampoline_kernelINS0_14default_configENS1_22reduce_config_selectorIlEEZNS1_11reduce_implILb1ES3_N6thrust23THRUST_200600_302600_NS11hip_rocprim26transform_input_iterator_tIlNS8_12zip_iteratorINS8_5tupleINS8_6detail15normal_iteratorINS8_10device_ptrIdEEEESH_NS8_9null_typeESI_SI_SI_SI_SI_SI_SI_EEEENS9_21zip_adj_not_predicateINS8_8equal_toIdEEEEEEPllNS8_4plusIlEEEE10hipError_tPvRmT1_T2_T3_mT4_P12ihipStream_tbEUlT_E0_NS1_11comp_targetILNS1_3genE10ELNS1_11target_archE1200ELNS1_3gpuE4ELNS1_3repE0EEENS1_30default_config_static_selectorELNS0_4arch9wavefront6targetE1EEEvSW_
	.globl	_ZN7rocprim17ROCPRIM_400000_NS6detail17trampoline_kernelINS0_14default_configENS1_22reduce_config_selectorIlEEZNS1_11reduce_implILb1ES3_N6thrust23THRUST_200600_302600_NS11hip_rocprim26transform_input_iterator_tIlNS8_12zip_iteratorINS8_5tupleINS8_6detail15normal_iteratorINS8_10device_ptrIdEEEESH_NS8_9null_typeESI_SI_SI_SI_SI_SI_SI_EEEENS9_21zip_adj_not_predicateINS8_8equal_toIdEEEEEEPllNS8_4plusIlEEEE10hipError_tPvRmT1_T2_T3_mT4_P12ihipStream_tbEUlT_E0_NS1_11comp_targetILNS1_3genE10ELNS1_11target_archE1200ELNS1_3gpuE4ELNS1_3repE0EEENS1_30default_config_static_selectorELNS0_4arch9wavefront6targetE1EEEvSW_
	.p2align	8
	.type	_ZN7rocprim17ROCPRIM_400000_NS6detail17trampoline_kernelINS0_14default_configENS1_22reduce_config_selectorIlEEZNS1_11reduce_implILb1ES3_N6thrust23THRUST_200600_302600_NS11hip_rocprim26transform_input_iterator_tIlNS8_12zip_iteratorINS8_5tupleINS8_6detail15normal_iteratorINS8_10device_ptrIdEEEESH_NS8_9null_typeESI_SI_SI_SI_SI_SI_SI_EEEENS9_21zip_adj_not_predicateINS8_8equal_toIdEEEEEEPllNS8_4plusIlEEEE10hipError_tPvRmT1_T2_T3_mT4_P12ihipStream_tbEUlT_E0_NS1_11comp_targetILNS1_3genE10ELNS1_11target_archE1200ELNS1_3gpuE4ELNS1_3repE0EEENS1_30default_config_static_selectorELNS0_4arch9wavefront6targetE1EEEvSW_,@function
_ZN7rocprim17ROCPRIM_400000_NS6detail17trampoline_kernelINS0_14default_configENS1_22reduce_config_selectorIlEEZNS1_11reduce_implILb1ES3_N6thrust23THRUST_200600_302600_NS11hip_rocprim26transform_input_iterator_tIlNS8_12zip_iteratorINS8_5tupleINS8_6detail15normal_iteratorINS8_10device_ptrIdEEEESH_NS8_9null_typeESI_SI_SI_SI_SI_SI_SI_EEEENS9_21zip_adj_not_predicateINS8_8equal_toIdEEEEEEPllNS8_4plusIlEEEE10hipError_tPvRmT1_T2_T3_mT4_P12ihipStream_tbEUlT_E0_NS1_11comp_targetILNS1_3genE10ELNS1_11target_archE1200ELNS1_3gpuE4ELNS1_3repE0EEENS1_30default_config_static_selectorELNS0_4arch9wavefront6targetE1EEEvSW_: ; @_ZN7rocprim17ROCPRIM_400000_NS6detail17trampoline_kernelINS0_14default_configENS1_22reduce_config_selectorIlEEZNS1_11reduce_implILb1ES3_N6thrust23THRUST_200600_302600_NS11hip_rocprim26transform_input_iterator_tIlNS8_12zip_iteratorINS8_5tupleINS8_6detail15normal_iteratorINS8_10device_ptrIdEEEESH_NS8_9null_typeESI_SI_SI_SI_SI_SI_SI_EEEENS9_21zip_adj_not_predicateINS8_8equal_toIdEEEEEEPllNS8_4plusIlEEEE10hipError_tPvRmT1_T2_T3_mT4_P12ihipStream_tbEUlT_E0_NS1_11comp_targetILNS1_3genE10ELNS1_11target_archE1200ELNS1_3gpuE4ELNS1_3repE0EEENS1_30default_config_static_selectorELNS0_4arch9wavefront6targetE1EEEvSW_
; %bb.0:
	.section	.rodata,"a",@progbits
	.p2align	6, 0x0
	.amdhsa_kernel _ZN7rocprim17ROCPRIM_400000_NS6detail17trampoline_kernelINS0_14default_configENS1_22reduce_config_selectorIlEEZNS1_11reduce_implILb1ES3_N6thrust23THRUST_200600_302600_NS11hip_rocprim26transform_input_iterator_tIlNS8_12zip_iteratorINS8_5tupleINS8_6detail15normal_iteratorINS8_10device_ptrIdEEEESH_NS8_9null_typeESI_SI_SI_SI_SI_SI_SI_EEEENS9_21zip_adj_not_predicateINS8_8equal_toIdEEEEEEPllNS8_4plusIlEEEE10hipError_tPvRmT1_T2_T3_mT4_P12ihipStream_tbEUlT_E0_NS1_11comp_targetILNS1_3genE10ELNS1_11target_archE1200ELNS1_3gpuE4ELNS1_3repE0EEENS1_30default_config_static_selectorELNS0_4arch9wavefront6targetE1EEEvSW_
		.amdhsa_group_segment_fixed_size 0
		.amdhsa_private_segment_fixed_size 0
		.amdhsa_kernarg_size 80
		.amdhsa_user_sgpr_count 6
		.amdhsa_user_sgpr_private_segment_buffer 1
		.amdhsa_user_sgpr_dispatch_ptr 0
		.amdhsa_user_sgpr_queue_ptr 0
		.amdhsa_user_sgpr_kernarg_segment_ptr 1
		.amdhsa_user_sgpr_dispatch_id 0
		.amdhsa_user_sgpr_flat_scratch_init 0
		.amdhsa_user_sgpr_private_segment_size 0
		.amdhsa_uses_dynamic_stack 0
		.amdhsa_system_sgpr_private_segment_wavefront_offset 0
		.amdhsa_system_sgpr_workgroup_id_x 1
		.amdhsa_system_sgpr_workgroup_id_y 0
		.amdhsa_system_sgpr_workgroup_id_z 0
		.amdhsa_system_sgpr_workgroup_info 0
		.amdhsa_system_vgpr_workitem_id 0
		.amdhsa_next_free_vgpr 1
		.amdhsa_next_free_sgpr 0
		.amdhsa_reserve_vcc 0
		.amdhsa_reserve_flat_scratch 0
		.amdhsa_float_round_mode_32 0
		.amdhsa_float_round_mode_16_64 0
		.amdhsa_float_denorm_mode_32 3
		.amdhsa_float_denorm_mode_16_64 3
		.amdhsa_dx10_clamp 1
		.amdhsa_ieee_mode 1
		.amdhsa_fp16_overflow 0
		.amdhsa_exception_fp_ieee_invalid_op 0
		.amdhsa_exception_fp_denorm_src 0
		.amdhsa_exception_fp_ieee_div_zero 0
		.amdhsa_exception_fp_ieee_overflow 0
		.amdhsa_exception_fp_ieee_underflow 0
		.amdhsa_exception_fp_ieee_inexact 0
		.amdhsa_exception_int_div_zero 0
	.end_amdhsa_kernel
	.section	.text._ZN7rocprim17ROCPRIM_400000_NS6detail17trampoline_kernelINS0_14default_configENS1_22reduce_config_selectorIlEEZNS1_11reduce_implILb1ES3_N6thrust23THRUST_200600_302600_NS11hip_rocprim26transform_input_iterator_tIlNS8_12zip_iteratorINS8_5tupleINS8_6detail15normal_iteratorINS8_10device_ptrIdEEEESH_NS8_9null_typeESI_SI_SI_SI_SI_SI_SI_EEEENS9_21zip_adj_not_predicateINS8_8equal_toIdEEEEEEPllNS8_4plusIlEEEE10hipError_tPvRmT1_T2_T3_mT4_P12ihipStream_tbEUlT_E0_NS1_11comp_targetILNS1_3genE10ELNS1_11target_archE1200ELNS1_3gpuE4ELNS1_3repE0EEENS1_30default_config_static_selectorELNS0_4arch9wavefront6targetE1EEEvSW_,"axG",@progbits,_ZN7rocprim17ROCPRIM_400000_NS6detail17trampoline_kernelINS0_14default_configENS1_22reduce_config_selectorIlEEZNS1_11reduce_implILb1ES3_N6thrust23THRUST_200600_302600_NS11hip_rocprim26transform_input_iterator_tIlNS8_12zip_iteratorINS8_5tupleINS8_6detail15normal_iteratorINS8_10device_ptrIdEEEESH_NS8_9null_typeESI_SI_SI_SI_SI_SI_SI_EEEENS9_21zip_adj_not_predicateINS8_8equal_toIdEEEEEEPllNS8_4plusIlEEEE10hipError_tPvRmT1_T2_T3_mT4_P12ihipStream_tbEUlT_E0_NS1_11comp_targetILNS1_3genE10ELNS1_11target_archE1200ELNS1_3gpuE4ELNS1_3repE0EEENS1_30default_config_static_selectorELNS0_4arch9wavefront6targetE1EEEvSW_,comdat
.Lfunc_end749:
	.size	_ZN7rocprim17ROCPRIM_400000_NS6detail17trampoline_kernelINS0_14default_configENS1_22reduce_config_selectorIlEEZNS1_11reduce_implILb1ES3_N6thrust23THRUST_200600_302600_NS11hip_rocprim26transform_input_iterator_tIlNS8_12zip_iteratorINS8_5tupleINS8_6detail15normal_iteratorINS8_10device_ptrIdEEEESH_NS8_9null_typeESI_SI_SI_SI_SI_SI_SI_EEEENS9_21zip_adj_not_predicateINS8_8equal_toIdEEEEEEPllNS8_4plusIlEEEE10hipError_tPvRmT1_T2_T3_mT4_P12ihipStream_tbEUlT_E0_NS1_11comp_targetILNS1_3genE10ELNS1_11target_archE1200ELNS1_3gpuE4ELNS1_3repE0EEENS1_30default_config_static_selectorELNS0_4arch9wavefront6targetE1EEEvSW_, .Lfunc_end749-_ZN7rocprim17ROCPRIM_400000_NS6detail17trampoline_kernelINS0_14default_configENS1_22reduce_config_selectorIlEEZNS1_11reduce_implILb1ES3_N6thrust23THRUST_200600_302600_NS11hip_rocprim26transform_input_iterator_tIlNS8_12zip_iteratorINS8_5tupleINS8_6detail15normal_iteratorINS8_10device_ptrIdEEEESH_NS8_9null_typeESI_SI_SI_SI_SI_SI_SI_EEEENS9_21zip_adj_not_predicateINS8_8equal_toIdEEEEEEPllNS8_4plusIlEEEE10hipError_tPvRmT1_T2_T3_mT4_P12ihipStream_tbEUlT_E0_NS1_11comp_targetILNS1_3genE10ELNS1_11target_archE1200ELNS1_3gpuE4ELNS1_3repE0EEENS1_30default_config_static_selectorELNS0_4arch9wavefront6targetE1EEEvSW_
                                        ; -- End function
	.set _ZN7rocprim17ROCPRIM_400000_NS6detail17trampoline_kernelINS0_14default_configENS1_22reduce_config_selectorIlEEZNS1_11reduce_implILb1ES3_N6thrust23THRUST_200600_302600_NS11hip_rocprim26transform_input_iterator_tIlNS8_12zip_iteratorINS8_5tupleINS8_6detail15normal_iteratorINS8_10device_ptrIdEEEESH_NS8_9null_typeESI_SI_SI_SI_SI_SI_SI_EEEENS9_21zip_adj_not_predicateINS8_8equal_toIdEEEEEEPllNS8_4plusIlEEEE10hipError_tPvRmT1_T2_T3_mT4_P12ihipStream_tbEUlT_E0_NS1_11comp_targetILNS1_3genE10ELNS1_11target_archE1200ELNS1_3gpuE4ELNS1_3repE0EEENS1_30default_config_static_selectorELNS0_4arch9wavefront6targetE1EEEvSW_.num_vgpr, 0
	.set _ZN7rocprim17ROCPRIM_400000_NS6detail17trampoline_kernelINS0_14default_configENS1_22reduce_config_selectorIlEEZNS1_11reduce_implILb1ES3_N6thrust23THRUST_200600_302600_NS11hip_rocprim26transform_input_iterator_tIlNS8_12zip_iteratorINS8_5tupleINS8_6detail15normal_iteratorINS8_10device_ptrIdEEEESH_NS8_9null_typeESI_SI_SI_SI_SI_SI_SI_EEEENS9_21zip_adj_not_predicateINS8_8equal_toIdEEEEEEPllNS8_4plusIlEEEE10hipError_tPvRmT1_T2_T3_mT4_P12ihipStream_tbEUlT_E0_NS1_11comp_targetILNS1_3genE10ELNS1_11target_archE1200ELNS1_3gpuE4ELNS1_3repE0EEENS1_30default_config_static_selectorELNS0_4arch9wavefront6targetE1EEEvSW_.num_agpr, 0
	.set _ZN7rocprim17ROCPRIM_400000_NS6detail17trampoline_kernelINS0_14default_configENS1_22reduce_config_selectorIlEEZNS1_11reduce_implILb1ES3_N6thrust23THRUST_200600_302600_NS11hip_rocprim26transform_input_iterator_tIlNS8_12zip_iteratorINS8_5tupleINS8_6detail15normal_iteratorINS8_10device_ptrIdEEEESH_NS8_9null_typeESI_SI_SI_SI_SI_SI_SI_EEEENS9_21zip_adj_not_predicateINS8_8equal_toIdEEEEEEPllNS8_4plusIlEEEE10hipError_tPvRmT1_T2_T3_mT4_P12ihipStream_tbEUlT_E0_NS1_11comp_targetILNS1_3genE10ELNS1_11target_archE1200ELNS1_3gpuE4ELNS1_3repE0EEENS1_30default_config_static_selectorELNS0_4arch9wavefront6targetE1EEEvSW_.numbered_sgpr, 0
	.set _ZN7rocprim17ROCPRIM_400000_NS6detail17trampoline_kernelINS0_14default_configENS1_22reduce_config_selectorIlEEZNS1_11reduce_implILb1ES3_N6thrust23THRUST_200600_302600_NS11hip_rocprim26transform_input_iterator_tIlNS8_12zip_iteratorINS8_5tupleINS8_6detail15normal_iteratorINS8_10device_ptrIdEEEESH_NS8_9null_typeESI_SI_SI_SI_SI_SI_SI_EEEENS9_21zip_adj_not_predicateINS8_8equal_toIdEEEEEEPllNS8_4plusIlEEEE10hipError_tPvRmT1_T2_T3_mT4_P12ihipStream_tbEUlT_E0_NS1_11comp_targetILNS1_3genE10ELNS1_11target_archE1200ELNS1_3gpuE4ELNS1_3repE0EEENS1_30default_config_static_selectorELNS0_4arch9wavefront6targetE1EEEvSW_.num_named_barrier, 0
	.set _ZN7rocprim17ROCPRIM_400000_NS6detail17trampoline_kernelINS0_14default_configENS1_22reduce_config_selectorIlEEZNS1_11reduce_implILb1ES3_N6thrust23THRUST_200600_302600_NS11hip_rocprim26transform_input_iterator_tIlNS8_12zip_iteratorINS8_5tupleINS8_6detail15normal_iteratorINS8_10device_ptrIdEEEESH_NS8_9null_typeESI_SI_SI_SI_SI_SI_SI_EEEENS9_21zip_adj_not_predicateINS8_8equal_toIdEEEEEEPllNS8_4plusIlEEEE10hipError_tPvRmT1_T2_T3_mT4_P12ihipStream_tbEUlT_E0_NS1_11comp_targetILNS1_3genE10ELNS1_11target_archE1200ELNS1_3gpuE4ELNS1_3repE0EEENS1_30default_config_static_selectorELNS0_4arch9wavefront6targetE1EEEvSW_.private_seg_size, 0
	.set _ZN7rocprim17ROCPRIM_400000_NS6detail17trampoline_kernelINS0_14default_configENS1_22reduce_config_selectorIlEEZNS1_11reduce_implILb1ES3_N6thrust23THRUST_200600_302600_NS11hip_rocprim26transform_input_iterator_tIlNS8_12zip_iteratorINS8_5tupleINS8_6detail15normal_iteratorINS8_10device_ptrIdEEEESH_NS8_9null_typeESI_SI_SI_SI_SI_SI_SI_EEEENS9_21zip_adj_not_predicateINS8_8equal_toIdEEEEEEPllNS8_4plusIlEEEE10hipError_tPvRmT1_T2_T3_mT4_P12ihipStream_tbEUlT_E0_NS1_11comp_targetILNS1_3genE10ELNS1_11target_archE1200ELNS1_3gpuE4ELNS1_3repE0EEENS1_30default_config_static_selectorELNS0_4arch9wavefront6targetE1EEEvSW_.uses_vcc, 0
	.set _ZN7rocprim17ROCPRIM_400000_NS6detail17trampoline_kernelINS0_14default_configENS1_22reduce_config_selectorIlEEZNS1_11reduce_implILb1ES3_N6thrust23THRUST_200600_302600_NS11hip_rocprim26transform_input_iterator_tIlNS8_12zip_iteratorINS8_5tupleINS8_6detail15normal_iteratorINS8_10device_ptrIdEEEESH_NS8_9null_typeESI_SI_SI_SI_SI_SI_SI_EEEENS9_21zip_adj_not_predicateINS8_8equal_toIdEEEEEEPllNS8_4plusIlEEEE10hipError_tPvRmT1_T2_T3_mT4_P12ihipStream_tbEUlT_E0_NS1_11comp_targetILNS1_3genE10ELNS1_11target_archE1200ELNS1_3gpuE4ELNS1_3repE0EEENS1_30default_config_static_selectorELNS0_4arch9wavefront6targetE1EEEvSW_.uses_flat_scratch, 0
	.set _ZN7rocprim17ROCPRIM_400000_NS6detail17trampoline_kernelINS0_14default_configENS1_22reduce_config_selectorIlEEZNS1_11reduce_implILb1ES3_N6thrust23THRUST_200600_302600_NS11hip_rocprim26transform_input_iterator_tIlNS8_12zip_iteratorINS8_5tupleINS8_6detail15normal_iteratorINS8_10device_ptrIdEEEESH_NS8_9null_typeESI_SI_SI_SI_SI_SI_SI_EEEENS9_21zip_adj_not_predicateINS8_8equal_toIdEEEEEEPllNS8_4plusIlEEEE10hipError_tPvRmT1_T2_T3_mT4_P12ihipStream_tbEUlT_E0_NS1_11comp_targetILNS1_3genE10ELNS1_11target_archE1200ELNS1_3gpuE4ELNS1_3repE0EEENS1_30default_config_static_selectorELNS0_4arch9wavefront6targetE1EEEvSW_.has_dyn_sized_stack, 0
	.set _ZN7rocprim17ROCPRIM_400000_NS6detail17trampoline_kernelINS0_14default_configENS1_22reduce_config_selectorIlEEZNS1_11reduce_implILb1ES3_N6thrust23THRUST_200600_302600_NS11hip_rocprim26transform_input_iterator_tIlNS8_12zip_iteratorINS8_5tupleINS8_6detail15normal_iteratorINS8_10device_ptrIdEEEESH_NS8_9null_typeESI_SI_SI_SI_SI_SI_SI_EEEENS9_21zip_adj_not_predicateINS8_8equal_toIdEEEEEEPllNS8_4plusIlEEEE10hipError_tPvRmT1_T2_T3_mT4_P12ihipStream_tbEUlT_E0_NS1_11comp_targetILNS1_3genE10ELNS1_11target_archE1200ELNS1_3gpuE4ELNS1_3repE0EEENS1_30default_config_static_selectorELNS0_4arch9wavefront6targetE1EEEvSW_.has_recursion, 0
	.set _ZN7rocprim17ROCPRIM_400000_NS6detail17trampoline_kernelINS0_14default_configENS1_22reduce_config_selectorIlEEZNS1_11reduce_implILb1ES3_N6thrust23THRUST_200600_302600_NS11hip_rocprim26transform_input_iterator_tIlNS8_12zip_iteratorINS8_5tupleINS8_6detail15normal_iteratorINS8_10device_ptrIdEEEESH_NS8_9null_typeESI_SI_SI_SI_SI_SI_SI_EEEENS9_21zip_adj_not_predicateINS8_8equal_toIdEEEEEEPllNS8_4plusIlEEEE10hipError_tPvRmT1_T2_T3_mT4_P12ihipStream_tbEUlT_E0_NS1_11comp_targetILNS1_3genE10ELNS1_11target_archE1200ELNS1_3gpuE4ELNS1_3repE0EEENS1_30default_config_static_selectorELNS0_4arch9wavefront6targetE1EEEvSW_.has_indirect_call, 0
	.section	.AMDGPU.csdata,"",@progbits
; Kernel info:
; codeLenInByte = 0
; TotalNumSgprs: 4
; NumVgprs: 0
; ScratchSize: 0
; MemoryBound: 0
; FloatMode: 240
; IeeeMode: 1
; LDSByteSize: 0 bytes/workgroup (compile time only)
; SGPRBlocks: 0
; VGPRBlocks: 0
; NumSGPRsForWavesPerEU: 4
; NumVGPRsForWavesPerEU: 1
; Occupancy: 10
; WaveLimiterHint : 0
; COMPUTE_PGM_RSRC2:SCRATCH_EN: 0
; COMPUTE_PGM_RSRC2:USER_SGPR: 6
; COMPUTE_PGM_RSRC2:TRAP_HANDLER: 0
; COMPUTE_PGM_RSRC2:TGID_X_EN: 1
; COMPUTE_PGM_RSRC2:TGID_Y_EN: 0
; COMPUTE_PGM_RSRC2:TGID_Z_EN: 0
; COMPUTE_PGM_RSRC2:TIDIG_COMP_CNT: 0
	.section	.text._ZN7rocprim17ROCPRIM_400000_NS6detail17trampoline_kernelINS0_14default_configENS1_22reduce_config_selectorIlEEZNS1_11reduce_implILb1ES3_N6thrust23THRUST_200600_302600_NS11hip_rocprim26transform_input_iterator_tIlNS8_12zip_iteratorINS8_5tupleINS8_6detail15normal_iteratorINS8_10device_ptrIdEEEESH_NS8_9null_typeESI_SI_SI_SI_SI_SI_SI_EEEENS9_21zip_adj_not_predicateINS8_8equal_toIdEEEEEEPllNS8_4plusIlEEEE10hipError_tPvRmT1_T2_T3_mT4_P12ihipStream_tbEUlT_E0_NS1_11comp_targetILNS1_3genE9ELNS1_11target_archE1100ELNS1_3gpuE3ELNS1_3repE0EEENS1_30default_config_static_selectorELNS0_4arch9wavefront6targetE1EEEvSW_,"axG",@progbits,_ZN7rocprim17ROCPRIM_400000_NS6detail17trampoline_kernelINS0_14default_configENS1_22reduce_config_selectorIlEEZNS1_11reduce_implILb1ES3_N6thrust23THRUST_200600_302600_NS11hip_rocprim26transform_input_iterator_tIlNS8_12zip_iteratorINS8_5tupleINS8_6detail15normal_iteratorINS8_10device_ptrIdEEEESH_NS8_9null_typeESI_SI_SI_SI_SI_SI_SI_EEEENS9_21zip_adj_not_predicateINS8_8equal_toIdEEEEEEPllNS8_4plusIlEEEE10hipError_tPvRmT1_T2_T3_mT4_P12ihipStream_tbEUlT_E0_NS1_11comp_targetILNS1_3genE9ELNS1_11target_archE1100ELNS1_3gpuE3ELNS1_3repE0EEENS1_30default_config_static_selectorELNS0_4arch9wavefront6targetE1EEEvSW_,comdat
	.protected	_ZN7rocprim17ROCPRIM_400000_NS6detail17trampoline_kernelINS0_14default_configENS1_22reduce_config_selectorIlEEZNS1_11reduce_implILb1ES3_N6thrust23THRUST_200600_302600_NS11hip_rocprim26transform_input_iterator_tIlNS8_12zip_iteratorINS8_5tupleINS8_6detail15normal_iteratorINS8_10device_ptrIdEEEESH_NS8_9null_typeESI_SI_SI_SI_SI_SI_SI_EEEENS9_21zip_adj_not_predicateINS8_8equal_toIdEEEEEEPllNS8_4plusIlEEEE10hipError_tPvRmT1_T2_T3_mT4_P12ihipStream_tbEUlT_E0_NS1_11comp_targetILNS1_3genE9ELNS1_11target_archE1100ELNS1_3gpuE3ELNS1_3repE0EEENS1_30default_config_static_selectorELNS0_4arch9wavefront6targetE1EEEvSW_ ; -- Begin function _ZN7rocprim17ROCPRIM_400000_NS6detail17trampoline_kernelINS0_14default_configENS1_22reduce_config_selectorIlEEZNS1_11reduce_implILb1ES3_N6thrust23THRUST_200600_302600_NS11hip_rocprim26transform_input_iterator_tIlNS8_12zip_iteratorINS8_5tupleINS8_6detail15normal_iteratorINS8_10device_ptrIdEEEESH_NS8_9null_typeESI_SI_SI_SI_SI_SI_SI_EEEENS9_21zip_adj_not_predicateINS8_8equal_toIdEEEEEEPllNS8_4plusIlEEEE10hipError_tPvRmT1_T2_T3_mT4_P12ihipStream_tbEUlT_E0_NS1_11comp_targetILNS1_3genE9ELNS1_11target_archE1100ELNS1_3gpuE3ELNS1_3repE0EEENS1_30default_config_static_selectorELNS0_4arch9wavefront6targetE1EEEvSW_
	.globl	_ZN7rocprim17ROCPRIM_400000_NS6detail17trampoline_kernelINS0_14default_configENS1_22reduce_config_selectorIlEEZNS1_11reduce_implILb1ES3_N6thrust23THRUST_200600_302600_NS11hip_rocprim26transform_input_iterator_tIlNS8_12zip_iteratorINS8_5tupleINS8_6detail15normal_iteratorINS8_10device_ptrIdEEEESH_NS8_9null_typeESI_SI_SI_SI_SI_SI_SI_EEEENS9_21zip_adj_not_predicateINS8_8equal_toIdEEEEEEPllNS8_4plusIlEEEE10hipError_tPvRmT1_T2_T3_mT4_P12ihipStream_tbEUlT_E0_NS1_11comp_targetILNS1_3genE9ELNS1_11target_archE1100ELNS1_3gpuE3ELNS1_3repE0EEENS1_30default_config_static_selectorELNS0_4arch9wavefront6targetE1EEEvSW_
	.p2align	8
	.type	_ZN7rocprim17ROCPRIM_400000_NS6detail17trampoline_kernelINS0_14default_configENS1_22reduce_config_selectorIlEEZNS1_11reduce_implILb1ES3_N6thrust23THRUST_200600_302600_NS11hip_rocprim26transform_input_iterator_tIlNS8_12zip_iteratorINS8_5tupleINS8_6detail15normal_iteratorINS8_10device_ptrIdEEEESH_NS8_9null_typeESI_SI_SI_SI_SI_SI_SI_EEEENS9_21zip_adj_not_predicateINS8_8equal_toIdEEEEEEPllNS8_4plusIlEEEE10hipError_tPvRmT1_T2_T3_mT4_P12ihipStream_tbEUlT_E0_NS1_11comp_targetILNS1_3genE9ELNS1_11target_archE1100ELNS1_3gpuE3ELNS1_3repE0EEENS1_30default_config_static_selectorELNS0_4arch9wavefront6targetE1EEEvSW_,@function
_ZN7rocprim17ROCPRIM_400000_NS6detail17trampoline_kernelINS0_14default_configENS1_22reduce_config_selectorIlEEZNS1_11reduce_implILb1ES3_N6thrust23THRUST_200600_302600_NS11hip_rocprim26transform_input_iterator_tIlNS8_12zip_iteratorINS8_5tupleINS8_6detail15normal_iteratorINS8_10device_ptrIdEEEESH_NS8_9null_typeESI_SI_SI_SI_SI_SI_SI_EEEENS9_21zip_adj_not_predicateINS8_8equal_toIdEEEEEEPllNS8_4plusIlEEEE10hipError_tPvRmT1_T2_T3_mT4_P12ihipStream_tbEUlT_E0_NS1_11comp_targetILNS1_3genE9ELNS1_11target_archE1100ELNS1_3gpuE3ELNS1_3repE0EEENS1_30default_config_static_selectorELNS0_4arch9wavefront6targetE1EEEvSW_: ; @_ZN7rocprim17ROCPRIM_400000_NS6detail17trampoline_kernelINS0_14default_configENS1_22reduce_config_selectorIlEEZNS1_11reduce_implILb1ES3_N6thrust23THRUST_200600_302600_NS11hip_rocprim26transform_input_iterator_tIlNS8_12zip_iteratorINS8_5tupleINS8_6detail15normal_iteratorINS8_10device_ptrIdEEEESH_NS8_9null_typeESI_SI_SI_SI_SI_SI_SI_EEEENS9_21zip_adj_not_predicateINS8_8equal_toIdEEEEEEPllNS8_4plusIlEEEE10hipError_tPvRmT1_T2_T3_mT4_P12ihipStream_tbEUlT_E0_NS1_11comp_targetILNS1_3genE9ELNS1_11target_archE1100ELNS1_3gpuE3ELNS1_3repE0EEENS1_30default_config_static_selectorELNS0_4arch9wavefront6targetE1EEEvSW_
; %bb.0:
	.section	.rodata,"a",@progbits
	.p2align	6, 0x0
	.amdhsa_kernel _ZN7rocprim17ROCPRIM_400000_NS6detail17trampoline_kernelINS0_14default_configENS1_22reduce_config_selectorIlEEZNS1_11reduce_implILb1ES3_N6thrust23THRUST_200600_302600_NS11hip_rocprim26transform_input_iterator_tIlNS8_12zip_iteratorINS8_5tupleINS8_6detail15normal_iteratorINS8_10device_ptrIdEEEESH_NS8_9null_typeESI_SI_SI_SI_SI_SI_SI_EEEENS9_21zip_adj_not_predicateINS8_8equal_toIdEEEEEEPllNS8_4plusIlEEEE10hipError_tPvRmT1_T2_T3_mT4_P12ihipStream_tbEUlT_E0_NS1_11comp_targetILNS1_3genE9ELNS1_11target_archE1100ELNS1_3gpuE3ELNS1_3repE0EEENS1_30default_config_static_selectorELNS0_4arch9wavefront6targetE1EEEvSW_
		.amdhsa_group_segment_fixed_size 0
		.amdhsa_private_segment_fixed_size 0
		.amdhsa_kernarg_size 80
		.amdhsa_user_sgpr_count 6
		.amdhsa_user_sgpr_private_segment_buffer 1
		.amdhsa_user_sgpr_dispatch_ptr 0
		.amdhsa_user_sgpr_queue_ptr 0
		.amdhsa_user_sgpr_kernarg_segment_ptr 1
		.amdhsa_user_sgpr_dispatch_id 0
		.amdhsa_user_sgpr_flat_scratch_init 0
		.amdhsa_user_sgpr_private_segment_size 0
		.amdhsa_uses_dynamic_stack 0
		.amdhsa_system_sgpr_private_segment_wavefront_offset 0
		.amdhsa_system_sgpr_workgroup_id_x 1
		.amdhsa_system_sgpr_workgroup_id_y 0
		.amdhsa_system_sgpr_workgroup_id_z 0
		.amdhsa_system_sgpr_workgroup_info 0
		.amdhsa_system_vgpr_workitem_id 0
		.amdhsa_next_free_vgpr 1
		.amdhsa_next_free_sgpr 0
		.amdhsa_reserve_vcc 0
		.amdhsa_reserve_flat_scratch 0
		.amdhsa_float_round_mode_32 0
		.amdhsa_float_round_mode_16_64 0
		.amdhsa_float_denorm_mode_32 3
		.amdhsa_float_denorm_mode_16_64 3
		.amdhsa_dx10_clamp 1
		.amdhsa_ieee_mode 1
		.amdhsa_fp16_overflow 0
		.amdhsa_exception_fp_ieee_invalid_op 0
		.amdhsa_exception_fp_denorm_src 0
		.amdhsa_exception_fp_ieee_div_zero 0
		.amdhsa_exception_fp_ieee_overflow 0
		.amdhsa_exception_fp_ieee_underflow 0
		.amdhsa_exception_fp_ieee_inexact 0
		.amdhsa_exception_int_div_zero 0
	.end_amdhsa_kernel
	.section	.text._ZN7rocprim17ROCPRIM_400000_NS6detail17trampoline_kernelINS0_14default_configENS1_22reduce_config_selectorIlEEZNS1_11reduce_implILb1ES3_N6thrust23THRUST_200600_302600_NS11hip_rocprim26transform_input_iterator_tIlNS8_12zip_iteratorINS8_5tupleINS8_6detail15normal_iteratorINS8_10device_ptrIdEEEESH_NS8_9null_typeESI_SI_SI_SI_SI_SI_SI_EEEENS9_21zip_adj_not_predicateINS8_8equal_toIdEEEEEEPllNS8_4plusIlEEEE10hipError_tPvRmT1_T2_T3_mT4_P12ihipStream_tbEUlT_E0_NS1_11comp_targetILNS1_3genE9ELNS1_11target_archE1100ELNS1_3gpuE3ELNS1_3repE0EEENS1_30default_config_static_selectorELNS0_4arch9wavefront6targetE1EEEvSW_,"axG",@progbits,_ZN7rocprim17ROCPRIM_400000_NS6detail17trampoline_kernelINS0_14default_configENS1_22reduce_config_selectorIlEEZNS1_11reduce_implILb1ES3_N6thrust23THRUST_200600_302600_NS11hip_rocprim26transform_input_iterator_tIlNS8_12zip_iteratorINS8_5tupleINS8_6detail15normal_iteratorINS8_10device_ptrIdEEEESH_NS8_9null_typeESI_SI_SI_SI_SI_SI_SI_EEEENS9_21zip_adj_not_predicateINS8_8equal_toIdEEEEEEPllNS8_4plusIlEEEE10hipError_tPvRmT1_T2_T3_mT4_P12ihipStream_tbEUlT_E0_NS1_11comp_targetILNS1_3genE9ELNS1_11target_archE1100ELNS1_3gpuE3ELNS1_3repE0EEENS1_30default_config_static_selectorELNS0_4arch9wavefront6targetE1EEEvSW_,comdat
.Lfunc_end750:
	.size	_ZN7rocprim17ROCPRIM_400000_NS6detail17trampoline_kernelINS0_14default_configENS1_22reduce_config_selectorIlEEZNS1_11reduce_implILb1ES3_N6thrust23THRUST_200600_302600_NS11hip_rocprim26transform_input_iterator_tIlNS8_12zip_iteratorINS8_5tupleINS8_6detail15normal_iteratorINS8_10device_ptrIdEEEESH_NS8_9null_typeESI_SI_SI_SI_SI_SI_SI_EEEENS9_21zip_adj_not_predicateINS8_8equal_toIdEEEEEEPllNS8_4plusIlEEEE10hipError_tPvRmT1_T2_T3_mT4_P12ihipStream_tbEUlT_E0_NS1_11comp_targetILNS1_3genE9ELNS1_11target_archE1100ELNS1_3gpuE3ELNS1_3repE0EEENS1_30default_config_static_selectorELNS0_4arch9wavefront6targetE1EEEvSW_, .Lfunc_end750-_ZN7rocprim17ROCPRIM_400000_NS6detail17trampoline_kernelINS0_14default_configENS1_22reduce_config_selectorIlEEZNS1_11reduce_implILb1ES3_N6thrust23THRUST_200600_302600_NS11hip_rocprim26transform_input_iterator_tIlNS8_12zip_iteratorINS8_5tupleINS8_6detail15normal_iteratorINS8_10device_ptrIdEEEESH_NS8_9null_typeESI_SI_SI_SI_SI_SI_SI_EEEENS9_21zip_adj_not_predicateINS8_8equal_toIdEEEEEEPllNS8_4plusIlEEEE10hipError_tPvRmT1_T2_T3_mT4_P12ihipStream_tbEUlT_E0_NS1_11comp_targetILNS1_3genE9ELNS1_11target_archE1100ELNS1_3gpuE3ELNS1_3repE0EEENS1_30default_config_static_selectorELNS0_4arch9wavefront6targetE1EEEvSW_
                                        ; -- End function
	.set _ZN7rocprim17ROCPRIM_400000_NS6detail17trampoline_kernelINS0_14default_configENS1_22reduce_config_selectorIlEEZNS1_11reduce_implILb1ES3_N6thrust23THRUST_200600_302600_NS11hip_rocprim26transform_input_iterator_tIlNS8_12zip_iteratorINS8_5tupleINS8_6detail15normal_iteratorINS8_10device_ptrIdEEEESH_NS8_9null_typeESI_SI_SI_SI_SI_SI_SI_EEEENS9_21zip_adj_not_predicateINS8_8equal_toIdEEEEEEPllNS8_4plusIlEEEE10hipError_tPvRmT1_T2_T3_mT4_P12ihipStream_tbEUlT_E0_NS1_11comp_targetILNS1_3genE9ELNS1_11target_archE1100ELNS1_3gpuE3ELNS1_3repE0EEENS1_30default_config_static_selectorELNS0_4arch9wavefront6targetE1EEEvSW_.num_vgpr, 0
	.set _ZN7rocprim17ROCPRIM_400000_NS6detail17trampoline_kernelINS0_14default_configENS1_22reduce_config_selectorIlEEZNS1_11reduce_implILb1ES3_N6thrust23THRUST_200600_302600_NS11hip_rocprim26transform_input_iterator_tIlNS8_12zip_iteratorINS8_5tupleINS8_6detail15normal_iteratorINS8_10device_ptrIdEEEESH_NS8_9null_typeESI_SI_SI_SI_SI_SI_SI_EEEENS9_21zip_adj_not_predicateINS8_8equal_toIdEEEEEEPllNS8_4plusIlEEEE10hipError_tPvRmT1_T2_T3_mT4_P12ihipStream_tbEUlT_E0_NS1_11comp_targetILNS1_3genE9ELNS1_11target_archE1100ELNS1_3gpuE3ELNS1_3repE0EEENS1_30default_config_static_selectorELNS0_4arch9wavefront6targetE1EEEvSW_.num_agpr, 0
	.set _ZN7rocprim17ROCPRIM_400000_NS6detail17trampoline_kernelINS0_14default_configENS1_22reduce_config_selectorIlEEZNS1_11reduce_implILb1ES3_N6thrust23THRUST_200600_302600_NS11hip_rocprim26transform_input_iterator_tIlNS8_12zip_iteratorINS8_5tupleINS8_6detail15normal_iteratorINS8_10device_ptrIdEEEESH_NS8_9null_typeESI_SI_SI_SI_SI_SI_SI_EEEENS9_21zip_adj_not_predicateINS8_8equal_toIdEEEEEEPllNS8_4plusIlEEEE10hipError_tPvRmT1_T2_T3_mT4_P12ihipStream_tbEUlT_E0_NS1_11comp_targetILNS1_3genE9ELNS1_11target_archE1100ELNS1_3gpuE3ELNS1_3repE0EEENS1_30default_config_static_selectorELNS0_4arch9wavefront6targetE1EEEvSW_.numbered_sgpr, 0
	.set _ZN7rocprim17ROCPRIM_400000_NS6detail17trampoline_kernelINS0_14default_configENS1_22reduce_config_selectorIlEEZNS1_11reduce_implILb1ES3_N6thrust23THRUST_200600_302600_NS11hip_rocprim26transform_input_iterator_tIlNS8_12zip_iteratorINS8_5tupleINS8_6detail15normal_iteratorINS8_10device_ptrIdEEEESH_NS8_9null_typeESI_SI_SI_SI_SI_SI_SI_EEEENS9_21zip_adj_not_predicateINS8_8equal_toIdEEEEEEPllNS8_4plusIlEEEE10hipError_tPvRmT1_T2_T3_mT4_P12ihipStream_tbEUlT_E0_NS1_11comp_targetILNS1_3genE9ELNS1_11target_archE1100ELNS1_3gpuE3ELNS1_3repE0EEENS1_30default_config_static_selectorELNS0_4arch9wavefront6targetE1EEEvSW_.num_named_barrier, 0
	.set _ZN7rocprim17ROCPRIM_400000_NS6detail17trampoline_kernelINS0_14default_configENS1_22reduce_config_selectorIlEEZNS1_11reduce_implILb1ES3_N6thrust23THRUST_200600_302600_NS11hip_rocprim26transform_input_iterator_tIlNS8_12zip_iteratorINS8_5tupleINS8_6detail15normal_iteratorINS8_10device_ptrIdEEEESH_NS8_9null_typeESI_SI_SI_SI_SI_SI_SI_EEEENS9_21zip_adj_not_predicateINS8_8equal_toIdEEEEEEPllNS8_4plusIlEEEE10hipError_tPvRmT1_T2_T3_mT4_P12ihipStream_tbEUlT_E0_NS1_11comp_targetILNS1_3genE9ELNS1_11target_archE1100ELNS1_3gpuE3ELNS1_3repE0EEENS1_30default_config_static_selectorELNS0_4arch9wavefront6targetE1EEEvSW_.private_seg_size, 0
	.set _ZN7rocprim17ROCPRIM_400000_NS6detail17trampoline_kernelINS0_14default_configENS1_22reduce_config_selectorIlEEZNS1_11reduce_implILb1ES3_N6thrust23THRUST_200600_302600_NS11hip_rocprim26transform_input_iterator_tIlNS8_12zip_iteratorINS8_5tupleINS8_6detail15normal_iteratorINS8_10device_ptrIdEEEESH_NS8_9null_typeESI_SI_SI_SI_SI_SI_SI_EEEENS9_21zip_adj_not_predicateINS8_8equal_toIdEEEEEEPllNS8_4plusIlEEEE10hipError_tPvRmT1_T2_T3_mT4_P12ihipStream_tbEUlT_E0_NS1_11comp_targetILNS1_3genE9ELNS1_11target_archE1100ELNS1_3gpuE3ELNS1_3repE0EEENS1_30default_config_static_selectorELNS0_4arch9wavefront6targetE1EEEvSW_.uses_vcc, 0
	.set _ZN7rocprim17ROCPRIM_400000_NS6detail17trampoline_kernelINS0_14default_configENS1_22reduce_config_selectorIlEEZNS1_11reduce_implILb1ES3_N6thrust23THRUST_200600_302600_NS11hip_rocprim26transform_input_iterator_tIlNS8_12zip_iteratorINS8_5tupleINS8_6detail15normal_iteratorINS8_10device_ptrIdEEEESH_NS8_9null_typeESI_SI_SI_SI_SI_SI_SI_EEEENS9_21zip_adj_not_predicateINS8_8equal_toIdEEEEEEPllNS8_4plusIlEEEE10hipError_tPvRmT1_T2_T3_mT4_P12ihipStream_tbEUlT_E0_NS1_11comp_targetILNS1_3genE9ELNS1_11target_archE1100ELNS1_3gpuE3ELNS1_3repE0EEENS1_30default_config_static_selectorELNS0_4arch9wavefront6targetE1EEEvSW_.uses_flat_scratch, 0
	.set _ZN7rocprim17ROCPRIM_400000_NS6detail17trampoline_kernelINS0_14default_configENS1_22reduce_config_selectorIlEEZNS1_11reduce_implILb1ES3_N6thrust23THRUST_200600_302600_NS11hip_rocprim26transform_input_iterator_tIlNS8_12zip_iteratorINS8_5tupleINS8_6detail15normal_iteratorINS8_10device_ptrIdEEEESH_NS8_9null_typeESI_SI_SI_SI_SI_SI_SI_EEEENS9_21zip_adj_not_predicateINS8_8equal_toIdEEEEEEPllNS8_4plusIlEEEE10hipError_tPvRmT1_T2_T3_mT4_P12ihipStream_tbEUlT_E0_NS1_11comp_targetILNS1_3genE9ELNS1_11target_archE1100ELNS1_3gpuE3ELNS1_3repE0EEENS1_30default_config_static_selectorELNS0_4arch9wavefront6targetE1EEEvSW_.has_dyn_sized_stack, 0
	.set _ZN7rocprim17ROCPRIM_400000_NS6detail17trampoline_kernelINS0_14default_configENS1_22reduce_config_selectorIlEEZNS1_11reduce_implILb1ES3_N6thrust23THRUST_200600_302600_NS11hip_rocprim26transform_input_iterator_tIlNS8_12zip_iteratorINS8_5tupleINS8_6detail15normal_iteratorINS8_10device_ptrIdEEEESH_NS8_9null_typeESI_SI_SI_SI_SI_SI_SI_EEEENS9_21zip_adj_not_predicateINS8_8equal_toIdEEEEEEPllNS8_4plusIlEEEE10hipError_tPvRmT1_T2_T3_mT4_P12ihipStream_tbEUlT_E0_NS1_11comp_targetILNS1_3genE9ELNS1_11target_archE1100ELNS1_3gpuE3ELNS1_3repE0EEENS1_30default_config_static_selectorELNS0_4arch9wavefront6targetE1EEEvSW_.has_recursion, 0
	.set _ZN7rocprim17ROCPRIM_400000_NS6detail17trampoline_kernelINS0_14default_configENS1_22reduce_config_selectorIlEEZNS1_11reduce_implILb1ES3_N6thrust23THRUST_200600_302600_NS11hip_rocprim26transform_input_iterator_tIlNS8_12zip_iteratorINS8_5tupleINS8_6detail15normal_iteratorINS8_10device_ptrIdEEEESH_NS8_9null_typeESI_SI_SI_SI_SI_SI_SI_EEEENS9_21zip_adj_not_predicateINS8_8equal_toIdEEEEEEPllNS8_4plusIlEEEE10hipError_tPvRmT1_T2_T3_mT4_P12ihipStream_tbEUlT_E0_NS1_11comp_targetILNS1_3genE9ELNS1_11target_archE1100ELNS1_3gpuE3ELNS1_3repE0EEENS1_30default_config_static_selectorELNS0_4arch9wavefront6targetE1EEEvSW_.has_indirect_call, 0
	.section	.AMDGPU.csdata,"",@progbits
; Kernel info:
; codeLenInByte = 0
; TotalNumSgprs: 4
; NumVgprs: 0
; ScratchSize: 0
; MemoryBound: 0
; FloatMode: 240
; IeeeMode: 1
; LDSByteSize: 0 bytes/workgroup (compile time only)
; SGPRBlocks: 0
; VGPRBlocks: 0
; NumSGPRsForWavesPerEU: 4
; NumVGPRsForWavesPerEU: 1
; Occupancy: 10
; WaveLimiterHint : 0
; COMPUTE_PGM_RSRC2:SCRATCH_EN: 0
; COMPUTE_PGM_RSRC2:USER_SGPR: 6
; COMPUTE_PGM_RSRC2:TRAP_HANDLER: 0
; COMPUTE_PGM_RSRC2:TGID_X_EN: 1
; COMPUTE_PGM_RSRC2:TGID_Y_EN: 0
; COMPUTE_PGM_RSRC2:TGID_Z_EN: 0
; COMPUTE_PGM_RSRC2:TIDIG_COMP_CNT: 0
	.section	.text._ZN7rocprim17ROCPRIM_400000_NS6detail17trampoline_kernelINS0_14default_configENS1_22reduce_config_selectorIlEEZNS1_11reduce_implILb1ES3_N6thrust23THRUST_200600_302600_NS11hip_rocprim26transform_input_iterator_tIlNS8_12zip_iteratorINS8_5tupleINS8_6detail15normal_iteratorINS8_10device_ptrIdEEEESH_NS8_9null_typeESI_SI_SI_SI_SI_SI_SI_EEEENS9_21zip_adj_not_predicateINS8_8equal_toIdEEEEEEPllNS8_4plusIlEEEE10hipError_tPvRmT1_T2_T3_mT4_P12ihipStream_tbEUlT_E0_NS1_11comp_targetILNS1_3genE8ELNS1_11target_archE1030ELNS1_3gpuE2ELNS1_3repE0EEENS1_30default_config_static_selectorELNS0_4arch9wavefront6targetE1EEEvSW_,"axG",@progbits,_ZN7rocprim17ROCPRIM_400000_NS6detail17trampoline_kernelINS0_14default_configENS1_22reduce_config_selectorIlEEZNS1_11reduce_implILb1ES3_N6thrust23THRUST_200600_302600_NS11hip_rocprim26transform_input_iterator_tIlNS8_12zip_iteratorINS8_5tupleINS8_6detail15normal_iteratorINS8_10device_ptrIdEEEESH_NS8_9null_typeESI_SI_SI_SI_SI_SI_SI_EEEENS9_21zip_adj_not_predicateINS8_8equal_toIdEEEEEEPllNS8_4plusIlEEEE10hipError_tPvRmT1_T2_T3_mT4_P12ihipStream_tbEUlT_E0_NS1_11comp_targetILNS1_3genE8ELNS1_11target_archE1030ELNS1_3gpuE2ELNS1_3repE0EEENS1_30default_config_static_selectorELNS0_4arch9wavefront6targetE1EEEvSW_,comdat
	.protected	_ZN7rocprim17ROCPRIM_400000_NS6detail17trampoline_kernelINS0_14default_configENS1_22reduce_config_selectorIlEEZNS1_11reduce_implILb1ES3_N6thrust23THRUST_200600_302600_NS11hip_rocprim26transform_input_iterator_tIlNS8_12zip_iteratorINS8_5tupleINS8_6detail15normal_iteratorINS8_10device_ptrIdEEEESH_NS8_9null_typeESI_SI_SI_SI_SI_SI_SI_EEEENS9_21zip_adj_not_predicateINS8_8equal_toIdEEEEEEPllNS8_4plusIlEEEE10hipError_tPvRmT1_T2_T3_mT4_P12ihipStream_tbEUlT_E0_NS1_11comp_targetILNS1_3genE8ELNS1_11target_archE1030ELNS1_3gpuE2ELNS1_3repE0EEENS1_30default_config_static_selectorELNS0_4arch9wavefront6targetE1EEEvSW_ ; -- Begin function _ZN7rocprim17ROCPRIM_400000_NS6detail17trampoline_kernelINS0_14default_configENS1_22reduce_config_selectorIlEEZNS1_11reduce_implILb1ES3_N6thrust23THRUST_200600_302600_NS11hip_rocprim26transform_input_iterator_tIlNS8_12zip_iteratorINS8_5tupleINS8_6detail15normal_iteratorINS8_10device_ptrIdEEEESH_NS8_9null_typeESI_SI_SI_SI_SI_SI_SI_EEEENS9_21zip_adj_not_predicateINS8_8equal_toIdEEEEEEPllNS8_4plusIlEEEE10hipError_tPvRmT1_T2_T3_mT4_P12ihipStream_tbEUlT_E0_NS1_11comp_targetILNS1_3genE8ELNS1_11target_archE1030ELNS1_3gpuE2ELNS1_3repE0EEENS1_30default_config_static_selectorELNS0_4arch9wavefront6targetE1EEEvSW_
	.globl	_ZN7rocprim17ROCPRIM_400000_NS6detail17trampoline_kernelINS0_14default_configENS1_22reduce_config_selectorIlEEZNS1_11reduce_implILb1ES3_N6thrust23THRUST_200600_302600_NS11hip_rocprim26transform_input_iterator_tIlNS8_12zip_iteratorINS8_5tupleINS8_6detail15normal_iteratorINS8_10device_ptrIdEEEESH_NS8_9null_typeESI_SI_SI_SI_SI_SI_SI_EEEENS9_21zip_adj_not_predicateINS8_8equal_toIdEEEEEEPllNS8_4plusIlEEEE10hipError_tPvRmT1_T2_T3_mT4_P12ihipStream_tbEUlT_E0_NS1_11comp_targetILNS1_3genE8ELNS1_11target_archE1030ELNS1_3gpuE2ELNS1_3repE0EEENS1_30default_config_static_selectorELNS0_4arch9wavefront6targetE1EEEvSW_
	.p2align	8
	.type	_ZN7rocprim17ROCPRIM_400000_NS6detail17trampoline_kernelINS0_14default_configENS1_22reduce_config_selectorIlEEZNS1_11reduce_implILb1ES3_N6thrust23THRUST_200600_302600_NS11hip_rocprim26transform_input_iterator_tIlNS8_12zip_iteratorINS8_5tupleINS8_6detail15normal_iteratorINS8_10device_ptrIdEEEESH_NS8_9null_typeESI_SI_SI_SI_SI_SI_SI_EEEENS9_21zip_adj_not_predicateINS8_8equal_toIdEEEEEEPllNS8_4plusIlEEEE10hipError_tPvRmT1_T2_T3_mT4_P12ihipStream_tbEUlT_E0_NS1_11comp_targetILNS1_3genE8ELNS1_11target_archE1030ELNS1_3gpuE2ELNS1_3repE0EEENS1_30default_config_static_selectorELNS0_4arch9wavefront6targetE1EEEvSW_,@function
_ZN7rocprim17ROCPRIM_400000_NS6detail17trampoline_kernelINS0_14default_configENS1_22reduce_config_selectorIlEEZNS1_11reduce_implILb1ES3_N6thrust23THRUST_200600_302600_NS11hip_rocprim26transform_input_iterator_tIlNS8_12zip_iteratorINS8_5tupleINS8_6detail15normal_iteratorINS8_10device_ptrIdEEEESH_NS8_9null_typeESI_SI_SI_SI_SI_SI_SI_EEEENS9_21zip_adj_not_predicateINS8_8equal_toIdEEEEEEPllNS8_4plusIlEEEE10hipError_tPvRmT1_T2_T3_mT4_P12ihipStream_tbEUlT_E0_NS1_11comp_targetILNS1_3genE8ELNS1_11target_archE1030ELNS1_3gpuE2ELNS1_3repE0EEENS1_30default_config_static_selectorELNS0_4arch9wavefront6targetE1EEEvSW_: ; @_ZN7rocprim17ROCPRIM_400000_NS6detail17trampoline_kernelINS0_14default_configENS1_22reduce_config_selectorIlEEZNS1_11reduce_implILb1ES3_N6thrust23THRUST_200600_302600_NS11hip_rocprim26transform_input_iterator_tIlNS8_12zip_iteratorINS8_5tupleINS8_6detail15normal_iteratorINS8_10device_ptrIdEEEESH_NS8_9null_typeESI_SI_SI_SI_SI_SI_SI_EEEENS9_21zip_adj_not_predicateINS8_8equal_toIdEEEEEEPllNS8_4plusIlEEEE10hipError_tPvRmT1_T2_T3_mT4_P12ihipStream_tbEUlT_E0_NS1_11comp_targetILNS1_3genE8ELNS1_11target_archE1030ELNS1_3gpuE2ELNS1_3repE0EEENS1_30default_config_static_selectorELNS0_4arch9wavefront6targetE1EEEvSW_
; %bb.0:
	.section	.rodata,"a",@progbits
	.p2align	6, 0x0
	.amdhsa_kernel _ZN7rocprim17ROCPRIM_400000_NS6detail17trampoline_kernelINS0_14default_configENS1_22reduce_config_selectorIlEEZNS1_11reduce_implILb1ES3_N6thrust23THRUST_200600_302600_NS11hip_rocprim26transform_input_iterator_tIlNS8_12zip_iteratorINS8_5tupleINS8_6detail15normal_iteratorINS8_10device_ptrIdEEEESH_NS8_9null_typeESI_SI_SI_SI_SI_SI_SI_EEEENS9_21zip_adj_not_predicateINS8_8equal_toIdEEEEEEPllNS8_4plusIlEEEE10hipError_tPvRmT1_T2_T3_mT4_P12ihipStream_tbEUlT_E0_NS1_11comp_targetILNS1_3genE8ELNS1_11target_archE1030ELNS1_3gpuE2ELNS1_3repE0EEENS1_30default_config_static_selectorELNS0_4arch9wavefront6targetE1EEEvSW_
		.amdhsa_group_segment_fixed_size 0
		.amdhsa_private_segment_fixed_size 0
		.amdhsa_kernarg_size 80
		.amdhsa_user_sgpr_count 6
		.amdhsa_user_sgpr_private_segment_buffer 1
		.amdhsa_user_sgpr_dispatch_ptr 0
		.amdhsa_user_sgpr_queue_ptr 0
		.amdhsa_user_sgpr_kernarg_segment_ptr 1
		.amdhsa_user_sgpr_dispatch_id 0
		.amdhsa_user_sgpr_flat_scratch_init 0
		.amdhsa_user_sgpr_private_segment_size 0
		.amdhsa_uses_dynamic_stack 0
		.amdhsa_system_sgpr_private_segment_wavefront_offset 0
		.amdhsa_system_sgpr_workgroup_id_x 1
		.amdhsa_system_sgpr_workgroup_id_y 0
		.amdhsa_system_sgpr_workgroup_id_z 0
		.amdhsa_system_sgpr_workgroup_info 0
		.amdhsa_system_vgpr_workitem_id 0
		.amdhsa_next_free_vgpr 1
		.amdhsa_next_free_sgpr 0
		.amdhsa_reserve_vcc 0
		.amdhsa_reserve_flat_scratch 0
		.amdhsa_float_round_mode_32 0
		.amdhsa_float_round_mode_16_64 0
		.amdhsa_float_denorm_mode_32 3
		.amdhsa_float_denorm_mode_16_64 3
		.amdhsa_dx10_clamp 1
		.amdhsa_ieee_mode 1
		.amdhsa_fp16_overflow 0
		.amdhsa_exception_fp_ieee_invalid_op 0
		.amdhsa_exception_fp_denorm_src 0
		.amdhsa_exception_fp_ieee_div_zero 0
		.amdhsa_exception_fp_ieee_overflow 0
		.amdhsa_exception_fp_ieee_underflow 0
		.amdhsa_exception_fp_ieee_inexact 0
		.amdhsa_exception_int_div_zero 0
	.end_amdhsa_kernel
	.section	.text._ZN7rocprim17ROCPRIM_400000_NS6detail17trampoline_kernelINS0_14default_configENS1_22reduce_config_selectorIlEEZNS1_11reduce_implILb1ES3_N6thrust23THRUST_200600_302600_NS11hip_rocprim26transform_input_iterator_tIlNS8_12zip_iteratorINS8_5tupleINS8_6detail15normal_iteratorINS8_10device_ptrIdEEEESH_NS8_9null_typeESI_SI_SI_SI_SI_SI_SI_EEEENS9_21zip_adj_not_predicateINS8_8equal_toIdEEEEEEPllNS8_4plusIlEEEE10hipError_tPvRmT1_T2_T3_mT4_P12ihipStream_tbEUlT_E0_NS1_11comp_targetILNS1_3genE8ELNS1_11target_archE1030ELNS1_3gpuE2ELNS1_3repE0EEENS1_30default_config_static_selectorELNS0_4arch9wavefront6targetE1EEEvSW_,"axG",@progbits,_ZN7rocprim17ROCPRIM_400000_NS6detail17trampoline_kernelINS0_14default_configENS1_22reduce_config_selectorIlEEZNS1_11reduce_implILb1ES3_N6thrust23THRUST_200600_302600_NS11hip_rocprim26transform_input_iterator_tIlNS8_12zip_iteratorINS8_5tupleINS8_6detail15normal_iteratorINS8_10device_ptrIdEEEESH_NS8_9null_typeESI_SI_SI_SI_SI_SI_SI_EEEENS9_21zip_adj_not_predicateINS8_8equal_toIdEEEEEEPllNS8_4plusIlEEEE10hipError_tPvRmT1_T2_T3_mT4_P12ihipStream_tbEUlT_E0_NS1_11comp_targetILNS1_3genE8ELNS1_11target_archE1030ELNS1_3gpuE2ELNS1_3repE0EEENS1_30default_config_static_selectorELNS0_4arch9wavefront6targetE1EEEvSW_,comdat
.Lfunc_end751:
	.size	_ZN7rocprim17ROCPRIM_400000_NS6detail17trampoline_kernelINS0_14default_configENS1_22reduce_config_selectorIlEEZNS1_11reduce_implILb1ES3_N6thrust23THRUST_200600_302600_NS11hip_rocprim26transform_input_iterator_tIlNS8_12zip_iteratorINS8_5tupleINS8_6detail15normal_iteratorINS8_10device_ptrIdEEEESH_NS8_9null_typeESI_SI_SI_SI_SI_SI_SI_EEEENS9_21zip_adj_not_predicateINS8_8equal_toIdEEEEEEPllNS8_4plusIlEEEE10hipError_tPvRmT1_T2_T3_mT4_P12ihipStream_tbEUlT_E0_NS1_11comp_targetILNS1_3genE8ELNS1_11target_archE1030ELNS1_3gpuE2ELNS1_3repE0EEENS1_30default_config_static_selectorELNS0_4arch9wavefront6targetE1EEEvSW_, .Lfunc_end751-_ZN7rocprim17ROCPRIM_400000_NS6detail17trampoline_kernelINS0_14default_configENS1_22reduce_config_selectorIlEEZNS1_11reduce_implILb1ES3_N6thrust23THRUST_200600_302600_NS11hip_rocprim26transform_input_iterator_tIlNS8_12zip_iteratorINS8_5tupleINS8_6detail15normal_iteratorINS8_10device_ptrIdEEEESH_NS8_9null_typeESI_SI_SI_SI_SI_SI_SI_EEEENS9_21zip_adj_not_predicateINS8_8equal_toIdEEEEEEPllNS8_4plusIlEEEE10hipError_tPvRmT1_T2_T3_mT4_P12ihipStream_tbEUlT_E0_NS1_11comp_targetILNS1_3genE8ELNS1_11target_archE1030ELNS1_3gpuE2ELNS1_3repE0EEENS1_30default_config_static_selectorELNS0_4arch9wavefront6targetE1EEEvSW_
                                        ; -- End function
	.set _ZN7rocprim17ROCPRIM_400000_NS6detail17trampoline_kernelINS0_14default_configENS1_22reduce_config_selectorIlEEZNS1_11reduce_implILb1ES3_N6thrust23THRUST_200600_302600_NS11hip_rocprim26transform_input_iterator_tIlNS8_12zip_iteratorINS8_5tupleINS8_6detail15normal_iteratorINS8_10device_ptrIdEEEESH_NS8_9null_typeESI_SI_SI_SI_SI_SI_SI_EEEENS9_21zip_adj_not_predicateINS8_8equal_toIdEEEEEEPllNS8_4plusIlEEEE10hipError_tPvRmT1_T2_T3_mT4_P12ihipStream_tbEUlT_E0_NS1_11comp_targetILNS1_3genE8ELNS1_11target_archE1030ELNS1_3gpuE2ELNS1_3repE0EEENS1_30default_config_static_selectorELNS0_4arch9wavefront6targetE1EEEvSW_.num_vgpr, 0
	.set _ZN7rocprim17ROCPRIM_400000_NS6detail17trampoline_kernelINS0_14default_configENS1_22reduce_config_selectorIlEEZNS1_11reduce_implILb1ES3_N6thrust23THRUST_200600_302600_NS11hip_rocprim26transform_input_iterator_tIlNS8_12zip_iteratorINS8_5tupleINS8_6detail15normal_iteratorINS8_10device_ptrIdEEEESH_NS8_9null_typeESI_SI_SI_SI_SI_SI_SI_EEEENS9_21zip_adj_not_predicateINS8_8equal_toIdEEEEEEPllNS8_4plusIlEEEE10hipError_tPvRmT1_T2_T3_mT4_P12ihipStream_tbEUlT_E0_NS1_11comp_targetILNS1_3genE8ELNS1_11target_archE1030ELNS1_3gpuE2ELNS1_3repE0EEENS1_30default_config_static_selectorELNS0_4arch9wavefront6targetE1EEEvSW_.num_agpr, 0
	.set _ZN7rocprim17ROCPRIM_400000_NS6detail17trampoline_kernelINS0_14default_configENS1_22reduce_config_selectorIlEEZNS1_11reduce_implILb1ES3_N6thrust23THRUST_200600_302600_NS11hip_rocprim26transform_input_iterator_tIlNS8_12zip_iteratorINS8_5tupleINS8_6detail15normal_iteratorINS8_10device_ptrIdEEEESH_NS8_9null_typeESI_SI_SI_SI_SI_SI_SI_EEEENS9_21zip_adj_not_predicateINS8_8equal_toIdEEEEEEPllNS8_4plusIlEEEE10hipError_tPvRmT1_T2_T3_mT4_P12ihipStream_tbEUlT_E0_NS1_11comp_targetILNS1_3genE8ELNS1_11target_archE1030ELNS1_3gpuE2ELNS1_3repE0EEENS1_30default_config_static_selectorELNS0_4arch9wavefront6targetE1EEEvSW_.numbered_sgpr, 0
	.set _ZN7rocprim17ROCPRIM_400000_NS6detail17trampoline_kernelINS0_14default_configENS1_22reduce_config_selectorIlEEZNS1_11reduce_implILb1ES3_N6thrust23THRUST_200600_302600_NS11hip_rocprim26transform_input_iterator_tIlNS8_12zip_iteratorINS8_5tupleINS8_6detail15normal_iteratorINS8_10device_ptrIdEEEESH_NS8_9null_typeESI_SI_SI_SI_SI_SI_SI_EEEENS9_21zip_adj_not_predicateINS8_8equal_toIdEEEEEEPllNS8_4plusIlEEEE10hipError_tPvRmT1_T2_T3_mT4_P12ihipStream_tbEUlT_E0_NS1_11comp_targetILNS1_3genE8ELNS1_11target_archE1030ELNS1_3gpuE2ELNS1_3repE0EEENS1_30default_config_static_selectorELNS0_4arch9wavefront6targetE1EEEvSW_.num_named_barrier, 0
	.set _ZN7rocprim17ROCPRIM_400000_NS6detail17trampoline_kernelINS0_14default_configENS1_22reduce_config_selectorIlEEZNS1_11reduce_implILb1ES3_N6thrust23THRUST_200600_302600_NS11hip_rocprim26transform_input_iterator_tIlNS8_12zip_iteratorINS8_5tupleINS8_6detail15normal_iteratorINS8_10device_ptrIdEEEESH_NS8_9null_typeESI_SI_SI_SI_SI_SI_SI_EEEENS9_21zip_adj_not_predicateINS8_8equal_toIdEEEEEEPllNS8_4plusIlEEEE10hipError_tPvRmT1_T2_T3_mT4_P12ihipStream_tbEUlT_E0_NS1_11comp_targetILNS1_3genE8ELNS1_11target_archE1030ELNS1_3gpuE2ELNS1_3repE0EEENS1_30default_config_static_selectorELNS0_4arch9wavefront6targetE1EEEvSW_.private_seg_size, 0
	.set _ZN7rocprim17ROCPRIM_400000_NS6detail17trampoline_kernelINS0_14default_configENS1_22reduce_config_selectorIlEEZNS1_11reduce_implILb1ES3_N6thrust23THRUST_200600_302600_NS11hip_rocprim26transform_input_iterator_tIlNS8_12zip_iteratorINS8_5tupleINS8_6detail15normal_iteratorINS8_10device_ptrIdEEEESH_NS8_9null_typeESI_SI_SI_SI_SI_SI_SI_EEEENS9_21zip_adj_not_predicateINS8_8equal_toIdEEEEEEPllNS8_4plusIlEEEE10hipError_tPvRmT1_T2_T3_mT4_P12ihipStream_tbEUlT_E0_NS1_11comp_targetILNS1_3genE8ELNS1_11target_archE1030ELNS1_3gpuE2ELNS1_3repE0EEENS1_30default_config_static_selectorELNS0_4arch9wavefront6targetE1EEEvSW_.uses_vcc, 0
	.set _ZN7rocprim17ROCPRIM_400000_NS6detail17trampoline_kernelINS0_14default_configENS1_22reduce_config_selectorIlEEZNS1_11reduce_implILb1ES3_N6thrust23THRUST_200600_302600_NS11hip_rocprim26transform_input_iterator_tIlNS8_12zip_iteratorINS8_5tupleINS8_6detail15normal_iteratorINS8_10device_ptrIdEEEESH_NS8_9null_typeESI_SI_SI_SI_SI_SI_SI_EEEENS9_21zip_adj_not_predicateINS8_8equal_toIdEEEEEEPllNS8_4plusIlEEEE10hipError_tPvRmT1_T2_T3_mT4_P12ihipStream_tbEUlT_E0_NS1_11comp_targetILNS1_3genE8ELNS1_11target_archE1030ELNS1_3gpuE2ELNS1_3repE0EEENS1_30default_config_static_selectorELNS0_4arch9wavefront6targetE1EEEvSW_.uses_flat_scratch, 0
	.set _ZN7rocprim17ROCPRIM_400000_NS6detail17trampoline_kernelINS0_14default_configENS1_22reduce_config_selectorIlEEZNS1_11reduce_implILb1ES3_N6thrust23THRUST_200600_302600_NS11hip_rocprim26transform_input_iterator_tIlNS8_12zip_iteratorINS8_5tupleINS8_6detail15normal_iteratorINS8_10device_ptrIdEEEESH_NS8_9null_typeESI_SI_SI_SI_SI_SI_SI_EEEENS9_21zip_adj_not_predicateINS8_8equal_toIdEEEEEEPllNS8_4plusIlEEEE10hipError_tPvRmT1_T2_T3_mT4_P12ihipStream_tbEUlT_E0_NS1_11comp_targetILNS1_3genE8ELNS1_11target_archE1030ELNS1_3gpuE2ELNS1_3repE0EEENS1_30default_config_static_selectorELNS0_4arch9wavefront6targetE1EEEvSW_.has_dyn_sized_stack, 0
	.set _ZN7rocprim17ROCPRIM_400000_NS6detail17trampoline_kernelINS0_14default_configENS1_22reduce_config_selectorIlEEZNS1_11reduce_implILb1ES3_N6thrust23THRUST_200600_302600_NS11hip_rocprim26transform_input_iterator_tIlNS8_12zip_iteratorINS8_5tupleINS8_6detail15normal_iteratorINS8_10device_ptrIdEEEESH_NS8_9null_typeESI_SI_SI_SI_SI_SI_SI_EEEENS9_21zip_adj_not_predicateINS8_8equal_toIdEEEEEEPllNS8_4plusIlEEEE10hipError_tPvRmT1_T2_T3_mT4_P12ihipStream_tbEUlT_E0_NS1_11comp_targetILNS1_3genE8ELNS1_11target_archE1030ELNS1_3gpuE2ELNS1_3repE0EEENS1_30default_config_static_selectorELNS0_4arch9wavefront6targetE1EEEvSW_.has_recursion, 0
	.set _ZN7rocprim17ROCPRIM_400000_NS6detail17trampoline_kernelINS0_14default_configENS1_22reduce_config_selectorIlEEZNS1_11reduce_implILb1ES3_N6thrust23THRUST_200600_302600_NS11hip_rocprim26transform_input_iterator_tIlNS8_12zip_iteratorINS8_5tupleINS8_6detail15normal_iteratorINS8_10device_ptrIdEEEESH_NS8_9null_typeESI_SI_SI_SI_SI_SI_SI_EEEENS9_21zip_adj_not_predicateINS8_8equal_toIdEEEEEEPllNS8_4plusIlEEEE10hipError_tPvRmT1_T2_T3_mT4_P12ihipStream_tbEUlT_E0_NS1_11comp_targetILNS1_3genE8ELNS1_11target_archE1030ELNS1_3gpuE2ELNS1_3repE0EEENS1_30default_config_static_selectorELNS0_4arch9wavefront6targetE1EEEvSW_.has_indirect_call, 0
	.section	.AMDGPU.csdata,"",@progbits
; Kernel info:
; codeLenInByte = 0
; TotalNumSgprs: 4
; NumVgprs: 0
; ScratchSize: 0
; MemoryBound: 0
; FloatMode: 240
; IeeeMode: 1
; LDSByteSize: 0 bytes/workgroup (compile time only)
; SGPRBlocks: 0
; VGPRBlocks: 0
; NumSGPRsForWavesPerEU: 4
; NumVGPRsForWavesPerEU: 1
; Occupancy: 10
; WaveLimiterHint : 0
; COMPUTE_PGM_RSRC2:SCRATCH_EN: 0
; COMPUTE_PGM_RSRC2:USER_SGPR: 6
; COMPUTE_PGM_RSRC2:TRAP_HANDLER: 0
; COMPUTE_PGM_RSRC2:TGID_X_EN: 1
; COMPUTE_PGM_RSRC2:TGID_Y_EN: 0
; COMPUTE_PGM_RSRC2:TGID_Z_EN: 0
; COMPUTE_PGM_RSRC2:TIDIG_COMP_CNT: 0
	.section	.text._ZN7rocprim17ROCPRIM_400000_NS6detail17trampoline_kernelINS0_14default_configENS1_22reduce_config_selectorIlEEZNS1_11reduce_implILb1ES3_N6thrust23THRUST_200600_302600_NS11hip_rocprim26transform_input_iterator_tIlNS8_12zip_iteratorINS8_5tupleINS8_6detail15normal_iteratorINS8_10device_ptrIdEEEESH_NS8_9null_typeESI_SI_SI_SI_SI_SI_SI_EEEENS9_21zip_adj_not_predicateINS8_8equal_toIdEEEEEEPllNS8_4plusIlEEEE10hipError_tPvRmT1_T2_T3_mT4_P12ihipStream_tbEUlT_E1_NS1_11comp_targetILNS1_3genE0ELNS1_11target_archE4294967295ELNS1_3gpuE0ELNS1_3repE0EEENS1_30default_config_static_selectorELNS0_4arch9wavefront6targetE1EEEvSW_,"axG",@progbits,_ZN7rocprim17ROCPRIM_400000_NS6detail17trampoline_kernelINS0_14default_configENS1_22reduce_config_selectorIlEEZNS1_11reduce_implILb1ES3_N6thrust23THRUST_200600_302600_NS11hip_rocprim26transform_input_iterator_tIlNS8_12zip_iteratorINS8_5tupleINS8_6detail15normal_iteratorINS8_10device_ptrIdEEEESH_NS8_9null_typeESI_SI_SI_SI_SI_SI_SI_EEEENS9_21zip_adj_not_predicateINS8_8equal_toIdEEEEEEPllNS8_4plusIlEEEE10hipError_tPvRmT1_T2_T3_mT4_P12ihipStream_tbEUlT_E1_NS1_11comp_targetILNS1_3genE0ELNS1_11target_archE4294967295ELNS1_3gpuE0ELNS1_3repE0EEENS1_30default_config_static_selectorELNS0_4arch9wavefront6targetE1EEEvSW_,comdat
	.protected	_ZN7rocprim17ROCPRIM_400000_NS6detail17trampoline_kernelINS0_14default_configENS1_22reduce_config_selectorIlEEZNS1_11reduce_implILb1ES3_N6thrust23THRUST_200600_302600_NS11hip_rocprim26transform_input_iterator_tIlNS8_12zip_iteratorINS8_5tupleINS8_6detail15normal_iteratorINS8_10device_ptrIdEEEESH_NS8_9null_typeESI_SI_SI_SI_SI_SI_SI_EEEENS9_21zip_adj_not_predicateINS8_8equal_toIdEEEEEEPllNS8_4plusIlEEEE10hipError_tPvRmT1_T2_T3_mT4_P12ihipStream_tbEUlT_E1_NS1_11comp_targetILNS1_3genE0ELNS1_11target_archE4294967295ELNS1_3gpuE0ELNS1_3repE0EEENS1_30default_config_static_selectorELNS0_4arch9wavefront6targetE1EEEvSW_ ; -- Begin function _ZN7rocprim17ROCPRIM_400000_NS6detail17trampoline_kernelINS0_14default_configENS1_22reduce_config_selectorIlEEZNS1_11reduce_implILb1ES3_N6thrust23THRUST_200600_302600_NS11hip_rocprim26transform_input_iterator_tIlNS8_12zip_iteratorINS8_5tupleINS8_6detail15normal_iteratorINS8_10device_ptrIdEEEESH_NS8_9null_typeESI_SI_SI_SI_SI_SI_SI_EEEENS9_21zip_adj_not_predicateINS8_8equal_toIdEEEEEEPllNS8_4plusIlEEEE10hipError_tPvRmT1_T2_T3_mT4_P12ihipStream_tbEUlT_E1_NS1_11comp_targetILNS1_3genE0ELNS1_11target_archE4294967295ELNS1_3gpuE0ELNS1_3repE0EEENS1_30default_config_static_selectorELNS0_4arch9wavefront6targetE1EEEvSW_
	.globl	_ZN7rocprim17ROCPRIM_400000_NS6detail17trampoline_kernelINS0_14default_configENS1_22reduce_config_selectorIlEEZNS1_11reduce_implILb1ES3_N6thrust23THRUST_200600_302600_NS11hip_rocprim26transform_input_iterator_tIlNS8_12zip_iteratorINS8_5tupleINS8_6detail15normal_iteratorINS8_10device_ptrIdEEEESH_NS8_9null_typeESI_SI_SI_SI_SI_SI_SI_EEEENS9_21zip_adj_not_predicateINS8_8equal_toIdEEEEEEPllNS8_4plusIlEEEE10hipError_tPvRmT1_T2_T3_mT4_P12ihipStream_tbEUlT_E1_NS1_11comp_targetILNS1_3genE0ELNS1_11target_archE4294967295ELNS1_3gpuE0ELNS1_3repE0EEENS1_30default_config_static_selectorELNS0_4arch9wavefront6targetE1EEEvSW_
	.p2align	8
	.type	_ZN7rocprim17ROCPRIM_400000_NS6detail17trampoline_kernelINS0_14default_configENS1_22reduce_config_selectorIlEEZNS1_11reduce_implILb1ES3_N6thrust23THRUST_200600_302600_NS11hip_rocprim26transform_input_iterator_tIlNS8_12zip_iteratorINS8_5tupleINS8_6detail15normal_iteratorINS8_10device_ptrIdEEEESH_NS8_9null_typeESI_SI_SI_SI_SI_SI_SI_EEEENS9_21zip_adj_not_predicateINS8_8equal_toIdEEEEEEPllNS8_4plusIlEEEE10hipError_tPvRmT1_T2_T3_mT4_P12ihipStream_tbEUlT_E1_NS1_11comp_targetILNS1_3genE0ELNS1_11target_archE4294967295ELNS1_3gpuE0ELNS1_3repE0EEENS1_30default_config_static_selectorELNS0_4arch9wavefront6targetE1EEEvSW_,@function
_ZN7rocprim17ROCPRIM_400000_NS6detail17trampoline_kernelINS0_14default_configENS1_22reduce_config_selectorIlEEZNS1_11reduce_implILb1ES3_N6thrust23THRUST_200600_302600_NS11hip_rocprim26transform_input_iterator_tIlNS8_12zip_iteratorINS8_5tupleINS8_6detail15normal_iteratorINS8_10device_ptrIdEEEESH_NS8_9null_typeESI_SI_SI_SI_SI_SI_SI_EEEENS9_21zip_adj_not_predicateINS8_8equal_toIdEEEEEEPllNS8_4plusIlEEEE10hipError_tPvRmT1_T2_T3_mT4_P12ihipStream_tbEUlT_E1_NS1_11comp_targetILNS1_3genE0ELNS1_11target_archE4294967295ELNS1_3gpuE0ELNS1_3repE0EEENS1_30default_config_static_selectorELNS0_4arch9wavefront6targetE1EEEvSW_: ; @_ZN7rocprim17ROCPRIM_400000_NS6detail17trampoline_kernelINS0_14default_configENS1_22reduce_config_selectorIlEEZNS1_11reduce_implILb1ES3_N6thrust23THRUST_200600_302600_NS11hip_rocprim26transform_input_iterator_tIlNS8_12zip_iteratorINS8_5tupleINS8_6detail15normal_iteratorINS8_10device_ptrIdEEEESH_NS8_9null_typeESI_SI_SI_SI_SI_SI_SI_EEEENS9_21zip_adj_not_predicateINS8_8equal_toIdEEEEEEPllNS8_4plusIlEEEE10hipError_tPvRmT1_T2_T3_mT4_P12ihipStream_tbEUlT_E1_NS1_11comp_targetILNS1_3genE0ELNS1_11target_archE4294967295ELNS1_3gpuE0ELNS1_3repE0EEENS1_30default_config_static_selectorELNS0_4arch9wavefront6targetE1EEEvSW_
; %bb.0:
	.section	.rodata,"a",@progbits
	.p2align	6, 0x0
	.amdhsa_kernel _ZN7rocprim17ROCPRIM_400000_NS6detail17trampoline_kernelINS0_14default_configENS1_22reduce_config_selectorIlEEZNS1_11reduce_implILb1ES3_N6thrust23THRUST_200600_302600_NS11hip_rocprim26transform_input_iterator_tIlNS8_12zip_iteratorINS8_5tupleINS8_6detail15normal_iteratorINS8_10device_ptrIdEEEESH_NS8_9null_typeESI_SI_SI_SI_SI_SI_SI_EEEENS9_21zip_adj_not_predicateINS8_8equal_toIdEEEEEEPllNS8_4plusIlEEEE10hipError_tPvRmT1_T2_T3_mT4_P12ihipStream_tbEUlT_E1_NS1_11comp_targetILNS1_3genE0ELNS1_11target_archE4294967295ELNS1_3gpuE0ELNS1_3repE0EEENS1_30default_config_static_selectorELNS0_4arch9wavefront6targetE1EEEvSW_
		.amdhsa_group_segment_fixed_size 0
		.amdhsa_private_segment_fixed_size 0
		.amdhsa_kernarg_size 64
		.amdhsa_user_sgpr_count 6
		.amdhsa_user_sgpr_private_segment_buffer 1
		.amdhsa_user_sgpr_dispatch_ptr 0
		.amdhsa_user_sgpr_queue_ptr 0
		.amdhsa_user_sgpr_kernarg_segment_ptr 1
		.amdhsa_user_sgpr_dispatch_id 0
		.amdhsa_user_sgpr_flat_scratch_init 0
		.amdhsa_user_sgpr_private_segment_size 0
		.amdhsa_uses_dynamic_stack 0
		.amdhsa_system_sgpr_private_segment_wavefront_offset 0
		.amdhsa_system_sgpr_workgroup_id_x 1
		.amdhsa_system_sgpr_workgroup_id_y 0
		.amdhsa_system_sgpr_workgroup_id_z 0
		.amdhsa_system_sgpr_workgroup_info 0
		.amdhsa_system_vgpr_workitem_id 0
		.amdhsa_next_free_vgpr 1
		.amdhsa_next_free_sgpr 0
		.amdhsa_reserve_vcc 0
		.amdhsa_reserve_flat_scratch 0
		.amdhsa_float_round_mode_32 0
		.amdhsa_float_round_mode_16_64 0
		.amdhsa_float_denorm_mode_32 3
		.amdhsa_float_denorm_mode_16_64 3
		.amdhsa_dx10_clamp 1
		.amdhsa_ieee_mode 1
		.amdhsa_fp16_overflow 0
		.amdhsa_exception_fp_ieee_invalid_op 0
		.amdhsa_exception_fp_denorm_src 0
		.amdhsa_exception_fp_ieee_div_zero 0
		.amdhsa_exception_fp_ieee_overflow 0
		.amdhsa_exception_fp_ieee_underflow 0
		.amdhsa_exception_fp_ieee_inexact 0
		.amdhsa_exception_int_div_zero 0
	.end_amdhsa_kernel
	.section	.text._ZN7rocprim17ROCPRIM_400000_NS6detail17trampoline_kernelINS0_14default_configENS1_22reduce_config_selectorIlEEZNS1_11reduce_implILb1ES3_N6thrust23THRUST_200600_302600_NS11hip_rocprim26transform_input_iterator_tIlNS8_12zip_iteratorINS8_5tupleINS8_6detail15normal_iteratorINS8_10device_ptrIdEEEESH_NS8_9null_typeESI_SI_SI_SI_SI_SI_SI_EEEENS9_21zip_adj_not_predicateINS8_8equal_toIdEEEEEEPllNS8_4plusIlEEEE10hipError_tPvRmT1_T2_T3_mT4_P12ihipStream_tbEUlT_E1_NS1_11comp_targetILNS1_3genE0ELNS1_11target_archE4294967295ELNS1_3gpuE0ELNS1_3repE0EEENS1_30default_config_static_selectorELNS0_4arch9wavefront6targetE1EEEvSW_,"axG",@progbits,_ZN7rocprim17ROCPRIM_400000_NS6detail17trampoline_kernelINS0_14default_configENS1_22reduce_config_selectorIlEEZNS1_11reduce_implILb1ES3_N6thrust23THRUST_200600_302600_NS11hip_rocprim26transform_input_iterator_tIlNS8_12zip_iteratorINS8_5tupleINS8_6detail15normal_iteratorINS8_10device_ptrIdEEEESH_NS8_9null_typeESI_SI_SI_SI_SI_SI_SI_EEEENS9_21zip_adj_not_predicateINS8_8equal_toIdEEEEEEPllNS8_4plusIlEEEE10hipError_tPvRmT1_T2_T3_mT4_P12ihipStream_tbEUlT_E1_NS1_11comp_targetILNS1_3genE0ELNS1_11target_archE4294967295ELNS1_3gpuE0ELNS1_3repE0EEENS1_30default_config_static_selectorELNS0_4arch9wavefront6targetE1EEEvSW_,comdat
.Lfunc_end752:
	.size	_ZN7rocprim17ROCPRIM_400000_NS6detail17trampoline_kernelINS0_14default_configENS1_22reduce_config_selectorIlEEZNS1_11reduce_implILb1ES3_N6thrust23THRUST_200600_302600_NS11hip_rocprim26transform_input_iterator_tIlNS8_12zip_iteratorINS8_5tupleINS8_6detail15normal_iteratorINS8_10device_ptrIdEEEESH_NS8_9null_typeESI_SI_SI_SI_SI_SI_SI_EEEENS9_21zip_adj_not_predicateINS8_8equal_toIdEEEEEEPllNS8_4plusIlEEEE10hipError_tPvRmT1_T2_T3_mT4_P12ihipStream_tbEUlT_E1_NS1_11comp_targetILNS1_3genE0ELNS1_11target_archE4294967295ELNS1_3gpuE0ELNS1_3repE0EEENS1_30default_config_static_selectorELNS0_4arch9wavefront6targetE1EEEvSW_, .Lfunc_end752-_ZN7rocprim17ROCPRIM_400000_NS6detail17trampoline_kernelINS0_14default_configENS1_22reduce_config_selectorIlEEZNS1_11reduce_implILb1ES3_N6thrust23THRUST_200600_302600_NS11hip_rocprim26transform_input_iterator_tIlNS8_12zip_iteratorINS8_5tupleINS8_6detail15normal_iteratorINS8_10device_ptrIdEEEESH_NS8_9null_typeESI_SI_SI_SI_SI_SI_SI_EEEENS9_21zip_adj_not_predicateINS8_8equal_toIdEEEEEEPllNS8_4plusIlEEEE10hipError_tPvRmT1_T2_T3_mT4_P12ihipStream_tbEUlT_E1_NS1_11comp_targetILNS1_3genE0ELNS1_11target_archE4294967295ELNS1_3gpuE0ELNS1_3repE0EEENS1_30default_config_static_selectorELNS0_4arch9wavefront6targetE1EEEvSW_
                                        ; -- End function
	.set _ZN7rocprim17ROCPRIM_400000_NS6detail17trampoline_kernelINS0_14default_configENS1_22reduce_config_selectorIlEEZNS1_11reduce_implILb1ES3_N6thrust23THRUST_200600_302600_NS11hip_rocprim26transform_input_iterator_tIlNS8_12zip_iteratorINS8_5tupleINS8_6detail15normal_iteratorINS8_10device_ptrIdEEEESH_NS8_9null_typeESI_SI_SI_SI_SI_SI_SI_EEEENS9_21zip_adj_not_predicateINS8_8equal_toIdEEEEEEPllNS8_4plusIlEEEE10hipError_tPvRmT1_T2_T3_mT4_P12ihipStream_tbEUlT_E1_NS1_11comp_targetILNS1_3genE0ELNS1_11target_archE4294967295ELNS1_3gpuE0ELNS1_3repE0EEENS1_30default_config_static_selectorELNS0_4arch9wavefront6targetE1EEEvSW_.num_vgpr, 0
	.set _ZN7rocprim17ROCPRIM_400000_NS6detail17trampoline_kernelINS0_14default_configENS1_22reduce_config_selectorIlEEZNS1_11reduce_implILb1ES3_N6thrust23THRUST_200600_302600_NS11hip_rocprim26transform_input_iterator_tIlNS8_12zip_iteratorINS8_5tupleINS8_6detail15normal_iteratorINS8_10device_ptrIdEEEESH_NS8_9null_typeESI_SI_SI_SI_SI_SI_SI_EEEENS9_21zip_adj_not_predicateINS8_8equal_toIdEEEEEEPllNS8_4plusIlEEEE10hipError_tPvRmT1_T2_T3_mT4_P12ihipStream_tbEUlT_E1_NS1_11comp_targetILNS1_3genE0ELNS1_11target_archE4294967295ELNS1_3gpuE0ELNS1_3repE0EEENS1_30default_config_static_selectorELNS0_4arch9wavefront6targetE1EEEvSW_.num_agpr, 0
	.set _ZN7rocprim17ROCPRIM_400000_NS6detail17trampoline_kernelINS0_14default_configENS1_22reduce_config_selectorIlEEZNS1_11reduce_implILb1ES3_N6thrust23THRUST_200600_302600_NS11hip_rocprim26transform_input_iterator_tIlNS8_12zip_iteratorINS8_5tupleINS8_6detail15normal_iteratorINS8_10device_ptrIdEEEESH_NS8_9null_typeESI_SI_SI_SI_SI_SI_SI_EEEENS9_21zip_adj_not_predicateINS8_8equal_toIdEEEEEEPllNS8_4plusIlEEEE10hipError_tPvRmT1_T2_T3_mT4_P12ihipStream_tbEUlT_E1_NS1_11comp_targetILNS1_3genE0ELNS1_11target_archE4294967295ELNS1_3gpuE0ELNS1_3repE0EEENS1_30default_config_static_selectorELNS0_4arch9wavefront6targetE1EEEvSW_.numbered_sgpr, 0
	.set _ZN7rocprim17ROCPRIM_400000_NS6detail17trampoline_kernelINS0_14default_configENS1_22reduce_config_selectorIlEEZNS1_11reduce_implILb1ES3_N6thrust23THRUST_200600_302600_NS11hip_rocprim26transform_input_iterator_tIlNS8_12zip_iteratorINS8_5tupleINS8_6detail15normal_iteratorINS8_10device_ptrIdEEEESH_NS8_9null_typeESI_SI_SI_SI_SI_SI_SI_EEEENS9_21zip_adj_not_predicateINS8_8equal_toIdEEEEEEPllNS8_4plusIlEEEE10hipError_tPvRmT1_T2_T3_mT4_P12ihipStream_tbEUlT_E1_NS1_11comp_targetILNS1_3genE0ELNS1_11target_archE4294967295ELNS1_3gpuE0ELNS1_3repE0EEENS1_30default_config_static_selectorELNS0_4arch9wavefront6targetE1EEEvSW_.num_named_barrier, 0
	.set _ZN7rocprim17ROCPRIM_400000_NS6detail17trampoline_kernelINS0_14default_configENS1_22reduce_config_selectorIlEEZNS1_11reduce_implILb1ES3_N6thrust23THRUST_200600_302600_NS11hip_rocprim26transform_input_iterator_tIlNS8_12zip_iteratorINS8_5tupleINS8_6detail15normal_iteratorINS8_10device_ptrIdEEEESH_NS8_9null_typeESI_SI_SI_SI_SI_SI_SI_EEEENS9_21zip_adj_not_predicateINS8_8equal_toIdEEEEEEPllNS8_4plusIlEEEE10hipError_tPvRmT1_T2_T3_mT4_P12ihipStream_tbEUlT_E1_NS1_11comp_targetILNS1_3genE0ELNS1_11target_archE4294967295ELNS1_3gpuE0ELNS1_3repE0EEENS1_30default_config_static_selectorELNS0_4arch9wavefront6targetE1EEEvSW_.private_seg_size, 0
	.set _ZN7rocprim17ROCPRIM_400000_NS6detail17trampoline_kernelINS0_14default_configENS1_22reduce_config_selectorIlEEZNS1_11reduce_implILb1ES3_N6thrust23THRUST_200600_302600_NS11hip_rocprim26transform_input_iterator_tIlNS8_12zip_iteratorINS8_5tupleINS8_6detail15normal_iteratorINS8_10device_ptrIdEEEESH_NS8_9null_typeESI_SI_SI_SI_SI_SI_SI_EEEENS9_21zip_adj_not_predicateINS8_8equal_toIdEEEEEEPllNS8_4plusIlEEEE10hipError_tPvRmT1_T2_T3_mT4_P12ihipStream_tbEUlT_E1_NS1_11comp_targetILNS1_3genE0ELNS1_11target_archE4294967295ELNS1_3gpuE0ELNS1_3repE0EEENS1_30default_config_static_selectorELNS0_4arch9wavefront6targetE1EEEvSW_.uses_vcc, 0
	.set _ZN7rocprim17ROCPRIM_400000_NS6detail17trampoline_kernelINS0_14default_configENS1_22reduce_config_selectorIlEEZNS1_11reduce_implILb1ES3_N6thrust23THRUST_200600_302600_NS11hip_rocprim26transform_input_iterator_tIlNS8_12zip_iteratorINS8_5tupleINS8_6detail15normal_iteratorINS8_10device_ptrIdEEEESH_NS8_9null_typeESI_SI_SI_SI_SI_SI_SI_EEEENS9_21zip_adj_not_predicateINS8_8equal_toIdEEEEEEPllNS8_4plusIlEEEE10hipError_tPvRmT1_T2_T3_mT4_P12ihipStream_tbEUlT_E1_NS1_11comp_targetILNS1_3genE0ELNS1_11target_archE4294967295ELNS1_3gpuE0ELNS1_3repE0EEENS1_30default_config_static_selectorELNS0_4arch9wavefront6targetE1EEEvSW_.uses_flat_scratch, 0
	.set _ZN7rocprim17ROCPRIM_400000_NS6detail17trampoline_kernelINS0_14default_configENS1_22reduce_config_selectorIlEEZNS1_11reduce_implILb1ES3_N6thrust23THRUST_200600_302600_NS11hip_rocprim26transform_input_iterator_tIlNS8_12zip_iteratorINS8_5tupleINS8_6detail15normal_iteratorINS8_10device_ptrIdEEEESH_NS8_9null_typeESI_SI_SI_SI_SI_SI_SI_EEEENS9_21zip_adj_not_predicateINS8_8equal_toIdEEEEEEPllNS8_4plusIlEEEE10hipError_tPvRmT1_T2_T3_mT4_P12ihipStream_tbEUlT_E1_NS1_11comp_targetILNS1_3genE0ELNS1_11target_archE4294967295ELNS1_3gpuE0ELNS1_3repE0EEENS1_30default_config_static_selectorELNS0_4arch9wavefront6targetE1EEEvSW_.has_dyn_sized_stack, 0
	.set _ZN7rocprim17ROCPRIM_400000_NS6detail17trampoline_kernelINS0_14default_configENS1_22reduce_config_selectorIlEEZNS1_11reduce_implILb1ES3_N6thrust23THRUST_200600_302600_NS11hip_rocprim26transform_input_iterator_tIlNS8_12zip_iteratorINS8_5tupleINS8_6detail15normal_iteratorINS8_10device_ptrIdEEEESH_NS8_9null_typeESI_SI_SI_SI_SI_SI_SI_EEEENS9_21zip_adj_not_predicateINS8_8equal_toIdEEEEEEPllNS8_4plusIlEEEE10hipError_tPvRmT1_T2_T3_mT4_P12ihipStream_tbEUlT_E1_NS1_11comp_targetILNS1_3genE0ELNS1_11target_archE4294967295ELNS1_3gpuE0ELNS1_3repE0EEENS1_30default_config_static_selectorELNS0_4arch9wavefront6targetE1EEEvSW_.has_recursion, 0
	.set _ZN7rocprim17ROCPRIM_400000_NS6detail17trampoline_kernelINS0_14default_configENS1_22reduce_config_selectorIlEEZNS1_11reduce_implILb1ES3_N6thrust23THRUST_200600_302600_NS11hip_rocprim26transform_input_iterator_tIlNS8_12zip_iteratorINS8_5tupleINS8_6detail15normal_iteratorINS8_10device_ptrIdEEEESH_NS8_9null_typeESI_SI_SI_SI_SI_SI_SI_EEEENS9_21zip_adj_not_predicateINS8_8equal_toIdEEEEEEPllNS8_4plusIlEEEE10hipError_tPvRmT1_T2_T3_mT4_P12ihipStream_tbEUlT_E1_NS1_11comp_targetILNS1_3genE0ELNS1_11target_archE4294967295ELNS1_3gpuE0ELNS1_3repE0EEENS1_30default_config_static_selectorELNS0_4arch9wavefront6targetE1EEEvSW_.has_indirect_call, 0
	.section	.AMDGPU.csdata,"",@progbits
; Kernel info:
; codeLenInByte = 0
; TotalNumSgprs: 4
; NumVgprs: 0
; ScratchSize: 0
; MemoryBound: 0
; FloatMode: 240
; IeeeMode: 1
; LDSByteSize: 0 bytes/workgroup (compile time only)
; SGPRBlocks: 0
; VGPRBlocks: 0
; NumSGPRsForWavesPerEU: 4
; NumVGPRsForWavesPerEU: 1
; Occupancy: 10
; WaveLimiterHint : 0
; COMPUTE_PGM_RSRC2:SCRATCH_EN: 0
; COMPUTE_PGM_RSRC2:USER_SGPR: 6
; COMPUTE_PGM_RSRC2:TRAP_HANDLER: 0
; COMPUTE_PGM_RSRC2:TGID_X_EN: 1
; COMPUTE_PGM_RSRC2:TGID_Y_EN: 0
; COMPUTE_PGM_RSRC2:TGID_Z_EN: 0
; COMPUTE_PGM_RSRC2:TIDIG_COMP_CNT: 0
	.section	.text._ZN7rocprim17ROCPRIM_400000_NS6detail17trampoline_kernelINS0_14default_configENS1_22reduce_config_selectorIlEEZNS1_11reduce_implILb1ES3_N6thrust23THRUST_200600_302600_NS11hip_rocprim26transform_input_iterator_tIlNS8_12zip_iteratorINS8_5tupleINS8_6detail15normal_iteratorINS8_10device_ptrIdEEEESH_NS8_9null_typeESI_SI_SI_SI_SI_SI_SI_EEEENS9_21zip_adj_not_predicateINS8_8equal_toIdEEEEEEPllNS8_4plusIlEEEE10hipError_tPvRmT1_T2_T3_mT4_P12ihipStream_tbEUlT_E1_NS1_11comp_targetILNS1_3genE5ELNS1_11target_archE942ELNS1_3gpuE9ELNS1_3repE0EEENS1_30default_config_static_selectorELNS0_4arch9wavefront6targetE1EEEvSW_,"axG",@progbits,_ZN7rocprim17ROCPRIM_400000_NS6detail17trampoline_kernelINS0_14default_configENS1_22reduce_config_selectorIlEEZNS1_11reduce_implILb1ES3_N6thrust23THRUST_200600_302600_NS11hip_rocprim26transform_input_iterator_tIlNS8_12zip_iteratorINS8_5tupleINS8_6detail15normal_iteratorINS8_10device_ptrIdEEEESH_NS8_9null_typeESI_SI_SI_SI_SI_SI_SI_EEEENS9_21zip_adj_not_predicateINS8_8equal_toIdEEEEEEPllNS8_4plusIlEEEE10hipError_tPvRmT1_T2_T3_mT4_P12ihipStream_tbEUlT_E1_NS1_11comp_targetILNS1_3genE5ELNS1_11target_archE942ELNS1_3gpuE9ELNS1_3repE0EEENS1_30default_config_static_selectorELNS0_4arch9wavefront6targetE1EEEvSW_,comdat
	.protected	_ZN7rocprim17ROCPRIM_400000_NS6detail17trampoline_kernelINS0_14default_configENS1_22reduce_config_selectorIlEEZNS1_11reduce_implILb1ES3_N6thrust23THRUST_200600_302600_NS11hip_rocprim26transform_input_iterator_tIlNS8_12zip_iteratorINS8_5tupleINS8_6detail15normal_iteratorINS8_10device_ptrIdEEEESH_NS8_9null_typeESI_SI_SI_SI_SI_SI_SI_EEEENS9_21zip_adj_not_predicateINS8_8equal_toIdEEEEEEPllNS8_4plusIlEEEE10hipError_tPvRmT1_T2_T3_mT4_P12ihipStream_tbEUlT_E1_NS1_11comp_targetILNS1_3genE5ELNS1_11target_archE942ELNS1_3gpuE9ELNS1_3repE0EEENS1_30default_config_static_selectorELNS0_4arch9wavefront6targetE1EEEvSW_ ; -- Begin function _ZN7rocprim17ROCPRIM_400000_NS6detail17trampoline_kernelINS0_14default_configENS1_22reduce_config_selectorIlEEZNS1_11reduce_implILb1ES3_N6thrust23THRUST_200600_302600_NS11hip_rocprim26transform_input_iterator_tIlNS8_12zip_iteratorINS8_5tupleINS8_6detail15normal_iteratorINS8_10device_ptrIdEEEESH_NS8_9null_typeESI_SI_SI_SI_SI_SI_SI_EEEENS9_21zip_adj_not_predicateINS8_8equal_toIdEEEEEEPllNS8_4plusIlEEEE10hipError_tPvRmT1_T2_T3_mT4_P12ihipStream_tbEUlT_E1_NS1_11comp_targetILNS1_3genE5ELNS1_11target_archE942ELNS1_3gpuE9ELNS1_3repE0EEENS1_30default_config_static_selectorELNS0_4arch9wavefront6targetE1EEEvSW_
	.globl	_ZN7rocprim17ROCPRIM_400000_NS6detail17trampoline_kernelINS0_14default_configENS1_22reduce_config_selectorIlEEZNS1_11reduce_implILb1ES3_N6thrust23THRUST_200600_302600_NS11hip_rocprim26transform_input_iterator_tIlNS8_12zip_iteratorINS8_5tupleINS8_6detail15normal_iteratorINS8_10device_ptrIdEEEESH_NS8_9null_typeESI_SI_SI_SI_SI_SI_SI_EEEENS9_21zip_adj_not_predicateINS8_8equal_toIdEEEEEEPllNS8_4plusIlEEEE10hipError_tPvRmT1_T2_T3_mT4_P12ihipStream_tbEUlT_E1_NS1_11comp_targetILNS1_3genE5ELNS1_11target_archE942ELNS1_3gpuE9ELNS1_3repE0EEENS1_30default_config_static_selectorELNS0_4arch9wavefront6targetE1EEEvSW_
	.p2align	8
	.type	_ZN7rocprim17ROCPRIM_400000_NS6detail17trampoline_kernelINS0_14default_configENS1_22reduce_config_selectorIlEEZNS1_11reduce_implILb1ES3_N6thrust23THRUST_200600_302600_NS11hip_rocprim26transform_input_iterator_tIlNS8_12zip_iteratorINS8_5tupleINS8_6detail15normal_iteratorINS8_10device_ptrIdEEEESH_NS8_9null_typeESI_SI_SI_SI_SI_SI_SI_EEEENS9_21zip_adj_not_predicateINS8_8equal_toIdEEEEEEPllNS8_4plusIlEEEE10hipError_tPvRmT1_T2_T3_mT4_P12ihipStream_tbEUlT_E1_NS1_11comp_targetILNS1_3genE5ELNS1_11target_archE942ELNS1_3gpuE9ELNS1_3repE0EEENS1_30default_config_static_selectorELNS0_4arch9wavefront6targetE1EEEvSW_,@function
_ZN7rocprim17ROCPRIM_400000_NS6detail17trampoline_kernelINS0_14default_configENS1_22reduce_config_selectorIlEEZNS1_11reduce_implILb1ES3_N6thrust23THRUST_200600_302600_NS11hip_rocprim26transform_input_iterator_tIlNS8_12zip_iteratorINS8_5tupleINS8_6detail15normal_iteratorINS8_10device_ptrIdEEEESH_NS8_9null_typeESI_SI_SI_SI_SI_SI_SI_EEEENS9_21zip_adj_not_predicateINS8_8equal_toIdEEEEEEPllNS8_4plusIlEEEE10hipError_tPvRmT1_T2_T3_mT4_P12ihipStream_tbEUlT_E1_NS1_11comp_targetILNS1_3genE5ELNS1_11target_archE942ELNS1_3gpuE9ELNS1_3repE0EEENS1_30default_config_static_selectorELNS0_4arch9wavefront6targetE1EEEvSW_: ; @_ZN7rocprim17ROCPRIM_400000_NS6detail17trampoline_kernelINS0_14default_configENS1_22reduce_config_selectorIlEEZNS1_11reduce_implILb1ES3_N6thrust23THRUST_200600_302600_NS11hip_rocprim26transform_input_iterator_tIlNS8_12zip_iteratorINS8_5tupleINS8_6detail15normal_iteratorINS8_10device_ptrIdEEEESH_NS8_9null_typeESI_SI_SI_SI_SI_SI_SI_EEEENS9_21zip_adj_not_predicateINS8_8equal_toIdEEEEEEPllNS8_4plusIlEEEE10hipError_tPvRmT1_T2_T3_mT4_P12ihipStream_tbEUlT_E1_NS1_11comp_targetILNS1_3genE5ELNS1_11target_archE942ELNS1_3gpuE9ELNS1_3repE0EEENS1_30default_config_static_selectorELNS0_4arch9wavefront6targetE1EEEvSW_
; %bb.0:
	.section	.rodata,"a",@progbits
	.p2align	6, 0x0
	.amdhsa_kernel _ZN7rocprim17ROCPRIM_400000_NS6detail17trampoline_kernelINS0_14default_configENS1_22reduce_config_selectorIlEEZNS1_11reduce_implILb1ES3_N6thrust23THRUST_200600_302600_NS11hip_rocprim26transform_input_iterator_tIlNS8_12zip_iteratorINS8_5tupleINS8_6detail15normal_iteratorINS8_10device_ptrIdEEEESH_NS8_9null_typeESI_SI_SI_SI_SI_SI_SI_EEEENS9_21zip_adj_not_predicateINS8_8equal_toIdEEEEEEPllNS8_4plusIlEEEE10hipError_tPvRmT1_T2_T3_mT4_P12ihipStream_tbEUlT_E1_NS1_11comp_targetILNS1_3genE5ELNS1_11target_archE942ELNS1_3gpuE9ELNS1_3repE0EEENS1_30default_config_static_selectorELNS0_4arch9wavefront6targetE1EEEvSW_
		.amdhsa_group_segment_fixed_size 0
		.amdhsa_private_segment_fixed_size 0
		.amdhsa_kernarg_size 64
		.amdhsa_user_sgpr_count 6
		.amdhsa_user_sgpr_private_segment_buffer 1
		.amdhsa_user_sgpr_dispatch_ptr 0
		.amdhsa_user_sgpr_queue_ptr 0
		.amdhsa_user_sgpr_kernarg_segment_ptr 1
		.amdhsa_user_sgpr_dispatch_id 0
		.amdhsa_user_sgpr_flat_scratch_init 0
		.amdhsa_user_sgpr_private_segment_size 0
		.amdhsa_uses_dynamic_stack 0
		.amdhsa_system_sgpr_private_segment_wavefront_offset 0
		.amdhsa_system_sgpr_workgroup_id_x 1
		.amdhsa_system_sgpr_workgroup_id_y 0
		.amdhsa_system_sgpr_workgroup_id_z 0
		.amdhsa_system_sgpr_workgroup_info 0
		.amdhsa_system_vgpr_workitem_id 0
		.amdhsa_next_free_vgpr 1
		.amdhsa_next_free_sgpr 0
		.amdhsa_reserve_vcc 0
		.amdhsa_reserve_flat_scratch 0
		.amdhsa_float_round_mode_32 0
		.amdhsa_float_round_mode_16_64 0
		.amdhsa_float_denorm_mode_32 3
		.amdhsa_float_denorm_mode_16_64 3
		.amdhsa_dx10_clamp 1
		.amdhsa_ieee_mode 1
		.amdhsa_fp16_overflow 0
		.amdhsa_exception_fp_ieee_invalid_op 0
		.amdhsa_exception_fp_denorm_src 0
		.amdhsa_exception_fp_ieee_div_zero 0
		.amdhsa_exception_fp_ieee_overflow 0
		.amdhsa_exception_fp_ieee_underflow 0
		.amdhsa_exception_fp_ieee_inexact 0
		.amdhsa_exception_int_div_zero 0
	.end_amdhsa_kernel
	.section	.text._ZN7rocprim17ROCPRIM_400000_NS6detail17trampoline_kernelINS0_14default_configENS1_22reduce_config_selectorIlEEZNS1_11reduce_implILb1ES3_N6thrust23THRUST_200600_302600_NS11hip_rocprim26transform_input_iterator_tIlNS8_12zip_iteratorINS8_5tupleINS8_6detail15normal_iteratorINS8_10device_ptrIdEEEESH_NS8_9null_typeESI_SI_SI_SI_SI_SI_SI_EEEENS9_21zip_adj_not_predicateINS8_8equal_toIdEEEEEEPllNS8_4plusIlEEEE10hipError_tPvRmT1_T2_T3_mT4_P12ihipStream_tbEUlT_E1_NS1_11comp_targetILNS1_3genE5ELNS1_11target_archE942ELNS1_3gpuE9ELNS1_3repE0EEENS1_30default_config_static_selectorELNS0_4arch9wavefront6targetE1EEEvSW_,"axG",@progbits,_ZN7rocprim17ROCPRIM_400000_NS6detail17trampoline_kernelINS0_14default_configENS1_22reduce_config_selectorIlEEZNS1_11reduce_implILb1ES3_N6thrust23THRUST_200600_302600_NS11hip_rocprim26transform_input_iterator_tIlNS8_12zip_iteratorINS8_5tupleINS8_6detail15normal_iteratorINS8_10device_ptrIdEEEESH_NS8_9null_typeESI_SI_SI_SI_SI_SI_SI_EEEENS9_21zip_adj_not_predicateINS8_8equal_toIdEEEEEEPllNS8_4plusIlEEEE10hipError_tPvRmT1_T2_T3_mT4_P12ihipStream_tbEUlT_E1_NS1_11comp_targetILNS1_3genE5ELNS1_11target_archE942ELNS1_3gpuE9ELNS1_3repE0EEENS1_30default_config_static_selectorELNS0_4arch9wavefront6targetE1EEEvSW_,comdat
.Lfunc_end753:
	.size	_ZN7rocprim17ROCPRIM_400000_NS6detail17trampoline_kernelINS0_14default_configENS1_22reduce_config_selectorIlEEZNS1_11reduce_implILb1ES3_N6thrust23THRUST_200600_302600_NS11hip_rocprim26transform_input_iterator_tIlNS8_12zip_iteratorINS8_5tupleINS8_6detail15normal_iteratorINS8_10device_ptrIdEEEESH_NS8_9null_typeESI_SI_SI_SI_SI_SI_SI_EEEENS9_21zip_adj_not_predicateINS8_8equal_toIdEEEEEEPllNS8_4plusIlEEEE10hipError_tPvRmT1_T2_T3_mT4_P12ihipStream_tbEUlT_E1_NS1_11comp_targetILNS1_3genE5ELNS1_11target_archE942ELNS1_3gpuE9ELNS1_3repE0EEENS1_30default_config_static_selectorELNS0_4arch9wavefront6targetE1EEEvSW_, .Lfunc_end753-_ZN7rocprim17ROCPRIM_400000_NS6detail17trampoline_kernelINS0_14default_configENS1_22reduce_config_selectorIlEEZNS1_11reduce_implILb1ES3_N6thrust23THRUST_200600_302600_NS11hip_rocprim26transform_input_iterator_tIlNS8_12zip_iteratorINS8_5tupleINS8_6detail15normal_iteratorINS8_10device_ptrIdEEEESH_NS8_9null_typeESI_SI_SI_SI_SI_SI_SI_EEEENS9_21zip_adj_not_predicateINS8_8equal_toIdEEEEEEPllNS8_4plusIlEEEE10hipError_tPvRmT1_T2_T3_mT4_P12ihipStream_tbEUlT_E1_NS1_11comp_targetILNS1_3genE5ELNS1_11target_archE942ELNS1_3gpuE9ELNS1_3repE0EEENS1_30default_config_static_selectorELNS0_4arch9wavefront6targetE1EEEvSW_
                                        ; -- End function
	.set _ZN7rocprim17ROCPRIM_400000_NS6detail17trampoline_kernelINS0_14default_configENS1_22reduce_config_selectorIlEEZNS1_11reduce_implILb1ES3_N6thrust23THRUST_200600_302600_NS11hip_rocprim26transform_input_iterator_tIlNS8_12zip_iteratorINS8_5tupleINS8_6detail15normal_iteratorINS8_10device_ptrIdEEEESH_NS8_9null_typeESI_SI_SI_SI_SI_SI_SI_EEEENS9_21zip_adj_not_predicateINS8_8equal_toIdEEEEEEPllNS8_4plusIlEEEE10hipError_tPvRmT1_T2_T3_mT4_P12ihipStream_tbEUlT_E1_NS1_11comp_targetILNS1_3genE5ELNS1_11target_archE942ELNS1_3gpuE9ELNS1_3repE0EEENS1_30default_config_static_selectorELNS0_4arch9wavefront6targetE1EEEvSW_.num_vgpr, 0
	.set _ZN7rocprim17ROCPRIM_400000_NS6detail17trampoline_kernelINS0_14default_configENS1_22reduce_config_selectorIlEEZNS1_11reduce_implILb1ES3_N6thrust23THRUST_200600_302600_NS11hip_rocprim26transform_input_iterator_tIlNS8_12zip_iteratorINS8_5tupleINS8_6detail15normal_iteratorINS8_10device_ptrIdEEEESH_NS8_9null_typeESI_SI_SI_SI_SI_SI_SI_EEEENS9_21zip_adj_not_predicateINS8_8equal_toIdEEEEEEPllNS8_4plusIlEEEE10hipError_tPvRmT1_T2_T3_mT4_P12ihipStream_tbEUlT_E1_NS1_11comp_targetILNS1_3genE5ELNS1_11target_archE942ELNS1_3gpuE9ELNS1_3repE0EEENS1_30default_config_static_selectorELNS0_4arch9wavefront6targetE1EEEvSW_.num_agpr, 0
	.set _ZN7rocprim17ROCPRIM_400000_NS6detail17trampoline_kernelINS0_14default_configENS1_22reduce_config_selectorIlEEZNS1_11reduce_implILb1ES3_N6thrust23THRUST_200600_302600_NS11hip_rocprim26transform_input_iterator_tIlNS8_12zip_iteratorINS8_5tupleINS8_6detail15normal_iteratorINS8_10device_ptrIdEEEESH_NS8_9null_typeESI_SI_SI_SI_SI_SI_SI_EEEENS9_21zip_adj_not_predicateINS8_8equal_toIdEEEEEEPllNS8_4plusIlEEEE10hipError_tPvRmT1_T2_T3_mT4_P12ihipStream_tbEUlT_E1_NS1_11comp_targetILNS1_3genE5ELNS1_11target_archE942ELNS1_3gpuE9ELNS1_3repE0EEENS1_30default_config_static_selectorELNS0_4arch9wavefront6targetE1EEEvSW_.numbered_sgpr, 0
	.set _ZN7rocprim17ROCPRIM_400000_NS6detail17trampoline_kernelINS0_14default_configENS1_22reduce_config_selectorIlEEZNS1_11reduce_implILb1ES3_N6thrust23THRUST_200600_302600_NS11hip_rocprim26transform_input_iterator_tIlNS8_12zip_iteratorINS8_5tupleINS8_6detail15normal_iteratorINS8_10device_ptrIdEEEESH_NS8_9null_typeESI_SI_SI_SI_SI_SI_SI_EEEENS9_21zip_adj_not_predicateINS8_8equal_toIdEEEEEEPllNS8_4plusIlEEEE10hipError_tPvRmT1_T2_T3_mT4_P12ihipStream_tbEUlT_E1_NS1_11comp_targetILNS1_3genE5ELNS1_11target_archE942ELNS1_3gpuE9ELNS1_3repE0EEENS1_30default_config_static_selectorELNS0_4arch9wavefront6targetE1EEEvSW_.num_named_barrier, 0
	.set _ZN7rocprim17ROCPRIM_400000_NS6detail17trampoline_kernelINS0_14default_configENS1_22reduce_config_selectorIlEEZNS1_11reduce_implILb1ES3_N6thrust23THRUST_200600_302600_NS11hip_rocprim26transform_input_iterator_tIlNS8_12zip_iteratorINS8_5tupleINS8_6detail15normal_iteratorINS8_10device_ptrIdEEEESH_NS8_9null_typeESI_SI_SI_SI_SI_SI_SI_EEEENS9_21zip_adj_not_predicateINS8_8equal_toIdEEEEEEPllNS8_4plusIlEEEE10hipError_tPvRmT1_T2_T3_mT4_P12ihipStream_tbEUlT_E1_NS1_11comp_targetILNS1_3genE5ELNS1_11target_archE942ELNS1_3gpuE9ELNS1_3repE0EEENS1_30default_config_static_selectorELNS0_4arch9wavefront6targetE1EEEvSW_.private_seg_size, 0
	.set _ZN7rocprim17ROCPRIM_400000_NS6detail17trampoline_kernelINS0_14default_configENS1_22reduce_config_selectorIlEEZNS1_11reduce_implILb1ES3_N6thrust23THRUST_200600_302600_NS11hip_rocprim26transform_input_iterator_tIlNS8_12zip_iteratorINS8_5tupleINS8_6detail15normal_iteratorINS8_10device_ptrIdEEEESH_NS8_9null_typeESI_SI_SI_SI_SI_SI_SI_EEEENS9_21zip_adj_not_predicateINS8_8equal_toIdEEEEEEPllNS8_4plusIlEEEE10hipError_tPvRmT1_T2_T3_mT4_P12ihipStream_tbEUlT_E1_NS1_11comp_targetILNS1_3genE5ELNS1_11target_archE942ELNS1_3gpuE9ELNS1_3repE0EEENS1_30default_config_static_selectorELNS0_4arch9wavefront6targetE1EEEvSW_.uses_vcc, 0
	.set _ZN7rocprim17ROCPRIM_400000_NS6detail17trampoline_kernelINS0_14default_configENS1_22reduce_config_selectorIlEEZNS1_11reduce_implILb1ES3_N6thrust23THRUST_200600_302600_NS11hip_rocprim26transform_input_iterator_tIlNS8_12zip_iteratorINS8_5tupleINS8_6detail15normal_iteratorINS8_10device_ptrIdEEEESH_NS8_9null_typeESI_SI_SI_SI_SI_SI_SI_EEEENS9_21zip_adj_not_predicateINS8_8equal_toIdEEEEEEPllNS8_4plusIlEEEE10hipError_tPvRmT1_T2_T3_mT4_P12ihipStream_tbEUlT_E1_NS1_11comp_targetILNS1_3genE5ELNS1_11target_archE942ELNS1_3gpuE9ELNS1_3repE0EEENS1_30default_config_static_selectorELNS0_4arch9wavefront6targetE1EEEvSW_.uses_flat_scratch, 0
	.set _ZN7rocprim17ROCPRIM_400000_NS6detail17trampoline_kernelINS0_14default_configENS1_22reduce_config_selectorIlEEZNS1_11reduce_implILb1ES3_N6thrust23THRUST_200600_302600_NS11hip_rocprim26transform_input_iterator_tIlNS8_12zip_iteratorINS8_5tupleINS8_6detail15normal_iteratorINS8_10device_ptrIdEEEESH_NS8_9null_typeESI_SI_SI_SI_SI_SI_SI_EEEENS9_21zip_adj_not_predicateINS8_8equal_toIdEEEEEEPllNS8_4plusIlEEEE10hipError_tPvRmT1_T2_T3_mT4_P12ihipStream_tbEUlT_E1_NS1_11comp_targetILNS1_3genE5ELNS1_11target_archE942ELNS1_3gpuE9ELNS1_3repE0EEENS1_30default_config_static_selectorELNS0_4arch9wavefront6targetE1EEEvSW_.has_dyn_sized_stack, 0
	.set _ZN7rocprim17ROCPRIM_400000_NS6detail17trampoline_kernelINS0_14default_configENS1_22reduce_config_selectorIlEEZNS1_11reduce_implILb1ES3_N6thrust23THRUST_200600_302600_NS11hip_rocprim26transform_input_iterator_tIlNS8_12zip_iteratorINS8_5tupleINS8_6detail15normal_iteratorINS8_10device_ptrIdEEEESH_NS8_9null_typeESI_SI_SI_SI_SI_SI_SI_EEEENS9_21zip_adj_not_predicateINS8_8equal_toIdEEEEEEPllNS8_4plusIlEEEE10hipError_tPvRmT1_T2_T3_mT4_P12ihipStream_tbEUlT_E1_NS1_11comp_targetILNS1_3genE5ELNS1_11target_archE942ELNS1_3gpuE9ELNS1_3repE0EEENS1_30default_config_static_selectorELNS0_4arch9wavefront6targetE1EEEvSW_.has_recursion, 0
	.set _ZN7rocprim17ROCPRIM_400000_NS6detail17trampoline_kernelINS0_14default_configENS1_22reduce_config_selectorIlEEZNS1_11reduce_implILb1ES3_N6thrust23THRUST_200600_302600_NS11hip_rocprim26transform_input_iterator_tIlNS8_12zip_iteratorINS8_5tupleINS8_6detail15normal_iteratorINS8_10device_ptrIdEEEESH_NS8_9null_typeESI_SI_SI_SI_SI_SI_SI_EEEENS9_21zip_adj_not_predicateINS8_8equal_toIdEEEEEEPllNS8_4plusIlEEEE10hipError_tPvRmT1_T2_T3_mT4_P12ihipStream_tbEUlT_E1_NS1_11comp_targetILNS1_3genE5ELNS1_11target_archE942ELNS1_3gpuE9ELNS1_3repE0EEENS1_30default_config_static_selectorELNS0_4arch9wavefront6targetE1EEEvSW_.has_indirect_call, 0
	.section	.AMDGPU.csdata,"",@progbits
; Kernel info:
; codeLenInByte = 0
; TotalNumSgprs: 4
; NumVgprs: 0
; ScratchSize: 0
; MemoryBound: 0
; FloatMode: 240
; IeeeMode: 1
; LDSByteSize: 0 bytes/workgroup (compile time only)
; SGPRBlocks: 0
; VGPRBlocks: 0
; NumSGPRsForWavesPerEU: 4
; NumVGPRsForWavesPerEU: 1
; Occupancy: 10
; WaveLimiterHint : 0
; COMPUTE_PGM_RSRC2:SCRATCH_EN: 0
; COMPUTE_PGM_RSRC2:USER_SGPR: 6
; COMPUTE_PGM_RSRC2:TRAP_HANDLER: 0
; COMPUTE_PGM_RSRC2:TGID_X_EN: 1
; COMPUTE_PGM_RSRC2:TGID_Y_EN: 0
; COMPUTE_PGM_RSRC2:TGID_Z_EN: 0
; COMPUTE_PGM_RSRC2:TIDIG_COMP_CNT: 0
	.section	.text._ZN7rocprim17ROCPRIM_400000_NS6detail17trampoline_kernelINS0_14default_configENS1_22reduce_config_selectorIlEEZNS1_11reduce_implILb1ES3_N6thrust23THRUST_200600_302600_NS11hip_rocprim26transform_input_iterator_tIlNS8_12zip_iteratorINS8_5tupleINS8_6detail15normal_iteratorINS8_10device_ptrIdEEEESH_NS8_9null_typeESI_SI_SI_SI_SI_SI_SI_EEEENS9_21zip_adj_not_predicateINS8_8equal_toIdEEEEEEPllNS8_4plusIlEEEE10hipError_tPvRmT1_T2_T3_mT4_P12ihipStream_tbEUlT_E1_NS1_11comp_targetILNS1_3genE4ELNS1_11target_archE910ELNS1_3gpuE8ELNS1_3repE0EEENS1_30default_config_static_selectorELNS0_4arch9wavefront6targetE1EEEvSW_,"axG",@progbits,_ZN7rocprim17ROCPRIM_400000_NS6detail17trampoline_kernelINS0_14default_configENS1_22reduce_config_selectorIlEEZNS1_11reduce_implILb1ES3_N6thrust23THRUST_200600_302600_NS11hip_rocprim26transform_input_iterator_tIlNS8_12zip_iteratorINS8_5tupleINS8_6detail15normal_iteratorINS8_10device_ptrIdEEEESH_NS8_9null_typeESI_SI_SI_SI_SI_SI_SI_EEEENS9_21zip_adj_not_predicateINS8_8equal_toIdEEEEEEPllNS8_4plusIlEEEE10hipError_tPvRmT1_T2_T3_mT4_P12ihipStream_tbEUlT_E1_NS1_11comp_targetILNS1_3genE4ELNS1_11target_archE910ELNS1_3gpuE8ELNS1_3repE0EEENS1_30default_config_static_selectorELNS0_4arch9wavefront6targetE1EEEvSW_,comdat
	.protected	_ZN7rocprim17ROCPRIM_400000_NS6detail17trampoline_kernelINS0_14default_configENS1_22reduce_config_selectorIlEEZNS1_11reduce_implILb1ES3_N6thrust23THRUST_200600_302600_NS11hip_rocprim26transform_input_iterator_tIlNS8_12zip_iteratorINS8_5tupleINS8_6detail15normal_iteratorINS8_10device_ptrIdEEEESH_NS8_9null_typeESI_SI_SI_SI_SI_SI_SI_EEEENS9_21zip_adj_not_predicateINS8_8equal_toIdEEEEEEPllNS8_4plusIlEEEE10hipError_tPvRmT1_T2_T3_mT4_P12ihipStream_tbEUlT_E1_NS1_11comp_targetILNS1_3genE4ELNS1_11target_archE910ELNS1_3gpuE8ELNS1_3repE0EEENS1_30default_config_static_selectorELNS0_4arch9wavefront6targetE1EEEvSW_ ; -- Begin function _ZN7rocprim17ROCPRIM_400000_NS6detail17trampoline_kernelINS0_14default_configENS1_22reduce_config_selectorIlEEZNS1_11reduce_implILb1ES3_N6thrust23THRUST_200600_302600_NS11hip_rocprim26transform_input_iterator_tIlNS8_12zip_iteratorINS8_5tupleINS8_6detail15normal_iteratorINS8_10device_ptrIdEEEESH_NS8_9null_typeESI_SI_SI_SI_SI_SI_SI_EEEENS9_21zip_adj_not_predicateINS8_8equal_toIdEEEEEEPllNS8_4plusIlEEEE10hipError_tPvRmT1_T2_T3_mT4_P12ihipStream_tbEUlT_E1_NS1_11comp_targetILNS1_3genE4ELNS1_11target_archE910ELNS1_3gpuE8ELNS1_3repE0EEENS1_30default_config_static_selectorELNS0_4arch9wavefront6targetE1EEEvSW_
	.globl	_ZN7rocprim17ROCPRIM_400000_NS6detail17trampoline_kernelINS0_14default_configENS1_22reduce_config_selectorIlEEZNS1_11reduce_implILb1ES3_N6thrust23THRUST_200600_302600_NS11hip_rocprim26transform_input_iterator_tIlNS8_12zip_iteratorINS8_5tupleINS8_6detail15normal_iteratorINS8_10device_ptrIdEEEESH_NS8_9null_typeESI_SI_SI_SI_SI_SI_SI_EEEENS9_21zip_adj_not_predicateINS8_8equal_toIdEEEEEEPllNS8_4plusIlEEEE10hipError_tPvRmT1_T2_T3_mT4_P12ihipStream_tbEUlT_E1_NS1_11comp_targetILNS1_3genE4ELNS1_11target_archE910ELNS1_3gpuE8ELNS1_3repE0EEENS1_30default_config_static_selectorELNS0_4arch9wavefront6targetE1EEEvSW_
	.p2align	8
	.type	_ZN7rocprim17ROCPRIM_400000_NS6detail17trampoline_kernelINS0_14default_configENS1_22reduce_config_selectorIlEEZNS1_11reduce_implILb1ES3_N6thrust23THRUST_200600_302600_NS11hip_rocprim26transform_input_iterator_tIlNS8_12zip_iteratorINS8_5tupleINS8_6detail15normal_iteratorINS8_10device_ptrIdEEEESH_NS8_9null_typeESI_SI_SI_SI_SI_SI_SI_EEEENS9_21zip_adj_not_predicateINS8_8equal_toIdEEEEEEPllNS8_4plusIlEEEE10hipError_tPvRmT1_T2_T3_mT4_P12ihipStream_tbEUlT_E1_NS1_11comp_targetILNS1_3genE4ELNS1_11target_archE910ELNS1_3gpuE8ELNS1_3repE0EEENS1_30default_config_static_selectorELNS0_4arch9wavefront6targetE1EEEvSW_,@function
_ZN7rocprim17ROCPRIM_400000_NS6detail17trampoline_kernelINS0_14default_configENS1_22reduce_config_selectorIlEEZNS1_11reduce_implILb1ES3_N6thrust23THRUST_200600_302600_NS11hip_rocprim26transform_input_iterator_tIlNS8_12zip_iteratorINS8_5tupleINS8_6detail15normal_iteratorINS8_10device_ptrIdEEEESH_NS8_9null_typeESI_SI_SI_SI_SI_SI_SI_EEEENS9_21zip_adj_not_predicateINS8_8equal_toIdEEEEEEPllNS8_4plusIlEEEE10hipError_tPvRmT1_T2_T3_mT4_P12ihipStream_tbEUlT_E1_NS1_11comp_targetILNS1_3genE4ELNS1_11target_archE910ELNS1_3gpuE8ELNS1_3repE0EEENS1_30default_config_static_selectorELNS0_4arch9wavefront6targetE1EEEvSW_: ; @_ZN7rocprim17ROCPRIM_400000_NS6detail17trampoline_kernelINS0_14default_configENS1_22reduce_config_selectorIlEEZNS1_11reduce_implILb1ES3_N6thrust23THRUST_200600_302600_NS11hip_rocprim26transform_input_iterator_tIlNS8_12zip_iteratorINS8_5tupleINS8_6detail15normal_iteratorINS8_10device_ptrIdEEEESH_NS8_9null_typeESI_SI_SI_SI_SI_SI_SI_EEEENS9_21zip_adj_not_predicateINS8_8equal_toIdEEEEEEPllNS8_4plusIlEEEE10hipError_tPvRmT1_T2_T3_mT4_P12ihipStream_tbEUlT_E1_NS1_11comp_targetILNS1_3genE4ELNS1_11target_archE910ELNS1_3gpuE8ELNS1_3repE0EEENS1_30default_config_static_selectorELNS0_4arch9wavefront6targetE1EEEvSW_
; %bb.0:
	.section	.rodata,"a",@progbits
	.p2align	6, 0x0
	.amdhsa_kernel _ZN7rocprim17ROCPRIM_400000_NS6detail17trampoline_kernelINS0_14default_configENS1_22reduce_config_selectorIlEEZNS1_11reduce_implILb1ES3_N6thrust23THRUST_200600_302600_NS11hip_rocprim26transform_input_iterator_tIlNS8_12zip_iteratorINS8_5tupleINS8_6detail15normal_iteratorINS8_10device_ptrIdEEEESH_NS8_9null_typeESI_SI_SI_SI_SI_SI_SI_EEEENS9_21zip_adj_not_predicateINS8_8equal_toIdEEEEEEPllNS8_4plusIlEEEE10hipError_tPvRmT1_T2_T3_mT4_P12ihipStream_tbEUlT_E1_NS1_11comp_targetILNS1_3genE4ELNS1_11target_archE910ELNS1_3gpuE8ELNS1_3repE0EEENS1_30default_config_static_selectorELNS0_4arch9wavefront6targetE1EEEvSW_
		.amdhsa_group_segment_fixed_size 0
		.amdhsa_private_segment_fixed_size 0
		.amdhsa_kernarg_size 64
		.amdhsa_user_sgpr_count 6
		.amdhsa_user_sgpr_private_segment_buffer 1
		.amdhsa_user_sgpr_dispatch_ptr 0
		.amdhsa_user_sgpr_queue_ptr 0
		.amdhsa_user_sgpr_kernarg_segment_ptr 1
		.amdhsa_user_sgpr_dispatch_id 0
		.amdhsa_user_sgpr_flat_scratch_init 0
		.amdhsa_user_sgpr_private_segment_size 0
		.amdhsa_uses_dynamic_stack 0
		.amdhsa_system_sgpr_private_segment_wavefront_offset 0
		.amdhsa_system_sgpr_workgroup_id_x 1
		.amdhsa_system_sgpr_workgroup_id_y 0
		.amdhsa_system_sgpr_workgroup_id_z 0
		.amdhsa_system_sgpr_workgroup_info 0
		.amdhsa_system_vgpr_workitem_id 0
		.amdhsa_next_free_vgpr 1
		.amdhsa_next_free_sgpr 0
		.amdhsa_reserve_vcc 0
		.amdhsa_reserve_flat_scratch 0
		.amdhsa_float_round_mode_32 0
		.amdhsa_float_round_mode_16_64 0
		.amdhsa_float_denorm_mode_32 3
		.amdhsa_float_denorm_mode_16_64 3
		.amdhsa_dx10_clamp 1
		.amdhsa_ieee_mode 1
		.amdhsa_fp16_overflow 0
		.amdhsa_exception_fp_ieee_invalid_op 0
		.amdhsa_exception_fp_denorm_src 0
		.amdhsa_exception_fp_ieee_div_zero 0
		.amdhsa_exception_fp_ieee_overflow 0
		.amdhsa_exception_fp_ieee_underflow 0
		.amdhsa_exception_fp_ieee_inexact 0
		.amdhsa_exception_int_div_zero 0
	.end_amdhsa_kernel
	.section	.text._ZN7rocprim17ROCPRIM_400000_NS6detail17trampoline_kernelINS0_14default_configENS1_22reduce_config_selectorIlEEZNS1_11reduce_implILb1ES3_N6thrust23THRUST_200600_302600_NS11hip_rocprim26transform_input_iterator_tIlNS8_12zip_iteratorINS8_5tupleINS8_6detail15normal_iteratorINS8_10device_ptrIdEEEESH_NS8_9null_typeESI_SI_SI_SI_SI_SI_SI_EEEENS9_21zip_adj_not_predicateINS8_8equal_toIdEEEEEEPllNS8_4plusIlEEEE10hipError_tPvRmT1_T2_T3_mT4_P12ihipStream_tbEUlT_E1_NS1_11comp_targetILNS1_3genE4ELNS1_11target_archE910ELNS1_3gpuE8ELNS1_3repE0EEENS1_30default_config_static_selectorELNS0_4arch9wavefront6targetE1EEEvSW_,"axG",@progbits,_ZN7rocprim17ROCPRIM_400000_NS6detail17trampoline_kernelINS0_14default_configENS1_22reduce_config_selectorIlEEZNS1_11reduce_implILb1ES3_N6thrust23THRUST_200600_302600_NS11hip_rocprim26transform_input_iterator_tIlNS8_12zip_iteratorINS8_5tupleINS8_6detail15normal_iteratorINS8_10device_ptrIdEEEESH_NS8_9null_typeESI_SI_SI_SI_SI_SI_SI_EEEENS9_21zip_adj_not_predicateINS8_8equal_toIdEEEEEEPllNS8_4plusIlEEEE10hipError_tPvRmT1_T2_T3_mT4_P12ihipStream_tbEUlT_E1_NS1_11comp_targetILNS1_3genE4ELNS1_11target_archE910ELNS1_3gpuE8ELNS1_3repE0EEENS1_30default_config_static_selectorELNS0_4arch9wavefront6targetE1EEEvSW_,comdat
.Lfunc_end754:
	.size	_ZN7rocprim17ROCPRIM_400000_NS6detail17trampoline_kernelINS0_14default_configENS1_22reduce_config_selectorIlEEZNS1_11reduce_implILb1ES3_N6thrust23THRUST_200600_302600_NS11hip_rocprim26transform_input_iterator_tIlNS8_12zip_iteratorINS8_5tupleINS8_6detail15normal_iteratorINS8_10device_ptrIdEEEESH_NS8_9null_typeESI_SI_SI_SI_SI_SI_SI_EEEENS9_21zip_adj_not_predicateINS8_8equal_toIdEEEEEEPllNS8_4plusIlEEEE10hipError_tPvRmT1_T2_T3_mT4_P12ihipStream_tbEUlT_E1_NS1_11comp_targetILNS1_3genE4ELNS1_11target_archE910ELNS1_3gpuE8ELNS1_3repE0EEENS1_30default_config_static_selectorELNS0_4arch9wavefront6targetE1EEEvSW_, .Lfunc_end754-_ZN7rocprim17ROCPRIM_400000_NS6detail17trampoline_kernelINS0_14default_configENS1_22reduce_config_selectorIlEEZNS1_11reduce_implILb1ES3_N6thrust23THRUST_200600_302600_NS11hip_rocprim26transform_input_iterator_tIlNS8_12zip_iteratorINS8_5tupleINS8_6detail15normal_iteratorINS8_10device_ptrIdEEEESH_NS8_9null_typeESI_SI_SI_SI_SI_SI_SI_EEEENS9_21zip_adj_not_predicateINS8_8equal_toIdEEEEEEPllNS8_4plusIlEEEE10hipError_tPvRmT1_T2_T3_mT4_P12ihipStream_tbEUlT_E1_NS1_11comp_targetILNS1_3genE4ELNS1_11target_archE910ELNS1_3gpuE8ELNS1_3repE0EEENS1_30default_config_static_selectorELNS0_4arch9wavefront6targetE1EEEvSW_
                                        ; -- End function
	.set _ZN7rocprim17ROCPRIM_400000_NS6detail17trampoline_kernelINS0_14default_configENS1_22reduce_config_selectorIlEEZNS1_11reduce_implILb1ES3_N6thrust23THRUST_200600_302600_NS11hip_rocprim26transform_input_iterator_tIlNS8_12zip_iteratorINS8_5tupleINS8_6detail15normal_iteratorINS8_10device_ptrIdEEEESH_NS8_9null_typeESI_SI_SI_SI_SI_SI_SI_EEEENS9_21zip_adj_not_predicateINS8_8equal_toIdEEEEEEPllNS8_4plusIlEEEE10hipError_tPvRmT1_T2_T3_mT4_P12ihipStream_tbEUlT_E1_NS1_11comp_targetILNS1_3genE4ELNS1_11target_archE910ELNS1_3gpuE8ELNS1_3repE0EEENS1_30default_config_static_selectorELNS0_4arch9wavefront6targetE1EEEvSW_.num_vgpr, 0
	.set _ZN7rocprim17ROCPRIM_400000_NS6detail17trampoline_kernelINS0_14default_configENS1_22reduce_config_selectorIlEEZNS1_11reduce_implILb1ES3_N6thrust23THRUST_200600_302600_NS11hip_rocprim26transform_input_iterator_tIlNS8_12zip_iteratorINS8_5tupleINS8_6detail15normal_iteratorINS8_10device_ptrIdEEEESH_NS8_9null_typeESI_SI_SI_SI_SI_SI_SI_EEEENS9_21zip_adj_not_predicateINS8_8equal_toIdEEEEEEPllNS8_4plusIlEEEE10hipError_tPvRmT1_T2_T3_mT4_P12ihipStream_tbEUlT_E1_NS1_11comp_targetILNS1_3genE4ELNS1_11target_archE910ELNS1_3gpuE8ELNS1_3repE0EEENS1_30default_config_static_selectorELNS0_4arch9wavefront6targetE1EEEvSW_.num_agpr, 0
	.set _ZN7rocprim17ROCPRIM_400000_NS6detail17trampoline_kernelINS0_14default_configENS1_22reduce_config_selectorIlEEZNS1_11reduce_implILb1ES3_N6thrust23THRUST_200600_302600_NS11hip_rocprim26transform_input_iterator_tIlNS8_12zip_iteratorINS8_5tupleINS8_6detail15normal_iteratorINS8_10device_ptrIdEEEESH_NS8_9null_typeESI_SI_SI_SI_SI_SI_SI_EEEENS9_21zip_adj_not_predicateINS8_8equal_toIdEEEEEEPllNS8_4plusIlEEEE10hipError_tPvRmT1_T2_T3_mT4_P12ihipStream_tbEUlT_E1_NS1_11comp_targetILNS1_3genE4ELNS1_11target_archE910ELNS1_3gpuE8ELNS1_3repE0EEENS1_30default_config_static_selectorELNS0_4arch9wavefront6targetE1EEEvSW_.numbered_sgpr, 0
	.set _ZN7rocprim17ROCPRIM_400000_NS6detail17trampoline_kernelINS0_14default_configENS1_22reduce_config_selectorIlEEZNS1_11reduce_implILb1ES3_N6thrust23THRUST_200600_302600_NS11hip_rocprim26transform_input_iterator_tIlNS8_12zip_iteratorINS8_5tupleINS8_6detail15normal_iteratorINS8_10device_ptrIdEEEESH_NS8_9null_typeESI_SI_SI_SI_SI_SI_SI_EEEENS9_21zip_adj_not_predicateINS8_8equal_toIdEEEEEEPllNS8_4plusIlEEEE10hipError_tPvRmT1_T2_T3_mT4_P12ihipStream_tbEUlT_E1_NS1_11comp_targetILNS1_3genE4ELNS1_11target_archE910ELNS1_3gpuE8ELNS1_3repE0EEENS1_30default_config_static_selectorELNS0_4arch9wavefront6targetE1EEEvSW_.num_named_barrier, 0
	.set _ZN7rocprim17ROCPRIM_400000_NS6detail17trampoline_kernelINS0_14default_configENS1_22reduce_config_selectorIlEEZNS1_11reduce_implILb1ES3_N6thrust23THRUST_200600_302600_NS11hip_rocprim26transform_input_iterator_tIlNS8_12zip_iteratorINS8_5tupleINS8_6detail15normal_iteratorINS8_10device_ptrIdEEEESH_NS8_9null_typeESI_SI_SI_SI_SI_SI_SI_EEEENS9_21zip_adj_not_predicateINS8_8equal_toIdEEEEEEPllNS8_4plusIlEEEE10hipError_tPvRmT1_T2_T3_mT4_P12ihipStream_tbEUlT_E1_NS1_11comp_targetILNS1_3genE4ELNS1_11target_archE910ELNS1_3gpuE8ELNS1_3repE0EEENS1_30default_config_static_selectorELNS0_4arch9wavefront6targetE1EEEvSW_.private_seg_size, 0
	.set _ZN7rocprim17ROCPRIM_400000_NS6detail17trampoline_kernelINS0_14default_configENS1_22reduce_config_selectorIlEEZNS1_11reduce_implILb1ES3_N6thrust23THRUST_200600_302600_NS11hip_rocprim26transform_input_iterator_tIlNS8_12zip_iteratorINS8_5tupleINS8_6detail15normal_iteratorINS8_10device_ptrIdEEEESH_NS8_9null_typeESI_SI_SI_SI_SI_SI_SI_EEEENS9_21zip_adj_not_predicateINS8_8equal_toIdEEEEEEPllNS8_4plusIlEEEE10hipError_tPvRmT1_T2_T3_mT4_P12ihipStream_tbEUlT_E1_NS1_11comp_targetILNS1_3genE4ELNS1_11target_archE910ELNS1_3gpuE8ELNS1_3repE0EEENS1_30default_config_static_selectorELNS0_4arch9wavefront6targetE1EEEvSW_.uses_vcc, 0
	.set _ZN7rocprim17ROCPRIM_400000_NS6detail17trampoline_kernelINS0_14default_configENS1_22reduce_config_selectorIlEEZNS1_11reduce_implILb1ES3_N6thrust23THRUST_200600_302600_NS11hip_rocprim26transform_input_iterator_tIlNS8_12zip_iteratorINS8_5tupleINS8_6detail15normal_iteratorINS8_10device_ptrIdEEEESH_NS8_9null_typeESI_SI_SI_SI_SI_SI_SI_EEEENS9_21zip_adj_not_predicateINS8_8equal_toIdEEEEEEPllNS8_4plusIlEEEE10hipError_tPvRmT1_T2_T3_mT4_P12ihipStream_tbEUlT_E1_NS1_11comp_targetILNS1_3genE4ELNS1_11target_archE910ELNS1_3gpuE8ELNS1_3repE0EEENS1_30default_config_static_selectorELNS0_4arch9wavefront6targetE1EEEvSW_.uses_flat_scratch, 0
	.set _ZN7rocprim17ROCPRIM_400000_NS6detail17trampoline_kernelINS0_14default_configENS1_22reduce_config_selectorIlEEZNS1_11reduce_implILb1ES3_N6thrust23THRUST_200600_302600_NS11hip_rocprim26transform_input_iterator_tIlNS8_12zip_iteratorINS8_5tupleINS8_6detail15normal_iteratorINS8_10device_ptrIdEEEESH_NS8_9null_typeESI_SI_SI_SI_SI_SI_SI_EEEENS9_21zip_adj_not_predicateINS8_8equal_toIdEEEEEEPllNS8_4plusIlEEEE10hipError_tPvRmT1_T2_T3_mT4_P12ihipStream_tbEUlT_E1_NS1_11comp_targetILNS1_3genE4ELNS1_11target_archE910ELNS1_3gpuE8ELNS1_3repE0EEENS1_30default_config_static_selectorELNS0_4arch9wavefront6targetE1EEEvSW_.has_dyn_sized_stack, 0
	.set _ZN7rocprim17ROCPRIM_400000_NS6detail17trampoline_kernelINS0_14default_configENS1_22reduce_config_selectorIlEEZNS1_11reduce_implILb1ES3_N6thrust23THRUST_200600_302600_NS11hip_rocprim26transform_input_iterator_tIlNS8_12zip_iteratorINS8_5tupleINS8_6detail15normal_iteratorINS8_10device_ptrIdEEEESH_NS8_9null_typeESI_SI_SI_SI_SI_SI_SI_EEEENS9_21zip_adj_not_predicateINS8_8equal_toIdEEEEEEPllNS8_4plusIlEEEE10hipError_tPvRmT1_T2_T3_mT4_P12ihipStream_tbEUlT_E1_NS1_11comp_targetILNS1_3genE4ELNS1_11target_archE910ELNS1_3gpuE8ELNS1_3repE0EEENS1_30default_config_static_selectorELNS0_4arch9wavefront6targetE1EEEvSW_.has_recursion, 0
	.set _ZN7rocprim17ROCPRIM_400000_NS6detail17trampoline_kernelINS0_14default_configENS1_22reduce_config_selectorIlEEZNS1_11reduce_implILb1ES3_N6thrust23THRUST_200600_302600_NS11hip_rocprim26transform_input_iterator_tIlNS8_12zip_iteratorINS8_5tupleINS8_6detail15normal_iteratorINS8_10device_ptrIdEEEESH_NS8_9null_typeESI_SI_SI_SI_SI_SI_SI_EEEENS9_21zip_adj_not_predicateINS8_8equal_toIdEEEEEEPllNS8_4plusIlEEEE10hipError_tPvRmT1_T2_T3_mT4_P12ihipStream_tbEUlT_E1_NS1_11comp_targetILNS1_3genE4ELNS1_11target_archE910ELNS1_3gpuE8ELNS1_3repE0EEENS1_30default_config_static_selectorELNS0_4arch9wavefront6targetE1EEEvSW_.has_indirect_call, 0
	.section	.AMDGPU.csdata,"",@progbits
; Kernel info:
; codeLenInByte = 0
; TotalNumSgprs: 4
; NumVgprs: 0
; ScratchSize: 0
; MemoryBound: 0
; FloatMode: 240
; IeeeMode: 1
; LDSByteSize: 0 bytes/workgroup (compile time only)
; SGPRBlocks: 0
; VGPRBlocks: 0
; NumSGPRsForWavesPerEU: 4
; NumVGPRsForWavesPerEU: 1
; Occupancy: 10
; WaveLimiterHint : 0
; COMPUTE_PGM_RSRC2:SCRATCH_EN: 0
; COMPUTE_PGM_RSRC2:USER_SGPR: 6
; COMPUTE_PGM_RSRC2:TRAP_HANDLER: 0
; COMPUTE_PGM_RSRC2:TGID_X_EN: 1
; COMPUTE_PGM_RSRC2:TGID_Y_EN: 0
; COMPUTE_PGM_RSRC2:TGID_Z_EN: 0
; COMPUTE_PGM_RSRC2:TIDIG_COMP_CNT: 0
	.section	.text._ZN7rocprim17ROCPRIM_400000_NS6detail17trampoline_kernelINS0_14default_configENS1_22reduce_config_selectorIlEEZNS1_11reduce_implILb1ES3_N6thrust23THRUST_200600_302600_NS11hip_rocprim26transform_input_iterator_tIlNS8_12zip_iteratorINS8_5tupleINS8_6detail15normal_iteratorINS8_10device_ptrIdEEEESH_NS8_9null_typeESI_SI_SI_SI_SI_SI_SI_EEEENS9_21zip_adj_not_predicateINS8_8equal_toIdEEEEEEPllNS8_4plusIlEEEE10hipError_tPvRmT1_T2_T3_mT4_P12ihipStream_tbEUlT_E1_NS1_11comp_targetILNS1_3genE3ELNS1_11target_archE908ELNS1_3gpuE7ELNS1_3repE0EEENS1_30default_config_static_selectorELNS0_4arch9wavefront6targetE1EEEvSW_,"axG",@progbits,_ZN7rocprim17ROCPRIM_400000_NS6detail17trampoline_kernelINS0_14default_configENS1_22reduce_config_selectorIlEEZNS1_11reduce_implILb1ES3_N6thrust23THRUST_200600_302600_NS11hip_rocprim26transform_input_iterator_tIlNS8_12zip_iteratorINS8_5tupleINS8_6detail15normal_iteratorINS8_10device_ptrIdEEEESH_NS8_9null_typeESI_SI_SI_SI_SI_SI_SI_EEEENS9_21zip_adj_not_predicateINS8_8equal_toIdEEEEEEPllNS8_4plusIlEEEE10hipError_tPvRmT1_T2_T3_mT4_P12ihipStream_tbEUlT_E1_NS1_11comp_targetILNS1_3genE3ELNS1_11target_archE908ELNS1_3gpuE7ELNS1_3repE0EEENS1_30default_config_static_selectorELNS0_4arch9wavefront6targetE1EEEvSW_,comdat
	.protected	_ZN7rocprim17ROCPRIM_400000_NS6detail17trampoline_kernelINS0_14default_configENS1_22reduce_config_selectorIlEEZNS1_11reduce_implILb1ES3_N6thrust23THRUST_200600_302600_NS11hip_rocprim26transform_input_iterator_tIlNS8_12zip_iteratorINS8_5tupleINS8_6detail15normal_iteratorINS8_10device_ptrIdEEEESH_NS8_9null_typeESI_SI_SI_SI_SI_SI_SI_EEEENS9_21zip_adj_not_predicateINS8_8equal_toIdEEEEEEPllNS8_4plusIlEEEE10hipError_tPvRmT1_T2_T3_mT4_P12ihipStream_tbEUlT_E1_NS1_11comp_targetILNS1_3genE3ELNS1_11target_archE908ELNS1_3gpuE7ELNS1_3repE0EEENS1_30default_config_static_selectorELNS0_4arch9wavefront6targetE1EEEvSW_ ; -- Begin function _ZN7rocprim17ROCPRIM_400000_NS6detail17trampoline_kernelINS0_14default_configENS1_22reduce_config_selectorIlEEZNS1_11reduce_implILb1ES3_N6thrust23THRUST_200600_302600_NS11hip_rocprim26transform_input_iterator_tIlNS8_12zip_iteratorINS8_5tupleINS8_6detail15normal_iteratorINS8_10device_ptrIdEEEESH_NS8_9null_typeESI_SI_SI_SI_SI_SI_SI_EEEENS9_21zip_adj_not_predicateINS8_8equal_toIdEEEEEEPllNS8_4plusIlEEEE10hipError_tPvRmT1_T2_T3_mT4_P12ihipStream_tbEUlT_E1_NS1_11comp_targetILNS1_3genE3ELNS1_11target_archE908ELNS1_3gpuE7ELNS1_3repE0EEENS1_30default_config_static_selectorELNS0_4arch9wavefront6targetE1EEEvSW_
	.globl	_ZN7rocprim17ROCPRIM_400000_NS6detail17trampoline_kernelINS0_14default_configENS1_22reduce_config_selectorIlEEZNS1_11reduce_implILb1ES3_N6thrust23THRUST_200600_302600_NS11hip_rocprim26transform_input_iterator_tIlNS8_12zip_iteratorINS8_5tupleINS8_6detail15normal_iteratorINS8_10device_ptrIdEEEESH_NS8_9null_typeESI_SI_SI_SI_SI_SI_SI_EEEENS9_21zip_adj_not_predicateINS8_8equal_toIdEEEEEEPllNS8_4plusIlEEEE10hipError_tPvRmT1_T2_T3_mT4_P12ihipStream_tbEUlT_E1_NS1_11comp_targetILNS1_3genE3ELNS1_11target_archE908ELNS1_3gpuE7ELNS1_3repE0EEENS1_30default_config_static_selectorELNS0_4arch9wavefront6targetE1EEEvSW_
	.p2align	8
	.type	_ZN7rocprim17ROCPRIM_400000_NS6detail17trampoline_kernelINS0_14default_configENS1_22reduce_config_selectorIlEEZNS1_11reduce_implILb1ES3_N6thrust23THRUST_200600_302600_NS11hip_rocprim26transform_input_iterator_tIlNS8_12zip_iteratorINS8_5tupleINS8_6detail15normal_iteratorINS8_10device_ptrIdEEEESH_NS8_9null_typeESI_SI_SI_SI_SI_SI_SI_EEEENS9_21zip_adj_not_predicateINS8_8equal_toIdEEEEEEPllNS8_4plusIlEEEE10hipError_tPvRmT1_T2_T3_mT4_P12ihipStream_tbEUlT_E1_NS1_11comp_targetILNS1_3genE3ELNS1_11target_archE908ELNS1_3gpuE7ELNS1_3repE0EEENS1_30default_config_static_selectorELNS0_4arch9wavefront6targetE1EEEvSW_,@function
_ZN7rocprim17ROCPRIM_400000_NS6detail17trampoline_kernelINS0_14default_configENS1_22reduce_config_selectorIlEEZNS1_11reduce_implILb1ES3_N6thrust23THRUST_200600_302600_NS11hip_rocprim26transform_input_iterator_tIlNS8_12zip_iteratorINS8_5tupleINS8_6detail15normal_iteratorINS8_10device_ptrIdEEEESH_NS8_9null_typeESI_SI_SI_SI_SI_SI_SI_EEEENS9_21zip_adj_not_predicateINS8_8equal_toIdEEEEEEPllNS8_4plusIlEEEE10hipError_tPvRmT1_T2_T3_mT4_P12ihipStream_tbEUlT_E1_NS1_11comp_targetILNS1_3genE3ELNS1_11target_archE908ELNS1_3gpuE7ELNS1_3repE0EEENS1_30default_config_static_selectorELNS0_4arch9wavefront6targetE1EEEvSW_: ; @_ZN7rocprim17ROCPRIM_400000_NS6detail17trampoline_kernelINS0_14default_configENS1_22reduce_config_selectorIlEEZNS1_11reduce_implILb1ES3_N6thrust23THRUST_200600_302600_NS11hip_rocprim26transform_input_iterator_tIlNS8_12zip_iteratorINS8_5tupleINS8_6detail15normal_iteratorINS8_10device_ptrIdEEEESH_NS8_9null_typeESI_SI_SI_SI_SI_SI_SI_EEEENS9_21zip_adj_not_predicateINS8_8equal_toIdEEEEEEPllNS8_4plusIlEEEE10hipError_tPvRmT1_T2_T3_mT4_P12ihipStream_tbEUlT_E1_NS1_11comp_targetILNS1_3genE3ELNS1_11target_archE908ELNS1_3gpuE7ELNS1_3repE0EEENS1_30default_config_static_selectorELNS0_4arch9wavefront6targetE1EEEvSW_
; %bb.0:
	.section	.rodata,"a",@progbits
	.p2align	6, 0x0
	.amdhsa_kernel _ZN7rocprim17ROCPRIM_400000_NS6detail17trampoline_kernelINS0_14default_configENS1_22reduce_config_selectorIlEEZNS1_11reduce_implILb1ES3_N6thrust23THRUST_200600_302600_NS11hip_rocprim26transform_input_iterator_tIlNS8_12zip_iteratorINS8_5tupleINS8_6detail15normal_iteratorINS8_10device_ptrIdEEEESH_NS8_9null_typeESI_SI_SI_SI_SI_SI_SI_EEEENS9_21zip_adj_not_predicateINS8_8equal_toIdEEEEEEPllNS8_4plusIlEEEE10hipError_tPvRmT1_T2_T3_mT4_P12ihipStream_tbEUlT_E1_NS1_11comp_targetILNS1_3genE3ELNS1_11target_archE908ELNS1_3gpuE7ELNS1_3repE0EEENS1_30default_config_static_selectorELNS0_4arch9wavefront6targetE1EEEvSW_
		.amdhsa_group_segment_fixed_size 0
		.amdhsa_private_segment_fixed_size 0
		.amdhsa_kernarg_size 64
		.amdhsa_user_sgpr_count 6
		.amdhsa_user_sgpr_private_segment_buffer 1
		.amdhsa_user_sgpr_dispatch_ptr 0
		.amdhsa_user_sgpr_queue_ptr 0
		.amdhsa_user_sgpr_kernarg_segment_ptr 1
		.amdhsa_user_sgpr_dispatch_id 0
		.amdhsa_user_sgpr_flat_scratch_init 0
		.amdhsa_user_sgpr_private_segment_size 0
		.amdhsa_uses_dynamic_stack 0
		.amdhsa_system_sgpr_private_segment_wavefront_offset 0
		.amdhsa_system_sgpr_workgroup_id_x 1
		.amdhsa_system_sgpr_workgroup_id_y 0
		.amdhsa_system_sgpr_workgroup_id_z 0
		.amdhsa_system_sgpr_workgroup_info 0
		.amdhsa_system_vgpr_workitem_id 0
		.amdhsa_next_free_vgpr 1
		.amdhsa_next_free_sgpr 0
		.amdhsa_reserve_vcc 0
		.amdhsa_reserve_flat_scratch 0
		.amdhsa_float_round_mode_32 0
		.amdhsa_float_round_mode_16_64 0
		.amdhsa_float_denorm_mode_32 3
		.amdhsa_float_denorm_mode_16_64 3
		.amdhsa_dx10_clamp 1
		.amdhsa_ieee_mode 1
		.amdhsa_fp16_overflow 0
		.amdhsa_exception_fp_ieee_invalid_op 0
		.amdhsa_exception_fp_denorm_src 0
		.amdhsa_exception_fp_ieee_div_zero 0
		.amdhsa_exception_fp_ieee_overflow 0
		.amdhsa_exception_fp_ieee_underflow 0
		.amdhsa_exception_fp_ieee_inexact 0
		.amdhsa_exception_int_div_zero 0
	.end_amdhsa_kernel
	.section	.text._ZN7rocprim17ROCPRIM_400000_NS6detail17trampoline_kernelINS0_14default_configENS1_22reduce_config_selectorIlEEZNS1_11reduce_implILb1ES3_N6thrust23THRUST_200600_302600_NS11hip_rocprim26transform_input_iterator_tIlNS8_12zip_iteratorINS8_5tupleINS8_6detail15normal_iteratorINS8_10device_ptrIdEEEESH_NS8_9null_typeESI_SI_SI_SI_SI_SI_SI_EEEENS9_21zip_adj_not_predicateINS8_8equal_toIdEEEEEEPllNS8_4plusIlEEEE10hipError_tPvRmT1_T2_T3_mT4_P12ihipStream_tbEUlT_E1_NS1_11comp_targetILNS1_3genE3ELNS1_11target_archE908ELNS1_3gpuE7ELNS1_3repE0EEENS1_30default_config_static_selectorELNS0_4arch9wavefront6targetE1EEEvSW_,"axG",@progbits,_ZN7rocprim17ROCPRIM_400000_NS6detail17trampoline_kernelINS0_14default_configENS1_22reduce_config_selectorIlEEZNS1_11reduce_implILb1ES3_N6thrust23THRUST_200600_302600_NS11hip_rocprim26transform_input_iterator_tIlNS8_12zip_iteratorINS8_5tupleINS8_6detail15normal_iteratorINS8_10device_ptrIdEEEESH_NS8_9null_typeESI_SI_SI_SI_SI_SI_SI_EEEENS9_21zip_adj_not_predicateINS8_8equal_toIdEEEEEEPllNS8_4plusIlEEEE10hipError_tPvRmT1_T2_T3_mT4_P12ihipStream_tbEUlT_E1_NS1_11comp_targetILNS1_3genE3ELNS1_11target_archE908ELNS1_3gpuE7ELNS1_3repE0EEENS1_30default_config_static_selectorELNS0_4arch9wavefront6targetE1EEEvSW_,comdat
.Lfunc_end755:
	.size	_ZN7rocprim17ROCPRIM_400000_NS6detail17trampoline_kernelINS0_14default_configENS1_22reduce_config_selectorIlEEZNS1_11reduce_implILb1ES3_N6thrust23THRUST_200600_302600_NS11hip_rocprim26transform_input_iterator_tIlNS8_12zip_iteratorINS8_5tupleINS8_6detail15normal_iteratorINS8_10device_ptrIdEEEESH_NS8_9null_typeESI_SI_SI_SI_SI_SI_SI_EEEENS9_21zip_adj_not_predicateINS8_8equal_toIdEEEEEEPllNS8_4plusIlEEEE10hipError_tPvRmT1_T2_T3_mT4_P12ihipStream_tbEUlT_E1_NS1_11comp_targetILNS1_3genE3ELNS1_11target_archE908ELNS1_3gpuE7ELNS1_3repE0EEENS1_30default_config_static_selectorELNS0_4arch9wavefront6targetE1EEEvSW_, .Lfunc_end755-_ZN7rocprim17ROCPRIM_400000_NS6detail17trampoline_kernelINS0_14default_configENS1_22reduce_config_selectorIlEEZNS1_11reduce_implILb1ES3_N6thrust23THRUST_200600_302600_NS11hip_rocprim26transform_input_iterator_tIlNS8_12zip_iteratorINS8_5tupleINS8_6detail15normal_iteratorINS8_10device_ptrIdEEEESH_NS8_9null_typeESI_SI_SI_SI_SI_SI_SI_EEEENS9_21zip_adj_not_predicateINS8_8equal_toIdEEEEEEPllNS8_4plusIlEEEE10hipError_tPvRmT1_T2_T3_mT4_P12ihipStream_tbEUlT_E1_NS1_11comp_targetILNS1_3genE3ELNS1_11target_archE908ELNS1_3gpuE7ELNS1_3repE0EEENS1_30default_config_static_selectorELNS0_4arch9wavefront6targetE1EEEvSW_
                                        ; -- End function
	.set _ZN7rocprim17ROCPRIM_400000_NS6detail17trampoline_kernelINS0_14default_configENS1_22reduce_config_selectorIlEEZNS1_11reduce_implILb1ES3_N6thrust23THRUST_200600_302600_NS11hip_rocprim26transform_input_iterator_tIlNS8_12zip_iteratorINS8_5tupleINS8_6detail15normal_iteratorINS8_10device_ptrIdEEEESH_NS8_9null_typeESI_SI_SI_SI_SI_SI_SI_EEEENS9_21zip_adj_not_predicateINS8_8equal_toIdEEEEEEPllNS8_4plusIlEEEE10hipError_tPvRmT1_T2_T3_mT4_P12ihipStream_tbEUlT_E1_NS1_11comp_targetILNS1_3genE3ELNS1_11target_archE908ELNS1_3gpuE7ELNS1_3repE0EEENS1_30default_config_static_selectorELNS0_4arch9wavefront6targetE1EEEvSW_.num_vgpr, 0
	.set _ZN7rocprim17ROCPRIM_400000_NS6detail17trampoline_kernelINS0_14default_configENS1_22reduce_config_selectorIlEEZNS1_11reduce_implILb1ES3_N6thrust23THRUST_200600_302600_NS11hip_rocprim26transform_input_iterator_tIlNS8_12zip_iteratorINS8_5tupleINS8_6detail15normal_iteratorINS8_10device_ptrIdEEEESH_NS8_9null_typeESI_SI_SI_SI_SI_SI_SI_EEEENS9_21zip_adj_not_predicateINS8_8equal_toIdEEEEEEPllNS8_4plusIlEEEE10hipError_tPvRmT1_T2_T3_mT4_P12ihipStream_tbEUlT_E1_NS1_11comp_targetILNS1_3genE3ELNS1_11target_archE908ELNS1_3gpuE7ELNS1_3repE0EEENS1_30default_config_static_selectorELNS0_4arch9wavefront6targetE1EEEvSW_.num_agpr, 0
	.set _ZN7rocprim17ROCPRIM_400000_NS6detail17trampoline_kernelINS0_14default_configENS1_22reduce_config_selectorIlEEZNS1_11reduce_implILb1ES3_N6thrust23THRUST_200600_302600_NS11hip_rocprim26transform_input_iterator_tIlNS8_12zip_iteratorINS8_5tupleINS8_6detail15normal_iteratorINS8_10device_ptrIdEEEESH_NS8_9null_typeESI_SI_SI_SI_SI_SI_SI_EEEENS9_21zip_adj_not_predicateINS8_8equal_toIdEEEEEEPllNS8_4plusIlEEEE10hipError_tPvRmT1_T2_T3_mT4_P12ihipStream_tbEUlT_E1_NS1_11comp_targetILNS1_3genE3ELNS1_11target_archE908ELNS1_3gpuE7ELNS1_3repE0EEENS1_30default_config_static_selectorELNS0_4arch9wavefront6targetE1EEEvSW_.numbered_sgpr, 0
	.set _ZN7rocprim17ROCPRIM_400000_NS6detail17trampoline_kernelINS0_14default_configENS1_22reduce_config_selectorIlEEZNS1_11reduce_implILb1ES3_N6thrust23THRUST_200600_302600_NS11hip_rocprim26transform_input_iterator_tIlNS8_12zip_iteratorINS8_5tupleINS8_6detail15normal_iteratorINS8_10device_ptrIdEEEESH_NS8_9null_typeESI_SI_SI_SI_SI_SI_SI_EEEENS9_21zip_adj_not_predicateINS8_8equal_toIdEEEEEEPllNS8_4plusIlEEEE10hipError_tPvRmT1_T2_T3_mT4_P12ihipStream_tbEUlT_E1_NS1_11comp_targetILNS1_3genE3ELNS1_11target_archE908ELNS1_3gpuE7ELNS1_3repE0EEENS1_30default_config_static_selectorELNS0_4arch9wavefront6targetE1EEEvSW_.num_named_barrier, 0
	.set _ZN7rocprim17ROCPRIM_400000_NS6detail17trampoline_kernelINS0_14default_configENS1_22reduce_config_selectorIlEEZNS1_11reduce_implILb1ES3_N6thrust23THRUST_200600_302600_NS11hip_rocprim26transform_input_iterator_tIlNS8_12zip_iteratorINS8_5tupleINS8_6detail15normal_iteratorINS8_10device_ptrIdEEEESH_NS8_9null_typeESI_SI_SI_SI_SI_SI_SI_EEEENS9_21zip_adj_not_predicateINS8_8equal_toIdEEEEEEPllNS8_4plusIlEEEE10hipError_tPvRmT1_T2_T3_mT4_P12ihipStream_tbEUlT_E1_NS1_11comp_targetILNS1_3genE3ELNS1_11target_archE908ELNS1_3gpuE7ELNS1_3repE0EEENS1_30default_config_static_selectorELNS0_4arch9wavefront6targetE1EEEvSW_.private_seg_size, 0
	.set _ZN7rocprim17ROCPRIM_400000_NS6detail17trampoline_kernelINS0_14default_configENS1_22reduce_config_selectorIlEEZNS1_11reduce_implILb1ES3_N6thrust23THRUST_200600_302600_NS11hip_rocprim26transform_input_iterator_tIlNS8_12zip_iteratorINS8_5tupleINS8_6detail15normal_iteratorINS8_10device_ptrIdEEEESH_NS8_9null_typeESI_SI_SI_SI_SI_SI_SI_EEEENS9_21zip_adj_not_predicateINS8_8equal_toIdEEEEEEPllNS8_4plusIlEEEE10hipError_tPvRmT1_T2_T3_mT4_P12ihipStream_tbEUlT_E1_NS1_11comp_targetILNS1_3genE3ELNS1_11target_archE908ELNS1_3gpuE7ELNS1_3repE0EEENS1_30default_config_static_selectorELNS0_4arch9wavefront6targetE1EEEvSW_.uses_vcc, 0
	.set _ZN7rocprim17ROCPRIM_400000_NS6detail17trampoline_kernelINS0_14default_configENS1_22reduce_config_selectorIlEEZNS1_11reduce_implILb1ES3_N6thrust23THRUST_200600_302600_NS11hip_rocprim26transform_input_iterator_tIlNS8_12zip_iteratorINS8_5tupleINS8_6detail15normal_iteratorINS8_10device_ptrIdEEEESH_NS8_9null_typeESI_SI_SI_SI_SI_SI_SI_EEEENS9_21zip_adj_not_predicateINS8_8equal_toIdEEEEEEPllNS8_4plusIlEEEE10hipError_tPvRmT1_T2_T3_mT4_P12ihipStream_tbEUlT_E1_NS1_11comp_targetILNS1_3genE3ELNS1_11target_archE908ELNS1_3gpuE7ELNS1_3repE0EEENS1_30default_config_static_selectorELNS0_4arch9wavefront6targetE1EEEvSW_.uses_flat_scratch, 0
	.set _ZN7rocprim17ROCPRIM_400000_NS6detail17trampoline_kernelINS0_14default_configENS1_22reduce_config_selectorIlEEZNS1_11reduce_implILb1ES3_N6thrust23THRUST_200600_302600_NS11hip_rocprim26transform_input_iterator_tIlNS8_12zip_iteratorINS8_5tupleINS8_6detail15normal_iteratorINS8_10device_ptrIdEEEESH_NS8_9null_typeESI_SI_SI_SI_SI_SI_SI_EEEENS9_21zip_adj_not_predicateINS8_8equal_toIdEEEEEEPllNS8_4plusIlEEEE10hipError_tPvRmT1_T2_T3_mT4_P12ihipStream_tbEUlT_E1_NS1_11comp_targetILNS1_3genE3ELNS1_11target_archE908ELNS1_3gpuE7ELNS1_3repE0EEENS1_30default_config_static_selectorELNS0_4arch9wavefront6targetE1EEEvSW_.has_dyn_sized_stack, 0
	.set _ZN7rocprim17ROCPRIM_400000_NS6detail17trampoline_kernelINS0_14default_configENS1_22reduce_config_selectorIlEEZNS1_11reduce_implILb1ES3_N6thrust23THRUST_200600_302600_NS11hip_rocprim26transform_input_iterator_tIlNS8_12zip_iteratorINS8_5tupleINS8_6detail15normal_iteratorINS8_10device_ptrIdEEEESH_NS8_9null_typeESI_SI_SI_SI_SI_SI_SI_EEEENS9_21zip_adj_not_predicateINS8_8equal_toIdEEEEEEPllNS8_4plusIlEEEE10hipError_tPvRmT1_T2_T3_mT4_P12ihipStream_tbEUlT_E1_NS1_11comp_targetILNS1_3genE3ELNS1_11target_archE908ELNS1_3gpuE7ELNS1_3repE0EEENS1_30default_config_static_selectorELNS0_4arch9wavefront6targetE1EEEvSW_.has_recursion, 0
	.set _ZN7rocprim17ROCPRIM_400000_NS6detail17trampoline_kernelINS0_14default_configENS1_22reduce_config_selectorIlEEZNS1_11reduce_implILb1ES3_N6thrust23THRUST_200600_302600_NS11hip_rocprim26transform_input_iterator_tIlNS8_12zip_iteratorINS8_5tupleINS8_6detail15normal_iteratorINS8_10device_ptrIdEEEESH_NS8_9null_typeESI_SI_SI_SI_SI_SI_SI_EEEENS9_21zip_adj_not_predicateINS8_8equal_toIdEEEEEEPllNS8_4plusIlEEEE10hipError_tPvRmT1_T2_T3_mT4_P12ihipStream_tbEUlT_E1_NS1_11comp_targetILNS1_3genE3ELNS1_11target_archE908ELNS1_3gpuE7ELNS1_3repE0EEENS1_30default_config_static_selectorELNS0_4arch9wavefront6targetE1EEEvSW_.has_indirect_call, 0
	.section	.AMDGPU.csdata,"",@progbits
; Kernel info:
; codeLenInByte = 0
; TotalNumSgprs: 4
; NumVgprs: 0
; ScratchSize: 0
; MemoryBound: 0
; FloatMode: 240
; IeeeMode: 1
; LDSByteSize: 0 bytes/workgroup (compile time only)
; SGPRBlocks: 0
; VGPRBlocks: 0
; NumSGPRsForWavesPerEU: 4
; NumVGPRsForWavesPerEU: 1
; Occupancy: 10
; WaveLimiterHint : 0
; COMPUTE_PGM_RSRC2:SCRATCH_EN: 0
; COMPUTE_PGM_RSRC2:USER_SGPR: 6
; COMPUTE_PGM_RSRC2:TRAP_HANDLER: 0
; COMPUTE_PGM_RSRC2:TGID_X_EN: 1
; COMPUTE_PGM_RSRC2:TGID_Y_EN: 0
; COMPUTE_PGM_RSRC2:TGID_Z_EN: 0
; COMPUTE_PGM_RSRC2:TIDIG_COMP_CNT: 0
	.section	.text._ZN7rocprim17ROCPRIM_400000_NS6detail17trampoline_kernelINS0_14default_configENS1_22reduce_config_selectorIlEEZNS1_11reduce_implILb1ES3_N6thrust23THRUST_200600_302600_NS11hip_rocprim26transform_input_iterator_tIlNS8_12zip_iteratorINS8_5tupleINS8_6detail15normal_iteratorINS8_10device_ptrIdEEEESH_NS8_9null_typeESI_SI_SI_SI_SI_SI_SI_EEEENS9_21zip_adj_not_predicateINS8_8equal_toIdEEEEEEPllNS8_4plusIlEEEE10hipError_tPvRmT1_T2_T3_mT4_P12ihipStream_tbEUlT_E1_NS1_11comp_targetILNS1_3genE2ELNS1_11target_archE906ELNS1_3gpuE6ELNS1_3repE0EEENS1_30default_config_static_selectorELNS0_4arch9wavefront6targetE1EEEvSW_,"axG",@progbits,_ZN7rocprim17ROCPRIM_400000_NS6detail17trampoline_kernelINS0_14default_configENS1_22reduce_config_selectorIlEEZNS1_11reduce_implILb1ES3_N6thrust23THRUST_200600_302600_NS11hip_rocprim26transform_input_iterator_tIlNS8_12zip_iteratorINS8_5tupleINS8_6detail15normal_iteratorINS8_10device_ptrIdEEEESH_NS8_9null_typeESI_SI_SI_SI_SI_SI_SI_EEEENS9_21zip_adj_not_predicateINS8_8equal_toIdEEEEEEPllNS8_4plusIlEEEE10hipError_tPvRmT1_T2_T3_mT4_P12ihipStream_tbEUlT_E1_NS1_11comp_targetILNS1_3genE2ELNS1_11target_archE906ELNS1_3gpuE6ELNS1_3repE0EEENS1_30default_config_static_selectorELNS0_4arch9wavefront6targetE1EEEvSW_,comdat
	.protected	_ZN7rocprim17ROCPRIM_400000_NS6detail17trampoline_kernelINS0_14default_configENS1_22reduce_config_selectorIlEEZNS1_11reduce_implILb1ES3_N6thrust23THRUST_200600_302600_NS11hip_rocprim26transform_input_iterator_tIlNS8_12zip_iteratorINS8_5tupleINS8_6detail15normal_iteratorINS8_10device_ptrIdEEEESH_NS8_9null_typeESI_SI_SI_SI_SI_SI_SI_EEEENS9_21zip_adj_not_predicateINS8_8equal_toIdEEEEEEPllNS8_4plusIlEEEE10hipError_tPvRmT1_T2_T3_mT4_P12ihipStream_tbEUlT_E1_NS1_11comp_targetILNS1_3genE2ELNS1_11target_archE906ELNS1_3gpuE6ELNS1_3repE0EEENS1_30default_config_static_selectorELNS0_4arch9wavefront6targetE1EEEvSW_ ; -- Begin function _ZN7rocprim17ROCPRIM_400000_NS6detail17trampoline_kernelINS0_14default_configENS1_22reduce_config_selectorIlEEZNS1_11reduce_implILb1ES3_N6thrust23THRUST_200600_302600_NS11hip_rocprim26transform_input_iterator_tIlNS8_12zip_iteratorINS8_5tupleINS8_6detail15normal_iteratorINS8_10device_ptrIdEEEESH_NS8_9null_typeESI_SI_SI_SI_SI_SI_SI_EEEENS9_21zip_adj_not_predicateINS8_8equal_toIdEEEEEEPllNS8_4plusIlEEEE10hipError_tPvRmT1_T2_T3_mT4_P12ihipStream_tbEUlT_E1_NS1_11comp_targetILNS1_3genE2ELNS1_11target_archE906ELNS1_3gpuE6ELNS1_3repE0EEENS1_30default_config_static_selectorELNS0_4arch9wavefront6targetE1EEEvSW_
	.globl	_ZN7rocprim17ROCPRIM_400000_NS6detail17trampoline_kernelINS0_14default_configENS1_22reduce_config_selectorIlEEZNS1_11reduce_implILb1ES3_N6thrust23THRUST_200600_302600_NS11hip_rocprim26transform_input_iterator_tIlNS8_12zip_iteratorINS8_5tupleINS8_6detail15normal_iteratorINS8_10device_ptrIdEEEESH_NS8_9null_typeESI_SI_SI_SI_SI_SI_SI_EEEENS9_21zip_adj_not_predicateINS8_8equal_toIdEEEEEEPllNS8_4plusIlEEEE10hipError_tPvRmT1_T2_T3_mT4_P12ihipStream_tbEUlT_E1_NS1_11comp_targetILNS1_3genE2ELNS1_11target_archE906ELNS1_3gpuE6ELNS1_3repE0EEENS1_30default_config_static_selectorELNS0_4arch9wavefront6targetE1EEEvSW_
	.p2align	8
	.type	_ZN7rocprim17ROCPRIM_400000_NS6detail17trampoline_kernelINS0_14default_configENS1_22reduce_config_selectorIlEEZNS1_11reduce_implILb1ES3_N6thrust23THRUST_200600_302600_NS11hip_rocprim26transform_input_iterator_tIlNS8_12zip_iteratorINS8_5tupleINS8_6detail15normal_iteratorINS8_10device_ptrIdEEEESH_NS8_9null_typeESI_SI_SI_SI_SI_SI_SI_EEEENS9_21zip_adj_not_predicateINS8_8equal_toIdEEEEEEPllNS8_4plusIlEEEE10hipError_tPvRmT1_T2_T3_mT4_P12ihipStream_tbEUlT_E1_NS1_11comp_targetILNS1_3genE2ELNS1_11target_archE906ELNS1_3gpuE6ELNS1_3repE0EEENS1_30default_config_static_selectorELNS0_4arch9wavefront6targetE1EEEvSW_,@function
_ZN7rocprim17ROCPRIM_400000_NS6detail17trampoline_kernelINS0_14default_configENS1_22reduce_config_selectorIlEEZNS1_11reduce_implILb1ES3_N6thrust23THRUST_200600_302600_NS11hip_rocprim26transform_input_iterator_tIlNS8_12zip_iteratorINS8_5tupleINS8_6detail15normal_iteratorINS8_10device_ptrIdEEEESH_NS8_9null_typeESI_SI_SI_SI_SI_SI_SI_EEEENS9_21zip_adj_not_predicateINS8_8equal_toIdEEEEEEPllNS8_4plusIlEEEE10hipError_tPvRmT1_T2_T3_mT4_P12ihipStream_tbEUlT_E1_NS1_11comp_targetILNS1_3genE2ELNS1_11target_archE906ELNS1_3gpuE6ELNS1_3repE0EEENS1_30default_config_static_selectorELNS0_4arch9wavefront6targetE1EEEvSW_: ; @_ZN7rocprim17ROCPRIM_400000_NS6detail17trampoline_kernelINS0_14default_configENS1_22reduce_config_selectorIlEEZNS1_11reduce_implILb1ES3_N6thrust23THRUST_200600_302600_NS11hip_rocprim26transform_input_iterator_tIlNS8_12zip_iteratorINS8_5tupleINS8_6detail15normal_iteratorINS8_10device_ptrIdEEEESH_NS8_9null_typeESI_SI_SI_SI_SI_SI_SI_EEEENS9_21zip_adj_not_predicateINS8_8equal_toIdEEEEEEPllNS8_4plusIlEEEE10hipError_tPvRmT1_T2_T3_mT4_P12ihipStream_tbEUlT_E1_NS1_11comp_targetILNS1_3genE2ELNS1_11target_archE906ELNS1_3gpuE6ELNS1_3repE0EEENS1_30default_config_static_selectorELNS0_4arch9wavefront6targetE1EEEvSW_
; %bb.0:
	s_load_dword s33, s[4:5], 0x4
	s_load_dwordx4 s[24:27], s[4:5], 0x8
	s_load_dwordx4 s[20:23], s[4:5], 0x20
	s_waitcnt lgkmcnt(0)
	s_cmp_lt_i32 s33, 4
	s_cbranch_scc1 .LBB756_10
; %bb.1:
	s_cmp_gt_i32 s33, 7
	s_cbranch_scc0 .LBB756_11
; %bb.2:
	s_cmp_gt_i32 s33, 15
	s_cbranch_scc0 .LBB756_12
; %bb.3:
	s_mov_b64 s[28:29], 0
	s_cmp_eq_u32 s33, 16
	s_mov_b64 s[0:1], 0
                                        ; implicit-def: $vgpr1_vgpr2
                                        ; implicit-def: $vgpr3_vgpr4
	s_cbranch_scc0 .LBB756_13
; %bb.4:
	s_mov_b32 s7, 0
	s_lshl_b32 s36, s6, 12
	s_mov_b32 s37, s7
	s_lshr_b64 s[0:1], s[20:21], 12
	s_lshl_b64 s[2:3], s[36:37], 3
	s_add_u32 s30, s24, s2
	s_addc_u32 s31, s25, s3
	s_add_u32 s34, s26, s2
	s_addc_u32 s35, s27, s3
	s_cmp_lg_u64 s[0:1], s[6:7]
	s_cbranch_scc0 .LBB756_21
; %bb.5:
	v_lshlrev_b32_e32 v33, 3, v0
	v_mov_b32_e32 v1, s31
	v_add_co_u32_e32 v31, vcc, s30, v33
	v_addc_co_u32_e32 v32, vcc, 0, v1, vcc
	v_mov_b32_e32 v1, s35
	v_add_co_u32_e32 v34, vcc, s34, v33
	v_addc_co_u32_e32 v35, vcc, 0, v1, vcc
	v_add_co_u32_e32 v1, vcc, 0x1000, v31
	v_addc_co_u32_e32 v2, vcc, 0, v32, vcc
	;; [unrolled: 2-line block ×4, first 2 shown]
	global_load_dwordx2 v[5:6], v[1:2], off offset:2048
	global_load_dwordx2 v[7:8], v[3:4], off offset:2048
	v_add_co_u32_e32 v13, vcc, 0x2000, v34
	v_addc_co_u32_e32 v14, vcc, 0, v35, vcc
	global_load_dwordx2 v[11:12], v[9:10], off
	global_load_dwordx2 v[15:16], v[13:14], off
	v_add_co_u32_e32 v17, vcc, 0x3000, v31
	v_addc_co_u32_e32 v18, vcc, 0, v32, vcc
	v_add_co_u32_e32 v19, vcc, 0x3000, v34
	v_addc_co_u32_e32 v20, vcc, 0, v35, vcc
	global_load_dwordx2 v[21:22], v[19:20], off
	global_load_dwordx2 v[23:24], v[17:18], off
	global_load_dwordx2 v[25:26], v[17:18], off offset:2048
	global_load_dwordx2 v[27:28], v[19:20], off offset:2048
	global_load_dwordx2 v[29:30], v[1:2], off
                                        ; kill: killed $vgpr1 killed $vgpr2
                                        ; kill: killed $vgpr19 killed $vgpr20
                                        ; kill: killed $vgpr17 killed $vgpr18
	s_nop 0
	global_load_dwordx2 v[1:2], v[3:4], off
	global_load_dwordx2 v[17:18], v[9:10], off offset:2048
	global_load_dwordx2 v[19:20], v[13:14], off offset:2048
	v_add_co_u32_e32 v3, vcc, 0x4000, v31
	v_addc_co_u32_e32 v4, vcc, 0, v32, vcc
	s_waitcnt vmcnt(10)
	v_cmp_neq_f64_e64 s[0:1], v[5:6], v[7:8]
	v_add_co_u32_e32 v5, vcc, 0x4000, v34
	v_addc_co_u32_e32 v6, vcc, 0, v35, vcc
	global_load_dwordx2 v[7:8], v[3:4], off
	s_waitcnt vmcnt(9)
	v_cmp_neq_f64_e64 s[2:3], v[11:12], v[15:16]
	global_load_dwordx2 v[11:12], v[5:6], off
	v_add_co_u32_e32 v9, vcc, 0x5000, v31
	v_addc_co_u32_e32 v10, vcc, 0, v32, vcc
	s_waitcnt vmcnt(8)
	v_cmp_neq_f64_e64 s[8:9], v[23:24], v[21:22]
	v_add_co_u32_e32 v13, vcc, 0x5000, v34
	global_load_dwordx2 v[15:16], v[9:10], off
	global_load_dwordx2 v[21:22], v[9:10], off offset:2048
	v_addc_co_u32_e32 v14, vcc, 0, v35, vcc
	s_waitcnt vmcnt(8)
	v_cmp_neq_f64_e64 s[10:11], v[25:26], v[27:28]
	global_load_dwordx2 v[9:10], v[13:14], off
	global_load_dwordx2 v[23:24], v[13:14], off offset:2048
	global_load_dwordx2 v[25:26], v[3:4], off offset:2048
	;; [unrolled: 1-line block ×3, first 2 shown]
	v_add_co_u32_e32 v3, vcc, 0x6000, v31
	v_addc_co_u32_e32 v4, vcc, 0, v32, vcc
	v_add_co_u32_e32 v5, vcc, 0x6000, v34
	v_addc_co_u32_e32 v6, vcc, 0, v35, vcc
	s_waitcnt vmcnt(6)
	v_cmp_neq_f64_e64 s[12:13], v[7:8], v[11:12]
	v_add_co_u32_e32 v11, vcc, 0x7000, v31
	v_addc_co_u32_e32 v12, vcc, 0, v32, vcc
	global_load_dwordx2 v[7:8], v[3:4], off
	global_load_dwordx2 v[13:14], v[11:12], off
	s_waitcnt vmcnt(5)
	v_cmp_neq_f64_e64 s[14:15], v[15:16], v[9:10]
	global_load_dwordx2 v[9:10], v[5:6], off
	v_add_co_u32_e32 v15, vcc, 0x7000, v34
	v_addc_co_u32_e32 v16, vcc, 0, v35, vcc
	s_waitcnt vmcnt(5)
	v_cmp_neq_f64_e64 s[16:17], v[21:22], v[23:24]
	global_load_dwordx2 v[21:22], v[15:16], off
	global_load_dwordx2 v[23:24], v[3:4], off offset:2048
	global_load_dwordx2 v[31:32], v[5:6], off offset:2048
	s_nop 0
	global_load_dwordx2 v[3:4], v[11:12], off offset:2048
	global_load_dwordx2 v[5:6], v[15:16], off offset:2048
	v_cndmask_b32_e64 v16, 0, 1, s[0:1]
	v_cmp_neq_f64_e64 s[0:1], v[17:18], v[19:20]
	v_cndmask_b32_e64 v18, 0, 1, s[8:9]
	v_cndmask_b32_e64 v19, 0, 1, s[10:11]
	;; [unrolled: 1-line block ×3, first 2 shown]
	v_mov_b32_e32 v15, 0
	v_cndmask_b32_e64 v17, 0, 1, s[0:1]
	s_waitcnt vmcnt(8)
	v_cmp_neq_f64_e64 s[0:1], v[25:26], v[27:28]
	v_cndmask_b32_e64 v25, 0, 1, s[14:15]
	v_cndmask_b32_e64 v26, 0, 1, s[16:17]
	s_waitcnt vmcnt(5)
	v_cmp_neq_f64_e32 vcc, v[7:8], v[9:10]
	s_waitcnt vmcnt(4)
	v_cmp_neq_f64_e64 s[18:19], v[13:14], v[21:22]
	global_load_dwordx2 v[7:8], v33, s[34:35] offset:2048
	global_load_dwordx2 v[9:10], v33, s[30:31] offset:2048
	global_load_dwordx2 v[11:12], v33, s[34:35]
	global_load_dwordx2 v[13:14], v33, s[30:31]
	v_cndmask_b32_e64 v21, 0, 1, s[2:3]
	v_cndmask_b32_e64 v22, 0, 1, s[0:1]
	v_cndmask_b32_e64 v27, 0, 1, vcc
	s_waitcnt vmcnt(6)
	v_cmp_neq_f64_e32 vcc, v[23:24], v[31:32]
	v_cndmask_b32_e64 v24, 0, 1, s[18:19]
	v_cndmask_b32_e64 v23, 0, 1, vcc
	s_waitcnt vmcnt(4)
	v_cmp_neq_f64_e32 vcc, v[3:4], v[5:6]
	v_cndmask_b32_e64 v3, 0, 1, vcc
	s_waitcnt vmcnt(2)
	v_cmp_neq_f64_e32 vcc, v[9:10], v[7:8]
	v_cndmask_b32_e64 v4, 0, 1, vcc
	s_waitcnt vmcnt(0)
	v_cmp_neq_f64_e32 vcc, v[13:14], v[11:12]
	v_cndmask_b32_e64 v5, 0, 1, vcc
	v_cmp_neq_f64_e32 vcc, v[29:30], v[1:2]
	v_addc_co_u32_e32 v1, vcc, v4, v5, vcc
	v_add_co_u32_e32 v1, vcc, v1, v16
	v_addc_co_u32_e64 v2, s[0:1], 0, 0, vcc
	v_add_co_u32_e32 v1, vcc, v1, v21
	v_addc_co_u32_e32 v2, vcc, 0, v2, vcc
	v_add_co_u32_e32 v1, vcc, v1, v17
	v_addc_co_u32_e32 v2, vcc, 0, v2, vcc
	;; [unrolled: 2-line block ×12, first 2 shown]
	s_nop 0
	v_mov_b32_dpp v4, v1 quad_perm:[1,0,3,2] row_mask:0xf bank_mask:0xf bound_ctrl:1
	v_add_co_u32_e32 v1, vcc, v1, v4
	v_addc_co_u32_e32 v2, vcc, 0, v2, vcc
	v_mov_b32_dpp v5, v15 quad_perm:[1,0,3,2] row_mask:0xf bank_mask:0xf bound_ctrl:1
	v_add_co_u32_e32 v4, vcc, 0, v1
	v_addc_co_u32_e32 v2, vcc, v5, v2, vcc
	v_mov_b32_dpp v1, v1 quad_perm:[2,3,0,1] row_mask:0xf bank_mask:0xf bound_ctrl:1
	v_add_co_u32_e32 v1, vcc, v4, v1
	v_mov_b32_dpp v5, v2 quad_perm:[2,3,0,1] row_mask:0xf bank_mask:0xf bound_ctrl:1
	v_addc_co_u32_e32 v2, vcc, 0, v2, vcc
	v_add_co_u32_e32 v4, vcc, 0, v1
	v_addc_co_u32_e32 v2, vcc, v2, v5, vcc
	v_mov_b32_dpp v1, v1 row_ror:4 row_mask:0xf bank_mask:0xf bound_ctrl:1
	v_add_co_u32_e32 v1, vcc, v4, v1
	v_mov_b32_dpp v5, v2 row_ror:4 row_mask:0xf bank_mask:0xf bound_ctrl:1
	v_addc_co_u32_e32 v2, vcc, 0, v2, vcc
	v_add_co_u32_e32 v4, vcc, 0, v1
	v_addc_co_u32_e32 v2, vcc, v2, v5, vcc
	v_mov_b32_dpp v1, v1 row_ror:8 row_mask:0xf bank_mask:0xf bound_ctrl:1
	v_add_co_u32_e32 v1, vcc, v4, v1
	v_mov_b32_dpp v5, v2 row_ror:8 row_mask:0xf bank_mask:0xf bound_ctrl:1
	v_addc_co_u32_e32 v2, vcc, 0, v2, vcc
	v_add_co_u32_e32 v4, vcc, 0, v1
	v_addc_co_u32_e32 v2, vcc, v2, v5, vcc
	v_mov_b32_dpp v1, v1 row_bcast:15 row_mask:0xf bank_mask:0xf bound_ctrl:1
	v_add_co_u32_e32 v1, vcc, v4, v1
	v_mov_b32_dpp v5, v2 row_bcast:15 row_mask:0xf bank_mask:0xf bound_ctrl:1
	v_addc_co_u32_e32 v2, vcc, 0, v2, vcc
	v_add_co_u32_e32 v4, vcc, 0, v1
	v_addc_co_u32_e32 v2, vcc, v2, v5, vcc
	v_mov_b32_dpp v1, v1 row_bcast:31 row_mask:0xf bank_mask:0xf bound_ctrl:1
	v_mbcnt_lo_u32_b32 v3, -1, 0
	v_add_co_u32_e32 v1, vcc, v4, v1
	v_mbcnt_hi_u32_b32 v3, -1, v3
	v_addc_co_u32_e32 v4, vcc, 0, v2, vcc
	v_cmp_eq_u32_e32 vcc, 0, v3
	s_nop 0
	v_add_u32_dpp v2, v2, v4 row_bcast:31 row_mask:0xf bank_mask:0xf bound_ctrl:1
	v_lshlrev_b32_e32 v4, 2, v3
	v_or_b32_e32 v5, 0xfc, v4
	ds_bpermute_b32 v1, v5, v1
	ds_bpermute_b32 v2, v5, v2
	s_and_saveexec_b64 s[0:1], vcc
	s_cbranch_execz .LBB756_7
; %bb.6:
	v_lshrrev_b32_e32 v5, 3, v0
	v_and_b32_e32 v5, 24, v5
	s_waitcnt lgkmcnt(0)
	ds_write_b64 v5, v[1:2]
.LBB756_7:
	s_or_b64 exec, exec, s[0:1]
	v_cmp_gt_u32_e32 vcc, 64, v0
	s_waitcnt lgkmcnt(0)
	s_barrier
	s_and_saveexec_b64 s[0:1], vcc
	s_cbranch_execz .LBB756_9
; %bb.8:
	v_and_b32_e32 v5, 3, v3
	v_lshlrev_b32_e32 v1, 3, v5
	ds_read_b64 v[1:2], v1
	v_cmp_ne_u32_e32 vcc, 3, v5
	v_addc_co_u32_e32 v3, vcc, 0, v3, vcc
	v_lshlrev_b32_e32 v3, 2, v3
	s_waitcnt lgkmcnt(0)
	ds_bpermute_b32 v5, v3, v1
	ds_bpermute_b32 v3, v3, v2
	v_or_b32_e32 v4, 8, v4
	s_waitcnt lgkmcnt(1)
	v_add_co_u32_e32 v1, vcc, v1, v5
	v_addc_co_u32_e32 v2, vcc, 0, v2, vcc
	ds_bpermute_b32 v5, v4, v1
	v_add_co_u32_e32 v1, vcc, 0, v1
	s_waitcnt lgkmcnt(1)
	v_addc_co_u32_e32 v2, vcc, v3, v2, vcc
	ds_bpermute_b32 v3, v4, v2
	s_waitcnt lgkmcnt(1)
	v_add_co_u32_e32 v1, vcc, v1, v5
	v_addc_co_u32_e32 v2, vcc, 0, v2, vcc
	v_add_co_u32_e32 v1, vcc, 0, v1
	s_waitcnt lgkmcnt(0)
	v_addc_co_u32_e32 v2, vcc, v2, v3, vcc
.LBB756_9:
	s_or_b64 exec, exec, s[0:1]
	s_mov_b64 s[0:1], 0
	s_branch .LBB756_22
.LBB756_10:
	s_mov_b64 s[0:1], 0
                                        ; implicit-def: $vgpr1_vgpr2
                                        ; implicit-def: $vgpr3_vgpr4
	s_cbranch_execnz .LBB756_145
	s_branch .LBB756_206
.LBB756_11:
	s_mov_b64 s[0:1], 0
                                        ; implicit-def: $vgpr1_vgpr2
                                        ; implicit-def: $vgpr3_vgpr4
	s_cbranch_execnz .LBB756_110
	s_branch .LBB756_144
.LBB756_12:
	s_mov_b64 s[28:29], -1
	s_mov_b64 s[0:1], 0
                                        ; implicit-def: $vgpr1_vgpr2
                                        ; implicit-def: $vgpr3_vgpr4
.LBB756_13:
	s_and_b64 vcc, exec, s[28:29]
	s_cbranch_vccz .LBB756_109
.LBB756_14:
	s_cmp_eq_u32 s33, 8
                                        ; implicit-def: $vgpr1_vgpr2
                                        ; implicit-def: $vgpr3_vgpr4
	s_cbranch_scc0 .LBB756_109
; %bb.15:
	s_mov_b32 s7, 0
	s_lshl_b32 s0, s6, 11
	s_mov_b32 s1, s7
	s_lshr_b64 s[2:3], s[20:21], 11
	s_lshl_b64 s[8:9], s[0:1], 3
	s_add_u32 s16, s24, s8
	s_addc_u32 s17, s25, s9
	s_add_u32 s18, s26, s8
	s_addc_u32 s19, s27, s9
	s_cmp_lg_u64 s[2:3], s[6:7]
	s_cbranch_scc0 .LBB756_73
; %bb.16:
	v_lshlrev_b32_e32 v9, 3, v0
	global_load_dwordx2 v[1:2], v9, s[18:19] offset:2048
	global_load_dwordx2 v[3:4], v9, s[16:17] offset:2048
	v_mov_b32_e32 v10, s17
	global_load_dwordx2 v[5:6], v9, s[18:19]
	global_load_dwordx2 v[7:8], v9, s[16:17]
	v_add_co_u32_e32 v25, vcc, s16, v9
	v_addc_co_u32_e32 v29, vcc, 0, v10, vcc
	v_mov_b32_e32 v11, s19
	v_add_co_u32_e32 v30, vcc, s18, v9
	v_addc_co_u32_e32 v31, vcc, 0, v11, vcc
	v_add_co_u32_e32 v9, vcc, 0x1000, v25
	v_addc_co_u32_e32 v10, vcc, 0, v29, vcc
	;; [unrolled: 2-line block ×3, first 2 shown]
	global_load_dwordx2 v[13:14], v[9:10], off
	global_load_dwordx2 v[15:16], v[9:10], off offset:2048
	global_load_dwordx2 v[17:18], v[11:12], off
	global_load_dwordx2 v[19:20], v[11:12], off offset:2048
	v_add_co_u32_e32 v9, vcc, 0x2000, v25
	v_addc_co_u32_e32 v10, vcc, 0, v29, vcc
	v_add_co_u32_e32 v11, vcc, 0x2000, v30
	v_addc_co_u32_e32 v12, vcc, 0, v31, vcc
	global_load_dwordx2 v[21:22], v[9:10], off
	global_load_dwordx2 v[23:24], v[9:10], off offset:2048
	v_add_co_u32_e32 v9, vcc, 0x3000, v25
	global_load_dwordx2 v[25:26], v[11:12], off
	global_load_dwordx2 v[27:28], v[11:12], off offset:2048
	v_addc_co_u32_e32 v10, vcc, 0, v29, vcc
	v_add_co_u32_e32 v11, vcc, 0x3000, v30
	v_addc_co_u32_e32 v12, vcc, 0, v31, vcc
	global_load_dwordx2 v[29:30], v[11:12], off
	s_waitcnt vmcnt(11)
	v_cmp_neq_f64_e32 vcc, v[3:4], v[1:2]
	global_load_dwordx2 v[1:2], v[9:10], off
	global_load_dwordx2 v[3:4], v[9:10], off offset:2048
	global_load_dwordx2 v[31:32], v[11:12], off offset:2048
	v_mov_b32_e32 v9, 0
	v_cndmask_b32_e64 v10, 0, 1, vcc
	s_waitcnt vmcnt(12)
	v_cmp_neq_f64_e32 vcc, v[7:8], v[5:6]
	v_cndmask_b32_e64 v5, 0, 1, vcc
	s_waitcnt vmcnt(8)
	v_cmp_neq_f64_e32 vcc, v[15:16], v[19:20]
	v_cndmask_b32_e64 v6, 0, 1, vcc
	v_cmp_neq_f64_e32 vcc, v[13:14], v[17:18]
	v_addc_co_u32_e32 v5, vcc, v10, v5, vcc
	v_add_co_u32_e32 v5, vcc, v5, v6
	v_addc_co_u32_e64 v6, s[2:3], 0, 0, vcc
	s_waitcnt vmcnt(5)
	v_cmp_neq_f64_e32 vcc, v[21:22], v[25:26]
	v_cndmask_b32_e64 v7, 0, 1, vcc
	s_waitcnt vmcnt(4)
	v_cmp_neq_f64_e32 vcc, v[23:24], v[27:28]
	v_cndmask_b32_e64 v8, 0, 1, vcc
	v_add_co_u32_e32 v5, vcc, v5, v7
	v_addc_co_u32_e32 v6, vcc, 0, v6, vcc
	s_waitcnt vmcnt(2)
	v_cmp_neq_f64_e32 vcc, v[1:2], v[29:30]
	v_cndmask_b32_e64 v1, 0, 1, vcc
	s_waitcnt vmcnt(0)
	v_cmp_neq_f64_e32 vcc, v[3:4], v[31:32]
	v_cndmask_b32_e64 v2, 0, 1, vcc
	v_add_co_u32_e32 v3, vcc, v5, v8
	v_addc_co_u32_e32 v4, vcc, 0, v6, vcc
	v_add_co_u32_e32 v1, vcc, v3, v1
	v_addc_co_u32_e32 v3, vcc, 0, v4, vcc
	;; [unrolled: 2-line block ×3, first 2 shown]
	s_nop 0
	v_mov_b32_dpp v4, v1 quad_perm:[1,0,3,2] row_mask:0xf bank_mask:0xf bound_ctrl:1
	v_add_co_u32_e32 v1, vcc, v1, v4
	v_addc_co_u32_e32 v2, vcc, 0, v2, vcc
	v_mov_b32_dpp v5, v9 quad_perm:[1,0,3,2] row_mask:0xf bank_mask:0xf bound_ctrl:1
	v_add_co_u32_e32 v4, vcc, 0, v1
	v_addc_co_u32_e32 v2, vcc, v5, v2, vcc
	v_mov_b32_dpp v1, v1 quad_perm:[2,3,0,1] row_mask:0xf bank_mask:0xf bound_ctrl:1
	v_add_co_u32_e32 v1, vcc, v4, v1
	v_mov_b32_dpp v5, v2 quad_perm:[2,3,0,1] row_mask:0xf bank_mask:0xf bound_ctrl:1
	v_addc_co_u32_e32 v2, vcc, 0, v2, vcc
	v_add_co_u32_e32 v4, vcc, 0, v1
	v_addc_co_u32_e32 v2, vcc, v2, v5, vcc
	v_mov_b32_dpp v1, v1 row_ror:4 row_mask:0xf bank_mask:0xf bound_ctrl:1
	v_add_co_u32_e32 v1, vcc, v4, v1
	v_mov_b32_dpp v5, v2 row_ror:4 row_mask:0xf bank_mask:0xf bound_ctrl:1
	v_addc_co_u32_e32 v2, vcc, 0, v2, vcc
	v_add_co_u32_e32 v4, vcc, 0, v1
	v_addc_co_u32_e32 v2, vcc, v2, v5, vcc
	v_mov_b32_dpp v1, v1 row_ror:8 row_mask:0xf bank_mask:0xf bound_ctrl:1
	v_add_co_u32_e32 v1, vcc, v4, v1
	v_mov_b32_dpp v5, v2 row_ror:8 row_mask:0xf bank_mask:0xf bound_ctrl:1
	v_addc_co_u32_e32 v2, vcc, 0, v2, vcc
	v_add_co_u32_e32 v4, vcc, 0, v1
	v_addc_co_u32_e32 v2, vcc, v2, v5, vcc
	v_mov_b32_dpp v1, v1 row_bcast:15 row_mask:0xf bank_mask:0xf bound_ctrl:1
	v_add_co_u32_e32 v1, vcc, v4, v1
	v_mov_b32_dpp v5, v2 row_bcast:15 row_mask:0xf bank_mask:0xf bound_ctrl:1
	v_addc_co_u32_e32 v2, vcc, 0, v2, vcc
	v_add_co_u32_e32 v4, vcc, 0, v1
	v_addc_co_u32_e32 v2, vcc, v2, v5, vcc
	v_mov_b32_dpp v1, v1 row_bcast:31 row_mask:0xf bank_mask:0xf bound_ctrl:1
	v_mbcnt_lo_u32_b32 v3, -1, 0
	v_add_co_u32_e32 v1, vcc, v4, v1
	v_mbcnt_hi_u32_b32 v3, -1, v3
	v_addc_co_u32_e32 v4, vcc, 0, v2, vcc
	v_cmp_eq_u32_e32 vcc, 0, v3
	s_nop 0
	v_add_u32_dpp v2, v2, v4 row_bcast:31 row_mask:0xf bank_mask:0xf bound_ctrl:1
	v_lshlrev_b32_e32 v4, 2, v3
	v_or_b32_e32 v5, 0xfc, v4
	ds_bpermute_b32 v1, v5, v1
	ds_bpermute_b32 v2, v5, v2
	s_and_saveexec_b64 s[2:3], vcc
	s_cbranch_execz .LBB756_18
; %bb.17:
	v_lshrrev_b32_e32 v5, 3, v0
	v_and_b32_e32 v5, 24, v5
	s_waitcnt lgkmcnt(0)
	ds_write_b64 v5, v[1:2] offset:128
.LBB756_18:
	s_or_b64 exec, exec, s[2:3]
	v_cmp_gt_u32_e32 vcc, 64, v0
	s_waitcnt lgkmcnt(0)
	s_barrier
	s_and_saveexec_b64 s[2:3], vcc
	s_cbranch_execz .LBB756_20
; %bb.19:
	v_and_b32_e32 v5, 3, v3
	v_lshlrev_b32_e32 v1, 3, v5
	ds_read_b64 v[1:2], v1 offset:128
	v_cmp_ne_u32_e32 vcc, 3, v5
	v_addc_co_u32_e32 v3, vcc, 0, v3, vcc
	v_lshlrev_b32_e32 v3, 2, v3
	s_waitcnt lgkmcnt(0)
	ds_bpermute_b32 v5, v3, v1
	ds_bpermute_b32 v3, v3, v2
	v_or_b32_e32 v4, 8, v4
	s_waitcnt lgkmcnt(1)
	v_add_co_u32_e32 v1, vcc, v1, v5
	v_addc_co_u32_e32 v2, vcc, 0, v2, vcc
	ds_bpermute_b32 v5, v4, v1
	v_add_co_u32_e32 v1, vcc, 0, v1
	s_waitcnt lgkmcnt(1)
	v_addc_co_u32_e32 v2, vcc, v3, v2, vcc
	ds_bpermute_b32 v3, v4, v2
	s_waitcnt lgkmcnt(1)
	v_add_co_u32_e32 v1, vcc, v1, v5
	v_addc_co_u32_e32 v2, vcc, 0, v2, vcc
	v_add_co_u32_e32 v1, vcc, 0, v1
	s_waitcnt lgkmcnt(0)
	v_addc_co_u32_e32 v2, vcc, v2, v3, vcc
.LBB756_20:
	s_or_b64 exec, exec, s[2:3]
	s_mov_b64 s[2:3], 0
	s_branch .LBB756_74
.LBB756_21:
	s_mov_b64 s[0:1], -1
                                        ; implicit-def: $vgpr1_vgpr2
.LBB756_22:
	s_and_b64 vcc, exec, s[0:1]
	s_cbranch_vccz .LBB756_72
; %bb.23:
	s_sub_i32 s2, s20, s36
	v_cmp_gt_u32_e32 vcc, s2, v0
                                        ; implicit-def: $vgpr1_vgpr2
	s_and_saveexec_b64 s[0:1], vcc
	s_cbranch_execz .LBB756_25
; %bb.24:
	v_lshlrev_b32_e32 v5, 3, v0
	global_load_dwordx2 v[1:2], v5, s[30:31]
	global_load_dwordx2 v[3:4], v5, s[34:35]
	s_mov_b32 s3, 0
	s_waitcnt vmcnt(0)
	v_cmp_neq_f64_e32 vcc, v[1:2], v[3:4]
	v_mov_b32_e32 v2, s3
	v_cndmask_b32_e64 v1, 0, 1, vcc
.LBB756_25:
	s_or_b64 exec, exec, s[0:1]
	v_or_b32_e32 v7, 0x100, v0
	v_mov_b32_e32 v3, 0
	v_mov_b32_e32 v5, 0
	;; [unrolled: 1-line block ×4, first 2 shown]
	v_cmp_gt_u32_e32 vcc, s2, v7
	s_and_saveexec_b64 s[0:1], vcc
	s_cbranch_execz .LBB756_27
; %bb.26:
	v_lshlrev_b32_e32 v9, 3, v0
	global_load_dwordx2 v[5:6], v9, s[30:31] offset:2048
	global_load_dwordx2 v[7:8], v9, s[34:35] offset:2048
	s_mov_b32 s3, 0
	s_waitcnt vmcnt(0)
	v_cmp_neq_f64_e32 vcc, v[5:6], v[7:8]
	v_mov_b32_e32 v6, s3
	v_cndmask_b32_e64 v5, 0, 1, vcc
.LBB756_27:
	s_or_b64 exec, exec, s[0:1]
	v_or_b32_e32 v7, 0x200, v0
	v_cmp_gt_u32_e32 vcc, s2, v7
	s_and_saveexec_b64 s[0:1], vcc
	s_cbranch_execz .LBB756_29
; %bb.28:
	v_lshlrev_b32_e32 v9, 3, v7
	global_load_dwordx2 v[3:4], v9, s[30:31]
	global_load_dwordx2 v[7:8], v9, s[34:35]
	s_mov_b32 s3, 0
	s_waitcnt vmcnt(0)
	v_cmp_neq_f64_e32 vcc, v[3:4], v[7:8]
	v_mov_b32_e32 v4, s3
	v_cndmask_b32_e64 v3, 0, 1, vcc
.LBB756_29:
	s_or_b64 exec, exec, s[0:1]
	v_or_b32_e32 v11, 0x300, v0
	v_mov_b32_e32 v7, 0
	v_mov_b32_e32 v9, 0
	v_mov_b32_e32 v8, 0
	v_mov_b32_e32 v10, 0
	v_cmp_gt_u32_e32 vcc, s2, v11
	s_and_saveexec_b64 s[0:1], vcc
	s_cbranch_execz .LBB756_31
; %bb.30:
	v_lshlrev_b32_e32 v13, 3, v11
	global_load_dwordx2 v[9:10], v13, s[30:31]
	global_load_dwordx2 v[11:12], v13, s[34:35]
	s_mov_b32 s3, 0
	s_waitcnt vmcnt(0)
	v_cmp_neq_f64_e32 vcc, v[9:10], v[11:12]
	v_mov_b32_e32 v10, s3
	v_cndmask_b32_e64 v9, 0, 1, vcc
.LBB756_31:
	s_or_b64 exec, exec, s[0:1]
	v_or_b32_e32 v11, 0x400, v0
	v_cmp_gt_u32_e32 vcc, s2, v11
	s_and_saveexec_b64 s[0:1], vcc
	s_cbranch_execz .LBB756_33
; %bb.32:
	v_lshlrev_b32_e32 v13, 3, v11
	global_load_dwordx2 v[7:8], v13, s[30:31]
	global_load_dwordx2 v[11:12], v13, s[34:35]
	s_mov_b32 s3, 0
	s_waitcnt vmcnt(0)
	v_cmp_neq_f64_e32 vcc, v[7:8], v[11:12]
	v_mov_b32_e32 v8, s3
	v_cndmask_b32_e64 v7, 0, 1, vcc
.LBB756_33:
	s_or_b64 exec, exec, s[0:1]
	v_or_b32_e32 v15, 0x500, v0
	v_mov_b32_e32 v11, 0
	v_mov_b32_e32 v13, 0
	v_mov_b32_e32 v12, 0
	v_mov_b32_e32 v14, 0
	v_cmp_gt_u32_e32 vcc, s2, v15
	s_and_saveexec_b64 s[0:1], vcc
	s_cbranch_execz .LBB756_35
; %bb.34:
	v_lshlrev_b32_e32 v17, 3, v15
	global_load_dwordx2 v[13:14], v17, s[30:31]
	global_load_dwordx2 v[15:16], v17, s[34:35]
	s_mov_b32 s3, 0
	s_waitcnt vmcnt(0)
	v_cmp_neq_f64_e32 vcc, v[13:14], v[15:16]
	v_mov_b32_e32 v14, s3
	v_cndmask_b32_e64 v13, 0, 1, vcc
.LBB756_35:
	;; [unrolled: 34-line block ×6, first 2 shown]
	s_or_b64 exec, exec, s[0:1]
	v_or_b32_e32 v31, 0xe00, v0
	v_cmp_gt_u32_e32 vcc, s2, v31
	s_and_saveexec_b64 s[0:1], vcc
	s_cbranch_execz .LBB756_53
; %bb.52:
	v_lshlrev_b32_e32 v33, 3, v31
	global_load_dwordx2 v[27:28], v33, s[30:31]
	global_load_dwordx2 v[31:32], v33, s[34:35]
	s_mov_b32 s3, 0
	s_waitcnt vmcnt(0)
	v_cmp_neq_f64_e32 vcc, v[27:28], v[31:32]
	v_mov_b32_e32 v28, s3
	v_cndmask_b32_e64 v27, 0, 1, vcc
.LBB756_53:
	s_or_b64 exec, exec, s[0:1]
	v_or_b32_e32 v33, 0xf00, v0
	v_mov_b32_e32 v31, 0
	v_mov_b32_e32 v32, 0
	v_cmp_gt_u32_e32 vcc, s2, v33
	s_and_saveexec_b64 s[0:1], vcc
	s_cbranch_execz .LBB756_55
; %bb.54:
	v_lshlrev_b32_e32 v35, 3, v33
	global_load_dwordx2 v[31:32], v35, s[30:31]
	global_load_dwordx2 v[33:34], v35, s[34:35]
	s_mov_b32 s3, 0
	s_waitcnt vmcnt(0)
	v_cmp_neq_f64_e32 vcc, v[31:32], v[33:34]
	v_mov_b32_e32 v32, s3
	v_cndmask_b32_e64 v31, 0, 1, vcc
.LBB756_55:
	s_or_b64 exec, exec, s[0:1]
	v_add_co_u32_e32 v1, vcc, v5, v1
	v_addc_co_u32_e32 v2, vcc, v6, v2, vcc
	v_add_co_u32_e32 v1, vcc, v1, v3
	v_addc_co_u32_e32 v2, vcc, v2, v4, vcc
	;; [unrolled: 2-line block ×14, first 2 shown]
	v_mbcnt_lo_u32_b32 v3, -1, 0
	v_add_co_u32_e32 v1, vcc, v1, v31
	v_mbcnt_hi_u32_b32 v3, -1, v3
	v_addc_co_u32_e32 v2, vcc, v2, v32, vcc
	v_and_b32_e32 v4, 63, v3
	v_cmp_ne_u32_e32 vcc, 63, v4
	v_addc_co_u32_e32 v6, vcc, 0, v3, vcc
	v_lshlrev_b32_e32 v6, 2, v6
	ds_bpermute_b32 v8, v6, v1
	ds_bpermute_b32 v7, v6, v2
	s_min_u32 s2, s2, 0x100
	v_and_b32_e32 v5, 0xc0, v0
	v_sub_u32_e64 v5, s2, v5 clamp
	v_add_u32_e32 v6, 1, v4
	v_cmp_lt_u32_e32 vcc, v6, v5
	v_mov_b32_e32 v6, v1
	s_and_saveexec_b64 s[0:1], vcc
	s_cbranch_execz .LBB756_57
; %bb.56:
	s_waitcnt lgkmcnt(1)
	v_add_co_u32_e32 v6, vcc, v1, v8
	v_addc_co_u32_e32 v2, vcc, 0, v2, vcc
	v_add_co_u32_e32 v1, vcc, 0, v6
	s_waitcnt lgkmcnt(0)
	v_addc_co_u32_e32 v2, vcc, v7, v2, vcc
.LBB756_57:
	s_or_b64 exec, exec, s[0:1]
	v_cmp_gt_u32_e32 vcc, 62, v4
	s_waitcnt lgkmcnt(0)
	v_cndmask_b32_e64 v7, 0, 2, vcc
	v_add_lshl_u32 v7, v7, v3, 2
	ds_bpermute_b32 v8, v7, v6
	ds_bpermute_b32 v7, v7, v2
	v_add_u32_e32 v9, 2, v4
	v_cmp_lt_u32_e32 vcc, v9, v5
	s_and_saveexec_b64 s[0:1], vcc
	s_cbranch_execz .LBB756_59
; %bb.58:
	s_waitcnt lgkmcnt(1)
	v_add_co_u32_e32 v6, vcc, v1, v8
	v_addc_co_u32_e32 v2, vcc, 0, v2, vcc
	v_add_co_u32_e32 v1, vcc, 0, v6
	s_waitcnt lgkmcnt(0)
	v_addc_co_u32_e32 v2, vcc, v7, v2, vcc
.LBB756_59:
	s_or_b64 exec, exec, s[0:1]
	v_cmp_gt_u32_e32 vcc, 60, v4
	s_waitcnt lgkmcnt(0)
	v_cndmask_b32_e64 v7, 0, 4, vcc
	v_add_lshl_u32 v7, v7, v3, 2
	ds_bpermute_b32 v8, v7, v6
	ds_bpermute_b32 v7, v7, v2
	v_add_u32_e32 v9, 4, v4
	v_cmp_lt_u32_e32 vcc, v9, v5
	s_and_saveexec_b64 s[0:1], vcc
	s_cbranch_execz .LBB756_61
; %bb.60:
	s_waitcnt lgkmcnt(1)
	v_add_co_u32_e32 v6, vcc, v1, v8
	v_addc_co_u32_e32 v2, vcc, 0, v2, vcc
	v_add_co_u32_e32 v1, vcc, 0, v6
	s_waitcnt lgkmcnt(0)
	v_addc_co_u32_e32 v2, vcc, v7, v2, vcc
.LBB756_61:
	s_or_b64 exec, exec, s[0:1]
	v_cmp_gt_u32_e32 vcc, 56, v4
	s_waitcnt lgkmcnt(0)
	v_cndmask_b32_e64 v7, 0, 8, vcc
	v_add_lshl_u32 v7, v7, v3, 2
	ds_bpermute_b32 v8, v7, v6
	ds_bpermute_b32 v7, v7, v2
	v_add_u32_e32 v9, 8, v4
	v_cmp_lt_u32_e32 vcc, v9, v5
	s_and_saveexec_b64 s[0:1], vcc
	s_cbranch_execz .LBB756_63
; %bb.62:
	s_waitcnt lgkmcnt(1)
	v_add_co_u32_e32 v6, vcc, v1, v8
	v_addc_co_u32_e32 v2, vcc, 0, v2, vcc
	v_add_co_u32_e32 v1, vcc, 0, v6
	s_waitcnt lgkmcnt(0)
	v_addc_co_u32_e32 v2, vcc, v7, v2, vcc
.LBB756_63:
	s_or_b64 exec, exec, s[0:1]
	v_cmp_gt_u32_e32 vcc, 48, v4
	s_waitcnt lgkmcnt(0)
	v_cndmask_b32_e64 v7, 0, 16, vcc
	v_add_lshl_u32 v7, v7, v3, 2
	ds_bpermute_b32 v8, v7, v6
	ds_bpermute_b32 v7, v7, v2
	v_add_u32_e32 v9, 16, v4
	v_cmp_lt_u32_e32 vcc, v9, v5
	s_and_saveexec_b64 s[0:1], vcc
	s_cbranch_execz .LBB756_65
; %bb.64:
	s_waitcnt lgkmcnt(1)
	v_add_co_u32_e32 v6, vcc, v1, v8
	v_addc_co_u32_e32 v2, vcc, 0, v2, vcc
	v_add_co_u32_e32 v1, vcc, 0, v6
	s_waitcnt lgkmcnt(0)
	v_addc_co_u32_e32 v2, vcc, v7, v2, vcc
.LBB756_65:
	s_or_b64 exec, exec, s[0:1]
	s_waitcnt lgkmcnt(0)
	v_lshlrev_b32_e32 v7, 2, v3
	v_or_b32_e32 v8, 0x80, v7
	ds_bpermute_b32 v6, v8, v6
	ds_bpermute_b32 v8, v8, v2
	v_add_u32_e32 v4, 32, v4
	s_waitcnt lgkmcnt(1)
	v_add_co_u32_e32 v6, vcc, v1, v6
	v_addc_co_u32_e32 v9, vcc, 0, v2, vcc
	v_add_co_u32_e32 v6, vcc, 0, v6
	s_waitcnt lgkmcnt(0)
	v_addc_co_u32_e32 v8, vcc, v9, v8, vcc
	v_cmp_lt_u32_e32 vcc, v4, v5
	v_cndmask_b32_e32 v2, v2, v8, vcc
	v_cndmask_b32_e32 v1, v1, v6, vcc
	v_cmp_eq_u32_e32 vcc, 0, v3
	s_and_saveexec_b64 s[0:1], vcc
; %bb.66:
	v_lshrrev_b32_e32 v4, 3, v0
	v_and_b32_e32 v4, 24, v4
	ds_write_b64 v4, v[1:2] offset:160
; %bb.67:
	s_or_b64 exec, exec, s[0:1]
	v_cmp_gt_u32_e32 vcc, 4, v0
	s_waitcnt lgkmcnt(0)
	s_barrier
	s_and_saveexec_b64 s[0:1], vcc
	s_cbranch_execz .LBB756_71
; %bb.68:
	v_lshlrev_b32_e32 v1, 3, v3
	ds_read_b64 v[1:2], v1 offset:160
	v_and_b32_e32 v4, 3, v3
	v_cmp_ne_u32_e32 vcc, 3, v4
	v_addc_co_u32_e32 v3, vcc, 0, v3, vcc
	v_lshlrev_b32_e32 v3, 2, v3
	s_waitcnt lgkmcnt(0)
	ds_bpermute_b32 v6, v3, v1
	ds_bpermute_b32 v5, v3, v2
	s_add_i32 s2, s2, 63
	s_lshr_b32 s8, s2, 6
	v_add_u32_e32 v3, 1, v4
	v_cmp_gt_u32_e32 vcc, s8, v3
	v_mov_b32_e32 v3, v1
	s_and_saveexec_b64 s[2:3], vcc
	s_cbranch_execz .LBB756_70
; %bb.69:
	s_waitcnt lgkmcnt(1)
	v_add_co_u32_e32 v3, vcc, v1, v6
	v_addc_co_u32_e32 v2, vcc, 0, v2, vcc
	v_add_co_u32_e32 v1, vcc, 0, v3
	s_waitcnt lgkmcnt(0)
	v_addc_co_u32_e32 v2, vcc, v5, v2, vcc
.LBB756_70:
	s_or_b64 exec, exec, s[2:3]
	s_waitcnt lgkmcnt(0)
	v_or_b32_e32 v5, 8, v7
	ds_bpermute_b32 v3, v5, v3
	ds_bpermute_b32 v5, v5, v2
	v_add_u32_e32 v4, 2, v4
	s_waitcnt lgkmcnt(1)
	v_add_co_u32_e32 v3, vcc, v1, v3
	v_addc_co_u32_e32 v6, vcc, 0, v2, vcc
	v_add_co_u32_e32 v3, vcc, 0, v3
	s_waitcnt lgkmcnt(0)
	v_addc_co_u32_e32 v5, vcc, v6, v5, vcc
	v_cmp_gt_u32_e32 vcc, s8, v4
	v_cndmask_b32_e32 v2, v2, v5, vcc
	v_cndmask_b32_e32 v1, v1, v3, vcc
.LBB756_71:
	s_or_b64 exec, exec, s[0:1]
.LBB756_72:
	v_mov_b32_e32 v3, s6
	v_cmp_eq_u32_e64 s[0:1], 0, v0
	v_mov_b32_e32 v4, s7
	s_and_b64 vcc, exec, s[28:29]
	s_cbranch_vccnz .LBB756_14
	s_branch .LBB756_109
.LBB756_73:
	s_mov_b64 s[2:3], -1
                                        ; implicit-def: $vgpr1_vgpr2
.LBB756_74:
	s_and_b64 vcc, exec, s[2:3]
	s_cbranch_vccz .LBB756_108
; %bb.75:
	s_sub_i32 s30, s20, s0
	v_mov_b32_e32 v1, 0
	v_cmp_gt_u32_e32 vcc, s30, v0
	v_mov_b32_e32 v2, v1
	v_mov_b32_e32 v3, v1
	;; [unrolled: 1-line block ×15, first 2 shown]
	s_and_saveexec_b64 s[0:1], vcc
	s_cbranch_execz .LBB756_77
; %bb.76:
	v_mov_b32_e32 v2, v1
	v_mov_b32_e32 v3, v1
	;; [unrolled: 1-line block ×15, first 2 shown]
	v_lshlrev_b32_e32 v1, 3, v0
	global_load_dwordx2 v[17:18], v1, s[16:17]
	global_load_dwordx2 v[19:20], v1, s[18:19]
	s_waitcnt vmcnt(0)
	v_cmp_neq_f64_e32 vcc, v[17:18], v[19:20]
	v_cndmask_b32_e64 v1, 0, 1, vcc
	v_and_b32_e32 v1, 0xffff, v1
.LBB756_77:
	s_or_b64 exec, exec, s[0:1]
	v_or_b32_e32 v17, 0x100, v0
	v_cmp_gt_u32_e32 vcc, s30, v17
	s_and_saveexec_b64 s[2:3], vcc
	s_cbranch_execz .LBB756_79
; %bb.78:
	v_lshlrev_b32_e32 v19, 3, v0
	global_load_dwordx2 v[3:4], v19, s[16:17] offset:2048
	global_load_dwordx2 v[17:18], v19, s[18:19] offset:2048
	s_mov_b32 s8, 0
	s_waitcnt vmcnt(0)
	v_cmp_neq_f64_e64 s[0:1], v[3:4], v[17:18]
	v_mov_b32_e32 v4, s8
	v_cndmask_b32_e64 v3, 0, 1, s[0:1]
.LBB756_79:
	s_or_b64 exec, exec, s[2:3]
	v_or_b32_e32 v17, 0x200, v0
	v_cmp_gt_u32_e64 s[0:1], s30, v17
	s_and_saveexec_b64 s[8:9], s[0:1]
	s_cbranch_execz .LBB756_81
; %bb.80:
	v_lshlrev_b32_e32 v19, 3, v17
	global_load_dwordx2 v[5:6], v19, s[16:17]
	global_load_dwordx2 v[17:18], v19, s[18:19]
	s_mov_b32 s10, 0
	s_waitcnt vmcnt(0)
	v_cmp_neq_f64_e64 s[2:3], v[5:6], v[17:18]
	v_mov_b32_e32 v6, s10
	v_cndmask_b32_e64 v5, 0, 1, s[2:3]
.LBB756_81:
	s_or_b64 exec, exec, s[8:9]
	v_or_b32_e32 v17, 0x300, v0
	v_cmp_gt_u32_e64 s[2:3], s30, v17
	s_and_saveexec_b64 s[10:11], s[2:3]
	s_cbranch_execz .LBB756_83
; %bb.82:
	v_lshlrev_b32_e32 v19, 3, v17
	global_load_dwordx2 v[7:8], v19, s[16:17]
	global_load_dwordx2 v[17:18], v19, s[18:19]
	s_mov_b32 s12, 0
	s_waitcnt vmcnt(0)
	v_cmp_neq_f64_e64 s[8:9], v[7:8], v[17:18]
	v_mov_b32_e32 v8, s12
	v_cndmask_b32_e64 v7, 0, 1, s[8:9]
.LBB756_83:
	;; [unrolled: 15-line block ×6, first 2 shown]
	s_or_b64 exec, exec, s[28:29]
	v_cndmask_b32_e32 v3, 0, v3, vcc
	v_cndmask_b32_e32 v4, 0, v4, vcc
	v_add_co_u32_e32 v1, vcc, v3, v1
	v_addc_co_u32_e32 v2, vcc, v4, v2, vcc
	v_cndmask_b32_e64 v4, 0, v5, s[0:1]
	v_cndmask_b32_e64 v3, 0, v6, s[0:1]
	v_add_co_u32_e32 v1, vcc, v1, v4
	v_addc_co_u32_e32 v2, vcc, v2, v3, vcc
	v_cndmask_b32_e64 v4, 0, v7, s[2:3]
	v_cndmask_b32_e64 v3, 0, v8, s[2:3]
	;; [unrolled: 4-line block ×6, first 2 shown]
	v_add_co_u32_e32 v1, vcc, v1, v4
	v_addc_co_u32_e32 v2, vcc, v2, v3, vcc
	v_mbcnt_lo_u32_b32 v3, -1, 0
	v_mbcnt_hi_u32_b32 v3, -1, v3
	v_and_b32_e32 v4, 63, v3
	v_cmp_ne_u32_e32 vcc, 63, v4
	v_addc_co_u32_e32 v6, vcc, 0, v3, vcc
	v_lshlrev_b32_e32 v6, 2, v6
	ds_bpermute_b32 v8, v6, v1
	ds_bpermute_b32 v7, v6, v2
	s_min_u32 s2, s30, 0x100
	v_and_b32_e32 v5, 0xc0, v0
	v_sub_u32_e64 v5, s2, v5 clamp
	v_add_u32_e32 v6, 1, v4
	v_cmp_lt_u32_e32 vcc, v6, v5
	v_mov_b32_e32 v6, v1
	s_and_saveexec_b64 s[0:1], vcc
	s_cbranch_execz .LBB756_93
; %bb.92:
	s_waitcnt lgkmcnt(1)
	v_add_co_u32_e32 v6, vcc, v1, v8
	v_addc_co_u32_e32 v2, vcc, 0, v2, vcc
	v_add_co_u32_e32 v1, vcc, 0, v6
	s_waitcnt lgkmcnt(0)
	v_addc_co_u32_e32 v2, vcc, v2, v7, vcc
.LBB756_93:
	s_or_b64 exec, exec, s[0:1]
	v_cmp_gt_u32_e32 vcc, 62, v4
	s_waitcnt lgkmcnt(0)
	v_cndmask_b32_e64 v7, 0, 2, vcc
	v_add_lshl_u32 v7, v7, v3, 2
	ds_bpermute_b32 v8, v7, v6
	ds_bpermute_b32 v7, v7, v2
	v_add_u32_e32 v9, 2, v4
	v_cmp_lt_u32_e32 vcc, v9, v5
	s_and_saveexec_b64 s[0:1], vcc
	s_cbranch_execz .LBB756_95
; %bb.94:
	s_waitcnt lgkmcnt(1)
	v_add_co_u32_e32 v6, vcc, v1, v8
	v_addc_co_u32_e32 v2, vcc, 0, v2, vcc
	v_add_co_u32_e32 v1, vcc, 0, v6
	s_waitcnt lgkmcnt(0)
	v_addc_co_u32_e32 v2, vcc, v7, v2, vcc
.LBB756_95:
	s_or_b64 exec, exec, s[0:1]
	v_cmp_gt_u32_e32 vcc, 60, v4
	s_waitcnt lgkmcnt(0)
	v_cndmask_b32_e64 v7, 0, 4, vcc
	v_add_lshl_u32 v7, v7, v3, 2
	ds_bpermute_b32 v8, v7, v6
	ds_bpermute_b32 v7, v7, v2
	v_add_u32_e32 v9, 4, v4
	v_cmp_lt_u32_e32 vcc, v9, v5
	;; [unrolled: 19-line block ×4, first 2 shown]
	s_and_saveexec_b64 s[0:1], vcc
	s_cbranch_execz .LBB756_101
; %bb.100:
	s_waitcnt lgkmcnt(1)
	v_add_co_u32_e32 v6, vcc, v1, v8
	v_addc_co_u32_e32 v2, vcc, 0, v2, vcc
	v_add_co_u32_e32 v1, vcc, 0, v6
	s_waitcnt lgkmcnt(0)
	v_addc_co_u32_e32 v2, vcc, v7, v2, vcc
.LBB756_101:
	s_or_b64 exec, exec, s[0:1]
	s_waitcnt lgkmcnt(0)
	v_lshlrev_b32_e32 v7, 2, v3
	v_or_b32_e32 v8, 0x80, v7
	ds_bpermute_b32 v6, v8, v6
	ds_bpermute_b32 v8, v8, v2
	v_add_u32_e32 v4, 32, v4
	s_waitcnt lgkmcnt(1)
	v_add_co_u32_e32 v6, vcc, v1, v6
	v_addc_co_u32_e32 v9, vcc, 0, v2, vcc
	v_add_co_u32_e32 v6, vcc, 0, v6
	s_waitcnt lgkmcnt(0)
	v_addc_co_u32_e32 v8, vcc, v9, v8, vcc
	v_cmp_lt_u32_e32 vcc, v4, v5
	v_cndmask_b32_e32 v2, v2, v8, vcc
	v_cndmask_b32_e32 v1, v1, v6, vcc
	v_cmp_eq_u32_e32 vcc, 0, v3
	s_and_saveexec_b64 s[0:1], vcc
; %bb.102:
	v_lshrrev_b32_e32 v4, 3, v0
	v_and_b32_e32 v4, 24, v4
	ds_write_b64 v4, v[1:2] offset:160
; %bb.103:
	s_or_b64 exec, exec, s[0:1]
	v_cmp_gt_u32_e32 vcc, 4, v0
	s_waitcnt lgkmcnt(0)
	s_barrier
	s_and_saveexec_b64 s[0:1], vcc
	s_cbranch_execz .LBB756_107
; %bb.104:
	v_lshlrev_b32_e32 v1, 3, v3
	ds_read_b64 v[1:2], v1 offset:160
	v_and_b32_e32 v4, 3, v3
	v_cmp_ne_u32_e32 vcc, 3, v4
	v_addc_co_u32_e32 v3, vcc, 0, v3, vcc
	v_lshlrev_b32_e32 v3, 2, v3
	s_waitcnt lgkmcnt(0)
	ds_bpermute_b32 v6, v3, v1
	ds_bpermute_b32 v5, v3, v2
	s_add_i32 s2, s2, 63
	s_lshr_b32 s8, s2, 6
	v_add_u32_e32 v3, 1, v4
	v_cmp_gt_u32_e32 vcc, s8, v3
	v_mov_b32_e32 v3, v1
	s_and_saveexec_b64 s[2:3], vcc
	s_cbranch_execz .LBB756_106
; %bb.105:
	s_waitcnt lgkmcnt(1)
	v_add_co_u32_e32 v3, vcc, v1, v6
	v_addc_co_u32_e32 v2, vcc, 0, v2, vcc
	v_add_co_u32_e32 v1, vcc, 0, v3
	s_waitcnt lgkmcnt(0)
	v_addc_co_u32_e32 v2, vcc, v5, v2, vcc
.LBB756_106:
	s_or_b64 exec, exec, s[2:3]
	s_waitcnt lgkmcnt(0)
	v_or_b32_e32 v5, 8, v7
	ds_bpermute_b32 v3, v5, v3
	ds_bpermute_b32 v5, v5, v2
	v_add_u32_e32 v4, 2, v4
	s_waitcnt lgkmcnt(1)
	v_add_co_u32_e32 v3, vcc, v1, v3
	v_addc_co_u32_e32 v6, vcc, 0, v2, vcc
	v_add_co_u32_e32 v3, vcc, 0, v3
	s_waitcnt lgkmcnt(0)
	v_addc_co_u32_e32 v5, vcc, v6, v5, vcc
	v_cmp_gt_u32_e32 vcc, s8, v4
	v_cndmask_b32_e32 v2, v2, v5, vcc
	v_cndmask_b32_e32 v1, v1, v3, vcc
.LBB756_107:
	s_or_b64 exec, exec, s[0:1]
.LBB756_108:
	v_mov_b32_e32 v3, s6
	v_cmp_eq_u32_e64 s[0:1], 0, v0
	v_mov_b32_e32 v4, s7
.LBB756_109:
	s_branch .LBB756_144
.LBB756_110:
	s_cmp_eq_u32 s33, 4
                                        ; implicit-def: $vgpr1_vgpr2
                                        ; implicit-def: $vgpr3_vgpr4
	s_cbranch_scc0 .LBB756_144
; %bb.111:
	s_mov_b32 s7, 0
	s_lshl_b32 s0, s6, 10
	s_mov_b32 s1, s7
	s_lshr_b64 s[2:3], s[20:21], 10
	s_lshl_b64 s[10:11], s[0:1], 3
	s_add_u32 s8, s24, s10
	s_addc_u32 s9, s25, s11
	s_add_u32 s10, s26, s10
	s_addc_u32 s11, s27, s11
	s_cmp_lg_u64 s[2:3], s[6:7]
	s_cbranch_scc0 .LBB756_117
; %bb.112:
	v_lshlrev_b32_e32 v3, 3, v0
	v_mov_b32_e32 v1, s9
	v_add_co_u32_e32 v10, vcc, s8, v3
	v_addc_co_u32_e32 v11, vcc, 0, v1, vcc
	v_mov_b32_e32 v1, s11
	v_add_co_u32_e32 v12, vcc, s10, v3
	v_addc_co_u32_e32 v13, vcc, 0, v1, vcc
	global_load_dwordx2 v[1:2], v3, s[8:9]
	global_load_dwordx2 v[4:5], v3, s[10:11]
	global_load_dwordx2 v[6:7], v3, s[10:11] offset:2048
	global_load_dwordx2 v[8:9], v3, s[8:9] offset:2048
	v_add_co_u32_e32 v10, vcc, 0x1000, v10
	v_addc_co_u32_e32 v11, vcc, 0, v11, vcc
	v_add_co_u32_e32 v12, vcc, 0x1000, v12
	v_addc_co_u32_e32 v13, vcc, 0, v13, vcc
	global_load_dwordx2 v[14:15], v[12:13], off offset:2048
	global_load_dwordx2 v[16:17], v[10:11], off offset:2048
	global_load_dwordx2 v[18:19], v[10:11], off
	global_load_dwordx2 v[20:21], v[12:13], off
	v_mov_b32_e32 v10, 0
	v_mbcnt_lo_u32_b32 v3, -1, 0
	v_mbcnt_hi_u32_b32 v3, -1, v3
	v_mov_b32_dpp v10, v10 quad_perm:[1,0,3,2] row_mask:0xf bank_mask:0xf bound_ctrl:1
	s_waitcnt vmcnt(4)
	v_cmp_neq_f64_e32 vcc, v[8:9], v[6:7]
	v_cndmask_b32_e64 v6, 0, 1, vcc
	v_cmp_neq_f64_e32 vcc, v[1:2], v[4:5]
	v_cndmask_b32_e64 v1, 0, 1, vcc
	s_waitcnt vmcnt(2)
	v_cmp_neq_f64_e32 vcc, v[16:17], v[14:15]
	v_cndmask_b32_e64 v2, 0, 1, vcc
	s_waitcnt vmcnt(0)
	v_cmp_neq_f64_e32 vcc, v[18:19], v[20:21]
	v_addc_co_u32_e32 v1, vcc, v6, v1, vcc
	v_add_co_u32_e32 v1, vcc, v1, v2
	v_addc_co_u32_e64 v2, s[2:3], 0, 0, vcc
	s_nop 0
	v_mov_b32_dpp v4, v1 quad_perm:[1,0,3,2] row_mask:0xf bank_mask:0xf bound_ctrl:1
	v_add_co_u32_e32 v1, vcc, v1, v4
	v_addc_co_u32_e32 v2, vcc, 0, v2, vcc
	v_add_co_u32_e32 v4, vcc, 0, v1
	v_addc_co_u32_e32 v2, vcc, v10, v2, vcc
	v_mov_b32_dpp v1, v1 quad_perm:[2,3,0,1] row_mask:0xf bank_mask:0xf bound_ctrl:1
	v_add_co_u32_e32 v1, vcc, v4, v1
	v_mov_b32_dpp v5, v2 quad_perm:[2,3,0,1] row_mask:0xf bank_mask:0xf bound_ctrl:1
	v_addc_co_u32_e32 v2, vcc, 0, v2, vcc
	v_add_co_u32_e32 v4, vcc, 0, v1
	v_addc_co_u32_e32 v2, vcc, v2, v5, vcc
	v_mov_b32_dpp v1, v1 row_ror:4 row_mask:0xf bank_mask:0xf bound_ctrl:1
	v_add_co_u32_e32 v1, vcc, v4, v1
	v_mov_b32_dpp v5, v2 row_ror:4 row_mask:0xf bank_mask:0xf bound_ctrl:1
	v_addc_co_u32_e32 v2, vcc, 0, v2, vcc
	v_add_co_u32_e32 v4, vcc, 0, v1
	v_addc_co_u32_e32 v2, vcc, v2, v5, vcc
	v_mov_b32_dpp v1, v1 row_ror:8 row_mask:0xf bank_mask:0xf bound_ctrl:1
	v_add_co_u32_e32 v1, vcc, v4, v1
	v_mov_b32_dpp v5, v2 row_ror:8 row_mask:0xf bank_mask:0xf bound_ctrl:1
	v_addc_co_u32_e32 v2, vcc, 0, v2, vcc
	v_add_co_u32_e32 v4, vcc, 0, v1
	v_addc_co_u32_e32 v2, vcc, v2, v5, vcc
	v_mov_b32_dpp v1, v1 row_bcast:15 row_mask:0xf bank_mask:0xf bound_ctrl:1
	v_add_co_u32_e32 v1, vcc, v4, v1
	v_mov_b32_dpp v5, v2 row_bcast:15 row_mask:0xf bank_mask:0xf bound_ctrl:1
	v_addc_co_u32_e32 v2, vcc, 0, v2, vcc
	v_add_co_u32_e32 v4, vcc, 0, v1
	v_addc_co_u32_e32 v2, vcc, v2, v5, vcc
	v_mov_b32_dpp v1, v1 row_bcast:31 row_mask:0xf bank_mask:0xf bound_ctrl:1
	v_add_co_u32_e32 v1, vcc, v4, v1
	v_addc_co_u32_e32 v4, vcc, 0, v2, vcc
	v_cmp_eq_u32_e32 vcc, 0, v3
	s_nop 0
	v_add_u32_dpp v2, v2, v4 row_bcast:31 row_mask:0xf bank_mask:0xf bound_ctrl:1
	v_lshlrev_b32_e32 v4, 2, v3
	v_or_b32_e32 v5, 0xfc, v4
	ds_bpermute_b32 v1, v5, v1
	ds_bpermute_b32 v2, v5, v2
	s_and_saveexec_b64 s[2:3], vcc
	s_cbranch_execz .LBB756_114
; %bb.113:
	v_lshrrev_b32_e32 v5, 3, v0
	v_and_b32_e32 v5, 24, v5
	s_waitcnt lgkmcnt(0)
	ds_write_b64 v5, v[1:2] offset:96
.LBB756_114:
	s_or_b64 exec, exec, s[2:3]
	v_cmp_gt_u32_e32 vcc, 64, v0
	s_waitcnt lgkmcnt(0)
	s_barrier
	s_and_saveexec_b64 s[2:3], vcc
	s_cbranch_execz .LBB756_116
; %bb.115:
	v_and_b32_e32 v5, 3, v3
	v_lshlrev_b32_e32 v1, 3, v5
	ds_read_b64 v[1:2], v1 offset:96
	v_cmp_ne_u32_e32 vcc, 3, v5
	v_addc_co_u32_e32 v3, vcc, 0, v3, vcc
	v_lshlrev_b32_e32 v3, 2, v3
	s_waitcnt lgkmcnt(0)
	ds_bpermute_b32 v5, v3, v1
	ds_bpermute_b32 v3, v3, v2
	v_or_b32_e32 v4, 8, v4
	s_waitcnt lgkmcnt(1)
	v_add_co_u32_e32 v1, vcc, v1, v5
	v_addc_co_u32_e32 v2, vcc, 0, v2, vcc
	ds_bpermute_b32 v5, v4, v1
	v_add_co_u32_e32 v1, vcc, 0, v1
	s_waitcnt lgkmcnt(1)
	v_addc_co_u32_e32 v2, vcc, v3, v2, vcc
	ds_bpermute_b32 v3, v4, v2
	s_waitcnt lgkmcnt(1)
	v_add_co_u32_e32 v1, vcc, v1, v5
	v_addc_co_u32_e32 v2, vcc, 0, v2, vcc
	v_add_co_u32_e32 v1, vcc, 0, v1
	s_waitcnt lgkmcnt(0)
	v_addc_co_u32_e32 v2, vcc, v2, v3, vcc
.LBB756_116:
	s_or_b64 exec, exec, s[2:3]
	s_branch .LBB756_143
.LBB756_117:
                                        ; implicit-def: $vgpr1_vgpr2
	s_cbranch_execz .LBB756_143
; %bb.118:
	s_sub_i32 s14, s20, s0
	v_mov_b32_e32 v1, 0
	v_cmp_gt_u32_e32 vcc, s14, v0
	v_mov_b32_e32 v2, v1
	v_mov_b32_e32 v3, v1
	;; [unrolled: 1-line block ×7, first 2 shown]
	s_and_saveexec_b64 s[0:1], vcc
	s_cbranch_execz .LBB756_120
; %bb.119:
	v_lshlrev_b32_e32 v2, 3, v0
	global_load_dwordx2 v[9:10], v2, s[8:9]
	global_load_dwordx2 v[11:12], v2, s[10:11]
	v_mov_b32_e32 v3, v1
	v_mov_b32_e32 v4, v1
	;; [unrolled: 1-line block ×6, first 2 shown]
	s_waitcnt vmcnt(0)
	v_cmp_neq_f64_e32 vcc, v[9:10], v[11:12]
	v_mov_b32_e32 v9, v1
	v_cndmask_b32_e64 v2, 0, 1, vcc
	v_and_b32_e32 v2, 0xffff, v2
	v_mov_b32_e32 v1, v2
	v_mov_b32_e32 v2, v3
	;; [unrolled: 1-line block ×8, first 2 shown]
.LBB756_120:
	s_or_b64 exec, exec, s[0:1]
	v_or_b32_e32 v9, 0x100, v0
	v_cmp_gt_u32_e32 vcc, s14, v9
	s_and_saveexec_b64 s[2:3], vcc
	s_cbranch_execz .LBB756_122
; %bb.121:
	v_lshlrev_b32_e32 v11, 3, v0
	global_load_dwordx2 v[3:4], v11, s[8:9] offset:2048
	global_load_dwordx2 v[9:10], v11, s[10:11] offset:2048
	s_mov_b32 s12, 0
	s_waitcnt vmcnt(0)
	v_cmp_neq_f64_e64 s[0:1], v[3:4], v[9:10]
	v_mov_b32_e32 v4, s12
	v_cndmask_b32_e64 v3, 0, 1, s[0:1]
.LBB756_122:
	s_or_b64 exec, exec, s[2:3]
	v_or_b32_e32 v9, 0x200, v0
	v_cmp_gt_u32_e64 s[0:1], s14, v9
	s_and_saveexec_b64 s[12:13], s[0:1]
	s_cbranch_execz .LBB756_124
; %bb.123:
	v_lshlrev_b32_e32 v11, 3, v9
	global_load_dwordx2 v[5:6], v11, s[8:9]
	global_load_dwordx2 v[9:10], v11, s[10:11]
	s_mov_b32 s15, 0
	s_waitcnt vmcnt(0)
	v_cmp_neq_f64_e64 s[2:3], v[5:6], v[9:10]
	v_mov_b32_e32 v6, s15
	v_cndmask_b32_e64 v5, 0, 1, s[2:3]
.LBB756_124:
	s_or_b64 exec, exec, s[12:13]
	v_or_b32_e32 v9, 0x300, v0
	v_cmp_gt_u32_e64 s[2:3], s14, v9
	s_and_saveexec_b64 s[12:13], s[2:3]
	s_cbranch_execz .LBB756_126
; %bb.125:
	v_lshlrev_b32_e32 v11, 3, v9
	global_load_dwordx2 v[7:8], v11, s[8:9]
	global_load_dwordx2 v[9:10], v11, s[10:11]
	s_mov_b32 s10, 0
	s_waitcnt vmcnt(0)
	v_cmp_neq_f64_e64 s[8:9], v[7:8], v[9:10]
	v_mov_b32_e32 v8, s10
	v_cndmask_b32_e64 v7, 0, 1, s[8:9]
.LBB756_126:
	s_or_b64 exec, exec, s[12:13]
	v_cndmask_b32_e32 v3, 0, v3, vcc
	v_cndmask_b32_e32 v4, 0, v4, vcc
	v_add_co_u32_e32 v1, vcc, v3, v1
	v_addc_co_u32_e32 v2, vcc, v4, v2, vcc
	v_cndmask_b32_e64 v4, 0, v5, s[0:1]
	v_cndmask_b32_e64 v3, 0, v6, s[0:1]
	v_add_co_u32_e32 v1, vcc, v1, v4
	v_addc_co_u32_e32 v2, vcc, v2, v3, vcc
	v_cndmask_b32_e64 v4, 0, v7, s[2:3]
	v_cndmask_b32_e64 v3, 0, v8, s[2:3]
	v_add_co_u32_e32 v1, vcc, v1, v4
	v_addc_co_u32_e32 v2, vcc, v2, v3, vcc
	v_mbcnt_lo_u32_b32 v3, -1, 0
	v_mbcnt_hi_u32_b32 v3, -1, v3
	v_and_b32_e32 v4, 63, v3
	v_cmp_ne_u32_e32 vcc, 63, v4
	v_addc_co_u32_e32 v6, vcc, 0, v3, vcc
	v_lshlrev_b32_e32 v6, 2, v6
	ds_bpermute_b32 v8, v6, v1
	ds_bpermute_b32 v7, v6, v2
	s_min_u32 s2, s14, 0x100
	v_and_b32_e32 v5, 0xc0, v0
	v_sub_u32_e64 v5, s2, v5 clamp
	v_add_u32_e32 v6, 1, v4
	v_cmp_lt_u32_e32 vcc, v6, v5
	v_mov_b32_e32 v6, v1
	s_and_saveexec_b64 s[0:1], vcc
	s_cbranch_execz .LBB756_128
; %bb.127:
	s_waitcnt lgkmcnt(1)
	v_add_co_u32_e32 v6, vcc, v1, v8
	v_addc_co_u32_e32 v2, vcc, 0, v2, vcc
	v_add_co_u32_e32 v1, vcc, 0, v6
	s_waitcnt lgkmcnt(0)
	v_addc_co_u32_e32 v2, vcc, v7, v2, vcc
.LBB756_128:
	s_or_b64 exec, exec, s[0:1]
	v_cmp_gt_u32_e32 vcc, 62, v4
	s_waitcnt lgkmcnt(0)
	v_cndmask_b32_e64 v7, 0, 2, vcc
	v_add_lshl_u32 v7, v7, v3, 2
	ds_bpermute_b32 v8, v7, v6
	ds_bpermute_b32 v7, v7, v2
	v_add_u32_e32 v9, 2, v4
	v_cmp_lt_u32_e32 vcc, v9, v5
	s_and_saveexec_b64 s[0:1], vcc
	s_cbranch_execz .LBB756_130
; %bb.129:
	s_waitcnt lgkmcnt(1)
	v_add_co_u32_e32 v6, vcc, v1, v8
	v_addc_co_u32_e32 v2, vcc, 0, v2, vcc
	v_add_co_u32_e32 v1, vcc, 0, v6
	s_waitcnt lgkmcnt(0)
	v_addc_co_u32_e32 v2, vcc, v7, v2, vcc
.LBB756_130:
	s_or_b64 exec, exec, s[0:1]
	v_cmp_gt_u32_e32 vcc, 60, v4
	s_waitcnt lgkmcnt(0)
	v_cndmask_b32_e64 v7, 0, 4, vcc
	v_add_lshl_u32 v7, v7, v3, 2
	ds_bpermute_b32 v8, v7, v6
	ds_bpermute_b32 v7, v7, v2
	v_add_u32_e32 v9, 4, v4
	v_cmp_lt_u32_e32 vcc, v9, v5
	;; [unrolled: 19-line block ×4, first 2 shown]
	s_and_saveexec_b64 s[0:1], vcc
	s_cbranch_execz .LBB756_136
; %bb.135:
	s_waitcnt lgkmcnt(1)
	v_add_co_u32_e32 v6, vcc, v1, v8
	v_addc_co_u32_e32 v2, vcc, 0, v2, vcc
	v_add_co_u32_e32 v1, vcc, 0, v6
	s_waitcnt lgkmcnt(0)
	v_addc_co_u32_e32 v2, vcc, v7, v2, vcc
.LBB756_136:
	s_or_b64 exec, exec, s[0:1]
	s_waitcnt lgkmcnt(0)
	v_lshlrev_b32_e32 v7, 2, v3
	v_or_b32_e32 v8, 0x80, v7
	ds_bpermute_b32 v6, v8, v6
	ds_bpermute_b32 v8, v8, v2
	v_add_u32_e32 v4, 32, v4
	s_waitcnt lgkmcnt(1)
	v_add_co_u32_e32 v6, vcc, v1, v6
	v_addc_co_u32_e32 v9, vcc, 0, v2, vcc
	v_add_co_u32_e32 v6, vcc, 0, v6
	s_waitcnt lgkmcnt(0)
	v_addc_co_u32_e32 v8, vcc, v9, v8, vcc
	v_cmp_lt_u32_e32 vcc, v4, v5
	v_cndmask_b32_e32 v2, v2, v8, vcc
	v_cndmask_b32_e32 v1, v1, v6, vcc
	v_cmp_eq_u32_e32 vcc, 0, v3
	s_and_saveexec_b64 s[0:1], vcc
; %bb.137:
	v_lshrrev_b32_e32 v4, 3, v0
	v_and_b32_e32 v4, 24, v4
	ds_write_b64 v4, v[1:2] offset:160
; %bb.138:
	s_or_b64 exec, exec, s[0:1]
	v_cmp_gt_u32_e32 vcc, 4, v0
	s_waitcnt lgkmcnt(0)
	s_barrier
	s_and_saveexec_b64 s[0:1], vcc
	s_cbranch_execz .LBB756_142
; %bb.139:
	v_lshlrev_b32_e32 v1, 3, v3
	ds_read_b64 v[1:2], v1 offset:160
	v_and_b32_e32 v4, 3, v3
	v_cmp_ne_u32_e32 vcc, 3, v4
	v_addc_co_u32_e32 v3, vcc, 0, v3, vcc
	v_lshlrev_b32_e32 v3, 2, v3
	s_waitcnt lgkmcnt(0)
	ds_bpermute_b32 v6, v3, v1
	ds_bpermute_b32 v5, v3, v2
	s_add_i32 s2, s2, 63
	s_lshr_b32 s8, s2, 6
	v_add_u32_e32 v3, 1, v4
	v_cmp_gt_u32_e32 vcc, s8, v3
	v_mov_b32_e32 v3, v1
	s_and_saveexec_b64 s[2:3], vcc
	s_cbranch_execz .LBB756_141
; %bb.140:
	s_waitcnt lgkmcnt(1)
	v_add_co_u32_e32 v3, vcc, v1, v6
	v_addc_co_u32_e32 v2, vcc, 0, v2, vcc
	v_add_co_u32_e32 v1, vcc, 0, v3
	s_waitcnt lgkmcnt(0)
	v_addc_co_u32_e32 v2, vcc, v5, v2, vcc
.LBB756_141:
	s_or_b64 exec, exec, s[2:3]
	s_waitcnt lgkmcnt(0)
	v_or_b32_e32 v5, 8, v7
	ds_bpermute_b32 v3, v5, v3
	ds_bpermute_b32 v5, v5, v2
	v_add_u32_e32 v4, 2, v4
	s_waitcnt lgkmcnt(1)
	v_add_co_u32_e32 v3, vcc, v1, v3
	v_addc_co_u32_e32 v6, vcc, 0, v2, vcc
	v_add_co_u32_e32 v3, vcc, 0, v3
	s_waitcnt lgkmcnt(0)
	v_addc_co_u32_e32 v5, vcc, v6, v5, vcc
	v_cmp_gt_u32_e32 vcc, s8, v4
	v_cndmask_b32_e32 v2, v2, v5, vcc
	v_cndmask_b32_e32 v1, v1, v3, vcc
.LBB756_142:
	s_or_b64 exec, exec, s[0:1]
.LBB756_143:
	v_mov_b32_e32 v3, s6
	v_cmp_eq_u32_e64 s[0:1], 0, v0
	v_mov_b32_e32 v4, s7
.LBB756_144:
	s_branch .LBB756_206
.LBB756_145:
	s_cmp_gt_i32 s33, 1
	s_cbranch_scc0 .LBB756_153
; %bb.146:
	s_cmp_eq_u32 s33, 2
                                        ; implicit-def: $vgpr1_vgpr2
                                        ; implicit-def: $vgpr3_vgpr4
	s_cbranch_scc0 .LBB756_154
; %bb.147:
	s_mov_b32 s7, 0
	s_lshl_b32 s8, s6, 9
	s_mov_b32 s9, s7
	s_lshr_b64 s[10:11], s[20:21], 9
	s_lshl_b64 s[2:3], s[8:9], 3
	s_add_u32 s0, s24, s2
	s_addc_u32 s1, s25, s3
	s_add_u32 s2, s26, s2
	s_addc_u32 s3, s27, s3
	s_cmp_lg_u64 s[10:11], s[6:7]
	s_cbranch_scc0 .LBB756_155
; %bb.148:
	v_lshlrev_b32_e32 v3, 3, v0
	global_load_dwordx2 v[1:2], v3, s[0:1]
	global_load_dwordx2 v[5:6], v3, s[2:3]
	global_load_dwordx2 v[7:8], v3, s[2:3] offset:2048
	global_load_dwordx2 v[9:10], v3, s[0:1] offset:2048
	v_mov_b32_e32 v4, 0
	v_mbcnt_lo_u32_b32 v3, -1, 0
	v_mbcnt_hi_u32_b32 v3, -1, v3
	v_mov_b32_dpp v11, v4 quad_perm:[1,0,3,2] row_mask:0xf bank_mask:0xf bound_ctrl:1
	v_lshlrev_b32_e32 v4, 2, v3
	v_or_b32_e32 v12, 0xfc, v4
	s_waitcnt vmcnt(2)
	v_cmp_neq_f64_e32 vcc, v[1:2], v[5:6]
	v_cndmask_b32_e64 v1, 0, 1, vcc
	s_waitcnt vmcnt(0)
	v_cmp_neq_f64_e32 vcc, v[9:10], v[7:8]
	v_addc_co_u32_e32 v1, vcc, 0, v1, vcc
	s_nop 1
	v_mov_b32_dpp v2, v1 quad_perm:[1,0,3,2] row_mask:0xf bank_mask:0xf bound_ctrl:1
	v_add_co_u32_e32 v1, vcc, v1, v2
	v_addc_co_u32_e64 v2, s[10:11], 0, 0, vcc
	v_add_co_u32_e32 v5, vcc, 0, v1
	v_addc_co_u32_e32 v2, vcc, v11, v2, vcc
	v_mov_b32_dpp v1, v1 quad_perm:[2,3,0,1] row_mask:0xf bank_mask:0xf bound_ctrl:1
	v_add_co_u32_e32 v1, vcc, v5, v1
	v_mov_b32_dpp v6, v2 quad_perm:[2,3,0,1] row_mask:0xf bank_mask:0xf bound_ctrl:1
	v_addc_co_u32_e32 v2, vcc, 0, v2, vcc
	v_add_co_u32_e32 v5, vcc, 0, v1
	v_addc_co_u32_e32 v2, vcc, v2, v6, vcc
	v_mov_b32_dpp v1, v1 row_ror:4 row_mask:0xf bank_mask:0xf bound_ctrl:1
	v_add_co_u32_e32 v1, vcc, v5, v1
	v_mov_b32_dpp v6, v2 row_ror:4 row_mask:0xf bank_mask:0xf bound_ctrl:1
	v_addc_co_u32_e32 v2, vcc, 0, v2, vcc
	v_add_co_u32_e32 v5, vcc, 0, v1
	v_addc_co_u32_e32 v2, vcc, v2, v6, vcc
	v_mov_b32_dpp v1, v1 row_ror:8 row_mask:0xf bank_mask:0xf bound_ctrl:1
	v_add_co_u32_e32 v1, vcc, v5, v1
	v_mov_b32_dpp v6, v2 row_ror:8 row_mask:0xf bank_mask:0xf bound_ctrl:1
	v_addc_co_u32_e32 v2, vcc, 0, v2, vcc
	v_add_co_u32_e32 v5, vcc, 0, v1
	v_addc_co_u32_e32 v2, vcc, v2, v6, vcc
	v_mov_b32_dpp v1, v1 row_bcast:15 row_mask:0xf bank_mask:0xf bound_ctrl:1
	v_add_co_u32_e32 v1, vcc, v5, v1
	v_mov_b32_dpp v6, v2 row_bcast:15 row_mask:0xf bank_mask:0xf bound_ctrl:1
	v_addc_co_u32_e32 v2, vcc, 0, v2, vcc
	v_add_co_u32_e32 v5, vcc, 0, v1
	v_addc_co_u32_e32 v2, vcc, v2, v6, vcc
	v_mov_b32_dpp v1, v1 row_bcast:31 row_mask:0xf bank_mask:0xf bound_ctrl:1
	v_add_co_u32_e32 v1, vcc, v5, v1
	v_addc_co_u32_e32 v5, vcc, 0, v2, vcc
	ds_bpermute_b32 v1, v12, v1
	s_nop 0
	v_add_u32_dpp v2, v2, v5 row_bcast:31 row_mask:0xf bank_mask:0xf bound_ctrl:1
	ds_bpermute_b32 v2, v12, v2
	v_cmp_eq_u32_e32 vcc, 0, v3
	s_and_saveexec_b64 s[10:11], vcc
	s_cbranch_execz .LBB756_150
; %bb.149:
	v_lshrrev_b32_e32 v5, 3, v0
	v_and_b32_e32 v5, 24, v5
	s_waitcnt lgkmcnt(0)
	ds_write_b64 v5, v[1:2] offset:64
.LBB756_150:
	s_or_b64 exec, exec, s[10:11]
	v_cmp_gt_u32_e32 vcc, 64, v0
	s_waitcnt lgkmcnt(0)
	s_barrier
	s_and_saveexec_b64 s[10:11], vcc
	s_cbranch_execz .LBB756_152
; %bb.151:
	v_and_b32_e32 v5, 3, v3
	v_lshlrev_b32_e32 v1, 3, v5
	ds_read_b64 v[1:2], v1 offset:64
	v_cmp_ne_u32_e32 vcc, 3, v5
	v_addc_co_u32_e32 v3, vcc, 0, v3, vcc
	v_lshlrev_b32_e32 v3, 2, v3
	s_waitcnt lgkmcnt(0)
	ds_bpermute_b32 v5, v3, v1
	ds_bpermute_b32 v3, v3, v2
	v_or_b32_e32 v4, 8, v4
	s_waitcnt lgkmcnt(1)
	v_add_co_u32_e32 v1, vcc, v1, v5
	v_addc_co_u32_e32 v2, vcc, 0, v2, vcc
	ds_bpermute_b32 v5, v4, v1
	v_add_co_u32_e32 v1, vcc, 0, v1
	s_waitcnt lgkmcnt(1)
	v_addc_co_u32_e32 v2, vcc, v3, v2, vcc
	ds_bpermute_b32 v3, v4, v2
	s_waitcnt lgkmcnt(1)
	v_add_co_u32_e32 v1, vcc, v1, v5
	v_addc_co_u32_e32 v2, vcc, 0, v2, vcc
	v_add_co_u32_e32 v1, vcc, 0, v1
	s_waitcnt lgkmcnt(0)
	v_addc_co_u32_e32 v2, vcc, v2, v3, vcc
.LBB756_152:
	s_or_b64 exec, exec, s[10:11]
	s_branch .LBB756_177
.LBB756_153:
                                        ; implicit-def: $vgpr1_vgpr2
                                        ; implicit-def: $vgpr3_vgpr4
	s_cbranch_execnz .LBB756_178
	s_branch .LBB756_206
.LBB756_154:
	s_branch .LBB756_206
.LBB756_155:
                                        ; implicit-def: $vgpr1_vgpr2
	s_cbranch_execz .LBB756_177
; %bb.156:
	s_sub_i32 s10, s20, s8
	v_mov_b32_e32 v1, 0
	v_cmp_gt_u32_e32 vcc, s10, v0
	v_mov_b32_e32 v2, v1
	v_mov_b32_e32 v3, v1
	;; [unrolled: 1-line block ×3, first 2 shown]
	s_and_saveexec_b64 s[8:9], vcc
	s_cbranch_execz .LBB756_158
; %bb.157:
	v_lshlrev_b32_e32 v2, 3, v0
	global_load_dwordx2 v[5:6], v2, s[0:1]
	global_load_dwordx2 v[7:8], v2, s[2:3]
	v_mov_b32_e32 v3, v1
	v_mov_b32_e32 v4, v1
	s_waitcnt vmcnt(0)
	v_cmp_neq_f64_e32 vcc, v[5:6], v[7:8]
	v_mov_b32_e32 v5, v1
	v_cndmask_b32_e64 v2, 0, 1, vcc
	v_and_b32_e32 v2, 0xffff, v2
	v_mov_b32_e32 v1, v2
	v_mov_b32_e32 v2, v3
	;; [unrolled: 1-line block ×4, first 2 shown]
.LBB756_158:
	s_or_b64 exec, exec, s[8:9]
	v_or_b32_e32 v5, 0x100, v0
	v_cmp_gt_u32_e32 vcc, s10, v5
	s_and_saveexec_b64 s[8:9], vcc
	s_cbranch_execz .LBB756_160
; %bb.159:
	v_lshlrev_b32_e32 v7, 3, v0
	global_load_dwordx2 v[3:4], v7, s[0:1] offset:2048
	global_load_dwordx2 v[5:6], v7, s[2:3] offset:2048
	s_mov_b32 s2, 0
	s_waitcnt vmcnt(0)
	v_cmp_neq_f64_e64 s[0:1], v[3:4], v[5:6]
	v_mov_b32_e32 v4, s2
	v_cndmask_b32_e64 v3, 0, 1, s[0:1]
.LBB756_160:
	s_or_b64 exec, exec, s[8:9]
	v_cndmask_b32_e32 v3, 0, v3, vcc
	v_cndmask_b32_e32 v4, 0, v4, vcc
	v_add_co_u32_e32 v1, vcc, v3, v1
	v_mbcnt_lo_u32_b32 v3, -1, 0
	v_mbcnt_hi_u32_b32 v3, -1, v3
	v_addc_co_u32_e32 v2, vcc, v4, v2, vcc
	v_and_b32_e32 v4, 63, v3
	v_cmp_ne_u32_e32 vcc, 63, v4
	v_addc_co_u32_e32 v6, vcc, 0, v3, vcc
	v_lshlrev_b32_e32 v6, 2, v6
	ds_bpermute_b32 v8, v6, v1
	ds_bpermute_b32 v7, v6, v2
	s_min_u32 s2, s10, 0x100
	v_and_b32_e32 v5, 0xc0, v0
	v_sub_u32_e64 v5, s2, v5 clamp
	v_add_u32_e32 v6, 1, v4
	v_cmp_lt_u32_e32 vcc, v6, v5
	v_mov_b32_e32 v6, v1
	s_and_saveexec_b64 s[0:1], vcc
	s_cbranch_execz .LBB756_162
; %bb.161:
	s_waitcnt lgkmcnt(1)
	v_add_co_u32_e32 v6, vcc, v1, v8
	v_addc_co_u32_e32 v2, vcc, 0, v2, vcc
	v_add_co_u32_e32 v1, vcc, 0, v6
	s_waitcnt lgkmcnt(0)
	v_addc_co_u32_e32 v2, vcc, v7, v2, vcc
.LBB756_162:
	s_or_b64 exec, exec, s[0:1]
	v_cmp_gt_u32_e32 vcc, 62, v4
	s_waitcnt lgkmcnt(0)
	v_cndmask_b32_e64 v7, 0, 2, vcc
	v_add_lshl_u32 v7, v7, v3, 2
	ds_bpermute_b32 v8, v7, v6
	ds_bpermute_b32 v7, v7, v2
	v_add_u32_e32 v9, 2, v4
	v_cmp_lt_u32_e32 vcc, v9, v5
	s_and_saveexec_b64 s[0:1], vcc
	s_cbranch_execz .LBB756_164
; %bb.163:
	s_waitcnt lgkmcnt(1)
	v_add_co_u32_e32 v6, vcc, v1, v8
	v_addc_co_u32_e32 v2, vcc, 0, v2, vcc
	v_add_co_u32_e32 v1, vcc, 0, v6
	s_waitcnt lgkmcnt(0)
	v_addc_co_u32_e32 v2, vcc, v7, v2, vcc
.LBB756_164:
	s_or_b64 exec, exec, s[0:1]
	v_cmp_gt_u32_e32 vcc, 60, v4
	s_waitcnt lgkmcnt(0)
	v_cndmask_b32_e64 v7, 0, 4, vcc
	v_add_lshl_u32 v7, v7, v3, 2
	ds_bpermute_b32 v8, v7, v6
	ds_bpermute_b32 v7, v7, v2
	v_add_u32_e32 v9, 4, v4
	v_cmp_lt_u32_e32 vcc, v9, v5
	;; [unrolled: 19-line block ×4, first 2 shown]
	s_and_saveexec_b64 s[0:1], vcc
	s_cbranch_execz .LBB756_170
; %bb.169:
	s_waitcnt lgkmcnt(1)
	v_add_co_u32_e32 v6, vcc, v1, v8
	v_addc_co_u32_e32 v2, vcc, 0, v2, vcc
	v_add_co_u32_e32 v1, vcc, 0, v6
	s_waitcnt lgkmcnt(0)
	v_addc_co_u32_e32 v2, vcc, v7, v2, vcc
.LBB756_170:
	s_or_b64 exec, exec, s[0:1]
	s_waitcnt lgkmcnt(0)
	v_lshlrev_b32_e32 v7, 2, v3
	v_or_b32_e32 v8, 0x80, v7
	ds_bpermute_b32 v6, v8, v6
	ds_bpermute_b32 v8, v8, v2
	v_add_u32_e32 v4, 32, v4
	s_waitcnt lgkmcnt(1)
	v_add_co_u32_e32 v6, vcc, v1, v6
	v_addc_co_u32_e32 v9, vcc, 0, v2, vcc
	v_add_co_u32_e32 v6, vcc, 0, v6
	s_waitcnt lgkmcnt(0)
	v_addc_co_u32_e32 v8, vcc, v9, v8, vcc
	v_cmp_lt_u32_e32 vcc, v4, v5
	v_cndmask_b32_e32 v2, v2, v8, vcc
	v_cndmask_b32_e32 v1, v1, v6, vcc
	v_cmp_eq_u32_e32 vcc, 0, v3
	s_and_saveexec_b64 s[0:1], vcc
; %bb.171:
	v_lshrrev_b32_e32 v4, 3, v0
	v_and_b32_e32 v4, 24, v4
	ds_write_b64 v4, v[1:2] offset:160
; %bb.172:
	s_or_b64 exec, exec, s[0:1]
	v_cmp_gt_u32_e32 vcc, 4, v0
	s_waitcnt lgkmcnt(0)
	s_barrier
	s_and_saveexec_b64 s[0:1], vcc
	s_cbranch_execz .LBB756_176
; %bb.173:
	v_lshlrev_b32_e32 v1, 3, v3
	ds_read_b64 v[1:2], v1 offset:160
	v_and_b32_e32 v4, 3, v3
	v_cmp_ne_u32_e32 vcc, 3, v4
	v_addc_co_u32_e32 v3, vcc, 0, v3, vcc
	v_lshlrev_b32_e32 v3, 2, v3
	s_waitcnt lgkmcnt(0)
	ds_bpermute_b32 v6, v3, v1
	ds_bpermute_b32 v5, v3, v2
	s_add_i32 s2, s2, 63
	s_lshr_b32 s8, s2, 6
	v_add_u32_e32 v3, 1, v4
	v_cmp_gt_u32_e32 vcc, s8, v3
	v_mov_b32_e32 v3, v1
	s_and_saveexec_b64 s[2:3], vcc
	s_cbranch_execz .LBB756_175
; %bb.174:
	s_waitcnt lgkmcnt(1)
	v_add_co_u32_e32 v3, vcc, v1, v6
	v_addc_co_u32_e32 v2, vcc, 0, v2, vcc
	v_add_co_u32_e32 v1, vcc, 0, v3
	s_waitcnt lgkmcnt(0)
	v_addc_co_u32_e32 v2, vcc, v5, v2, vcc
.LBB756_175:
	s_or_b64 exec, exec, s[2:3]
	s_waitcnt lgkmcnt(0)
	v_or_b32_e32 v5, 8, v7
	ds_bpermute_b32 v3, v5, v3
	ds_bpermute_b32 v5, v5, v2
	v_add_u32_e32 v4, 2, v4
	s_waitcnt lgkmcnt(1)
	v_add_co_u32_e32 v3, vcc, v1, v3
	v_addc_co_u32_e32 v6, vcc, 0, v2, vcc
	v_add_co_u32_e32 v3, vcc, 0, v3
	s_waitcnt lgkmcnt(0)
	v_addc_co_u32_e32 v5, vcc, v6, v5, vcc
	v_cmp_gt_u32_e32 vcc, s8, v4
	v_cndmask_b32_e32 v2, v2, v5, vcc
	v_cndmask_b32_e32 v1, v1, v3, vcc
.LBB756_176:
	s_or_b64 exec, exec, s[0:1]
.LBB756_177:
	v_mov_b32_e32 v3, s6
	v_cmp_eq_u32_e64 s[0:1], 0, v0
	v_mov_b32_e32 v4, s7
	s_branch .LBB756_206
.LBB756_178:
	s_cmp_eq_u32 s33, 1
                                        ; implicit-def: $vgpr1_vgpr2
                                        ; implicit-def: $vgpr3_vgpr4
	s_cbranch_scc0 .LBB756_206
; %bb.179:
	s_mov_b32 s1, 0
	s_lshl_b32 s0, s6, 8
	s_mov_b32 s7, s1
	s_lshr_b64 s[2:3], s[20:21], 8
	s_cmp_lg_u64 s[2:3], s[6:7]
	v_mbcnt_lo_u32_b32 v3, -1, 0
	s_cbranch_scc0 .LBB756_185
; %bb.180:
	s_lshl_b64 s[2:3], s[0:1], 3
	s_add_u32 s8, s24, s2
	s_addc_u32 s9, s25, s3
	s_add_u32 s2, s26, s2
	v_lshlrev_b32_e32 v4, 3, v0
	s_addc_u32 s3, s27, s3
	global_load_dwordx2 v[1:2], v4, s[8:9]
	global_load_dwordx2 v[6:7], v4, s[2:3]
	v_mov_b32_e32 v5, 0
	v_mbcnt_hi_u32_b32 v4, -1, v3
	s_waitcnt vmcnt(0)
	v_cmp_neq_f64_e32 vcc, v[1:2], v[6:7]
	v_mov_b32_dpp v8, v5 quad_perm:[1,0,3,2] row_mask:0xf bank_mask:0xf bound_ctrl:1
	v_lshlrev_b32_e32 v5, 2, v4
	v_or_b32_e32 v9, 0xfc, v5
	v_cndmask_b32_e64 v1, 0, 1, vcc
	s_nop 1
	v_mov_b32_dpp v2, v1 quad_perm:[1,0,3,2] row_mask:0xf bank_mask:0xf bound_ctrl:1
	v_add_co_u32_e32 v1, vcc, v2, v1
	v_addc_co_u32_e64 v2, s[2:3], 0, 0, vcc
	v_add_co_u32_e32 v6, vcc, 0, v1
	v_addc_co_u32_e32 v2, vcc, v8, v2, vcc
	v_mov_b32_dpp v1, v1 quad_perm:[2,3,0,1] row_mask:0xf bank_mask:0xf bound_ctrl:1
	v_add_co_u32_e32 v1, vcc, v6, v1
	v_mov_b32_dpp v7, v2 quad_perm:[2,3,0,1] row_mask:0xf bank_mask:0xf bound_ctrl:1
	v_addc_co_u32_e32 v2, vcc, 0, v2, vcc
	v_add_co_u32_e32 v6, vcc, 0, v1
	v_addc_co_u32_e32 v2, vcc, v2, v7, vcc
	v_mov_b32_dpp v1, v1 row_ror:4 row_mask:0xf bank_mask:0xf bound_ctrl:1
	v_add_co_u32_e32 v1, vcc, v6, v1
	v_mov_b32_dpp v7, v2 row_ror:4 row_mask:0xf bank_mask:0xf bound_ctrl:1
	v_addc_co_u32_e32 v2, vcc, 0, v2, vcc
	v_add_co_u32_e32 v6, vcc, 0, v1
	v_addc_co_u32_e32 v2, vcc, v2, v7, vcc
	v_mov_b32_dpp v1, v1 row_ror:8 row_mask:0xf bank_mask:0xf bound_ctrl:1
	v_add_co_u32_e32 v1, vcc, v6, v1
	v_mov_b32_dpp v7, v2 row_ror:8 row_mask:0xf bank_mask:0xf bound_ctrl:1
	v_addc_co_u32_e32 v2, vcc, 0, v2, vcc
	v_add_co_u32_e32 v6, vcc, 0, v1
	v_addc_co_u32_e32 v2, vcc, v2, v7, vcc
	v_mov_b32_dpp v1, v1 row_bcast:15 row_mask:0xf bank_mask:0xf bound_ctrl:1
	v_add_co_u32_e32 v1, vcc, v6, v1
	v_mov_b32_dpp v7, v2 row_bcast:15 row_mask:0xf bank_mask:0xf bound_ctrl:1
	v_addc_co_u32_e32 v2, vcc, 0, v2, vcc
	v_add_co_u32_e32 v6, vcc, 0, v1
	v_addc_co_u32_e32 v2, vcc, v2, v7, vcc
	v_mov_b32_dpp v1, v1 row_bcast:31 row_mask:0xf bank_mask:0xf bound_ctrl:1
	v_add_co_u32_e32 v1, vcc, v6, v1
	v_addc_co_u32_e32 v6, vcc, 0, v2, vcc
	ds_bpermute_b32 v1, v9, v1
	s_nop 0
	v_add_u32_dpp v2, v2, v6 row_bcast:31 row_mask:0xf bank_mask:0xf bound_ctrl:1
	ds_bpermute_b32 v2, v9, v2
	v_cmp_eq_u32_e32 vcc, 0, v4
	s_and_saveexec_b64 s[2:3], vcc
	s_cbranch_execz .LBB756_182
; %bb.181:
	v_lshrrev_b32_e32 v6, 3, v0
	v_and_b32_e32 v6, 24, v6
	s_waitcnt lgkmcnt(0)
	ds_write_b64 v6, v[1:2] offset:32
.LBB756_182:
	s_or_b64 exec, exec, s[2:3]
	v_cmp_gt_u32_e32 vcc, 64, v0
	s_waitcnt lgkmcnt(0)
	s_barrier
	s_and_saveexec_b64 s[2:3], vcc
	s_cbranch_execz .LBB756_184
; %bb.183:
	v_and_b32_e32 v6, 3, v4
	v_lshlrev_b32_e32 v1, 3, v6
	ds_read_b64 v[1:2], v1 offset:32
	v_cmp_ne_u32_e32 vcc, 3, v6
	v_addc_co_u32_e32 v4, vcc, 0, v4, vcc
	v_lshlrev_b32_e32 v4, 2, v4
	s_waitcnt lgkmcnt(0)
	ds_bpermute_b32 v6, v4, v1
	ds_bpermute_b32 v4, v4, v2
	v_or_b32_e32 v5, 8, v5
	s_waitcnt lgkmcnt(1)
	v_add_co_u32_e32 v1, vcc, v1, v6
	v_addc_co_u32_e32 v2, vcc, 0, v2, vcc
	ds_bpermute_b32 v6, v5, v1
	v_add_co_u32_e32 v1, vcc, 0, v1
	s_waitcnt lgkmcnt(1)
	v_addc_co_u32_e32 v2, vcc, v4, v2, vcc
	ds_bpermute_b32 v4, v5, v2
	s_waitcnt lgkmcnt(1)
	v_add_co_u32_e32 v1, vcc, v1, v6
	v_addc_co_u32_e32 v2, vcc, 0, v2, vcc
	v_add_co_u32_e32 v1, vcc, 0, v1
	s_waitcnt lgkmcnt(0)
	v_addc_co_u32_e32 v2, vcc, v2, v4, vcc
.LBB756_184:
	s_or_b64 exec, exec, s[2:3]
	s_branch .LBB756_205
.LBB756_185:
                                        ; implicit-def: $vgpr1_vgpr2
	s_cbranch_execz .LBB756_205
; %bb.186:
	s_sub_i32 s8, s20, s0
	v_cmp_gt_u32_e32 vcc, s8, v0
                                        ; implicit-def: $vgpr1_vgpr2
	s_and_saveexec_b64 s[2:3], vcc
	s_cbranch_execz .LBB756_188
; %bb.187:
	s_lshl_b64 s[0:1], s[0:1], 3
	s_add_u32 s10, s26, s0
	s_addc_u32 s11, s27, s1
	s_add_u32 s0, s24, s0
	v_lshlrev_b32_e32 v6, 3, v0
	s_addc_u32 s1, s25, s1
	global_load_dwordx2 v[1:2], v6, s[0:1]
	global_load_dwordx2 v[4:5], v6, s[10:11]
	s_mov_b32 s0, 0
	s_waitcnt vmcnt(0)
	v_cmp_neq_f64_e32 vcc, v[1:2], v[4:5]
	v_mov_b32_e32 v2, s0
	v_cndmask_b32_e64 v1, 0, 1, vcc
.LBB756_188:
	s_or_b64 exec, exec, s[2:3]
	v_mbcnt_hi_u32_b32 v3, -1, v3
	v_and_b32_e32 v4, 63, v3
	v_cmp_ne_u32_e32 vcc, 63, v4
	v_addc_co_u32_e32 v6, vcc, 0, v3, vcc
	v_lshlrev_b32_e32 v6, 2, v6
	ds_bpermute_b32 v8, v6, v1
	ds_bpermute_b32 v7, v6, v2
	s_min_u32 s2, s8, 0x100
	v_and_b32_e32 v5, 0xc0, v0
	v_sub_u32_e64 v5, s2, v5 clamp
	v_add_u32_e32 v6, 1, v4
	v_cmp_lt_u32_e32 vcc, v6, v5
	v_mov_b32_e32 v6, v1
	s_and_saveexec_b64 s[0:1], vcc
	s_cbranch_execz .LBB756_190
; %bb.189:
	s_waitcnt lgkmcnt(1)
	v_add_co_u32_e32 v6, vcc, v1, v8
	v_addc_co_u32_e32 v2, vcc, 0, v2, vcc
	v_add_co_u32_e32 v1, vcc, 0, v6
	s_waitcnt lgkmcnt(0)
	v_addc_co_u32_e32 v2, vcc, v7, v2, vcc
.LBB756_190:
	s_or_b64 exec, exec, s[0:1]
	v_cmp_gt_u32_e32 vcc, 62, v4
	s_waitcnt lgkmcnt(0)
	v_cndmask_b32_e64 v7, 0, 2, vcc
	v_add_lshl_u32 v7, v7, v3, 2
	ds_bpermute_b32 v8, v7, v6
	ds_bpermute_b32 v7, v7, v2
	v_add_u32_e32 v9, 2, v4
	v_cmp_lt_u32_e32 vcc, v9, v5
	s_and_saveexec_b64 s[0:1], vcc
	s_cbranch_execz .LBB756_192
; %bb.191:
	s_waitcnt lgkmcnt(1)
	v_add_co_u32_e32 v6, vcc, v1, v8
	v_addc_co_u32_e32 v2, vcc, 0, v2, vcc
	v_add_co_u32_e32 v1, vcc, 0, v6
	s_waitcnt lgkmcnt(0)
	v_addc_co_u32_e32 v2, vcc, v7, v2, vcc
.LBB756_192:
	s_or_b64 exec, exec, s[0:1]
	v_cmp_gt_u32_e32 vcc, 60, v4
	s_waitcnt lgkmcnt(0)
	v_cndmask_b32_e64 v7, 0, 4, vcc
	v_add_lshl_u32 v7, v7, v3, 2
	ds_bpermute_b32 v8, v7, v6
	ds_bpermute_b32 v7, v7, v2
	v_add_u32_e32 v9, 4, v4
	v_cmp_lt_u32_e32 vcc, v9, v5
	;; [unrolled: 19-line block ×4, first 2 shown]
	s_and_saveexec_b64 s[0:1], vcc
	s_cbranch_execz .LBB756_198
; %bb.197:
	s_waitcnt lgkmcnt(1)
	v_add_co_u32_e32 v6, vcc, v1, v8
	v_addc_co_u32_e32 v2, vcc, 0, v2, vcc
	v_add_co_u32_e32 v1, vcc, 0, v6
	s_waitcnt lgkmcnt(0)
	v_addc_co_u32_e32 v2, vcc, v7, v2, vcc
.LBB756_198:
	s_or_b64 exec, exec, s[0:1]
	s_waitcnt lgkmcnt(0)
	v_lshlrev_b32_e32 v7, 2, v3
	v_or_b32_e32 v8, 0x80, v7
	ds_bpermute_b32 v6, v8, v6
	ds_bpermute_b32 v8, v8, v2
	v_add_u32_e32 v4, 32, v4
	s_waitcnt lgkmcnt(1)
	v_add_co_u32_e32 v6, vcc, v1, v6
	v_addc_co_u32_e32 v9, vcc, 0, v2, vcc
	v_add_co_u32_e32 v6, vcc, 0, v6
	s_waitcnt lgkmcnt(0)
	v_addc_co_u32_e32 v8, vcc, v9, v8, vcc
	v_cmp_lt_u32_e32 vcc, v4, v5
	v_cndmask_b32_e32 v2, v2, v8, vcc
	v_cndmask_b32_e32 v1, v1, v6, vcc
	v_cmp_eq_u32_e32 vcc, 0, v3
	s_and_saveexec_b64 s[0:1], vcc
; %bb.199:
	v_lshrrev_b32_e32 v4, 3, v0
	v_and_b32_e32 v4, 24, v4
	ds_write_b64 v4, v[1:2] offset:160
; %bb.200:
	s_or_b64 exec, exec, s[0:1]
	v_cmp_gt_u32_e32 vcc, 4, v0
	s_waitcnt lgkmcnt(0)
	s_barrier
	s_and_saveexec_b64 s[0:1], vcc
	s_cbranch_execz .LBB756_204
; %bb.201:
	v_lshlrev_b32_e32 v1, 3, v3
	ds_read_b64 v[1:2], v1 offset:160
	v_and_b32_e32 v4, 3, v3
	v_cmp_ne_u32_e32 vcc, 3, v4
	v_addc_co_u32_e32 v3, vcc, 0, v3, vcc
	v_lshlrev_b32_e32 v3, 2, v3
	s_waitcnt lgkmcnt(0)
	ds_bpermute_b32 v6, v3, v1
	ds_bpermute_b32 v5, v3, v2
	s_add_i32 s2, s2, 63
	s_lshr_b32 s8, s2, 6
	v_add_u32_e32 v3, 1, v4
	v_cmp_gt_u32_e32 vcc, s8, v3
	v_mov_b32_e32 v3, v1
	s_and_saveexec_b64 s[2:3], vcc
	s_cbranch_execz .LBB756_203
; %bb.202:
	s_waitcnt lgkmcnt(1)
	v_add_co_u32_e32 v3, vcc, v1, v6
	v_addc_co_u32_e32 v2, vcc, 0, v2, vcc
	v_add_co_u32_e32 v1, vcc, 0, v3
	s_waitcnt lgkmcnt(0)
	v_addc_co_u32_e32 v2, vcc, v5, v2, vcc
.LBB756_203:
	s_or_b64 exec, exec, s[2:3]
	s_waitcnt lgkmcnt(0)
	v_or_b32_e32 v5, 8, v7
	ds_bpermute_b32 v3, v5, v3
	ds_bpermute_b32 v5, v5, v2
	v_add_u32_e32 v4, 2, v4
	s_waitcnt lgkmcnt(1)
	v_add_co_u32_e32 v3, vcc, v1, v3
	v_addc_co_u32_e32 v6, vcc, 0, v2, vcc
	v_add_co_u32_e32 v3, vcc, 0, v3
	s_waitcnt lgkmcnt(0)
	v_addc_co_u32_e32 v5, vcc, v6, v5, vcc
	v_cmp_gt_u32_e32 vcc, s8, v4
	v_cndmask_b32_e32 v2, v2, v5, vcc
	v_cndmask_b32_e32 v1, v1, v3, vcc
.LBB756_204:
	s_or_b64 exec, exec, s[0:1]
.LBB756_205:
	v_mov_b32_e32 v3, s6
	v_cmp_eq_u32_e64 s[0:1], 0, v0
	v_mov_b32_e32 v4, s7
.LBB756_206:
	s_and_saveexec_b64 s[2:3], s[0:1]
	s_cbranch_execz .LBB756_208
; %bb.207:
	v_lshlrev_b64 v[3:4], 3, v[3:4]
	s_load_dwordx2 s[0:1], s[4:5], 0x30
	v_mov_b32_e32 v0, s23
	v_add_co_u32_e32 v3, vcc, s22, v3
	v_addc_co_u32_e32 v4, vcc, v0, v4, vcc
	s_cmp_lg_u64 s[20:21], 0
	s_cselect_b64 vcc, -1, 0
	v_cndmask_b32_e32 v0, 0, v1, vcc
	v_cndmask_b32_e32 v2, 0, v2, vcc
	s_waitcnt lgkmcnt(0)
	v_mov_b32_e32 v1, s1
	v_add_co_u32_e32 v0, vcc, s0, v0
	v_addc_co_u32_e32 v1, vcc, v2, v1, vcc
	global_store_dwordx2 v[3:4], v[0:1], off
.LBB756_208:
	s_endpgm
	.section	.rodata,"a",@progbits
	.p2align	6, 0x0
	.amdhsa_kernel _ZN7rocprim17ROCPRIM_400000_NS6detail17trampoline_kernelINS0_14default_configENS1_22reduce_config_selectorIlEEZNS1_11reduce_implILb1ES3_N6thrust23THRUST_200600_302600_NS11hip_rocprim26transform_input_iterator_tIlNS8_12zip_iteratorINS8_5tupleINS8_6detail15normal_iteratorINS8_10device_ptrIdEEEESH_NS8_9null_typeESI_SI_SI_SI_SI_SI_SI_EEEENS9_21zip_adj_not_predicateINS8_8equal_toIdEEEEEEPllNS8_4plusIlEEEE10hipError_tPvRmT1_T2_T3_mT4_P12ihipStream_tbEUlT_E1_NS1_11comp_targetILNS1_3genE2ELNS1_11target_archE906ELNS1_3gpuE6ELNS1_3repE0EEENS1_30default_config_static_selectorELNS0_4arch9wavefront6targetE1EEEvSW_
		.amdhsa_group_segment_fixed_size 192
		.amdhsa_private_segment_fixed_size 0
		.amdhsa_kernarg_size 64
		.amdhsa_user_sgpr_count 6
		.amdhsa_user_sgpr_private_segment_buffer 1
		.amdhsa_user_sgpr_dispatch_ptr 0
		.amdhsa_user_sgpr_queue_ptr 0
		.amdhsa_user_sgpr_kernarg_segment_ptr 1
		.amdhsa_user_sgpr_dispatch_id 0
		.amdhsa_user_sgpr_flat_scratch_init 0
		.amdhsa_user_sgpr_private_segment_size 0
		.amdhsa_uses_dynamic_stack 0
		.amdhsa_system_sgpr_private_segment_wavefront_offset 0
		.amdhsa_system_sgpr_workgroup_id_x 1
		.amdhsa_system_sgpr_workgroup_id_y 0
		.amdhsa_system_sgpr_workgroup_id_z 0
		.amdhsa_system_sgpr_workgroup_info 0
		.amdhsa_system_vgpr_workitem_id 0
		.amdhsa_next_free_vgpr 36
		.amdhsa_next_free_sgpr 38
		.amdhsa_reserve_vcc 1
		.amdhsa_reserve_flat_scratch 0
		.amdhsa_float_round_mode_32 0
		.amdhsa_float_round_mode_16_64 0
		.amdhsa_float_denorm_mode_32 3
		.amdhsa_float_denorm_mode_16_64 3
		.amdhsa_dx10_clamp 1
		.amdhsa_ieee_mode 1
		.amdhsa_fp16_overflow 0
		.amdhsa_exception_fp_ieee_invalid_op 0
		.amdhsa_exception_fp_denorm_src 0
		.amdhsa_exception_fp_ieee_div_zero 0
		.amdhsa_exception_fp_ieee_overflow 0
		.amdhsa_exception_fp_ieee_underflow 0
		.amdhsa_exception_fp_ieee_inexact 0
		.amdhsa_exception_int_div_zero 0
	.end_amdhsa_kernel
	.section	.text._ZN7rocprim17ROCPRIM_400000_NS6detail17trampoline_kernelINS0_14default_configENS1_22reduce_config_selectorIlEEZNS1_11reduce_implILb1ES3_N6thrust23THRUST_200600_302600_NS11hip_rocprim26transform_input_iterator_tIlNS8_12zip_iteratorINS8_5tupleINS8_6detail15normal_iteratorINS8_10device_ptrIdEEEESH_NS8_9null_typeESI_SI_SI_SI_SI_SI_SI_EEEENS9_21zip_adj_not_predicateINS8_8equal_toIdEEEEEEPllNS8_4plusIlEEEE10hipError_tPvRmT1_T2_T3_mT4_P12ihipStream_tbEUlT_E1_NS1_11comp_targetILNS1_3genE2ELNS1_11target_archE906ELNS1_3gpuE6ELNS1_3repE0EEENS1_30default_config_static_selectorELNS0_4arch9wavefront6targetE1EEEvSW_,"axG",@progbits,_ZN7rocprim17ROCPRIM_400000_NS6detail17trampoline_kernelINS0_14default_configENS1_22reduce_config_selectorIlEEZNS1_11reduce_implILb1ES3_N6thrust23THRUST_200600_302600_NS11hip_rocprim26transform_input_iterator_tIlNS8_12zip_iteratorINS8_5tupleINS8_6detail15normal_iteratorINS8_10device_ptrIdEEEESH_NS8_9null_typeESI_SI_SI_SI_SI_SI_SI_EEEENS9_21zip_adj_not_predicateINS8_8equal_toIdEEEEEEPllNS8_4plusIlEEEE10hipError_tPvRmT1_T2_T3_mT4_P12ihipStream_tbEUlT_E1_NS1_11comp_targetILNS1_3genE2ELNS1_11target_archE906ELNS1_3gpuE6ELNS1_3repE0EEENS1_30default_config_static_selectorELNS0_4arch9wavefront6targetE1EEEvSW_,comdat
.Lfunc_end756:
	.size	_ZN7rocprim17ROCPRIM_400000_NS6detail17trampoline_kernelINS0_14default_configENS1_22reduce_config_selectorIlEEZNS1_11reduce_implILb1ES3_N6thrust23THRUST_200600_302600_NS11hip_rocprim26transform_input_iterator_tIlNS8_12zip_iteratorINS8_5tupleINS8_6detail15normal_iteratorINS8_10device_ptrIdEEEESH_NS8_9null_typeESI_SI_SI_SI_SI_SI_SI_EEEENS9_21zip_adj_not_predicateINS8_8equal_toIdEEEEEEPllNS8_4plusIlEEEE10hipError_tPvRmT1_T2_T3_mT4_P12ihipStream_tbEUlT_E1_NS1_11comp_targetILNS1_3genE2ELNS1_11target_archE906ELNS1_3gpuE6ELNS1_3repE0EEENS1_30default_config_static_selectorELNS0_4arch9wavefront6targetE1EEEvSW_, .Lfunc_end756-_ZN7rocprim17ROCPRIM_400000_NS6detail17trampoline_kernelINS0_14default_configENS1_22reduce_config_selectorIlEEZNS1_11reduce_implILb1ES3_N6thrust23THRUST_200600_302600_NS11hip_rocprim26transform_input_iterator_tIlNS8_12zip_iteratorINS8_5tupleINS8_6detail15normal_iteratorINS8_10device_ptrIdEEEESH_NS8_9null_typeESI_SI_SI_SI_SI_SI_SI_EEEENS9_21zip_adj_not_predicateINS8_8equal_toIdEEEEEEPllNS8_4plusIlEEEE10hipError_tPvRmT1_T2_T3_mT4_P12ihipStream_tbEUlT_E1_NS1_11comp_targetILNS1_3genE2ELNS1_11target_archE906ELNS1_3gpuE6ELNS1_3repE0EEENS1_30default_config_static_selectorELNS0_4arch9wavefront6targetE1EEEvSW_
                                        ; -- End function
	.set _ZN7rocprim17ROCPRIM_400000_NS6detail17trampoline_kernelINS0_14default_configENS1_22reduce_config_selectorIlEEZNS1_11reduce_implILb1ES3_N6thrust23THRUST_200600_302600_NS11hip_rocprim26transform_input_iterator_tIlNS8_12zip_iteratorINS8_5tupleINS8_6detail15normal_iteratorINS8_10device_ptrIdEEEESH_NS8_9null_typeESI_SI_SI_SI_SI_SI_SI_EEEENS9_21zip_adj_not_predicateINS8_8equal_toIdEEEEEEPllNS8_4plusIlEEEE10hipError_tPvRmT1_T2_T3_mT4_P12ihipStream_tbEUlT_E1_NS1_11comp_targetILNS1_3genE2ELNS1_11target_archE906ELNS1_3gpuE6ELNS1_3repE0EEENS1_30default_config_static_selectorELNS0_4arch9wavefront6targetE1EEEvSW_.num_vgpr, 36
	.set _ZN7rocprim17ROCPRIM_400000_NS6detail17trampoline_kernelINS0_14default_configENS1_22reduce_config_selectorIlEEZNS1_11reduce_implILb1ES3_N6thrust23THRUST_200600_302600_NS11hip_rocprim26transform_input_iterator_tIlNS8_12zip_iteratorINS8_5tupleINS8_6detail15normal_iteratorINS8_10device_ptrIdEEEESH_NS8_9null_typeESI_SI_SI_SI_SI_SI_SI_EEEENS9_21zip_adj_not_predicateINS8_8equal_toIdEEEEEEPllNS8_4plusIlEEEE10hipError_tPvRmT1_T2_T3_mT4_P12ihipStream_tbEUlT_E1_NS1_11comp_targetILNS1_3genE2ELNS1_11target_archE906ELNS1_3gpuE6ELNS1_3repE0EEENS1_30default_config_static_selectorELNS0_4arch9wavefront6targetE1EEEvSW_.num_agpr, 0
	.set _ZN7rocprim17ROCPRIM_400000_NS6detail17trampoline_kernelINS0_14default_configENS1_22reduce_config_selectorIlEEZNS1_11reduce_implILb1ES3_N6thrust23THRUST_200600_302600_NS11hip_rocprim26transform_input_iterator_tIlNS8_12zip_iteratorINS8_5tupleINS8_6detail15normal_iteratorINS8_10device_ptrIdEEEESH_NS8_9null_typeESI_SI_SI_SI_SI_SI_SI_EEEENS9_21zip_adj_not_predicateINS8_8equal_toIdEEEEEEPllNS8_4plusIlEEEE10hipError_tPvRmT1_T2_T3_mT4_P12ihipStream_tbEUlT_E1_NS1_11comp_targetILNS1_3genE2ELNS1_11target_archE906ELNS1_3gpuE6ELNS1_3repE0EEENS1_30default_config_static_selectorELNS0_4arch9wavefront6targetE1EEEvSW_.numbered_sgpr, 38
	.set _ZN7rocprim17ROCPRIM_400000_NS6detail17trampoline_kernelINS0_14default_configENS1_22reduce_config_selectorIlEEZNS1_11reduce_implILb1ES3_N6thrust23THRUST_200600_302600_NS11hip_rocprim26transform_input_iterator_tIlNS8_12zip_iteratorINS8_5tupleINS8_6detail15normal_iteratorINS8_10device_ptrIdEEEESH_NS8_9null_typeESI_SI_SI_SI_SI_SI_SI_EEEENS9_21zip_adj_not_predicateINS8_8equal_toIdEEEEEEPllNS8_4plusIlEEEE10hipError_tPvRmT1_T2_T3_mT4_P12ihipStream_tbEUlT_E1_NS1_11comp_targetILNS1_3genE2ELNS1_11target_archE906ELNS1_3gpuE6ELNS1_3repE0EEENS1_30default_config_static_selectorELNS0_4arch9wavefront6targetE1EEEvSW_.num_named_barrier, 0
	.set _ZN7rocprim17ROCPRIM_400000_NS6detail17trampoline_kernelINS0_14default_configENS1_22reduce_config_selectorIlEEZNS1_11reduce_implILb1ES3_N6thrust23THRUST_200600_302600_NS11hip_rocprim26transform_input_iterator_tIlNS8_12zip_iteratorINS8_5tupleINS8_6detail15normal_iteratorINS8_10device_ptrIdEEEESH_NS8_9null_typeESI_SI_SI_SI_SI_SI_SI_EEEENS9_21zip_adj_not_predicateINS8_8equal_toIdEEEEEEPllNS8_4plusIlEEEE10hipError_tPvRmT1_T2_T3_mT4_P12ihipStream_tbEUlT_E1_NS1_11comp_targetILNS1_3genE2ELNS1_11target_archE906ELNS1_3gpuE6ELNS1_3repE0EEENS1_30default_config_static_selectorELNS0_4arch9wavefront6targetE1EEEvSW_.private_seg_size, 0
	.set _ZN7rocprim17ROCPRIM_400000_NS6detail17trampoline_kernelINS0_14default_configENS1_22reduce_config_selectorIlEEZNS1_11reduce_implILb1ES3_N6thrust23THRUST_200600_302600_NS11hip_rocprim26transform_input_iterator_tIlNS8_12zip_iteratorINS8_5tupleINS8_6detail15normal_iteratorINS8_10device_ptrIdEEEESH_NS8_9null_typeESI_SI_SI_SI_SI_SI_SI_EEEENS9_21zip_adj_not_predicateINS8_8equal_toIdEEEEEEPllNS8_4plusIlEEEE10hipError_tPvRmT1_T2_T3_mT4_P12ihipStream_tbEUlT_E1_NS1_11comp_targetILNS1_3genE2ELNS1_11target_archE906ELNS1_3gpuE6ELNS1_3repE0EEENS1_30default_config_static_selectorELNS0_4arch9wavefront6targetE1EEEvSW_.uses_vcc, 1
	.set _ZN7rocprim17ROCPRIM_400000_NS6detail17trampoline_kernelINS0_14default_configENS1_22reduce_config_selectorIlEEZNS1_11reduce_implILb1ES3_N6thrust23THRUST_200600_302600_NS11hip_rocprim26transform_input_iterator_tIlNS8_12zip_iteratorINS8_5tupleINS8_6detail15normal_iteratorINS8_10device_ptrIdEEEESH_NS8_9null_typeESI_SI_SI_SI_SI_SI_SI_EEEENS9_21zip_adj_not_predicateINS8_8equal_toIdEEEEEEPllNS8_4plusIlEEEE10hipError_tPvRmT1_T2_T3_mT4_P12ihipStream_tbEUlT_E1_NS1_11comp_targetILNS1_3genE2ELNS1_11target_archE906ELNS1_3gpuE6ELNS1_3repE0EEENS1_30default_config_static_selectorELNS0_4arch9wavefront6targetE1EEEvSW_.uses_flat_scratch, 0
	.set _ZN7rocprim17ROCPRIM_400000_NS6detail17trampoline_kernelINS0_14default_configENS1_22reduce_config_selectorIlEEZNS1_11reduce_implILb1ES3_N6thrust23THRUST_200600_302600_NS11hip_rocprim26transform_input_iterator_tIlNS8_12zip_iteratorINS8_5tupleINS8_6detail15normal_iteratorINS8_10device_ptrIdEEEESH_NS8_9null_typeESI_SI_SI_SI_SI_SI_SI_EEEENS9_21zip_adj_not_predicateINS8_8equal_toIdEEEEEEPllNS8_4plusIlEEEE10hipError_tPvRmT1_T2_T3_mT4_P12ihipStream_tbEUlT_E1_NS1_11comp_targetILNS1_3genE2ELNS1_11target_archE906ELNS1_3gpuE6ELNS1_3repE0EEENS1_30default_config_static_selectorELNS0_4arch9wavefront6targetE1EEEvSW_.has_dyn_sized_stack, 0
	.set _ZN7rocprim17ROCPRIM_400000_NS6detail17trampoline_kernelINS0_14default_configENS1_22reduce_config_selectorIlEEZNS1_11reduce_implILb1ES3_N6thrust23THRUST_200600_302600_NS11hip_rocprim26transform_input_iterator_tIlNS8_12zip_iteratorINS8_5tupleINS8_6detail15normal_iteratorINS8_10device_ptrIdEEEESH_NS8_9null_typeESI_SI_SI_SI_SI_SI_SI_EEEENS9_21zip_adj_not_predicateINS8_8equal_toIdEEEEEEPllNS8_4plusIlEEEE10hipError_tPvRmT1_T2_T3_mT4_P12ihipStream_tbEUlT_E1_NS1_11comp_targetILNS1_3genE2ELNS1_11target_archE906ELNS1_3gpuE6ELNS1_3repE0EEENS1_30default_config_static_selectorELNS0_4arch9wavefront6targetE1EEEvSW_.has_recursion, 0
	.set _ZN7rocprim17ROCPRIM_400000_NS6detail17trampoline_kernelINS0_14default_configENS1_22reduce_config_selectorIlEEZNS1_11reduce_implILb1ES3_N6thrust23THRUST_200600_302600_NS11hip_rocprim26transform_input_iterator_tIlNS8_12zip_iteratorINS8_5tupleINS8_6detail15normal_iteratorINS8_10device_ptrIdEEEESH_NS8_9null_typeESI_SI_SI_SI_SI_SI_SI_EEEENS9_21zip_adj_not_predicateINS8_8equal_toIdEEEEEEPllNS8_4plusIlEEEE10hipError_tPvRmT1_T2_T3_mT4_P12ihipStream_tbEUlT_E1_NS1_11comp_targetILNS1_3genE2ELNS1_11target_archE906ELNS1_3gpuE6ELNS1_3repE0EEENS1_30default_config_static_selectorELNS0_4arch9wavefront6targetE1EEEvSW_.has_indirect_call, 0
	.section	.AMDGPU.csdata,"",@progbits
; Kernel info:
; codeLenInByte = 10900
; TotalNumSgprs: 42
; NumVgprs: 36
; ScratchSize: 0
; MemoryBound: 0
; FloatMode: 240
; IeeeMode: 1
; LDSByteSize: 192 bytes/workgroup (compile time only)
; SGPRBlocks: 5
; VGPRBlocks: 8
; NumSGPRsForWavesPerEU: 42
; NumVGPRsForWavesPerEU: 36
; Occupancy: 7
; WaveLimiterHint : 0
; COMPUTE_PGM_RSRC2:SCRATCH_EN: 0
; COMPUTE_PGM_RSRC2:USER_SGPR: 6
; COMPUTE_PGM_RSRC2:TRAP_HANDLER: 0
; COMPUTE_PGM_RSRC2:TGID_X_EN: 1
; COMPUTE_PGM_RSRC2:TGID_Y_EN: 0
; COMPUTE_PGM_RSRC2:TGID_Z_EN: 0
; COMPUTE_PGM_RSRC2:TIDIG_COMP_CNT: 0
	.section	.text._ZN7rocprim17ROCPRIM_400000_NS6detail17trampoline_kernelINS0_14default_configENS1_22reduce_config_selectorIlEEZNS1_11reduce_implILb1ES3_N6thrust23THRUST_200600_302600_NS11hip_rocprim26transform_input_iterator_tIlNS8_12zip_iteratorINS8_5tupleINS8_6detail15normal_iteratorINS8_10device_ptrIdEEEESH_NS8_9null_typeESI_SI_SI_SI_SI_SI_SI_EEEENS9_21zip_adj_not_predicateINS8_8equal_toIdEEEEEEPllNS8_4plusIlEEEE10hipError_tPvRmT1_T2_T3_mT4_P12ihipStream_tbEUlT_E1_NS1_11comp_targetILNS1_3genE10ELNS1_11target_archE1201ELNS1_3gpuE5ELNS1_3repE0EEENS1_30default_config_static_selectorELNS0_4arch9wavefront6targetE1EEEvSW_,"axG",@progbits,_ZN7rocprim17ROCPRIM_400000_NS6detail17trampoline_kernelINS0_14default_configENS1_22reduce_config_selectorIlEEZNS1_11reduce_implILb1ES3_N6thrust23THRUST_200600_302600_NS11hip_rocprim26transform_input_iterator_tIlNS8_12zip_iteratorINS8_5tupleINS8_6detail15normal_iteratorINS8_10device_ptrIdEEEESH_NS8_9null_typeESI_SI_SI_SI_SI_SI_SI_EEEENS9_21zip_adj_not_predicateINS8_8equal_toIdEEEEEEPllNS8_4plusIlEEEE10hipError_tPvRmT1_T2_T3_mT4_P12ihipStream_tbEUlT_E1_NS1_11comp_targetILNS1_3genE10ELNS1_11target_archE1201ELNS1_3gpuE5ELNS1_3repE0EEENS1_30default_config_static_selectorELNS0_4arch9wavefront6targetE1EEEvSW_,comdat
	.protected	_ZN7rocprim17ROCPRIM_400000_NS6detail17trampoline_kernelINS0_14default_configENS1_22reduce_config_selectorIlEEZNS1_11reduce_implILb1ES3_N6thrust23THRUST_200600_302600_NS11hip_rocprim26transform_input_iterator_tIlNS8_12zip_iteratorINS8_5tupleINS8_6detail15normal_iteratorINS8_10device_ptrIdEEEESH_NS8_9null_typeESI_SI_SI_SI_SI_SI_SI_EEEENS9_21zip_adj_not_predicateINS8_8equal_toIdEEEEEEPllNS8_4plusIlEEEE10hipError_tPvRmT1_T2_T3_mT4_P12ihipStream_tbEUlT_E1_NS1_11comp_targetILNS1_3genE10ELNS1_11target_archE1201ELNS1_3gpuE5ELNS1_3repE0EEENS1_30default_config_static_selectorELNS0_4arch9wavefront6targetE1EEEvSW_ ; -- Begin function _ZN7rocprim17ROCPRIM_400000_NS6detail17trampoline_kernelINS0_14default_configENS1_22reduce_config_selectorIlEEZNS1_11reduce_implILb1ES3_N6thrust23THRUST_200600_302600_NS11hip_rocprim26transform_input_iterator_tIlNS8_12zip_iteratorINS8_5tupleINS8_6detail15normal_iteratorINS8_10device_ptrIdEEEESH_NS8_9null_typeESI_SI_SI_SI_SI_SI_SI_EEEENS9_21zip_adj_not_predicateINS8_8equal_toIdEEEEEEPllNS8_4plusIlEEEE10hipError_tPvRmT1_T2_T3_mT4_P12ihipStream_tbEUlT_E1_NS1_11comp_targetILNS1_3genE10ELNS1_11target_archE1201ELNS1_3gpuE5ELNS1_3repE0EEENS1_30default_config_static_selectorELNS0_4arch9wavefront6targetE1EEEvSW_
	.globl	_ZN7rocprim17ROCPRIM_400000_NS6detail17trampoline_kernelINS0_14default_configENS1_22reduce_config_selectorIlEEZNS1_11reduce_implILb1ES3_N6thrust23THRUST_200600_302600_NS11hip_rocprim26transform_input_iterator_tIlNS8_12zip_iteratorINS8_5tupleINS8_6detail15normal_iteratorINS8_10device_ptrIdEEEESH_NS8_9null_typeESI_SI_SI_SI_SI_SI_SI_EEEENS9_21zip_adj_not_predicateINS8_8equal_toIdEEEEEEPllNS8_4plusIlEEEE10hipError_tPvRmT1_T2_T3_mT4_P12ihipStream_tbEUlT_E1_NS1_11comp_targetILNS1_3genE10ELNS1_11target_archE1201ELNS1_3gpuE5ELNS1_3repE0EEENS1_30default_config_static_selectorELNS0_4arch9wavefront6targetE1EEEvSW_
	.p2align	8
	.type	_ZN7rocprim17ROCPRIM_400000_NS6detail17trampoline_kernelINS0_14default_configENS1_22reduce_config_selectorIlEEZNS1_11reduce_implILb1ES3_N6thrust23THRUST_200600_302600_NS11hip_rocprim26transform_input_iterator_tIlNS8_12zip_iteratorINS8_5tupleINS8_6detail15normal_iteratorINS8_10device_ptrIdEEEESH_NS8_9null_typeESI_SI_SI_SI_SI_SI_SI_EEEENS9_21zip_adj_not_predicateINS8_8equal_toIdEEEEEEPllNS8_4plusIlEEEE10hipError_tPvRmT1_T2_T3_mT4_P12ihipStream_tbEUlT_E1_NS1_11comp_targetILNS1_3genE10ELNS1_11target_archE1201ELNS1_3gpuE5ELNS1_3repE0EEENS1_30default_config_static_selectorELNS0_4arch9wavefront6targetE1EEEvSW_,@function
_ZN7rocprim17ROCPRIM_400000_NS6detail17trampoline_kernelINS0_14default_configENS1_22reduce_config_selectorIlEEZNS1_11reduce_implILb1ES3_N6thrust23THRUST_200600_302600_NS11hip_rocprim26transform_input_iterator_tIlNS8_12zip_iteratorINS8_5tupleINS8_6detail15normal_iteratorINS8_10device_ptrIdEEEESH_NS8_9null_typeESI_SI_SI_SI_SI_SI_SI_EEEENS9_21zip_adj_not_predicateINS8_8equal_toIdEEEEEEPllNS8_4plusIlEEEE10hipError_tPvRmT1_T2_T3_mT4_P12ihipStream_tbEUlT_E1_NS1_11comp_targetILNS1_3genE10ELNS1_11target_archE1201ELNS1_3gpuE5ELNS1_3repE0EEENS1_30default_config_static_selectorELNS0_4arch9wavefront6targetE1EEEvSW_: ; @_ZN7rocprim17ROCPRIM_400000_NS6detail17trampoline_kernelINS0_14default_configENS1_22reduce_config_selectorIlEEZNS1_11reduce_implILb1ES3_N6thrust23THRUST_200600_302600_NS11hip_rocprim26transform_input_iterator_tIlNS8_12zip_iteratorINS8_5tupleINS8_6detail15normal_iteratorINS8_10device_ptrIdEEEESH_NS8_9null_typeESI_SI_SI_SI_SI_SI_SI_EEEENS9_21zip_adj_not_predicateINS8_8equal_toIdEEEEEEPllNS8_4plusIlEEEE10hipError_tPvRmT1_T2_T3_mT4_P12ihipStream_tbEUlT_E1_NS1_11comp_targetILNS1_3genE10ELNS1_11target_archE1201ELNS1_3gpuE5ELNS1_3repE0EEENS1_30default_config_static_selectorELNS0_4arch9wavefront6targetE1EEEvSW_
; %bb.0:
	.section	.rodata,"a",@progbits
	.p2align	6, 0x0
	.amdhsa_kernel _ZN7rocprim17ROCPRIM_400000_NS6detail17trampoline_kernelINS0_14default_configENS1_22reduce_config_selectorIlEEZNS1_11reduce_implILb1ES3_N6thrust23THRUST_200600_302600_NS11hip_rocprim26transform_input_iterator_tIlNS8_12zip_iteratorINS8_5tupleINS8_6detail15normal_iteratorINS8_10device_ptrIdEEEESH_NS8_9null_typeESI_SI_SI_SI_SI_SI_SI_EEEENS9_21zip_adj_not_predicateINS8_8equal_toIdEEEEEEPllNS8_4plusIlEEEE10hipError_tPvRmT1_T2_T3_mT4_P12ihipStream_tbEUlT_E1_NS1_11comp_targetILNS1_3genE10ELNS1_11target_archE1201ELNS1_3gpuE5ELNS1_3repE0EEENS1_30default_config_static_selectorELNS0_4arch9wavefront6targetE1EEEvSW_
		.amdhsa_group_segment_fixed_size 0
		.amdhsa_private_segment_fixed_size 0
		.amdhsa_kernarg_size 64
		.amdhsa_user_sgpr_count 6
		.amdhsa_user_sgpr_private_segment_buffer 1
		.amdhsa_user_sgpr_dispatch_ptr 0
		.amdhsa_user_sgpr_queue_ptr 0
		.amdhsa_user_sgpr_kernarg_segment_ptr 1
		.amdhsa_user_sgpr_dispatch_id 0
		.amdhsa_user_sgpr_flat_scratch_init 0
		.amdhsa_user_sgpr_private_segment_size 0
		.amdhsa_uses_dynamic_stack 0
		.amdhsa_system_sgpr_private_segment_wavefront_offset 0
		.amdhsa_system_sgpr_workgroup_id_x 1
		.amdhsa_system_sgpr_workgroup_id_y 0
		.amdhsa_system_sgpr_workgroup_id_z 0
		.amdhsa_system_sgpr_workgroup_info 0
		.amdhsa_system_vgpr_workitem_id 0
		.amdhsa_next_free_vgpr 1
		.amdhsa_next_free_sgpr 0
		.amdhsa_reserve_vcc 0
		.amdhsa_reserve_flat_scratch 0
		.amdhsa_float_round_mode_32 0
		.amdhsa_float_round_mode_16_64 0
		.amdhsa_float_denorm_mode_32 3
		.amdhsa_float_denorm_mode_16_64 3
		.amdhsa_dx10_clamp 1
		.amdhsa_ieee_mode 1
		.amdhsa_fp16_overflow 0
		.amdhsa_exception_fp_ieee_invalid_op 0
		.amdhsa_exception_fp_denorm_src 0
		.amdhsa_exception_fp_ieee_div_zero 0
		.amdhsa_exception_fp_ieee_overflow 0
		.amdhsa_exception_fp_ieee_underflow 0
		.amdhsa_exception_fp_ieee_inexact 0
		.amdhsa_exception_int_div_zero 0
	.end_amdhsa_kernel
	.section	.text._ZN7rocprim17ROCPRIM_400000_NS6detail17trampoline_kernelINS0_14default_configENS1_22reduce_config_selectorIlEEZNS1_11reduce_implILb1ES3_N6thrust23THRUST_200600_302600_NS11hip_rocprim26transform_input_iterator_tIlNS8_12zip_iteratorINS8_5tupleINS8_6detail15normal_iteratorINS8_10device_ptrIdEEEESH_NS8_9null_typeESI_SI_SI_SI_SI_SI_SI_EEEENS9_21zip_adj_not_predicateINS8_8equal_toIdEEEEEEPllNS8_4plusIlEEEE10hipError_tPvRmT1_T2_T3_mT4_P12ihipStream_tbEUlT_E1_NS1_11comp_targetILNS1_3genE10ELNS1_11target_archE1201ELNS1_3gpuE5ELNS1_3repE0EEENS1_30default_config_static_selectorELNS0_4arch9wavefront6targetE1EEEvSW_,"axG",@progbits,_ZN7rocprim17ROCPRIM_400000_NS6detail17trampoline_kernelINS0_14default_configENS1_22reduce_config_selectorIlEEZNS1_11reduce_implILb1ES3_N6thrust23THRUST_200600_302600_NS11hip_rocprim26transform_input_iterator_tIlNS8_12zip_iteratorINS8_5tupleINS8_6detail15normal_iteratorINS8_10device_ptrIdEEEESH_NS8_9null_typeESI_SI_SI_SI_SI_SI_SI_EEEENS9_21zip_adj_not_predicateINS8_8equal_toIdEEEEEEPllNS8_4plusIlEEEE10hipError_tPvRmT1_T2_T3_mT4_P12ihipStream_tbEUlT_E1_NS1_11comp_targetILNS1_3genE10ELNS1_11target_archE1201ELNS1_3gpuE5ELNS1_3repE0EEENS1_30default_config_static_selectorELNS0_4arch9wavefront6targetE1EEEvSW_,comdat
.Lfunc_end757:
	.size	_ZN7rocprim17ROCPRIM_400000_NS6detail17trampoline_kernelINS0_14default_configENS1_22reduce_config_selectorIlEEZNS1_11reduce_implILb1ES3_N6thrust23THRUST_200600_302600_NS11hip_rocprim26transform_input_iterator_tIlNS8_12zip_iteratorINS8_5tupleINS8_6detail15normal_iteratorINS8_10device_ptrIdEEEESH_NS8_9null_typeESI_SI_SI_SI_SI_SI_SI_EEEENS9_21zip_adj_not_predicateINS8_8equal_toIdEEEEEEPllNS8_4plusIlEEEE10hipError_tPvRmT1_T2_T3_mT4_P12ihipStream_tbEUlT_E1_NS1_11comp_targetILNS1_3genE10ELNS1_11target_archE1201ELNS1_3gpuE5ELNS1_3repE0EEENS1_30default_config_static_selectorELNS0_4arch9wavefront6targetE1EEEvSW_, .Lfunc_end757-_ZN7rocprim17ROCPRIM_400000_NS6detail17trampoline_kernelINS0_14default_configENS1_22reduce_config_selectorIlEEZNS1_11reduce_implILb1ES3_N6thrust23THRUST_200600_302600_NS11hip_rocprim26transform_input_iterator_tIlNS8_12zip_iteratorINS8_5tupleINS8_6detail15normal_iteratorINS8_10device_ptrIdEEEESH_NS8_9null_typeESI_SI_SI_SI_SI_SI_SI_EEEENS9_21zip_adj_not_predicateINS8_8equal_toIdEEEEEEPllNS8_4plusIlEEEE10hipError_tPvRmT1_T2_T3_mT4_P12ihipStream_tbEUlT_E1_NS1_11comp_targetILNS1_3genE10ELNS1_11target_archE1201ELNS1_3gpuE5ELNS1_3repE0EEENS1_30default_config_static_selectorELNS0_4arch9wavefront6targetE1EEEvSW_
                                        ; -- End function
	.set _ZN7rocprim17ROCPRIM_400000_NS6detail17trampoline_kernelINS0_14default_configENS1_22reduce_config_selectorIlEEZNS1_11reduce_implILb1ES3_N6thrust23THRUST_200600_302600_NS11hip_rocprim26transform_input_iterator_tIlNS8_12zip_iteratorINS8_5tupleINS8_6detail15normal_iteratorINS8_10device_ptrIdEEEESH_NS8_9null_typeESI_SI_SI_SI_SI_SI_SI_EEEENS9_21zip_adj_not_predicateINS8_8equal_toIdEEEEEEPllNS8_4plusIlEEEE10hipError_tPvRmT1_T2_T3_mT4_P12ihipStream_tbEUlT_E1_NS1_11comp_targetILNS1_3genE10ELNS1_11target_archE1201ELNS1_3gpuE5ELNS1_3repE0EEENS1_30default_config_static_selectorELNS0_4arch9wavefront6targetE1EEEvSW_.num_vgpr, 0
	.set _ZN7rocprim17ROCPRIM_400000_NS6detail17trampoline_kernelINS0_14default_configENS1_22reduce_config_selectorIlEEZNS1_11reduce_implILb1ES3_N6thrust23THRUST_200600_302600_NS11hip_rocprim26transform_input_iterator_tIlNS8_12zip_iteratorINS8_5tupleINS8_6detail15normal_iteratorINS8_10device_ptrIdEEEESH_NS8_9null_typeESI_SI_SI_SI_SI_SI_SI_EEEENS9_21zip_adj_not_predicateINS8_8equal_toIdEEEEEEPllNS8_4plusIlEEEE10hipError_tPvRmT1_T2_T3_mT4_P12ihipStream_tbEUlT_E1_NS1_11comp_targetILNS1_3genE10ELNS1_11target_archE1201ELNS1_3gpuE5ELNS1_3repE0EEENS1_30default_config_static_selectorELNS0_4arch9wavefront6targetE1EEEvSW_.num_agpr, 0
	.set _ZN7rocprim17ROCPRIM_400000_NS6detail17trampoline_kernelINS0_14default_configENS1_22reduce_config_selectorIlEEZNS1_11reduce_implILb1ES3_N6thrust23THRUST_200600_302600_NS11hip_rocprim26transform_input_iterator_tIlNS8_12zip_iteratorINS8_5tupleINS8_6detail15normal_iteratorINS8_10device_ptrIdEEEESH_NS8_9null_typeESI_SI_SI_SI_SI_SI_SI_EEEENS9_21zip_adj_not_predicateINS8_8equal_toIdEEEEEEPllNS8_4plusIlEEEE10hipError_tPvRmT1_T2_T3_mT4_P12ihipStream_tbEUlT_E1_NS1_11comp_targetILNS1_3genE10ELNS1_11target_archE1201ELNS1_3gpuE5ELNS1_3repE0EEENS1_30default_config_static_selectorELNS0_4arch9wavefront6targetE1EEEvSW_.numbered_sgpr, 0
	.set _ZN7rocprim17ROCPRIM_400000_NS6detail17trampoline_kernelINS0_14default_configENS1_22reduce_config_selectorIlEEZNS1_11reduce_implILb1ES3_N6thrust23THRUST_200600_302600_NS11hip_rocprim26transform_input_iterator_tIlNS8_12zip_iteratorINS8_5tupleINS8_6detail15normal_iteratorINS8_10device_ptrIdEEEESH_NS8_9null_typeESI_SI_SI_SI_SI_SI_SI_EEEENS9_21zip_adj_not_predicateINS8_8equal_toIdEEEEEEPllNS8_4plusIlEEEE10hipError_tPvRmT1_T2_T3_mT4_P12ihipStream_tbEUlT_E1_NS1_11comp_targetILNS1_3genE10ELNS1_11target_archE1201ELNS1_3gpuE5ELNS1_3repE0EEENS1_30default_config_static_selectorELNS0_4arch9wavefront6targetE1EEEvSW_.num_named_barrier, 0
	.set _ZN7rocprim17ROCPRIM_400000_NS6detail17trampoline_kernelINS0_14default_configENS1_22reduce_config_selectorIlEEZNS1_11reduce_implILb1ES3_N6thrust23THRUST_200600_302600_NS11hip_rocprim26transform_input_iterator_tIlNS8_12zip_iteratorINS8_5tupleINS8_6detail15normal_iteratorINS8_10device_ptrIdEEEESH_NS8_9null_typeESI_SI_SI_SI_SI_SI_SI_EEEENS9_21zip_adj_not_predicateINS8_8equal_toIdEEEEEEPllNS8_4plusIlEEEE10hipError_tPvRmT1_T2_T3_mT4_P12ihipStream_tbEUlT_E1_NS1_11comp_targetILNS1_3genE10ELNS1_11target_archE1201ELNS1_3gpuE5ELNS1_3repE0EEENS1_30default_config_static_selectorELNS0_4arch9wavefront6targetE1EEEvSW_.private_seg_size, 0
	.set _ZN7rocprim17ROCPRIM_400000_NS6detail17trampoline_kernelINS0_14default_configENS1_22reduce_config_selectorIlEEZNS1_11reduce_implILb1ES3_N6thrust23THRUST_200600_302600_NS11hip_rocprim26transform_input_iterator_tIlNS8_12zip_iteratorINS8_5tupleINS8_6detail15normal_iteratorINS8_10device_ptrIdEEEESH_NS8_9null_typeESI_SI_SI_SI_SI_SI_SI_EEEENS9_21zip_adj_not_predicateINS8_8equal_toIdEEEEEEPllNS8_4plusIlEEEE10hipError_tPvRmT1_T2_T3_mT4_P12ihipStream_tbEUlT_E1_NS1_11comp_targetILNS1_3genE10ELNS1_11target_archE1201ELNS1_3gpuE5ELNS1_3repE0EEENS1_30default_config_static_selectorELNS0_4arch9wavefront6targetE1EEEvSW_.uses_vcc, 0
	.set _ZN7rocprim17ROCPRIM_400000_NS6detail17trampoline_kernelINS0_14default_configENS1_22reduce_config_selectorIlEEZNS1_11reduce_implILb1ES3_N6thrust23THRUST_200600_302600_NS11hip_rocprim26transform_input_iterator_tIlNS8_12zip_iteratorINS8_5tupleINS8_6detail15normal_iteratorINS8_10device_ptrIdEEEESH_NS8_9null_typeESI_SI_SI_SI_SI_SI_SI_EEEENS9_21zip_adj_not_predicateINS8_8equal_toIdEEEEEEPllNS8_4plusIlEEEE10hipError_tPvRmT1_T2_T3_mT4_P12ihipStream_tbEUlT_E1_NS1_11comp_targetILNS1_3genE10ELNS1_11target_archE1201ELNS1_3gpuE5ELNS1_3repE0EEENS1_30default_config_static_selectorELNS0_4arch9wavefront6targetE1EEEvSW_.uses_flat_scratch, 0
	.set _ZN7rocprim17ROCPRIM_400000_NS6detail17trampoline_kernelINS0_14default_configENS1_22reduce_config_selectorIlEEZNS1_11reduce_implILb1ES3_N6thrust23THRUST_200600_302600_NS11hip_rocprim26transform_input_iterator_tIlNS8_12zip_iteratorINS8_5tupleINS8_6detail15normal_iteratorINS8_10device_ptrIdEEEESH_NS8_9null_typeESI_SI_SI_SI_SI_SI_SI_EEEENS9_21zip_adj_not_predicateINS8_8equal_toIdEEEEEEPllNS8_4plusIlEEEE10hipError_tPvRmT1_T2_T3_mT4_P12ihipStream_tbEUlT_E1_NS1_11comp_targetILNS1_3genE10ELNS1_11target_archE1201ELNS1_3gpuE5ELNS1_3repE0EEENS1_30default_config_static_selectorELNS0_4arch9wavefront6targetE1EEEvSW_.has_dyn_sized_stack, 0
	.set _ZN7rocprim17ROCPRIM_400000_NS6detail17trampoline_kernelINS0_14default_configENS1_22reduce_config_selectorIlEEZNS1_11reduce_implILb1ES3_N6thrust23THRUST_200600_302600_NS11hip_rocprim26transform_input_iterator_tIlNS8_12zip_iteratorINS8_5tupleINS8_6detail15normal_iteratorINS8_10device_ptrIdEEEESH_NS8_9null_typeESI_SI_SI_SI_SI_SI_SI_EEEENS9_21zip_adj_not_predicateINS8_8equal_toIdEEEEEEPllNS8_4plusIlEEEE10hipError_tPvRmT1_T2_T3_mT4_P12ihipStream_tbEUlT_E1_NS1_11comp_targetILNS1_3genE10ELNS1_11target_archE1201ELNS1_3gpuE5ELNS1_3repE0EEENS1_30default_config_static_selectorELNS0_4arch9wavefront6targetE1EEEvSW_.has_recursion, 0
	.set _ZN7rocprim17ROCPRIM_400000_NS6detail17trampoline_kernelINS0_14default_configENS1_22reduce_config_selectorIlEEZNS1_11reduce_implILb1ES3_N6thrust23THRUST_200600_302600_NS11hip_rocprim26transform_input_iterator_tIlNS8_12zip_iteratorINS8_5tupleINS8_6detail15normal_iteratorINS8_10device_ptrIdEEEESH_NS8_9null_typeESI_SI_SI_SI_SI_SI_SI_EEEENS9_21zip_adj_not_predicateINS8_8equal_toIdEEEEEEPllNS8_4plusIlEEEE10hipError_tPvRmT1_T2_T3_mT4_P12ihipStream_tbEUlT_E1_NS1_11comp_targetILNS1_3genE10ELNS1_11target_archE1201ELNS1_3gpuE5ELNS1_3repE0EEENS1_30default_config_static_selectorELNS0_4arch9wavefront6targetE1EEEvSW_.has_indirect_call, 0
	.section	.AMDGPU.csdata,"",@progbits
; Kernel info:
; codeLenInByte = 0
; TotalNumSgprs: 4
; NumVgprs: 0
; ScratchSize: 0
; MemoryBound: 0
; FloatMode: 240
; IeeeMode: 1
; LDSByteSize: 0 bytes/workgroup (compile time only)
; SGPRBlocks: 0
; VGPRBlocks: 0
; NumSGPRsForWavesPerEU: 4
; NumVGPRsForWavesPerEU: 1
; Occupancy: 10
; WaveLimiterHint : 0
; COMPUTE_PGM_RSRC2:SCRATCH_EN: 0
; COMPUTE_PGM_RSRC2:USER_SGPR: 6
; COMPUTE_PGM_RSRC2:TRAP_HANDLER: 0
; COMPUTE_PGM_RSRC2:TGID_X_EN: 1
; COMPUTE_PGM_RSRC2:TGID_Y_EN: 0
; COMPUTE_PGM_RSRC2:TGID_Z_EN: 0
; COMPUTE_PGM_RSRC2:TIDIG_COMP_CNT: 0
	.section	.text._ZN7rocprim17ROCPRIM_400000_NS6detail17trampoline_kernelINS0_14default_configENS1_22reduce_config_selectorIlEEZNS1_11reduce_implILb1ES3_N6thrust23THRUST_200600_302600_NS11hip_rocprim26transform_input_iterator_tIlNS8_12zip_iteratorINS8_5tupleINS8_6detail15normal_iteratorINS8_10device_ptrIdEEEESH_NS8_9null_typeESI_SI_SI_SI_SI_SI_SI_EEEENS9_21zip_adj_not_predicateINS8_8equal_toIdEEEEEEPllNS8_4plusIlEEEE10hipError_tPvRmT1_T2_T3_mT4_P12ihipStream_tbEUlT_E1_NS1_11comp_targetILNS1_3genE10ELNS1_11target_archE1200ELNS1_3gpuE4ELNS1_3repE0EEENS1_30default_config_static_selectorELNS0_4arch9wavefront6targetE1EEEvSW_,"axG",@progbits,_ZN7rocprim17ROCPRIM_400000_NS6detail17trampoline_kernelINS0_14default_configENS1_22reduce_config_selectorIlEEZNS1_11reduce_implILb1ES3_N6thrust23THRUST_200600_302600_NS11hip_rocprim26transform_input_iterator_tIlNS8_12zip_iteratorINS8_5tupleINS8_6detail15normal_iteratorINS8_10device_ptrIdEEEESH_NS8_9null_typeESI_SI_SI_SI_SI_SI_SI_EEEENS9_21zip_adj_not_predicateINS8_8equal_toIdEEEEEEPllNS8_4plusIlEEEE10hipError_tPvRmT1_T2_T3_mT4_P12ihipStream_tbEUlT_E1_NS1_11comp_targetILNS1_3genE10ELNS1_11target_archE1200ELNS1_3gpuE4ELNS1_3repE0EEENS1_30default_config_static_selectorELNS0_4arch9wavefront6targetE1EEEvSW_,comdat
	.protected	_ZN7rocprim17ROCPRIM_400000_NS6detail17trampoline_kernelINS0_14default_configENS1_22reduce_config_selectorIlEEZNS1_11reduce_implILb1ES3_N6thrust23THRUST_200600_302600_NS11hip_rocprim26transform_input_iterator_tIlNS8_12zip_iteratorINS8_5tupleINS8_6detail15normal_iteratorINS8_10device_ptrIdEEEESH_NS8_9null_typeESI_SI_SI_SI_SI_SI_SI_EEEENS9_21zip_adj_not_predicateINS8_8equal_toIdEEEEEEPllNS8_4plusIlEEEE10hipError_tPvRmT1_T2_T3_mT4_P12ihipStream_tbEUlT_E1_NS1_11comp_targetILNS1_3genE10ELNS1_11target_archE1200ELNS1_3gpuE4ELNS1_3repE0EEENS1_30default_config_static_selectorELNS0_4arch9wavefront6targetE1EEEvSW_ ; -- Begin function _ZN7rocprim17ROCPRIM_400000_NS6detail17trampoline_kernelINS0_14default_configENS1_22reduce_config_selectorIlEEZNS1_11reduce_implILb1ES3_N6thrust23THRUST_200600_302600_NS11hip_rocprim26transform_input_iterator_tIlNS8_12zip_iteratorINS8_5tupleINS8_6detail15normal_iteratorINS8_10device_ptrIdEEEESH_NS8_9null_typeESI_SI_SI_SI_SI_SI_SI_EEEENS9_21zip_adj_not_predicateINS8_8equal_toIdEEEEEEPllNS8_4plusIlEEEE10hipError_tPvRmT1_T2_T3_mT4_P12ihipStream_tbEUlT_E1_NS1_11comp_targetILNS1_3genE10ELNS1_11target_archE1200ELNS1_3gpuE4ELNS1_3repE0EEENS1_30default_config_static_selectorELNS0_4arch9wavefront6targetE1EEEvSW_
	.globl	_ZN7rocprim17ROCPRIM_400000_NS6detail17trampoline_kernelINS0_14default_configENS1_22reduce_config_selectorIlEEZNS1_11reduce_implILb1ES3_N6thrust23THRUST_200600_302600_NS11hip_rocprim26transform_input_iterator_tIlNS8_12zip_iteratorINS8_5tupleINS8_6detail15normal_iteratorINS8_10device_ptrIdEEEESH_NS8_9null_typeESI_SI_SI_SI_SI_SI_SI_EEEENS9_21zip_adj_not_predicateINS8_8equal_toIdEEEEEEPllNS8_4plusIlEEEE10hipError_tPvRmT1_T2_T3_mT4_P12ihipStream_tbEUlT_E1_NS1_11comp_targetILNS1_3genE10ELNS1_11target_archE1200ELNS1_3gpuE4ELNS1_3repE0EEENS1_30default_config_static_selectorELNS0_4arch9wavefront6targetE1EEEvSW_
	.p2align	8
	.type	_ZN7rocprim17ROCPRIM_400000_NS6detail17trampoline_kernelINS0_14default_configENS1_22reduce_config_selectorIlEEZNS1_11reduce_implILb1ES3_N6thrust23THRUST_200600_302600_NS11hip_rocprim26transform_input_iterator_tIlNS8_12zip_iteratorINS8_5tupleINS8_6detail15normal_iteratorINS8_10device_ptrIdEEEESH_NS8_9null_typeESI_SI_SI_SI_SI_SI_SI_EEEENS9_21zip_adj_not_predicateINS8_8equal_toIdEEEEEEPllNS8_4plusIlEEEE10hipError_tPvRmT1_T2_T3_mT4_P12ihipStream_tbEUlT_E1_NS1_11comp_targetILNS1_3genE10ELNS1_11target_archE1200ELNS1_3gpuE4ELNS1_3repE0EEENS1_30default_config_static_selectorELNS0_4arch9wavefront6targetE1EEEvSW_,@function
_ZN7rocprim17ROCPRIM_400000_NS6detail17trampoline_kernelINS0_14default_configENS1_22reduce_config_selectorIlEEZNS1_11reduce_implILb1ES3_N6thrust23THRUST_200600_302600_NS11hip_rocprim26transform_input_iterator_tIlNS8_12zip_iteratorINS8_5tupleINS8_6detail15normal_iteratorINS8_10device_ptrIdEEEESH_NS8_9null_typeESI_SI_SI_SI_SI_SI_SI_EEEENS9_21zip_adj_not_predicateINS8_8equal_toIdEEEEEEPllNS8_4plusIlEEEE10hipError_tPvRmT1_T2_T3_mT4_P12ihipStream_tbEUlT_E1_NS1_11comp_targetILNS1_3genE10ELNS1_11target_archE1200ELNS1_3gpuE4ELNS1_3repE0EEENS1_30default_config_static_selectorELNS0_4arch9wavefront6targetE1EEEvSW_: ; @_ZN7rocprim17ROCPRIM_400000_NS6detail17trampoline_kernelINS0_14default_configENS1_22reduce_config_selectorIlEEZNS1_11reduce_implILb1ES3_N6thrust23THRUST_200600_302600_NS11hip_rocprim26transform_input_iterator_tIlNS8_12zip_iteratorINS8_5tupleINS8_6detail15normal_iteratorINS8_10device_ptrIdEEEESH_NS8_9null_typeESI_SI_SI_SI_SI_SI_SI_EEEENS9_21zip_adj_not_predicateINS8_8equal_toIdEEEEEEPllNS8_4plusIlEEEE10hipError_tPvRmT1_T2_T3_mT4_P12ihipStream_tbEUlT_E1_NS1_11comp_targetILNS1_3genE10ELNS1_11target_archE1200ELNS1_3gpuE4ELNS1_3repE0EEENS1_30default_config_static_selectorELNS0_4arch9wavefront6targetE1EEEvSW_
; %bb.0:
	.section	.rodata,"a",@progbits
	.p2align	6, 0x0
	.amdhsa_kernel _ZN7rocprim17ROCPRIM_400000_NS6detail17trampoline_kernelINS0_14default_configENS1_22reduce_config_selectorIlEEZNS1_11reduce_implILb1ES3_N6thrust23THRUST_200600_302600_NS11hip_rocprim26transform_input_iterator_tIlNS8_12zip_iteratorINS8_5tupleINS8_6detail15normal_iteratorINS8_10device_ptrIdEEEESH_NS8_9null_typeESI_SI_SI_SI_SI_SI_SI_EEEENS9_21zip_adj_not_predicateINS8_8equal_toIdEEEEEEPllNS8_4plusIlEEEE10hipError_tPvRmT1_T2_T3_mT4_P12ihipStream_tbEUlT_E1_NS1_11comp_targetILNS1_3genE10ELNS1_11target_archE1200ELNS1_3gpuE4ELNS1_3repE0EEENS1_30default_config_static_selectorELNS0_4arch9wavefront6targetE1EEEvSW_
		.amdhsa_group_segment_fixed_size 0
		.amdhsa_private_segment_fixed_size 0
		.amdhsa_kernarg_size 64
		.amdhsa_user_sgpr_count 6
		.amdhsa_user_sgpr_private_segment_buffer 1
		.amdhsa_user_sgpr_dispatch_ptr 0
		.amdhsa_user_sgpr_queue_ptr 0
		.amdhsa_user_sgpr_kernarg_segment_ptr 1
		.amdhsa_user_sgpr_dispatch_id 0
		.amdhsa_user_sgpr_flat_scratch_init 0
		.amdhsa_user_sgpr_private_segment_size 0
		.amdhsa_uses_dynamic_stack 0
		.amdhsa_system_sgpr_private_segment_wavefront_offset 0
		.amdhsa_system_sgpr_workgroup_id_x 1
		.amdhsa_system_sgpr_workgroup_id_y 0
		.amdhsa_system_sgpr_workgroup_id_z 0
		.amdhsa_system_sgpr_workgroup_info 0
		.amdhsa_system_vgpr_workitem_id 0
		.amdhsa_next_free_vgpr 1
		.amdhsa_next_free_sgpr 0
		.amdhsa_reserve_vcc 0
		.amdhsa_reserve_flat_scratch 0
		.amdhsa_float_round_mode_32 0
		.amdhsa_float_round_mode_16_64 0
		.amdhsa_float_denorm_mode_32 3
		.amdhsa_float_denorm_mode_16_64 3
		.amdhsa_dx10_clamp 1
		.amdhsa_ieee_mode 1
		.amdhsa_fp16_overflow 0
		.amdhsa_exception_fp_ieee_invalid_op 0
		.amdhsa_exception_fp_denorm_src 0
		.amdhsa_exception_fp_ieee_div_zero 0
		.amdhsa_exception_fp_ieee_overflow 0
		.amdhsa_exception_fp_ieee_underflow 0
		.amdhsa_exception_fp_ieee_inexact 0
		.amdhsa_exception_int_div_zero 0
	.end_amdhsa_kernel
	.section	.text._ZN7rocprim17ROCPRIM_400000_NS6detail17trampoline_kernelINS0_14default_configENS1_22reduce_config_selectorIlEEZNS1_11reduce_implILb1ES3_N6thrust23THRUST_200600_302600_NS11hip_rocprim26transform_input_iterator_tIlNS8_12zip_iteratorINS8_5tupleINS8_6detail15normal_iteratorINS8_10device_ptrIdEEEESH_NS8_9null_typeESI_SI_SI_SI_SI_SI_SI_EEEENS9_21zip_adj_not_predicateINS8_8equal_toIdEEEEEEPllNS8_4plusIlEEEE10hipError_tPvRmT1_T2_T3_mT4_P12ihipStream_tbEUlT_E1_NS1_11comp_targetILNS1_3genE10ELNS1_11target_archE1200ELNS1_3gpuE4ELNS1_3repE0EEENS1_30default_config_static_selectorELNS0_4arch9wavefront6targetE1EEEvSW_,"axG",@progbits,_ZN7rocprim17ROCPRIM_400000_NS6detail17trampoline_kernelINS0_14default_configENS1_22reduce_config_selectorIlEEZNS1_11reduce_implILb1ES3_N6thrust23THRUST_200600_302600_NS11hip_rocprim26transform_input_iterator_tIlNS8_12zip_iteratorINS8_5tupleINS8_6detail15normal_iteratorINS8_10device_ptrIdEEEESH_NS8_9null_typeESI_SI_SI_SI_SI_SI_SI_EEEENS9_21zip_adj_not_predicateINS8_8equal_toIdEEEEEEPllNS8_4plusIlEEEE10hipError_tPvRmT1_T2_T3_mT4_P12ihipStream_tbEUlT_E1_NS1_11comp_targetILNS1_3genE10ELNS1_11target_archE1200ELNS1_3gpuE4ELNS1_3repE0EEENS1_30default_config_static_selectorELNS0_4arch9wavefront6targetE1EEEvSW_,comdat
.Lfunc_end758:
	.size	_ZN7rocprim17ROCPRIM_400000_NS6detail17trampoline_kernelINS0_14default_configENS1_22reduce_config_selectorIlEEZNS1_11reduce_implILb1ES3_N6thrust23THRUST_200600_302600_NS11hip_rocprim26transform_input_iterator_tIlNS8_12zip_iteratorINS8_5tupleINS8_6detail15normal_iteratorINS8_10device_ptrIdEEEESH_NS8_9null_typeESI_SI_SI_SI_SI_SI_SI_EEEENS9_21zip_adj_not_predicateINS8_8equal_toIdEEEEEEPllNS8_4plusIlEEEE10hipError_tPvRmT1_T2_T3_mT4_P12ihipStream_tbEUlT_E1_NS1_11comp_targetILNS1_3genE10ELNS1_11target_archE1200ELNS1_3gpuE4ELNS1_3repE0EEENS1_30default_config_static_selectorELNS0_4arch9wavefront6targetE1EEEvSW_, .Lfunc_end758-_ZN7rocprim17ROCPRIM_400000_NS6detail17trampoline_kernelINS0_14default_configENS1_22reduce_config_selectorIlEEZNS1_11reduce_implILb1ES3_N6thrust23THRUST_200600_302600_NS11hip_rocprim26transform_input_iterator_tIlNS8_12zip_iteratorINS8_5tupleINS8_6detail15normal_iteratorINS8_10device_ptrIdEEEESH_NS8_9null_typeESI_SI_SI_SI_SI_SI_SI_EEEENS9_21zip_adj_not_predicateINS8_8equal_toIdEEEEEEPllNS8_4plusIlEEEE10hipError_tPvRmT1_T2_T3_mT4_P12ihipStream_tbEUlT_E1_NS1_11comp_targetILNS1_3genE10ELNS1_11target_archE1200ELNS1_3gpuE4ELNS1_3repE0EEENS1_30default_config_static_selectorELNS0_4arch9wavefront6targetE1EEEvSW_
                                        ; -- End function
	.set _ZN7rocprim17ROCPRIM_400000_NS6detail17trampoline_kernelINS0_14default_configENS1_22reduce_config_selectorIlEEZNS1_11reduce_implILb1ES3_N6thrust23THRUST_200600_302600_NS11hip_rocprim26transform_input_iterator_tIlNS8_12zip_iteratorINS8_5tupleINS8_6detail15normal_iteratorINS8_10device_ptrIdEEEESH_NS8_9null_typeESI_SI_SI_SI_SI_SI_SI_EEEENS9_21zip_adj_not_predicateINS8_8equal_toIdEEEEEEPllNS8_4plusIlEEEE10hipError_tPvRmT1_T2_T3_mT4_P12ihipStream_tbEUlT_E1_NS1_11comp_targetILNS1_3genE10ELNS1_11target_archE1200ELNS1_3gpuE4ELNS1_3repE0EEENS1_30default_config_static_selectorELNS0_4arch9wavefront6targetE1EEEvSW_.num_vgpr, 0
	.set _ZN7rocprim17ROCPRIM_400000_NS6detail17trampoline_kernelINS0_14default_configENS1_22reduce_config_selectorIlEEZNS1_11reduce_implILb1ES3_N6thrust23THRUST_200600_302600_NS11hip_rocprim26transform_input_iterator_tIlNS8_12zip_iteratorINS8_5tupleINS8_6detail15normal_iteratorINS8_10device_ptrIdEEEESH_NS8_9null_typeESI_SI_SI_SI_SI_SI_SI_EEEENS9_21zip_adj_not_predicateINS8_8equal_toIdEEEEEEPllNS8_4plusIlEEEE10hipError_tPvRmT1_T2_T3_mT4_P12ihipStream_tbEUlT_E1_NS1_11comp_targetILNS1_3genE10ELNS1_11target_archE1200ELNS1_3gpuE4ELNS1_3repE0EEENS1_30default_config_static_selectorELNS0_4arch9wavefront6targetE1EEEvSW_.num_agpr, 0
	.set _ZN7rocprim17ROCPRIM_400000_NS6detail17trampoline_kernelINS0_14default_configENS1_22reduce_config_selectorIlEEZNS1_11reduce_implILb1ES3_N6thrust23THRUST_200600_302600_NS11hip_rocprim26transform_input_iterator_tIlNS8_12zip_iteratorINS8_5tupleINS8_6detail15normal_iteratorINS8_10device_ptrIdEEEESH_NS8_9null_typeESI_SI_SI_SI_SI_SI_SI_EEEENS9_21zip_adj_not_predicateINS8_8equal_toIdEEEEEEPllNS8_4plusIlEEEE10hipError_tPvRmT1_T2_T3_mT4_P12ihipStream_tbEUlT_E1_NS1_11comp_targetILNS1_3genE10ELNS1_11target_archE1200ELNS1_3gpuE4ELNS1_3repE0EEENS1_30default_config_static_selectorELNS0_4arch9wavefront6targetE1EEEvSW_.numbered_sgpr, 0
	.set _ZN7rocprim17ROCPRIM_400000_NS6detail17trampoline_kernelINS0_14default_configENS1_22reduce_config_selectorIlEEZNS1_11reduce_implILb1ES3_N6thrust23THRUST_200600_302600_NS11hip_rocprim26transform_input_iterator_tIlNS8_12zip_iteratorINS8_5tupleINS8_6detail15normal_iteratorINS8_10device_ptrIdEEEESH_NS8_9null_typeESI_SI_SI_SI_SI_SI_SI_EEEENS9_21zip_adj_not_predicateINS8_8equal_toIdEEEEEEPllNS8_4plusIlEEEE10hipError_tPvRmT1_T2_T3_mT4_P12ihipStream_tbEUlT_E1_NS1_11comp_targetILNS1_3genE10ELNS1_11target_archE1200ELNS1_3gpuE4ELNS1_3repE0EEENS1_30default_config_static_selectorELNS0_4arch9wavefront6targetE1EEEvSW_.num_named_barrier, 0
	.set _ZN7rocprim17ROCPRIM_400000_NS6detail17trampoline_kernelINS0_14default_configENS1_22reduce_config_selectorIlEEZNS1_11reduce_implILb1ES3_N6thrust23THRUST_200600_302600_NS11hip_rocprim26transform_input_iterator_tIlNS8_12zip_iteratorINS8_5tupleINS8_6detail15normal_iteratorINS8_10device_ptrIdEEEESH_NS8_9null_typeESI_SI_SI_SI_SI_SI_SI_EEEENS9_21zip_adj_not_predicateINS8_8equal_toIdEEEEEEPllNS8_4plusIlEEEE10hipError_tPvRmT1_T2_T3_mT4_P12ihipStream_tbEUlT_E1_NS1_11comp_targetILNS1_3genE10ELNS1_11target_archE1200ELNS1_3gpuE4ELNS1_3repE0EEENS1_30default_config_static_selectorELNS0_4arch9wavefront6targetE1EEEvSW_.private_seg_size, 0
	.set _ZN7rocprim17ROCPRIM_400000_NS6detail17trampoline_kernelINS0_14default_configENS1_22reduce_config_selectorIlEEZNS1_11reduce_implILb1ES3_N6thrust23THRUST_200600_302600_NS11hip_rocprim26transform_input_iterator_tIlNS8_12zip_iteratorINS8_5tupleINS8_6detail15normal_iteratorINS8_10device_ptrIdEEEESH_NS8_9null_typeESI_SI_SI_SI_SI_SI_SI_EEEENS9_21zip_adj_not_predicateINS8_8equal_toIdEEEEEEPllNS8_4plusIlEEEE10hipError_tPvRmT1_T2_T3_mT4_P12ihipStream_tbEUlT_E1_NS1_11comp_targetILNS1_3genE10ELNS1_11target_archE1200ELNS1_3gpuE4ELNS1_3repE0EEENS1_30default_config_static_selectorELNS0_4arch9wavefront6targetE1EEEvSW_.uses_vcc, 0
	.set _ZN7rocprim17ROCPRIM_400000_NS6detail17trampoline_kernelINS0_14default_configENS1_22reduce_config_selectorIlEEZNS1_11reduce_implILb1ES3_N6thrust23THRUST_200600_302600_NS11hip_rocprim26transform_input_iterator_tIlNS8_12zip_iteratorINS8_5tupleINS8_6detail15normal_iteratorINS8_10device_ptrIdEEEESH_NS8_9null_typeESI_SI_SI_SI_SI_SI_SI_EEEENS9_21zip_adj_not_predicateINS8_8equal_toIdEEEEEEPllNS8_4plusIlEEEE10hipError_tPvRmT1_T2_T3_mT4_P12ihipStream_tbEUlT_E1_NS1_11comp_targetILNS1_3genE10ELNS1_11target_archE1200ELNS1_3gpuE4ELNS1_3repE0EEENS1_30default_config_static_selectorELNS0_4arch9wavefront6targetE1EEEvSW_.uses_flat_scratch, 0
	.set _ZN7rocprim17ROCPRIM_400000_NS6detail17trampoline_kernelINS0_14default_configENS1_22reduce_config_selectorIlEEZNS1_11reduce_implILb1ES3_N6thrust23THRUST_200600_302600_NS11hip_rocprim26transform_input_iterator_tIlNS8_12zip_iteratorINS8_5tupleINS8_6detail15normal_iteratorINS8_10device_ptrIdEEEESH_NS8_9null_typeESI_SI_SI_SI_SI_SI_SI_EEEENS9_21zip_adj_not_predicateINS8_8equal_toIdEEEEEEPllNS8_4plusIlEEEE10hipError_tPvRmT1_T2_T3_mT4_P12ihipStream_tbEUlT_E1_NS1_11comp_targetILNS1_3genE10ELNS1_11target_archE1200ELNS1_3gpuE4ELNS1_3repE0EEENS1_30default_config_static_selectorELNS0_4arch9wavefront6targetE1EEEvSW_.has_dyn_sized_stack, 0
	.set _ZN7rocprim17ROCPRIM_400000_NS6detail17trampoline_kernelINS0_14default_configENS1_22reduce_config_selectorIlEEZNS1_11reduce_implILb1ES3_N6thrust23THRUST_200600_302600_NS11hip_rocprim26transform_input_iterator_tIlNS8_12zip_iteratorINS8_5tupleINS8_6detail15normal_iteratorINS8_10device_ptrIdEEEESH_NS8_9null_typeESI_SI_SI_SI_SI_SI_SI_EEEENS9_21zip_adj_not_predicateINS8_8equal_toIdEEEEEEPllNS8_4plusIlEEEE10hipError_tPvRmT1_T2_T3_mT4_P12ihipStream_tbEUlT_E1_NS1_11comp_targetILNS1_3genE10ELNS1_11target_archE1200ELNS1_3gpuE4ELNS1_3repE0EEENS1_30default_config_static_selectorELNS0_4arch9wavefront6targetE1EEEvSW_.has_recursion, 0
	.set _ZN7rocprim17ROCPRIM_400000_NS6detail17trampoline_kernelINS0_14default_configENS1_22reduce_config_selectorIlEEZNS1_11reduce_implILb1ES3_N6thrust23THRUST_200600_302600_NS11hip_rocprim26transform_input_iterator_tIlNS8_12zip_iteratorINS8_5tupleINS8_6detail15normal_iteratorINS8_10device_ptrIdEEEESH_NS8_9null_typeESI_SI_SI_SI_SI_SI_SI_EEEENS9_21zip_adj_not_predicateINS8_8equal_toIdEEEEEEPllNS8_4plusIlEEEE10hipError_tPvRmT1_T2_T3_mT4_P12ihipStream_tbEUlT_E1_NS1_11comp_targetILNS1_3genE10ELNS1_11target_archE1200ELNS1_3gpuE4ELNS1_3repE0EEENS1_30default_config_static_selectorELNS0_4arch9wavefront6targetE1EEEvSW_.has_indirect_call, 0
	.section	.AMDGPU.csdata,"",@progbits
; Kernel info:
; codeLenInByte = 0
; TotalNumSgprs: 4
; NumVgprs: 0
; ScratchSize: 0
; MemoryBound: 0
; FloatMode: 240
; IeeeMode: 1
; LDSByteSize: 0 bytes/workgroup (compile time only)
; SGPRBlocks: 0
; VGPRBlocks: 0
; NumSGPRsForWavesPerEU: 4
; NumVGPRsForWavesPerEU: 1
; Occupancy: 10
; WaveLimiterHint : 0
; COMPUTE_PGM_RSRC2:SCRATCH_EN: 0
; COMPUTE_PGM_RSRC2:USER_SGPR: 6
; COMPUTE_PGM_RSRC2:TRAP_HANDLER: 0
; COMPUTE_PGM_RSRC2:TGID_X_EN: 1
; COMPUTE_PGM_RSRC2:TGID_Y_EN: 0
; COMPUTE_PGM_RSRC2:TGID_Z_EN: 0
; COMPUTE_PGM_RSRC2:TIDIG_COMP_CNT: 0
	.section	.text._ZN7rocprim17ROCPRIM_400000_NS6detail17trampoline_kernelINS0_14default_configENS1_22reduce_config_selectorIlEEZNS1_11reduce_implILb1ES3_N6thrust23THRUST_200600_302600_NS11hip_rocprim26transform_input_iterator_tIlNS8_12zip_iteratorINS8_5tupleINS8_6detail15normal_iteratorINS8_10device_ptrIdEEEESH_NS8_9null_typeESI_SI_SI_SI_SI_SI_SI_EEEENS9_21zip_adj_not_predicateINS8_8equal_toIdEEEEEEPllNS8_4plusIlEEEE10hipError_tPvRmT1_T2_T3_mT4_P12ihipStream_tbEUlT_E1_NS1_11comp_targetILNS1_3genE9ELNS1_11target_archE1100ELNS1_3gpuE3ELNS1_3repE0EEENS1_30default_config_static_selectorELNS0_4arch9wavefront6targetE1EEEvSW_,"axG",@progbits,_ZN7rocprim17ROCPRIM_400000_NS6detail17trampoline_kernelINS0_14default_configENS1_22reduce_config_selectorIlEEZNS1_11reduce_implILb1ES3_N6thrust23THRUST_200600_302600_NS11hip_rocprim26transform_input_iterator_tIlNS8_12zip_iteratorINS8_5tupleINS8_6detail15normal_iteratorINS8_10device_ptrIdEEEESH_NS8_9null_typeESI_SI_SI_SI_SI_SI_SI_EEEENS9_21zip_adj_not_predicateINS8_8equal_toIdEEEEEEPllNS8_4plusIlEEEE10hipError_tPvRmT1_T2_T3_mT4_P12ihipStream_tbEUlT_E1_NS1_11comp_targetILNS1_3genE9ELNS1_11target_archE1100ELNS1_3gpuE3ELNS1_3repE0EEENS1_30default_config_static_selectorELNS0_4arch9wavefront6targetE1EEEvSW_,comdat
	.protected	_ZN7rocprim17ROCPRIM_400000_NS6detail17trampoline_kernelINS0_14default_configENS1_22reduce_config_selectorIlEEZNS1_11reduce_implILb1ES3_N6thrust23THRUST_200600_302600_NS11hip_rocprim26transform_input_iterator_tIlNS8_12zip_iteratorINS8_5tupleINS8_6detail15normal_iteratorINS8_10device_ptrIdEEEESH_NS8_9null_typeESI_SI_SI_SI_SI_SI_SI_EEEENS9_21zip_adj_not_predicateINS8_8equal_toIdEEEEEEPllNS8_4plusIlEEEE10hipError_tPvRmT1_T2_T3_mT4_P12ihipStream_tbEUlT_E1_NS1_11comp_targetILNS1_3genE9ELNS1_11target_archE1100ELNS1_3gpuE3ELNS1_3repE0EEENS1_30default_config_static_selectorELNS0_4arch9wavefront6targetE1EEEvSW_ ; -- Begin function _ZN7rocprim17ROCPRIM_400000_NS6detail17trampoline_kernelINS0_14default_configENS1_22reduce_config_selectorIlEEZNS1_11reduce_implILb1ES3_N6thrust23THRUST_200600_302600_NS11hip_rocprim26transform_input_iterator_tIlNS8_12zip_iteratorINS8_5tupleINS8_6detail15normal_iteratorINS8_10device_ptrIdEEEESH_NS8_9null_typeESI_SI_SI_SI_SI_SI_SI_EEEENS9_21zip_adj_not_predicateINS8_8equal_toIdEEEEEEPllNS8_4plusIlEEEE10hipError_tPvRmT1_T2_T3_mT4_P12ihipStream_tbEUlT_E1_NS1_11comp_targetILNS1_3genE9ELNS1_11target_archE1100ELNS1_3gpuE3ELNS1_3repE0EEENS1_30default_config_static_selectorELNS0_4arch9wavefront6targetE1EEEvSW_
	.globl	_ZN7rocprim17ROCPRIM_400000_NS6detail17trampoline_kernelINS0_14default_configENS1_22reduce_config_selectorIlEEZNS1_11reduce_implILb1ES3_N6thrust23THRUST_200600_302600_NS11hip_rocprim26transform_input_iterator_tIlNS8_12zip_iteratorINS8_5tupleINS8_6detail15normal_iteratorINS8_10device_ptrIdEEEESH_NS8_9null_typeESI_SI_SI_SI_SI_SI_SI_EEEENS9_21zip_adj_not_predicateINS8_8equal_toIdEEEEEEPllNS8_4plusIlEEEE10hipError_tPvRmT1_T2_T3_mT4_P12ihipStream_tbEUlT_E1_NS1_11comp_targetILNS1_3genE9ELNS1_11target_archE1100ELNS1_3gpuE3ELNS1_3repE0EEENS1_30default_config_static_selectorELNS0_4arch9wavefront6targetE1EEEvSW_
	.p2align	8
	.type	_ZN7rocprim17ROCPRIM_400000_NS6detail17trampoline_kernelINS0_14default_configENS1_22reduce_config_selectorIlEEZNS1_11reduce_implILb1ES3_N6thrust23THRUST_200600_302600_NS11hip_rocprim26transform_input_iterator_tIlNS8_12zip_iteratorINS8_5tupleINS8_6detail15normal_iteratorINS8_10device_ptrIdEEEESH_NS8_9null_typeESI_SI_SI_SI_SI_SI_SI_EEEENS9_21zip_adj_not_predicateINS8_8equal_toIdEEEEEEPllNS8_4plusIlEEEE10hipError_tPvRmT1_T2_T3_mT4_P12ihipStream_tbEUlT_E1_NS1_11comp_targetILNS1_3genE9ELNS1_11target_archE1100ELNS1_3gpuE3ELNS1_3repE0EEENS1_30default_config_static_selectorELNS0_4arch9wavefront6targetE1EEEvSW_,@function
_ZN7rocprim17ROCPRIM_400000_NS6detail17trampoline_kernelINS0_14default_configENS1_22reduce_config_selectorIlEEZNS1_11reduce_implILb1ES3_N6thrust23THRUST_200600_302600_NS11hip_rocprim26transform_input_iterator_tIlNS8_12zip_iteratorINS8_5tupleINS8_6detail15normal_iteratorINS8_10device_ptrIdEEEESH_NS8_9null_typeESI_SI_SI_SI_SI_SI_SI_EEEENS9_21zip_adj_not_predicateINS8_8equal_toIdEEEEEEPllNS8_4plusIlEEEE10hipError_tPvRmT1_T2_T3_mT4_P12ihipStream_tbEUlT_E1_NS1_11comp_targetILNS1_3genE9ELNS1_11target_archE1100ELNS1_3gpuE3ELNS1_3repE0EEENS1_30default_config_static_selectorELNS0_4arch9wavefront6targetE1EEEvSW_: ; @_ZN7rocprim17ROCPRIM_400000_NS6detail17trampoline_kernelINS0_14default_configENS1_22reduce_config_selectorIlEEZNS1_11reduce_implILb1ES3_N6thrust23THRUST_200600_302600_NS11hip_rocprim26transform_input_iterator_tIlNS8_12zip_iteratorINS8_5tupleINS8_6detail15normal_iteratorINS8_10device_ptrIdEEEESH_NS8_9null_typeESI_SI_SI_SI_SI_SI_SI_EEEENS9_21zip_adj_not_predicateINS8_8equal_toIdEEEEEEPllNS8_4plusIlEEEE10hipError_tPvRmT1_T2_T3_mT4_P12ihipStream_tbEUlT_E1_NS1_11comp_targetILNS1_3genE9ELNS1_11target_archE1100ELNS1_3gpuE3ELNS1_3repE0EEENS1_30default_config_static_selectorELNS0_4arch9wavefront6targetE1EEEvSW_
; %bb.0:
	.section	.rodata,"a",@progbits
	.p2align	6, 0x0
	.amdhsa_kernel _ZN7rocprim17ROCPRIM_400000_NS6detail17trampoline_kernelINS0_14default_configENS1_22reduce_config_selectorIlEEZNS1_11reduce_implILb1ES3_N6thrust23THRUST_200600_302600_NS11hip_rocprim26transform_input_iterator_tIlNS8_12zip_iteratorINS8_5tupleINS8_6detail15normal_iteratorINS8_10device_ptrIdEEEESH_NS8_9null_typeESI_SI_SI_SI_SI_SI_SI_EEEENS9_21zip_adj_not_predicateINS8_8equal_toIdEEEEEEPllNS8_4plusIlEEEE10hipError_tPvRmT1_T2_T3_mT4_P12ihipStream_tbEUlT_E1_NS1_11comp_targetILNS1_3genE9ELNS1_11target_archE1100ELNS1_3gpuE3ELNS1_3repE0EEENS1_30default_config_static_selectorELNS0_4arch9wavefront6targetE1EEEvSW_
		.amdhsa_group_segment_fixed_size 0
		.amdhsa_private_segment_fixed_size 0
		.amdhsa_kernarg_size 64
		.amdhsa_user_sgpr_count 6
		.amdhsa_user_sgpr_private_segment_buffer 1
		.amdhsa_user_sgpr_dispatch_ptr 0
		.amdhsa_user_sgpr_queue_ptr 0
		.amdhsa_user_sgpr_kernarg_segment_ptr 1
		.amdhsa_user_sgpr_dispatch_id 0
		.amdhsa_user_sgpr_flat_scratch_init 0
		.amdhsa_user_sgpr_private_segment_size 0
		.amdhsa_uses_dynamic_stack 0
		.amdhsa_system_sgpr_private_segment_wavefront_offset 0
		.amdhsa_system_sgpr_workgroup_id_x 1
		.amdhsa_system_sgpr_workgroup_id_y 0
		.amdhsa_system_sgpr_workgroup_id_z 0
		.amdhsa_system_sgpr_workgroup_info 0
		.amdhsa_system_vgpr_workitem_id 0
		.amdhsa_next_free_vgpr 1
		.amdhsa_next_free_sgpr 0
		.amdhsa_reserve_vcc 0
		.amdhsa_reserve_flat_scratch 0
		.amdhsa_float_round_mode_32 0
		.amdhsa_float_round_mode_16_64 0
		.amdhsa_float_denorm_mode_32 3
		.amdhsa_float_denorm_mode_16_64 3
		.amdhsa_dx10_clamp 1
		.amdhsa_ieee_mode 1
		.amdhsa_fp16_overflow 0
		.amdhsa_exception_fp_ieee_invalid_op 0
		.amdhsa_exception_fp_denorm_src 0
		.amdhsa_exception_fp_ieee_div_zero 0
		.amdhsa_exception_fp_ieee_overflow 0
		.amdhsa_exception_fp_ieee_underflow 0
		.amdhsa_exception_fp_ieee_inexact 0
		.amdhsa_exception_int_div_zero 0
	.end_amdhsa_kernel
	.section	.text._ZN7rocprim17ROCPRIM_400000_NS6detail17trampoline_kernelINS0_14default_configENS1_22reduce_config_selectorIlEEZNS1_11reduce_implILb1ES3_N6thrust23THRUST_200600_302600_NS11hip_rocprim26transform_input_iterator_tIlNS8_12zip_iteratorINS8_5tupleINS8_6detail15normal_iteratorINS8_10device_ptrIdEEEESH_NS8_9null_typeESI_SI_SI_SI_SI_SI_SI_EEEENS9_21zip_adj_not_predicateINS8_8equal_toIdEEEEEEPllNS8_4plusIlEEEE10hipError_tPvRmT1_T2_T3_mT4_P12ihipStream_tbEUlT_E1_NS1_11comp_targetILNS1_3genE9ELNS1_11target_archE1100ELNS1_3gpuE3ELNS1_3repE0EEENS1_30default_config_static_selectorELNS0_4arch9wavefront6targetE1EEEvSW_,"axG",@progbits,_ZN7rocprim17ROCPRIM_400000_NS6detail17trampoline_kernelINS0_14default_configENS1_22reduce_config_selectorIlEEZNS1_11reduce_implILb1ES3_N6thrust23THRUST_200600_302600_NS11hip_rocprim26transform_input_iterator_tIlNS8_12zip_iteratorINS8_5tupleINS8_6detail15normal_iteratorINS8_10device_ptrIdEEEESH_NS8_9null_typeESI_SI_SI_SI_SI_SI_SI_EEEENS9_21zip_adj_not_predicateINS8_8equal_toIdEEEEEEPllNS8_4plusIlEEEE10hipError_tPvRmT1_T2_T3_mT4_P12ihipStream_tbEUlT_E1_NS1_11comp_targetILNS1_3genE9ELNS1_11target_archE1100ELNS1_3gpuE3ELNS1_3repE0EEENS1_30default_config_static_selectorELNS0_4arch9wavefront6targetE1EEEvSW_,comdat
.Lfunc_end759:
	.size	_ZN7rocprim17ROCPRIM_400000_NS6detail17trampoline_kernelINS0_14default_configENS1_22reduce_config_selectorIlEEZNS1_11reduce_implILb1ES3_N6thrust23THRUST_200600_302600_NS11hip_rocprim26transform_input_iterator_tIlNS8_12zip_iteratorINS8_5tupleINS8_6detail15normal_iteratorINS8_10device_ptrIdEEEESH_NS8_9null_typeESI_SI_SI_SI_SI_SI_SI_EEEENS9_21zip_adj_not_predicateINS8_8equal_toIdEEEEEEPllNS8_4plusIlEEEE10hipError_tPvRmT1_T2_T3_mT4_P12ihipStream_tbEUlT_E1_NS1_11comp_targetILNS1_3genE9ELNS1_11target_archE1100ELNS1_3gpuE3ELNS1_3repE0EEENS1_30default_config_static_selectorELNS0_4arch9wavefront6targetE1EEEvSW_, .Lfunc_end759-_ZN7rocprim17ROCPRIM_400000_NS6detail17trampoline_kernelINS0_14default_configENS1_22reduce_config_selectorIlEEZNS1_11reduce_implILb1ES3_N6thrust23THRUST_200600_302600_NS11hip_rocprim26transform_input_iterator_tIlNS8_12zip_iteratorINS8_5tupleINS8_6detail15normal_iteratorINS8_10device_ptrIdEEEESH_NS8_9null_typeESI_SI_SI_SI_SI_SI_SI_EEEENS9_21zip_adj_not_predicateINS8_8equal_toIdEEEEEEPllNS8_4plusIlEEEE10hipError_tPvRmT1_T2_T3_mT4_P12ihipStream_tbEUlT_E1_NS1_11comp_targetILNS1_3genE9ELNS1_11target_archE1100ELNS1_3gpuE3ELNS1_3repE0EEENS1_30default_config_static_selectorELNS0_4arch9wavefront6targetE1EEEvSW_
                                        ; -- End function
	.set _ZN7rocprim17ROCPRIM_400000_NS6detail17trampoline_kernelINS0_14default_configENS1_22reduce_config_selectorIlEEZNS1_11reduce_implILb1ES3_N6thrust23THRUST_200600_302600_NS11hip_rocprim26transform_input_iterator_tIlNS8_12zip_iteratorINS8_5tupleINS8_6detail15normal_iteratorINS8_10device_ptrIdEEEESH_NS8_9null_typeESI_SI_SI_SI_SI_SI_SI_EEEENS9_21zip_adj_not_predicateINS8_8equal_toIdEEEEEEPllNS8_4plusIlEEEE10hipError_tPvRmT1_T2_T3_mT4_P12ihipStream_tbEUlT_E1_NS1_11comp_targetILNS1_3genE9ELNS1_11target_archE1100ELNS1_3gpuE3ELNS1_3repE0EEENS1_30default_config_static_selectorELNS0_4arch9wavefront6targetE1EEEvSW_.num_vgpr, 0
	.set _ZN7rocprim17ROCPRIM_400000_NS6detail17trampoline_kernelINS0_14default_configENS1_22reduce_config_selectorIlEEZNS1_11reduce_implILb1ES3_N6thrust23THRUST_200600_302600_NS11hip_rocprim26transform_input_iterator_tIlNS8_12zip_iteratorINS8_5tupleINS8_6detail15normal_iteratorINS8_10device_ptrIdEEEESH_NS8_9null_typeESI_SI_SI_SI_SI_SI_SI_EEEENS9_21zip_adj_not_predicateINS8_8equal_toIdEEEEEEPllNS8_4plusIlEEEE10hipError_tPvRmT1_T2_T3_mT4_P12ihipStream_tbEUlT_E1_NS1_11comp_targetILNS1_3genE9ELNS1_11target_archE1100ELNS1_3gpuE3ELNS1_3repE0EEENS1_30default_config_static_selectorELNS0_4arch9wavefront6targetE1EEEvSW_.num_agpr, 0
	.set _ZN7rocprim17ROCPRIM_400000_NS6detail17trampoline_kernelINS0_14default_configENS1_22reduce_config_selectorIlEEZNS1_11reduce_implILb1ES3_N6thrust23THRUST_200600_302600_NS11hip_rocprim26transform_input_iterator_tIlNS8_12zip_iteratorINS8_5tupleINS8_6detail15normal_iteratorINS8_10device_ptrIdEEEESH_NS8_9null_typeESI_SI_SI_SI_SI_SI_SI_EEEENS9_21zip_adj_not_predicateINS8_8equal_toIdEEEEEEPllNS8_4plusIlEEEE10hipError_tPvRmT1_T2_T3_mT4_P12ihipStream_tbEUlT_E1_NS1_11comp_targetILNS1_3genE9ELNS1_11target_archE1100ELNS1_3gpuE3ELNS1_3repE0EEENS1_30default_config_static_selectorELNS0_4arch9wavefront6targetE1EEEvSW_.numbered_sgpr, 0
	.set _ZN7rocprim17ROCPRIM_400000_NS6detail17trampoline_kernelINS0_14default_configENS1_22reduce_config_selectorIlEEZNS1_11reduce_implILb1ES3_N6thrust23THRUST_200600_302600_NS11hip_rocprim26transform_input_iterator_tIlNS8_12zip_iteratorINS8_5tupleINS8_6detail15normal_iteratorINS8_10device_ptrIdEEEESH_NS8_9null_typeESI_SI_SI_SI_SI_SI_SI_EEEENS9_21zip_adj_not_predicateINS8_8equal_toIdEEEEEEPllNS8_4plusIlEEEE10hipError_tPvRmT1_T2_T3_mT4_P12ihipStream_tbEUlT_E1_NS1_11comp_targetILNS1_3genE9ELNS1_11target_archE1100ELNS1_3gpuE3ELNS1_3repE0EEENS1_30default_config_static_selectorELNS0_4arch9wavefront6targetE1EEEvSW_.num_named_barrier, 0
	.set _ZN7rocprim17ROCPRIM_400000_NS6detail17trampoline_kernelINS0_14default_configENS1_22reduce_config_selectorIlEEZNS1_11reduce_implILb1ES3_N6thrust23THRUST_200600_302600_NS11hip_rocprim26transform_input_iterator_tIlNS8_12zip_iteratorINS8_5tupleINS8_6detail15normal_iteratorINS8_10device_ptrIdEEEESH_NS8_9null_typeESI_SI_SI_SI_SI_SI_SI_EEEENS9_21zip_adj_not_predicateINS8_8equal_toIdEEEEEEPllNS8_4plusIlEEEE10hipError_tPvRmT1_T2_T3_mT4_P12ihipStream_tbEUlT_E1_NS1_11comp_targetILNS1_3genE9ELNS1_11target_archE1100ELNS1_3gpuE3ELNS1_3repE0EEENS1_30default_config_static_selectorELNS0_4arch9wavefront6targetE1EEEvSW_.private_seg_size, 0
	.set _ZN7rocprim17ROCPRIM_400000_NS6detail17trampoline_kernelINS0_14default_configENS1_22reduce_config_selectorIlEEZNS1_11reduce_implILb1ES3_N6thrust23THRUST_200600_302600_NS11hip_rocprim26transform_input_iterator_tIlNS8_12zip_iteratorINS8_5tupleINS8_6detail15normal_iteratorINS8_10device_ptrIdEEEESH_NS8_9null_typeESI_SI_SI_SI_SI_SI_SI_EEEENS9_21zip_adj_not_predicateINS8_8equal_toIdEEEEEEPllNS8_4plusIlEEEE10hipError_tPvRmT1_T2_T3_mT4_P12ihipStream_tbEUlT_E1_NS1_11comp_targetILNS1_3genE9ELNS1_11target_archE1100ELNS1_3gpuE3ELNS1_3repE0EEENS1_30default_config_static_selectorELNS0_4arch9wavefront6targetE1EEEvSW_.uses_vcc, 0
	.set _ZN7rocprim17ROCPRIM_400000_NS6detail17trampoline_kernelINS0_14default_configENS1_22reduce_config_selectorIlEEZNS1_11reduce_implILb1ES3_N6thrust23THRUST_200600_302600_NS11hip_rocprim26transform_input_iterator_tIlNS8_12zip_iteratorINS8_5tupleINS8_6detail15normal_iteratorINS8_10device_ptrIdEEEESH_NS8_9null_typeESI_SI_SI_SI_SI_SI_SI_EEEENS9_21zip_adj_not_predicateINS8_8equal_toIdEEEEEEPllNS8_4plusIlEEEE10hipError_tPvRmT1_T2_T3_mT4_P12ihipStream_tbEUlT_E1_NS1_11comp_targetILNS1_3genE9ELNS1_11target_archE1100ELNS1_3gpuE3ELNS1_3repE0EEENS1_30default_config_static_selectorELNS0_4arch9wavefront6targetE1EEEvSW_.uses_flat_scratch, 0
	.set _ZN7rocprim17ROCPRIM_400000_NS6detail17trampoline_kernelINS0_14default_configENS1_22reduce_config_selectorIlEEZNS1_11reduce_implILb1ES3_N6thrust23THRUST_200600_302600_NS11hip_rocprim26transform_input_iterator_tIlNS8_12zip_iteratorINS8_5tupleINS8_6detail15normal_iteratorINS8_10device_ptrIdEEEESH_NS8_9null_typeESI_SI_SI_SI_SI_SI_SI_EEEENS9_21zip_adj_not_predicateINS8_8equal_toIdEEEEEEPllNS8_4plusIlEEEE10hipError_tPvRmT1_T2_T3_mT4_P12ihipStream_tbEUlT_E1_NS1_11comp_targetILNS1_3genE9ELNS1_11target_archE1100ELNS1_3gpuE3ELNS1_3repE0EEENS1_30default_config_static_selectorELNS0_4arch9wavefront6targetE1EEEvSW_.has_dyn_sized_stack, 0
	.set _ZN7rocprim17ROCPRIM_400000_NS6detail17trampoline_kernelINS0_14default_configENS1_22reduce_config_selectorIlEEZNS1_11reduce_implILb1ES3_N6thrust23THRUST_200600_302600_NS11hip_rocprim26transform_input_iterator_tIlNS8_12zip_iteratorINS8_5tupleINS8_6detail15normal_iteratorINS8_10device_ptrIdEEEESH_NS8_9null_typeESI_SI_SI_SI_SI_SI_SI_EEEENS9_21zip_adj_not_predicateINS8_8equal_toIdEEEEEEPllNS8_4plusIlEEEE10hipError_tPvRmT1_T2_T3_mT4_P12ihipStream_tbEUlT_E1_NS1_11comp_targetILNS1_3genE9ELNS1_11target_archE1100ELNS1_3gpuE3ELNS1_3repE0EEENS1_30default_config_static_selectorELNS0_4arch9wavefront6targetE1EEEvSW_.has_recursion, 0
	.set _ZN7rocprim17ROCPRIM_400000_NS6detail17trampoline_kernelINS0_14default_configENS1_22reduce_config_selectorIlEEZNS1_11reduce_implILb1ES3_N6thrust23THRUST_200600_302600_NS11hip_rocprim26transform_input_iterator_tIlNS8_12zip_iteratorINS8_5tupleINS8_6detail15normal_iteratorINS8_10device_ptrIdEEEESH_NS8_9null_typeESI_SI_SI_SI_SI_SI_SI_EEEENS9_21zip_adj_not_predicateINS8_8equal_toIdEEEEEEPllNS8_4plusIlEEEE10hipError_tPvRmT1_T2_T3_mT4_P12ihipStream_tbEUlT_E1_NS1_11comp_targetILNS1_3genE9ELNS1_11target_archE1100ELNS1_3gpuE3ELNS1_3repE0EEENS1_30default_config_static_selectorELNS0_4arch9wavefront6targetE1EEEvSW_.has_indirect_call, 0
	.section	.AMDGPU.csdata,"",@progbits
; Kernel info:
; codeLenInByte = 0
; TotalNumSgprs: 4
; NumVgprs: 0
; ScratchSize: 0
; MemoryBound: 0
; FloatMode: 240
; IeeeMode: 1
; LDSByteSize: 0 bytes/workgroup (compile time only)
; SGPRBlocks: 0
; VGPRBlocks: 0
; NumSGPRsForWavesPerEU: 4
; NumVGPRsForWavesPerEU: 1
; Occupancy: 10
; WaveLimiterHint : 0
; COMPUTE_PGM_RSRC2:SCRATCH_EN: 0
; COMPUTE_PGM_RSRC2:USER_SGPR: 6
; COMPUTE_PGM_RSRC2:TRAP_HANDLER: 0
; COMPUTE_PGM_RSRC2:TGID_X_EN: 1
; COMPUTE_PGM_RSRC2:TGID_Y_EN: 0
; COMPUTE_PGM_RSRC2:TGID_Z_EN: 0
; COMPUTE_PGM_RSRC2:TIDIG_COMP_CNT: 0
	.section	.text._ZN7rocprim17ROCPRIM_400000_NS6detail17trampoline_kernelINS0_14default_configENS1_22reduce_config_selectorIlEEZNS1_11reduce_implILb1ES3_N6thrust23THRUST_200600_302600_NS11hip_rocprim26transform_input_iterator_tIlNS8_12zip_iteratorINS8_5tupleINS8_6detail15normal_iteratorINS8_10device_ptrIdEEEESH_NS8_9null_typeESI_SI_SI_SI_SI_SI_SI_EEEENS9_21zip_adj_not_predicateINS8_8equal_toIdEEEEEEPllNS8_4plusIlEEEE10hipError_tPvRmT1_T2_T3_mT4_P12ihipStream_tbEUlT_E1_NS1_11comp_targetILNS1_3genE8ELNS1_11target_archE1030ELNS1_3gpuE2ELNS1_3repE0EEENS1_30default_config_static_selectorELNS0_4arch9wavefront6targetE1EEEvSW_,"axG",@progbits,_ZN7rocprim17ROCPRIM_400000_NS6detail17trampoline_kernelINS0_14default_configENS1_22reduce_config_selectorIlEEZNS1_11reduce_implILb1ES3_N6thrust23THRUST_200600_302600_NS11hip_rocprim26transform_input_iterator_tIlNS8_12zip_iteratorINS8_5tupleINS8_6detail15normal_iteratorINS8_10device_ptrIdEEEESH_NS8_9null_typeESI_SI_SI_SI_SI_SI_SI_EEEENS9_21zip_adj_not_predicateINS8_8equal_toIdEEEEEEPllNS8_4plusIlEEEE10hipError_tPvRmT1_T2_T3_mT4_P12ihipStream_tbEUlT_E1_NS1_11comp_targetILNS1_3genE8ELNS1_11target_archE1030ELNS1_3gpuE2ELNS1_3repE0EEENS1_30default_config_static_selectorELNS0_4arch9wavefront6targetE1EEEvSW_,comdat
	.protected	_ZN7rocprim17ROCPRIM_400000_NS6detail17trampoline_kernelINS0_14default_configENS1_22reduce_config_selectorIlEEZNS1_11reduce_implILb1ES3_N6thrust23THRUST_200600_302600_NS11hip_rocprim26transform_input_iterator_tIlNS8_12zip_iteratorINS8_5tupleINS8_6detail15normal_iteratorINS8_10device_ptrIdEEEESH_NS8_9null_typeESI_SI_SI_SI_SI_SI_SI_EEEENS9_21zip_adj_not_predicateINS8_8equal_toIdEEEEEEPllNS8_4plusIlEEEE10hipError_tPvRmT1_T2_T3_mT4_P12ihipStream_tbEUlT_E1_NS1_11comp_targetILNS1_3genE8ELNS1_11target_archE1030ELNS1_3gpuE2ELNS1_3repE0EEENS1_30default_config_static_selectorELNS0_4arch9wavefront6targetE1EEEvSW_ ; -- Begin function _ZN7rocprim17ROCPRIM_400000_NS6detail17trampoline_kernelINS0_14default_configENS1_22reduce_config_selectorIlEEZNS1_11reduce_implILb1ES3_N6thrust23THRUST_200600_302600_NS11hip_rocprim26transform_input_iterator_tIlNS8_12zip_iteratorINS8_5tupleINS8_6detail15normal_iteratorINS8_10device_ptrIdEEEESH_NS8_9null_typeESI_SI_SI_SI_SI_SI_SI_EEEENS9_21zip_adj_not_predicateINS8_8equal_toIdEEEEEEPllNS8_4plusIlEEEE10hipError_tPvRmT1_T2_T3_mT4_P12ihipStream_tbEUlT_E1_NS1_11comp_targetILNS1_3genE8ELNS1_11target_archE1030ELNS1_3gpuE2ELNS1_3repE0EEENS1_30default_config_static_selectorELNS0_4arch9wavefront6targetE1EEEvSW_
	.globl	_ZN7rocprim17ROCPRIM_400000_NS6detail17trampoline_kernelINS0_14default_configENS1_22reduce_config_selectorIlEEZNS1_11reduce_implILb1ES3_N6thrust23THRUST_200600_302600_NS11hip_rocprim26transform_input_iterator_tIlNS8_12zip_iteratorINS8_5tupleINS8_6detail15normal_iteratorINS8_10device_ptrIdEEEESH_NS8_9null_typeESI_SI_SI_SI_SI_SI_SI_EEEENS9_21zip_adj_not_predicateINS8_8equal_toIdEEEEEEPllNS8_4plusIlEEEE10hipError_tPvRmT1_T2_T3_mT4_P12ihipStream_tbEUlT_E1_NS1_11comp_targetILNS1_3genE8ELNS1_11target_archE1030ELNS1_3gpuE2ELNS1_3repE0EEENS1_30default_config_static_selectorELNS0_4arch9wavefront6targetE1EEEvSW_
	.p2align	8
	.type	_ZN7rocprim17ROCPRIM_400000_NS6detail17trampoline_kernelINS0_14default_configENS1_22reduce_config_selectorIlEEZNS1_11reduce_implILb1ES3_N6thrust23THRUST_200600_302600_NS11hip_rocprim26transform_input_iterator_tIlNS8_12zip_iteratorINS8_5tupleINS8_6detail15normal_iteratorINS8_10device_ptrIdEEEESH_NS8_9null_typeESI_SI_SI_SI_SI_SI_SI_EEEENS9_21zip_adj_not_predicateINS8_8equal_toIdEEEEEEPllNS8_4plusIlEEEE10hipError_tPvRmT1_T2_T3_mT4_P12ihipStream_tbEUlT_E1_NS1_11comp_targetILNS1_3genE8ELNS1_11target_archE1030ELNS1_3gpuE2ELNS1_3repE0EEENS1_30default_config_static_selectorELNS0_4arch9wavefront6targetE1EEEvSW_,@function
_ZN7rocprim17ROCPRIM_400000_NS6detail17trampoline_kernelINS0_14default_configENS1_22reduce_config_selectorIlEEZNS1_11reduce_implILb1ES3_N6thrust23THRUST_200600_302600_NS11hip_rocprim26transform_input_iterator_tIlNS8_12zip_iteratorINS8_5tupleINS8_6detail15normal_iteratorINS8_10device_ptrIdEEEESH_NS8_9null_typeESI_SI_SI_SI_SI_SI_SI_EEEENS9_21zip_adj_not_predicateINS8_8equal_toIdEEEEEEPllNS8_4plusIlEEEE10hipError_tPvRmT1_T2_T3_mT4_P12ihipStream_tbEUlT_E1_NS1_11comp_targetILNS1_3genE8ELNS1_11target_archE1030ELNS1_3gpuE2ELNS1_3repE0EEENS1_30default_config_static_selectorELNS0_4arch9wavefront6targetE1EEEvSW_: ; @_ZN7rocprim17ROCPRIM_400000_NS6detail17trampoline_kernelINS0_14default_configENS1_22reduce_config_selectorIlEEZNS1_11reduce_implILb1ES3_N6thrust23THRUST_200600_302600_NS11hip_rocprim26transform_input_iterator_tIlNS8_12zip_iteratorINS8_5tupleINS8_6detail15normal_iteratorINS8_10device_ptrIdEEEESH_NS8_9null_typeESI_SI_SI_SI_SI_SI_SI_EEEENS9_21zip_adj_not_predicateINS8_8equal_toIdEEEEEEPllNS8_4plusIlEEEE10hipError_tPvRmT1_T2_T3_mT4_P12ihipStream_tbEUlT_E1_NS1_11comp_targetILNS1_3genE8ELNS1_11target_archE1030ELNS1_3gpuE2ELNS1_3repE0EEENS1_30default_config_static_selectorELNS0_4arch9wavefront6targetE1EEEvSW_
; %bb.0:
	.section	.rodata,"a",@progbits
	.p2align	6, 0x0
	.amdhsa_kernel _ZN7rocprim17ROCPRIM_400000_NS6detail17trampoline_kernelINS0_14default_configENS1_22reduce_config_selectorIlEEZNS1_11reduce_implILb1ES3_N6thrust23THRUST_200600_302600_NS11hip_rocprim26transform_input_iterator_tIlNS8_12zip_iteratorINS8_5tupleINS8_6detail15normal_iteratorINS8_10device_ptrIdEEEESH_NS8_9null_typeESI_SI_SI_SI_SI_SI_SI_EEEENS9_21zip_adj_not_predicateINS8_8equal_toIdEEEEEEPllNS8_4plusIlEEEE10hipError_tPvRmT1_T2_T3_mT4_P12ihipStream_tbEUlT_E1_NS1_11comp_targetILNS1_3genE8ELNS1_11target_archE1030ELNS1_3gpuE2ELNS1_3repE0EEENS1_30default_config_static_selectorELNS0_4arch9wavefront6targetE1EEEvSW_
		.amdhsa_group_segment_fixed_size 0
		.amdhsa_private_segment_fixed_size 0
		.amdhsa_kernarg_size 64
		.amdhsa_user_sgpr_count 6
		.amdhsa_user_sgpr_private_segment_buffer 1
		.amdhsa_user_sgpr_dispatch_ptr 0
		.amdhsa_user_sgpr_queue_ptr 0
		.amdhsa_user_sgpr_kernarg_segment_ptr 1
		.amdhsa_user_sgpr_dispatch_id 0
		.amdhsa_user_sgpr_flat_scratch_init 0
		.amdhsa_user_sgpr_private_segment_size 0
		.amdhsa_uses_dynamic_stack 0
		.amdhsa_system_sgpr_private_segment_wavefront_offset 0
		.amdhsa_system_sgpr_workgroup_id_x 1
		.amdhsa_system_sgpr_workgroup_id_y 0
		.amdhsa_system_sgpr_workgroup_id_z 0
		.amdhsa_system_sgpr_workgroup_info 0
		.amdhsa_system_vgpr_workitem_id 0
		.amdhsa_next_free_vgpr 1
		.amdhsa_next_free_sgpr 0
		.amdhsa_reserve_vcc 0
		.amdhsa_reserve_flat_scratch 0
		.amdhsa_float_round_mode_32 0
		.amdhsa_float_round_mode_16_64 0
		.amdhsa_float_denorm_mode_32 3
		.amdhsa_float_denorm_mode_16_64 3
		.amdhsa_dx10_clamp 1
		.amdhsa_ieee_mode 1
		.amdhsa_fp16_overflow 0
		.amdhsa_exception_fp_ieee_invalid_op 0
		.amdhsa_exception_fp_denorm_src 0
		.amdhsa_exception_fp_ieee_div_zero 0
		.amdhsa_exception_fp_ieee_overflow 0
		.amdhsa_exception_fp_ieee_underflow 0
		.amdhsa_exception_fp_ieee_inexact 0
		.amdhsa_exception_int_div_zero 0
	.end_amdhsa_kernel
	.section	.text._ZN7rocprim17ROCPRIM_400000_NS6detail17trampoline_kernelINS0_14default_configENS1_22reduce_config_selectorIlEEZNS1_11reduce_implILb1ES3_N6thrust23THRUST_200600_302600_NS11hip_rocprim26transform_input_iterator_tIlNS8_12zip_iteratorINS8_5tupleINS8_6detail15normal_iteratorINS8_10device_ptrIdEEEESH_NS8_9null_typeESI_SI_SI_SI_SI_SI_SI_EEEENS9_21zip_adj_not_predicateINS8_8equal_toIdEEEEEEPllNS8_4plusIlEEEE10hipError_tPvRmT1_T2_T3_mT4_P12ihipStream_tbEUlT_E1_NS1_11comp_targetILNS1_3genE8ELNS1_11target_archE1030ELNS1_3gpuE2ELNS1_3repE0EEENS1_30default_config_static_selectorELNS0_4arch9wavefront6targetE1EEEvSW_,"axG",@progbits,_ZN7rocprim17ROCPRIM_400000_NS6detail17trampoline_kernelINS0_14default_configENS1_22reduce_config_selectorIlEEZNS1_11reduce_implILb1ES3_N6thrust23THRUST_200600_302600_NS11hip_rocprim26transform_input_iterator_tIlNS8_12zip_iteratorINS8_5tupleINS8_6detail15normal_iteratorINS8_10device_ptrIdEEEESH_NS8_9null_typeESI_SI_SI_SI_SI_SI_SI_EEEENS9_21zip_adj_not_predicateINS8_8equal_toIdEEEEEEPllNS8_4plusIlEEEE10hipError_tPvRmT1_T2_T3_mT4_P12ihipStream_tbEUlT_E1_NS1_11comp_targetILNS1_3genE8ELNS1_11target_archE1030ELNS1_3gpuE2ELNS1_3repE0EEENS1_30default_config_static_selectorELNS0_4arch9wavefront6targetE1EEEvSW_,comdat
.Lfunc_end760:
	.size	_ZN7rocprim17ROCPRIM_400000_NS6detail17trampoline_kernelINS0_14default_configENS1_22reduce_config_selectorIlEEZNS1_11reduce_implILb1ES3_N6thrust23THRUST_200600_302600_NS11hip_rocprim26transform_input_iterator_tIlNS8_12zip_iteratorINS8_5tupleINS8_6detail15normal_iteratorINS8_10device_ptrIdEEEESH_NS8_9null_typeESI_SI_SI_SI_SI_SI_SI_EEEENS9_21zip_adj_not_predicateINS8_8equal_toIdEEEEEEPllNS8_4plusIlEEEE10hipError_tPvRmT1_T2_T3_mT4_P12ihipStream_tbEUlT_E1_NS1_11comp_targetILNS1_3genE8ELNS1_11target_archE1030ELNS1_3gpuE2ELNS1_3repE0EEENS1_30default_config_static_selectorELNS0_4arch9wavefront6targetE1EEEvSW_, .Lfunc_end760-_ZN7rocprim17ROCPRIM_400000_NS6detail17trampoline_kernelINS0_14default_configENS1_22reduce_config_selectorIlEEZNS1_11reduce_implILb1ES3_N6thrust23THRUST_200600_302600_NS11hip_rocprim26transform_input_iterator_tIlNS8_12zip_iteratorINS8_5tupleINS8_6detail15normal_iteratorINS8_10device_ptrIdEEEESH_NS8_9null_typeESI_SI_SI_SI_SI_SI_SI_EEEENS9_21zip_adj_not_predicateINS8_8equal_toIdEEEEEEPllNS8_4plusIlEEEE10hipError_tPvRmT1_T2_T3_mT4_P12ihipStream_tbEUlT_E1_NS1_11comp_targetILNS1_3genE8ELNS1_11target_archE1030ELNS1_3gpuE2ELNS1_3repE0EEENS1_30default_config_static_selectorELNS0_4arch9wavefront6targetE1EEEvSW_
                                        ; -- End function
	.set _ZN7rocprim17ROCPRIM_400000_NS6detail17trampoline_kernelINS0_14default_configENS1_22reduce_config_selectorIlEEZNS1_11reduce_implILb1ES3_N6thrust23THRUST_200600_302600_NS11hip_rocprim26transform_input_iterator_tIlNS8_12zip_iteratorINS8_5tupleINS8_6detail15normal_iteratorINS8_10device_ptrIdEEEESH_NS8_9null_typeESI_SI_SI_SI_SI_SI_SI_EEEENS9_21zip_adj_not_predicateINS8_8equal_toIdEEEEEEPllNS8_4plusIlEEEE10hipError_tPvRmT1_T2_T3_mT4_P12ihipStream_tbEUlT_E1_NS1_11comp_targetILNS1_3genE8ELNS1_11target_archE1030ELNS1_3gpuE2ELNS1_3repE0EEENS1_30default_config_static_selectorELNS0_4arch9wavefront6targetE1EEEvSW_.num_vgpr, 0
	.set _ZN7rocprim17ROCPRIM_400000_NS6detail17trampoline_kernelINS0_14default_configENS1_22reduce_config_selectorIlEEZNS1_11reduce_implILb1ES3_N6thrust23THRUST_200600_302600_NS11hip_rocprim26transform_input_iterator_tIlNS8_12zip_iteratorINS8_5tupleINS8_6detail15normal_iteratorINS8_10device_ptrIdEEEESH_NS8_9null_typeESI_SI_SI_SI_SI_SI_SI_EEEENS9_21zip_adj_not_predicateINS8_8equal_toIdEEEEEEPllNS8_4plusIlEEEE10hipError_tPvRmT1_T2_T3_mT4_P12ihipStream_tbEUlT_E1_NS1_11comp_targetILNS1_3genE8ELNS1_11target_archE1030ELNS1_3gpuE2ELNS1_3repE0EEENS1_30default_config_static_selectorELNS0_4arch9wavefront6targetE1EEEvSW_.num_agpr, 0
	.set _ZN7rocprim17ROCPRIM_400000_NS6detail17trampoline_kernelINS0_14default_configENS1_22reduce_config_selectorIlEEZNS1_11reduce_implILb1ES3_N6thrust23THRUST_200600_302600_NS11hip_rocprim26transform_input_iterator_tIlNS8_12zip_iteratorINS8_5tupleINS8_6detail15normal_iteratorINS8_10device_ptrIdEEEESH_NS8_9null_typeESI_SI_SI_SI_SI_SI_SI_EEEENS9_21zip_adj_not_predicateINS8_8equal_toIdEEEEEEPllNS8_4plusIlEEEE10hipError_tPvRmT1_T2_T3_mT4_P12ihipStream_tbEUlT_E1_NS1_11comp_targetILNS1_3genE8ELNS1_11target_archE1030ELNS1_3gpuE2ELNS1_3repE0EEENS1_30default_config_static_selectorELNS0_4arch9wavefront6targetE1EEEvSW_.numbered_sgpr, 0
	.set _ZN7rocprim17ROCPRIM_400000_NS6detail17trampoline_kernelINS0_14default_configENS1_22reduce_config_selectorIlEEZNS1_11reduce_implILb1ES3_N6thrust23THRUST_200600_302600_NS11hip_rocprim26transform_input_iterator_tIlNS8_12zip_iteratorINS8_5tupleINS8_6detail15normal_iteratorINS8_10device_ptrIdEEEESH_NS8_9null_typeESI_SI_SI_SI_SI_SI_SI_EEEENS9_21zip_adj_not_predicateINS8_8equal_toIdEEEEEEPllNS8_4plusIlEEEE10hipError_tPvRmT1_T2_T3_mT4_P12ihipStream_tbEUlT_E1_NS1_11comp_targetILNS1_3genE8ELNS1_11target_archE1030ELNS1_3gpuE2ELNS1_3repE0EEENS1_30default_config_static_selectorELNS0_4arch9wavefront6targetE1EEEvSW_.num_named_barrier, 0
	.set _ZN7rocprim17ROCPRIM_400000_NS6detail17trampoline_kernelINS0_14default_configENS1_22reduce_config_selectorIlEEZNS1_11reduce_implILb1ES3_N6thrust23THRUST_200600_302600_NS11hip_rocprim26transform_input_iterator_tIlNS8_12zip_iteratorINS8_5tupleINS8_6detail15normal_iteratorINS8_10device_ptrIdEEEESH_NS8_9null_typeESI_SI_SI_SI_SI_SI_SI_EEEENS9_21zip_adj_not_predicateINS8_8equal_toIdEEEEEEPllNS8_4plusIlEEEE10hipError_tPvRmT1_T2_T3_mT4_P12ihipStream_tbEUlT_E1_NS1_11comp_targetILNS1_3genE8ELNS1_11target_archE1030ELNS1_3gpuE2ELNS1_3repE0EEENS1_30default_config_static_selectorELNS0_4arch9wavefront6targetE1EEEvSW_.private_seg_size, 0
	.set _ZN7rocprim17ROCPRIM_400000_NS6detail17trampoline_kernelINS0_14default_configENS1_22reduce_config_selectorIlEEZNS1_11reduce_implILb1ES3_N6thrust23THRUST_200600_302600_NS11hip_rocprim26transform_input_iterator_tIlNS8_12zip_iteratorINS8_5tupleINS8_6detail15normal_iteratorINS8_10device_ptrIdEEEESH_NS8_9null_typeESI_SI_SI_SI_SI_SI_SI_EEEENS9_21zip_adj_not_predicateINS8_8equal_toIdEEEEEEPllNS8_4plusIlEEEE10hipError_tPvRmT1_T2_T3_mT4_P12ihipStream_tbEUlT_E1_NS1_11comp_targetILNS1_3genE8ELNS1_11target_archE1030ELNS1_3gpuE2ELNS1_3repE0EEENS1_30default_config_static_selectorELNS0_4arch9wavefront6targetE1EEEvSW_.uses_vcc, 0
	.set _ZN7rocprim17ROCPRIM_400000_NS6detail17trampoline_kernelINS0_14default_configENS1_22reduce_config_selectorIlEEZNS1_11reduce_implILb1ES3_N6thrust23THRUST_200600_302600_NS11hip_rocprim26transform_input_iterator_tIlNS8_12zip_iteratorINS8_5tupleINS8_6detail15normal_iteratorINS8_10device_ptrIdEEEESH_NS8_9null_typeESI_SI_SI_SI_SI_SI_SI_EEEENS9_21zip_adj_not_predicateINS8_8equal_toIdEEEEEEPllNS8_4plusIlEEEE10hipError_tPvRmT1_T2_T3_mT4_P12ihipStream_tbEUlT_E1_NS1_11comp_targetILNS1_3genE8ELNS1_11target_archE1030ELNS1_3gpuE2ELNS1_3repE0EEENS1_30default_config_static_selectorELNS0_4arch9wavefront6targetE1EEEvSW_.uses_flat_scratch, 0
	.set _ZN7rocprim17ROCPRIM_400000_NS6detail17trampoline_kernelINS0_14default_configENS1_22reduce_config_selectorIlEEZNS1_11reduce_implILb1ES3_N6thrust23THRUST_200600_302600_NS11hip_rocprim26transform_input_iterator_tIlNS8_12zip_iteratorINS8_5tupleINS8_6detail15normal_iteratorINS8_10device_ptrIdEEEESH_NS8_9null_typeESI_SI_SI_SI_SI_SI_SI_EEEENS9_21zip_adj_not_predicateINS8_8equal_toIdEEEEEEPllNS8_4plusIlEEEE10hipError_tPvRmT1_T2_T3_mT4_P12ihipStream_tbEUlT_E1_NS1_11comp_targetILNS1_3genE8ELNS1_11target_archE1030ELNS1_3gpuE2ELNS1_3repE0EEENS1_30default_config_static_selectorELNS0_4arch9wavefront6targetE1EEEvSW_.has_dyn_sized_stack, 0
	.set _ZN7rocprim17ROCPRIM_400000_NS6detail17trampoline_kernelINS0_14default_configENS1_22reduce_config_selectorIlEEZNS1_11reduce_implILb1ES3_N6thrust23THRUST_200600_302600_NS11hip_rocprim26transform_input_iterator_tIlNS8_12zip_iteratorINS8_5tupleINS8_6detail15normal_iteratorINS8_10device_ptrIdEEEESH_NS8_9null_typeESI_SI_SI_SI_SI_SI_SI_EEEENS9_21zip_adj_not_predicateINS8_8equal_toIdEEEEEEPllNS8_4plusIlEEEE10hipError_tPvRmT1_T2_T3_mT4_P12ihipStream_tbEUlT_E1_NS1_11comp_targetILNS1_3genE8ELNS1_11target_archE1030ELNS1_3gpuE2ELNS1_3repE0EEENS1_30default_config_static_selectorELNS0_4arch9wavefront6targetE1EEEvSW_.has_recursion, 0
	.set _ZN7rocprim17ROCPRIM_400000_NS6detail17trampoline_kernelINS0_14default_configENS1_22reduce_config_selectorIlEEZNS1_11reduce_implILb1ES3_N6thrust23THRUST_200600_302600_NS11hip_rocprim26transform_input_iterator_tIlNS8_12zip_iteratorINS8_5tupleINS8_6detail15normal_iteratorINS8_10device_ptrIdEEEESH_NS8_9null_typeESI_SI_SI_SI_SI_SI_SI_EEEENS9_21zip_adj_not_predicateINS8_8equal_toIdEEEEEEPllNS8_4plusIlEEEE10hipError_tPvRmT1_T2_T3_mT4_P12ihipStream_tbEUlT_E1_NS1_11comp_targetILNS1_3genE8ELNS1_11target_archE1030ELNS1_3gpuE2ELNS1_3repE0EEENS1_30default_config_static_selectorELNS0_4arch9wavefront6targetE1EEEvSW_.has_indirect_call, 0
	.section	.AMDGPU.csdata,"",@progbits
; Kernel info:
; codeLenInByte = 0
; TotalNumSgprs: 4
; NumVgprs: 0
; ScratchSize: 0
; MemoryBound: 0
; FloatMode: 240
; IeeeMode: 1
; LDSByteSize: 0 bytes/workgroup (compile time only)
; SGPRBlocks: 0
; VGPRBlocks: 0
; NumSGPRsForWavesPerEU: 4
; NumVGPRsForWavesPerEU: 1
; Occupancy: 10
; WaveLimiterHint : 0
; COMPUTE_PGM_RSRC2:SCRATCH_EN: 0
; COMPUTE_PGM_RSRC2:USER_SGPR: 6
; COMPUTE_PGM_RSRC2:TRAP_HANDLER: 0
; COMPUTE_PGM_RSRC2:TGID_X_EN: 1
; COMPUTE_PGM_RSRC2:TGID_Y_EN: 0
; COMPUTE_PGM_RSRC2:TGID_Z_EN: 0
; COMPUTE_PGM_RSRC2:TIDIG_COMP_CNT: 0
	.section	.text._ZN7rocprim17ROCPRIM_400000_NS6detail17trampoline_kernelINS0_14default_configENS1_22reduce_config_selectorIlEEZNS1_11reduce_implILb1ES3_N6thrust23THRUST_200600_302600_NS11hip_rocprim26transform_input_iterator_tIlNS8_12zip_iteratorINS8_5tupleINS8_6detail15normal_iteratorINS8_10device_ptrIdEEEESH_NS8_9null_typeESI_SI_SI_SI_SI_SI_SI_EEEENS9_21zip_adj_not_predicateI22is_equal_div_10_uniqueIdEEEEEPllNS8_4plusIlEEEE10hipError_tPvRmT1_T2_T3_mT4_P12ihipStream_tbEUlT_E0_NS1_11comp_targetILNS1_3genE0ELNS1_11target_archE4294967295ELNS1_3gpuE0ELNS1_3repE0EEENS1_30default_config_static_selectorELNS0_4arch9wavefront6targetE1EEEvSW_,"axG",@progbits,_ZN7rocprim17ROCPRIM_400000_NS6detail17trampoline_kernelINS0_14default_configENS1_22reduce_config_selectorIlEEZNS1_11reduce_implILb1ES3_N6thrust23THRUST_200600_302600_NS11hip_rocprim26transform_input_iterator_tIlNS8_12zip_iteratorINS8_5tupleINS8_6detail15normal_iteratorINS8_10device_ptrIdEEEESH_NS8_9null_typeESI_SI_SI_SI_SI_SI_SI_EEEENS9_21zip_adj_not_predicateI22is_equal_div_10_uniqueIdEEEEEPllNS8_4plusIlEEEE10hipError_tPvRmT1_T2_T3_mT4_P12ihipStream_tbEUlT_E0_NS1_11comp_targetILNS1_3genE0ELNS1_11target_archE4294967295ELNS1_3gpuE0ELNS1_3repE0EEENS1_30default_config_static_selectorELNS0_4arch9wavefront6targetE1EEEvSW_,comdat
	.protected	_ZN7rocprim17ROCPRIM_400000_NS6detail17trampoline_kernelINS0_14default_configENS1_22reduce_config_selectorIlEEZNS1_11reduce_implILb1ES3_N6thrust23THRUST_200600_302600_NS11hip_rocprim26transform_input_iterator_tIlNS8_12zip_iteratorINS8_5tupleINS8_6detail15normal_iteratorINS8_10device_ptrIdEEEESH_NS8_9null_typeESI_SI_SI_SI_SI_SI_SI_EEEENS9_21zip_adj_not_predicateI22is_equal_div_10_uniqueIdEEEEEPllNS8_4plusIlEEEE10hipError_tPvRmT1_T2_T3_mT4_P12ihipStream_tbEUlT_E0_NS1_11comp_targetILNS1_3genE0ELNS1_11target_archE4294967295ELNS1_3gpuE0ELNS1_3repE0EEENS1_30default_config_static_selectorELNS0_4arch9wavefront6targetE1EEEvSW_ ; -- Begin function _ZN7rocprim17ROCPRIM_400000_NS6detail17trampoline_kernelINS0_14default_configENS1_22reduce_config_selectorIlEEZNS1_11reduce_implILb1ES3_N6thrust23THRUST_200600_302600_NS11hip_rocprim26transform_input_iterator_tIlNS8_12zip_iteratorINS8_5tupleINS8_6detail15normal_iteratorINS8_10device_ptrIdEEEESH_NS8_9null_typeESI_SI_SI_SI_SI_SI_SI_EEEENS9_21zip_adj_not_predicateI22is_equal_div_10_uniqueIdEEEEEPllNS8_4plusIlEEEE10hipError_tPvRmT1_T2_T3_mT4_P12ihipStream_tbEUlT_E0_NS1_11comp_targetILNS1_3genE0ELNS1_11target_archE4294967295ELNS1_3gpuE0ELNS1_3repE0EEENS1_30default_config_static_selectorELNS0_4arch9wavefront6targetE1EEEvSW_
	.globl	_ZN7rocprim17ROCPRIM_400000_NS6detail17trampoline_kernelINS0_14default_configENS1_22reduce_config_selectorIlEEZNS1_11reduce_implILb1ES3_N6thrust23THRUST_200600_302600_NS11hip_rocprim26transform_input_iterator_tIlNS8_12zip_iteratorINS8_5tupleINS8_6detail15normal_iteratorINS8_10device_ptrIdEEEESH_NS8_9null_typeESI_SI_SI_SI_SI_SI_SI_EEEENS9_21zip_adj_not_predicateI22is_equal_div_10_uniqueIdEEEEEPllNS8_4plusIlEEEE10hipError_tPvRmT1_T2_T3_mT4_P12ihipStream_tbEUlT_E0_NS1_11comp_targetILNS1_3genE0ELNS1_11target_archE4294967295ELNS1_3gpuE0ELNS1_3repE0EEENS1_30default_config_static_selectorELNS0_4arch9wavefront6targetE1EEEvSW_
	.p2align	8
	.type	_ZN7rocprim17ROCPRIM_400000_NS6detail17trampoline_kernelINS0_14default_configENS1_22reduce_config_selectorIlEEZNS1_11reduce_implILb1ES3_N6thrust23THRUST_200600_302600_NS11hip_rocprim26transform_input_iterator_tIlNS8_12zip_iteratorINS8_5tupleINS8_6detail15normal_iteratorINS8_10device_ptrIdEEEESH_NS8_9null_typeESI_SI_SI_SI_SI_SI_SI_EEEENS9_21zip_adj_not_predicateI22is_equal_div_10_uniqueIdEEEEEPllNS8_4plusIlEEEE10hipError_tPvRmT1_T2_T3_mT4_P12ihipStream_tbEUlT_E0_NS1_11comp_targetILNS1_3genE0ELNS1_11target_archE4294967295ELNS1_3gpuE0ELNS1_3repE0EEENS1_30default_config_static_selectorELNS0_4arch9wavefront6targetE1EEEvSW_,@function
_ZN7rocprim17ROCPRIM_400000_NS6detail17trampoline_kernelINS0_14default_configENS1_22reduce_config_selectorIlEEZNS1_11reduce_implILb1ES3_N6thrust23THRUST_200600_302600_NS11hip_rocprim26transform_input_iterator_tIlNS8_12zip_iteratorINS8_5tupleINS8_6detail15normal_iteratorINS8_10device_ptrIdEEEESH_NS8_9null_typeESI_SI_SI_SI_SI_SI_SI_EEEENS9_21zip_adj_not_predicateI22is_equal_div_10_uniqueIdEEEEEPllNS8_4plusIlEEEE10hipError_tPvRmT1_T2_T3_mT4_P12ihipStream_tbEUlT_E0_NS1_11comp_targetILNS1_3genE0ELNS1_11target_archE4294967295ELNS1_3gpuE0ELNS1_3repE0EEENS1_30default_config_static_selectorELNS0_4arch9wavefront6targetE1EEEvSW_: ; @_ZN7rocprim17ROCPRIM_400000_NS6detail17trampoline_kernelINS0_14default_configENS1_22reduce_config_selectorIlEEZNS1_11reduce_implILb1ES3_N6thrust23THRUST_200600_302600_NS11hip_rocprim26transform_input_iterator_tIlNS8_12zip_iteratorINS8_5tupleINS8_6detail15normal_iteratorINS8_10device_ptrIdEEEESH_NS8_9null_typeESI_SI_SI_SI_SI_SI_SI_EEEENS9_21zip_adj_not_predicateI22is_equal_div_10_uniqueIdEEEEEPllNS8_4plusIlEEEE10hipError_tPvRmT1_T2_T3_mT4_P12ihipStream_tbEUlT_E0_NS1_11comp_targetILNS1_3genE0ELNS1_11target_archE4294967295ELNS1_3gpuE0ELNS1_3repE0EEENS1_30default_config_static_selectorELNS0_4arch9wavefront6targetE1EEEvSW_
; %bb.0:
	.section	.rodata,"a",@progbits
	.p2align	6, 0x0
	.amdhsa_kernel _ZN7rocprim17ROCPRIM_400000_NS6detail17trampoline_kernelINS0_14default_configENS1_22reduce_config_selectorIlEEZNS1_11reduce_implILb1ES3_N6thrust23THRUST_200600_302600_NS11hip_rocprim26transform_input_iterator_tIlNS8_12zip_iteratorINS8_5tupleINS8_6detail15normal_iteratorINS8_10device_ptrIdEEEESH_NS8_9null_typeESI_SI_SI_SI_SI_SI_SI_EEEENS9_21zip_adj_not_predicateI22is_equal_div_10_uniqueIdEEEEEPllNS8_4plusIlEEEE10hipError_tPvRmT1_T2_T3_mT4_P12ihipStream_tbEUlT_E0_NS1_11comp_targetILNS1_3genE0ELNS1_11target_archE4294967295ELNS1_3gpuE0ELNS1_3repE0EEENS1_30default_config_static_selectorELNS0_4arch9wavefront6targetE1EEEvSW_
		.amdhsa_group_segment_fixed_size 0
		.amdhsa_private_segment_fixed_size 0
		.amdhsa_kernarg_size 80
		.amdhsa_user_sgpr_count 6
		.amdhsa_user_sgpr_private_segment_buffer 1
		.amdhsa_user_sgpr_dispatch_ptr 0
		.amdhsa_user_sgpr_queue_ptr 0
		.amdhsa_user_sgpr_kernarg_segment_ptr 1
		.amdhsa_user_sgpr_dispatch_id 0
		.amdhsa_user_sgpr_flat_scratch_init 0
		.amdhsa_user_sgpr_private_segment_size 0
		.amdhsa_uses_dynamic_stack 0
		.amdhsa_system_sgpr_private_segment_wavefront_offset 0
		.amdhsa_system_sgpr_workgroup_id_x 1
		.amdhsa_system_sgpr_workgroup_id_y 0
		.amdhsa_system_sgpr_workgroup_id_z 0
		.amdhsa_system_sgpr_workgroup_info 0
		.amdhsa_system_vgpr_workitem_id 0
		.amdhsa_next_free_vgpr 1
		.amdhsa_next_free_sgpr 0
		.amdhsa_reserve_vcc 0
		.amdhsa_reserve_flat_scratch 0
		.amdhsa_float_round_mode_32 0
		.amdhsa_float_round_mode_16_64 0
		.amdhsa_float_denorm_mode_32 3
		.amdhsa_float_denorm_mode_16_64 3
		.amdhsa_dx10_clamp 1
		.amdhsa_ieee_mode 1
		.amdhsa_fp16_overflow 0
		.amdhsa_exception_fp_ieee_invalid_op 0
		.amdhsa_exception_fp_denorm_src 0
		.amdhsa_exception_fp_ieee_div_zero 0
		.amdhsa_exception_fp_ieee_overflow 0
		.amdhsa_exception_fp_ieee_underflow 0
		.amdhsa_exception_fp_ieee_inexact 0
		.amdhsa_exception_int_div_zero 0
	.end_amdhsa_kernel
	.section	.text._ZN7rocprim17ROCPRIM_400000_NS6detail17trampoline_kernelINS0_14default_configENS1_22reduce_config_selectorIlEEZNS1_11reduce_implILb1ES3_N6thrust23THRUST_200600_302600_NS11hip_rocprim26transform_input_iterator_tIlNS8_12zip_iteratorINS8_5tupleINS8_6detail15normal_iteratorINS8_10device_ptrIdEEEESH_NS8_9null_typeESI_SI_SI_SI_SI_SI_SI_EEEENS9_21zip_adj_not_predicateI22is_equal_div_10_uniqueIdEEEEEPllNS8_4plusIlEEEE10hipError_tPvRmT1_T2_T3_mT4_P12ihipStream_tbEUlT_E0_NS1_11comp_targetILNS1_3genE0ELNS1_11target_archE4294967295ELNS1_3gpuE0ELNS1_3repE0EEENS1_30default_config_static_selectorELNS0_4arch9wavefront6targetE1EEEvSW_,"axG",@progbits,_ZN7rocprim17ROCPRIM_400000_NS6detail17trampoline_kernelINS0_14default_configENS1_22reduce_config_selectorIlEEZNS1_11reduce_implILb1ES3_N6thrust23THRUST_200600_302600_NS11hip_rocprim26transform_input_iterator_tIlNS8_12zip_iteratorINS8_5tupleINS8_6detail15normal_iteratorINS8_10device_ptrIdEEEESH_NS8_9null_typeESI_SI_SI_SI_SI_SI_SI_EEEENS9_21zip_adj_not_predicateI22is_equal_div_10_uniqueIdEEEEEPllNS8_4plusIlEEEE10hipError_tPvRmT1_T2_T3_mT4_P12ihipStream_tbEUlT_E0_NS1_11comp_targetILNS1_3genE0ELNS1_11target_archE4294967295ELNS1_3gpuE0ELNS1_3repE0EEENS1_30default_config_static_selectorELNS0_4arch9wavefront6targetE1EEEvSW_,comdat
.Lfunc_end761:
	.size	_ZN7rocprim17ROCPRIM_400000_NS6detail17trampoline_kernelINS0_14default_configENS1_22reduce_config_selectorIlEEZNS1_11reduce_implILb1ES3_N6thrust23THRUST_200600_302600_NS11hip_rocprim26transform_input_iterator_tIlNS8_12zip_iteratorINS8_5tupleINS8_6detail15normal_iteratorINS8_10device_ptrIdEEEESH_NS8_9null_typeESI_SI_SI_SI_SI_SI_SI_EEEENS9_21zip_adj_not_predicateI22is_equal_div_10_uniqueIdEEEEEPllNS8_4plusIlEEEE10hipError_tPvRmT1_T2_T3_mT4_P12ihipStream_tbEUlT_E0_NS1_11comp_targetILNS1_3genE0ELNS1_11target_archE4294967295ELNS1_3gpuE0ELNS1_3repE0EEENS1_30default_config_static_selectorELNS0_4arch9wavefront6targetE1EEEvSW_, .Lfunc_end761-_ZN7rocprim17ROCPRIM_400000_NS6detail17trampoline_kernelINS0_14default_configENS1_22reduce_config_selectorIlEEZNS1_11reduce_implILb1ES3_N6thrust23THRUST_200600_302600_NS11hip_rocprim26transform_input_iterator_tIlNS8_12zip_iteratorINS8_5tupleINS8_6detail15normal_iteratorINS8_10device_ptrIdEEEESH_NS8_9null_typeESI_SI_SI_SI_SI_SI_SI_EEEENS9_21zip_adj_not_predicateI22is_equal_div_10_uniqueIdEEEEEPllNS8_4plusIlEEEE10hipError_tPvRmT1_T2_T3_mT4_P12ihipStream_tbEUlT_E0_NS1_11comp_targetILNS1_3genE0ELNS1_11target_archE4294967295ELNS1_3gpuE0ELNS1_3repE0EEENS1_30default_config_static_selectorELNS0_4arch9wavefront6targetE1EEEvSW_
                                        ; -- End function
	.set _ZN7rocprim17ROCPRIM_400000_NS6detail17trampoline_kernelINS0_14default_configENS1_22reduce_config_selectorIlEEZNS1_11reduce_implILb1ES3_N6thrust23THRUST_200600_302600_NS11hip_rocprim26transform_input_iterator_tIlNS8_12zip_iteratorINS8_5tupleINS8_6detail15normal_iteratorINS8_10device_ptrIdEEEESH_NS8_9null_typeESI_SI_SI_SI_SI_SI_SI_EEEENS9_21zip_adj_not_predicateI22is_equal_div_10_uniqueIdEEEEEPllNS8_4plusIlEEEE10hipError_tPvRmT1_T2_T3_mT4_P12ihipStream_tbEUlT_E0_NS1_11comp_targetILNS1_3genE0ELNS1_11target_archE4294967295ELNS1_3gpuE0ELNS1_3repE0EEENS1_30default_config_static_selectorELNS0_4arch9wavefront6targetE1EEEvSW_.num_vgpr, 0
	.set _ZN7rocprim17ROCPRIM_400000_NS6detail17trampoline_kernelINS0_14default_configENS1_22reduce_config_selectorIlEEZNS1_11reduce_implILb1ES3_N6thrust23THRUST_200600_302600_NS11hip_rocprim26transform_input_iterator_tIlNS8_12zip_iteratorINS8_5tupleINS8_6detail15normal_iteratorINS8_10device_ptrIdEEEESH_NS8_9null_typeESI_SI_SI_SI_SI_SI_SI_EEEENS9_21zip_adj_not_predicateI22is_equal_div_10_uniqueIdEEEEEPllNS8_4plusIlEEEE10hipError_tPvRmT1_T2_T3_mT4_P12ihipStream_tbEUlT_E0_NS1_11comp_targetILNS1_3genE0ELNS1_11target_archE4294967295ELNS1_3gpuE0ELNS1_3repE0EEENS1_30default_config_static_selectorELNS0_4arch9wavefront6targetE1EEEvSW_.num_agpr, 0
	.set _ZN7rocprim17ROCPRIM_400000_NS6detail17trampoline_kernelINS0_14default_configENS1_22reduce_config_selectorIlEEZNS1_11reduce_implILb1ES3_N6thrust23THRUST_200600_302600_NS11hip_rocprim26transform_input_iterator_tIlNS8_12zip_iteratorINS8_5tupleINS8_6detail15normal_iteratorINS8_10device_ptrIdEEEESH_NS8_9null_typeESI_SI_SI_SI_SI_SI_SI_EEEENS9_21zip_adj_not_predicateI22is_equal_div_10_uniqueIdEEEEEPllNS8_4plusIlEEEE10hipError_tPvRmT1_T2_T3_mT4_P12ihipStream_tbEUlT_E0_NS1_11comp_targetILNS1_3genE0ELNS1_11target_archE4294967295ELNS1_3gpuE0ELNS1_3repE0EEENS1_30default_config_static_selectorELNS0_4arch9wavefront6targetE1EEEvSW_.numbered_sgpr, 0
	.set _ZN7rocprim17ROCPRIM_400000_NS6detail17trampoline_kernelINS0_14default_configENS1_22reduce_config_selectorIlEEZNS1_11reduce_implILb1ES3_N6thrust23THRUST_200600_302600_NS11hip_rocprim26transform_input_iterator_tIlNS8_12zip_iteratorINS8_5tupleINS8_6detail15normal_iteratorINS8_10device_ptrIdEEEESH_NS8_9null_typeESI_SI_SI_SI_SI_SI_SI_EEEENS9_21zip_adj_not_predicateI22is_equal_div_10_uniqueIdEEEEEPllNS8_4plusIlEEEE10hipError_tPvRmT1_T2_T3_mT4_P12ihipStream_tbEUlT_E0_NS1_11comp_targetILNS1_3genE0ELNS1_11target_archE4294967295ELNS1_3gpuE0ELNS1_3repE0EEENS1_30default_config_static_selectorELNS0_4arch9wavefront6targetE1EEEvSW_.num_named_barrier, 0
	.set _ZN7rocprim17ROCPRIM_400000_NS6detail17trampoline_kernelINS0_14default_configENS1_22reduce_config_selectorIlEEZNS1_11reduce_implILb1ES3_N6thrust23THRUST_200600_302600_NS11hip_rocprim26transform_input_iterator_tIlNS8_12zip_iteratorINS8_5tupleINS8_6detail15normal_iteratorINS8_10device_ptrIdEEEESH_NS8_9null_typeESI_SI_SI_SI_SI_SI_SI_EEEENS9_21zip_adj_not_predicateI22is_equal_div_10_uniqueIdEEEEEPllNS8_4plusIlEEEE10hipError_tPvRmT1_T2_T3_mT4_P12ihipStream_tbEUlT_E0_NS1_11comp_targetILNS1_3genE0ELNS1_11target_archE4294967295ELNS1_3gpuE0ELNS1_3repE0EEENS1_30default_config_static_selectorELNS0_4arch9wavefront6targetE1EEEvSW_.private_seg_size, 0
	.set _ZN7rocprim17ROCPRIM_400000_NS6detail17trampoline_kernelINS0_14default_configENS1_22reduce_config_selectorIlEEZNS1_11reduce_implILb1ES3_N6thrust23THRUST_200600_302600_NS11hip_rocprim26transform_input_iterator_tIlNS8_12zip_iteratorINS8_5tupleINS8_6detail15normal_iteratorINS8_10device_ptrIdEEEESH_NS8_9null_typeESI_SI_SI_SI_SI_SI_SI_EEEENS9_21zip_adj_not_predicateI22is_equal_div_10_uniqueIdEEEEEPllNS8_4plusIlEEEE10hipError_tPvRmT1_T2_T3_mT4_P12ihipStream_tbEUlT_E0_NS1_11comp_targetILNS1_3genE0ELNS1_11target_archE4294967295ELNS1_3gpuE0ELNS1_3repE0EEENS1_30default_config_static_selectorELNS0_4arch9wavefront6targetE1EEEvSW_.uses_vcc, 0
	.set _ZN7rocprim17ROCPRIM_400000_NS6detail17trampoline_kernelINS0_14default_configENS1_22reduce_config_selectorIlEEZNS1_11reduce_implILb1ES3_N6thrust23THRUST_200600_302600_NS11hip_rocprim26transform_input_iterator_tIlNS8_12zip_iteratorINS8_5tupleINS8_6detail15normal_iteratorINS8_10device_ptrIdEEEESH_NS8_9null_typeESI_SI_SI_SI_SI_SI_SI_EEEENS9_21zip_adj_not_predicateI22is_equal_div_10_uniqueIdEEEEEPllNS8_4plusIlEEEE10hipError_tPvRmT1_T2_T3_mT4_P12ihipStream_tbEUlT_E0_NS1_11comp_targetILNS1_3genE0ELNS1_11target_archE4294967295ELNS1_3gpuE0ELNS1_3repE0EEENS1_30default_config_static_selectorELNS0_4arch9wavefront6targetE1EEEvSW_.uses_flat_scratch, 0
	.set _ZN7rocprim17ROCPRIM_400000_NS6detail17trampoline_kernelINS0_14default_configENS1_22reduce_config_selectorIlEEZNS1_11reduce_implILb1ES3_N6thrust23THRUST_200600_302600_NS11hip_rocprim26transform_input_iterator_tIlNS8_12zip_iteratorINS8_5tupleINS8_6detail15normal_iteratorINS8_10device_ptrIdEEEESH_NS8_9null_typeESI_SI_SI_SI_SI_SI_SI_EEEENS9_21zip_adj_not_predicateI22is_equal_div_10_uniqueIdEEEEEPllNS8_4plusIlEEEE10hipError_tPvRmT1_T2_T3_mT4_P12ihipStream_tbEUlT_E0_NS1_11comp_targetILNS1_3genE0ELNS1_11target_archE4294967295ELNS1_3gpuE0ELNS1_3repE0EEENS1_30default_config_static_selectorELNS0_4arch9wavefront6targetE1EEEvSW_.has_dyn_sized_stack, 0
	.set _ZN7rocprim17ROCPRIM_400000_NS6detail17trampoline_kernelINS0_14default_configENS1_22reduce_config_selectorIlEEZNS1_11reduce_implILb1ES3_N6thrust23THRUST_200600_302600_NS11hip_rocprim26transform_input_iterator_tIlNS8_12zip_iteratorINS8_5tupleINS8_6detail15normal_iteratorINS8_10device_ptrIdEEEESH_NS8_9null_typeESI_SI_SI_SI_SI_SI_SI_EEEENS9_21zip_adj_not_predicateI22is_equal_div_10_uniqueIdEEEEEPllNS8_4plusIlEEEE10hipError_tPvRmT1_T2_T3_mT4_P12ihipStream_tbEUlT_E0_NS1_11comp_targetILNS1_3genE0ELNS1_11target_archE4294967295ELNS1_3gpuE0ELNS1_3repE0EEENS1_30default_config_static_selectorELNS0_4arch9wavefront6targetE1EEEvSW_.has_recursion, 0
	.set _ZN7rocprim17ROCPRIM_400000_NS6detail17trampoline_kernelINS0_14default_configENS1_22reduce_config_selectorIlEEZNS1_11reduce_implILb1ES3_N6thrust23THRUST_200600_302600_NS11hip_rocprim26transform_input_iterator_tIlNS8_12zip_iteratorINS8_5tupleINS8_6detail15normal_iteratorINS8_10device_ptrIdEEEESH_NS8_9null_typeESI_SI_SI_SI_SI_SI_SI_EEEENS9_21zip_adj_not_predicateI22is_equal_div_10_uniqueIdEEEEEPllNS8_4plusIlEEEE10hipError_tPvRmT1_T2_T3_mT4_P12ihipStream_tbEUlT_E0_NS1_11comp_targetILNS1_3genE0ELNS1_11target_archE4294967295ELNS1_3gpuE0ELNS1_3repE0EEENS1_30default_config_static_selectorELNS0_4arch9wavefront6targetE1EEEvSW_.has_indirect_call, 0
	.section	.AMDGPU.csdata,"",@progbits
; Kernel info:
; codeLenInByte = 0
; TotalNumSgprs: 4
; NumVgprs: 0
; ScratchSize: 0
; MemoryBound: 0
; FloatMode: 240
; IeeeMode: 1
; LDSByteSize: 0 bytes/workgroup (compile time only)
; SGPRBlocks: 0
; VGPRBlocks: 0
; NumSGPRsForWavesPerEU: 4
; NumVGPRsForWavesPerEU: 1
; Occupancy: 10
; WaveLimiterHint : 0
; COMPUTE_PGM_RSRC2:SCRATCH_EN: 0
; COMPUTE_PGM_RSRC2:USER_SGPR: 6
; COMPUTE_PGM_RSRC2:TRAP_HANDLER: 0
; COMPUTE_PGM_RSRC2:TGID_X_EN: 1
; COMPUTE_PGM_RSRC2:TGID_Y_EN: 0
; COMPUTE_PGM_RSRC2:TGID_Z_EN: 0
; COMPUTE_PGM_RSRC2:TIDIG_COMP_CNT: 0
	.section	.text._ZN7rocprim17ROCPRIM_400000_NS6detail17trampoline_kernelINS0_14default_configENS1_22reduce_config_selectorIlEEZNS1_11reduce_implILb1ES3_N6thrust23THRUST_200600_302600_NS11hip_rocprim26transform_input_iterator_tIlNS8_12zip_iteratorINS8_5tupleINS8_6detail15normal_iteratorINS8_10device_ptrIdEEEESH_NS8_9null_typeESI_SI_SI_SI_SI_SI_SI_EEEENS9_21zip_adj_not_predicateI22is_equal_div_10_uniqueIdEEEEEPllNS8_4plusIlEEEE10hipError_tPvRmT1_T2_T3_mT4_P12ihipStream_tbEUlT_E0_NS1_11comp_targetILNS1_3genE5ELNS1_11target_archE942ELNS1_3gpuE9ELNS1_3repE0EEENS1_30default_config_static_selectorELNS0_4arch9wavefront6targetE1EEEvSW_,"axG",@progbits,_ZN7rocprim17ROCPRIM_400000_NS6detail17trampoline_kernelINS0_14default_configENS1_22reduce_config_selectorIlEEZNS1_11reduce_implILb1ES3_N6thrust23THRUST_200600_302600_NS11hip_rocprim26transform_input_iterator_tIlNS8_12zip_iteratorINS8_5tupleINS8_6detail15normal_iteratorINS8_10device_ptrIdEEEESH_NS8_9null_typeESI_SI_SI_SI_SI_SI_SI_EEEENS9_21zip_adj_not_predicateI22is_equal_div_10_uniqueIdEEEEEPllNS8_4plusIlEEEE10hipError_tPvRmT1_T2_T3_mT4_P12ihipStream_tbEUlT_E0_NS1_11comp_targetILNS1_3genE5ELNS1_11target_archE942ELNS1_3gpuE9ELNS1_3repE0EEENS1_30default_config_static_selectorELNS0_4arch9wavefront6targetE1EEEvSW_,comdat
	.protected	_ZN7rocprim17ROCPRIM_400000_NS6detail17trampoline_kernelINS0_14default_configENS1_22reduce_config_selectorIlEEZNS1_11reduce_implILb1ES3_N6thrust23THRUST_200600_302600_NS11hip_rocprim26transform_input_iterator_tIlNS8_12zip_iteratorINS8_5tupleINS8_6detail15normal_iteratorINS8_10device_ptrIdEEEESH_NS8_9null_typeESI_SI_SI_SI_SI_SI_SI_EEEENS9_21zip_adj_not_predicateI22is_equal_div_10_uniqueIdEEEEEPllNS8_4plusIlEEEE10hipError_tPvRmT1_T2_T3_mT4_P12ihipStream_tbEUlT_E0_NS1_11comp_targetILNS1_3genE5ELNS1_11target_archE942ELNS1_3gpuE9ELNS1_3repE0EEENS1_30default_config_static_selectorELNS0_4arch9wavefront6targetE1EEEvSW_ ; -- Begin function _ZN7rocprim17ROCPRIM_400000_NS6detail17trampoline_kernelINS0_14default_configENS1_22reduce_config_selectorIlEEZNS1_11reduce_implILb1ES3_N6thrust23THRUST_200600_302600_NS11hip_rocprim26transform_input_iterator_tIlNS8_12zip_iteratorINS8_5tupleINS8_6detail15normal_iteratorINS8_10device_ptrIdEEEESH_NS8_9null_typeESI_SI_SI_SI_SI_SI_SI_EEEENS9_21zip_adj_not_predicateI22is_equal_div_10_uniqueIdEEEEEPllNS8_4plusIlEEEE10hipError_tPvRmT1_T2_T3_mT4_P12ihipStream_tbEUlT_E0_NS1_11comp_targetILNS1_3genE5ELNS1_11target_archE942ELNS1_3gpuE9ELNS1_3repE0EEENS1_30default_config_static_selectorELNS0_4arch9wavefront6targetE1EEEvSW_
	.globl	_ZN7rocprim17ROCPRIM_400000_NS6detail17trampoline_kernelINS0_14default_configENS1_22reduce_config_selectorIlEEZNS1_11reduce_implILb1ES3_N6thrust23THRUST_200600_302600_NS11hip_rocprim26transform_input_iterator_tIlNS8_12zip_iteratorINS8_5tupleINS8_6detail15normal_iteratorINS8_10device_ptrIdEEEESH_NS8_9null_typeESI_SI_SI_SI_SI_SI_SI_EEEENS9_21zip_adj_not_predicateI22is_equal_div_10_uniqueIdEEEEEPllNS8_4plusIlEEEE10hipError_tPvRmT1_T2_T3_mT4_P12ihipStream_tbEUlT_E0_NS1_11comp_targetILNS1_3genE5ELNS1_11target_archE942ELNS1_3gpuE9ELNS1_3repE0EEENS1_30default_config_static_selectorELNS0_4arch9wavefront6targetE1EEEvSW_
	.p2align	8
	.type	_ZN7rocprim17ROCPRIM_400000_NS6detail17trampoline_kernelINS0_14default_configENS1_22reduce_config_selectorIlEEZNS1_11reduce_implILb1ES3_N6thrust23THRUST_200600_302600_NS11hip_rocprim26transform_input_iterator_tIlNS8_12zip_iteratorINS8_5tupleINS8_6detail15normal_iteratorINS8_10device_ptrIdEEEESH_NS8_9null_typeESI_SI_SI_SI_SI_SI_SI_EEEENS9_21zip_adj_not_predicateI22is_equal_div_10_uniqueIdEEEEEPllNS8_4plusIlEEEE10hipError_tPvRmT1_T2_T3_mT4_P12ihipStream_tbEUlT_E0_NS1_11comp_targetILNS1_3genE5ELNS1_11target_archE942ELNS1_3gpuE9ELNS1_3repE0EEENS1_30default_config_static_selectorELNS0_4arch9wavefront6targetE1EEEvSW_,@function
_ZN7rocprim17ROCPRIM_400000_NS6detail17trampoline_kernelINS0_14default_configENS1_22reduce_config_selectorIlEEZNS1_11reduce_implILb1ES3_N6thrust23THRUST_200600_302600_NS11hip_rocprim26transform_input_iterator_tIlNS8_12zip_iteratorINS8_5tupleINS8_6detail15normal_iteratorINS8_10device_ptrIdEEEESH_NS8_9null_typeESI_SI_SI_SI_SI_SI_SI_EEEENS9_21zip_adj_not_predicateI22is_equal_div_10_uniqueIdEEEEEPllNS8_4plusIlEEEE10hipError_tPvRmT1_T2_T3_mT4_P12ihipStream_tbEUlT_E0_NS1_11comp_targetILNS1_3genE5ELNS1_11target_archE942ELNS1_3gpuE9ELNS1_3repE0EEENS1_30default_config_static_selectorELNS0_4arch9wavefront6targetE1EEEvSW_: ; @_ZN7rocprim17ROCPRIM_400000_NS6detail17trampoline_kernelINS0_14default_configENS1_22reduce_config_selectorIlEEZNS1_11reduce_implILb1ES3_N6thrust23THRUST_200600_302600_NS11hip_rocprim26transform_input_iterator_tIlNS8_12zip_iteratorINS8_5tupleINS8_6detail15normal_iteratorINS8_10device_ptrIdEEEESH_NS8_9null_typeESI_SI_SI_SI_SI_SI_SI_EEEENS9_21zip_adj_not_predicateI22is_equal_div_10_uniqueIdEEEEEPllNS8_4plusIlEEEE10hipError_tPvRmT1_T2_T3_mT4_P12ihipStream_tbEUlT_E0_NS1_11comp_targetILNS1_3genE5ELNS1_11target_archE942ELNS1_3gpuE9ELNS1_3repE0EEENS1_30default_config_static_selectorELNS0_4arch9wavefront6targetE1EEEvSW_
; %bb.0:
	.section	.rodata,"a",@progbits
	.p2align	6, 0x0
	.amdhsa_kernel _ZN7rocprim17ROCPRIM_400000_NS6detail17trampoline_kernelINS0_14default_configENS1_22reduce_config_selectorIlEEZNS1_11reduce_implILb1ES3_N6thrust23THRUST_200600_302600_NS11hip_rocprim26transform_input_iterator_tIlNS8_12zip_iteratorINS8_5tupleINS8_6detail15normal_iteratorINS8_10device_ptrIdEEEESH_NS8_9null_typeESI_SI_SI_SI_SI_SI_SI_EEEENS9_21zip_adj_not_predicateI22is_equal_div_10_uniqueIdEEEEEPllNS8_4plusIlEEEE10hipError_tPvRmT1_T2_T3_mT4_P12ihipStream_tbEUlT_E0_NS1_11comp_targetILNS1_3genE5ELNS1_11target_archE942ELNS1_3gpuE9ELNS1_3repE0EEENS1_30default_config_static_selectorELNS0_4arch9wavefront6targetE1EEEvSW_
		.amdhsa_group_segment_fixed_size 0
		.amdhsa_private_segment_fixed_size 0
		.amdhsa_kernarg_size 80
		.amdhsa_user_sgpr_count 6
		.amdhsa_user_sgpr_private_segment_buffer 1
		.amdhsa_user_sgpr_dispatch_ptr 0
		.amdhsa_user_sgpr_queue_ptr 0
		.amdhsa_user_sgpr_kernarg_segment_ptr 1
		.amdhsa_user_sgpr_dispatch_id 0
		.amdhsa_user_sgpr_flat_scratch_init 0
		.amdhsa_user_sgpr_private_segment_size 0
		.amdhsa_uses_dynamic_stack 0
		.amdhsa_system_sgpr_private_segment_wavefront_offset 0
		.amdhsa_system_sgpr_workgroup_id_x 1
		.amdhsa_system_sgpr_workgroup_id_y 0
		.amdhsa_system_sgpr_workgroup_id_z 0
		.amdhsa_system_sgpr_workgroup_info 0
		.amdhsa_system_vgpr_workitem_id 0
		.amdhsa_next_free_vgpr 1
		.amdhsa_next_free_sgpr 0
		.amdhsa_reserve_vcc 0
		.amdhsa_reserve_flat_scratch 0
		.amdhsa_float_round_mode_32 0
		.amdhsa_float_round_mode_16_64 0
		.amdhsa_float_denorm_mode_32 3
		.amdhsa_float_denorm_mode_16_64 3
		.amdhsa_dx10_clamp 1
		.amdhsa_ieee_mode 1
		.amdhsa_fp16_overflow 0
		.amdhsa_exception_fp_ieee_invalid_op 0
		.amdhsa_exception_fp_denorm_src 0
		.amdhsa_exception_fp_ieee_div_zero 0
		.amdhsa_exception_fp_ieee_overflow 0
		.amdhsa_exception_fp_ieee_underflow 0
		.amdhsa_exception_fp_ieee_inexact 0
		.amdhsa_exception_int_div_zero 0
	.end_amdhsa_kernel
	.section	.text._ZN7rocprim17ROCPRIM_400000_NS6detail17trampoline_kernelINS0_14default_configENS1_22reduce_config_selectorIlEEZNS1_11reduce_implILb1ES3_N6thrust23THRUST_200600_302600_NS11hip_rocprim26transform_input_iterator_tIlNS8_12zip_iteratorINS8_5tupleINS8_6detail15normal_iteratorINS8_10device_ptrIdEEEESH_NS8_9null_typeESI_SI_SI_SI_SI_SI_SI_EEEENS9_21zip_adj_not_predicateI22is_equal_div_10_uniqueIdEEEEEPllNS8_4plusIlEEEE10hipError_tPvRmT1_T2_T3_mT4_P12ihipStream_tbEUlT_E0_NS1_11comp_targetILNS1_3genE5ELNS1_11target_archE942ELNS1_3gpuE9ELNS1_3repE0EEENS1_30default_config_static_selectorELNS0_4arch9wavefront6targetE1EEEvSW_,"axG",@progbits,_ZN7rocprim17ROCPRIM_400000_NS6detail17trampoline_kernelINS0_14default_configENS1_22reduce_config_selectorIlEEZNS1_11reduce_implILb1ES3_N6thrust23THRUST_200600_302600_NS11hip_rocprim26transform_input_iterator_tIlNS8_12zip_iteratorINS8_5tupleINS8_6detail15normal_iteratorINS8_10device_ptrIdEEEESH_NS8_9null_typeESI_SI_SI_SI_SI_SI_SI_EEEENS9_21zip_adj_not_predicateI22is_equal_div_10_uniqueIdEEEEEPllNS8_4plusIlEEEE10hipError_tPvRmT1_T2_T3_mT4_P12ihipStream_tbEUlT_E0_NS1_11comp_targetILNS1_3genE5ELNS1_11target_archE942ELNS1_3gpuE9ELNS1_3repE0EEENS1_30default_config_static_selectorELNS0_4arch9wavefront6targetE1EEEvSW_,comdat
.Lfunc_end762:
	.size	_ZN7rocprim17ROCPRIM_400000_NS6detail17trampoline_kernelINS0_14default_configENS1_22reduce_config_selectorIlEEZNS1_11reduce_implILb1ES3_N6thrust23THRUST_200600_302600_NS11hip_rocprim26transform_input_iterator_tIlNS8_12zip_iteratorINS8_5tupleINS8_6detail15normal_iteratorINS8_10device_ptrIdEEEESH_NS8_9null_typeESI_SI_SI_SI_SI_SI_SI_EEEENS9_21zip_adj_not_predicateI22is_equal_div_10_uniqueIdEEEEEPllNS8_4plusIlEEEE10hipError_tPvRmT1_T2_T3_mT4_P12ihipStream_tbEUlT_E0_NS1_11comp_targetILNS1_3genE5ELNS1_11target_archE942ELNS1_3gpuE9ELNS1_3repE0EEENS1_30default_config_static_selectorELNS0_4arch9wavefront6targetE1EEEvSW_, .Lfunc_end762-_ZN7rocprim17ROCPRIM_400000_NS6detail17trampoline_kernelINS0_14default_configENS1_22reduce_config_selectorIlEEZNS1_11reduce_implILb1ES3_N6thrust23THRUST_200600_302600_NS11hip_rocprim26transform_input_iterator_tIlNS8_12zip_iteratorINS8_5tupleINS8_6detail15normal_iteratorINS8_10device_ptrIdEEEESH_NS8_9null_typeESI_SI_SI_SI_SI_SI_SI_EEEENS9_21zip_adj_not_predicateI22is_equal_div_10_uniqueIdEEEEEPllNS8_4plusIlEEEE10hipError_tPvRmT1_T2_T3_mT4_P12ihipStream_tbEUlT_E0_NS1_11comp_targetILNS1_3genE5ELNS1_11target_archE942ELNS1_3gpuE9ELNS1_3repE0EEENS1_30default_config_static_selectorELNS0_4arch9wavefront6targetE1EEEvSW_
                                        ; -- End function
	.set _ZN7rocprim17ROCPRIM_400000_NS6detail17trampoline_kernelINS0_14default_configENS1_22reduce_config_selectorIlEEZNS1_11reduce_implILb1ES3_N6thrust23THRUST_200600_302600_NS11hip_rocprim26transform_input_iterator_tIlNS8_12zip_iteratorINS8_5tupleINS8_6detail15normal_iteratorINS8_10device_ptrIdEEEESH_NS8_9null_typeESI_SI_SI_SI_SI_SI_SI_EEEENS9_21zip_adj_not_predicateI22is_equal_div_10_uniqueIdEEEEEPllNS8_4plusIlEEEE10hipError_tPvRmT1_T2_T3_mT4_P12ihipStream_tbEUlT_E0_NS1_11comp_targetILNS1_3genE5ELNS1_11target_archE942ELNS1_3gpuE9ELNS1_3repE0EEENS1_30default_config_static_selectorELNS0_4arch9wavefront6targetE1EEEvSW_.num_vgpr, 0
	.set _ZN7rocprim17ROCPRIM_400000_NS6detail17trampoline_kernelINS0_14default_configENS1_22reduce_config_selectorIlEEZNS1_11reduce_implILb1ES3_N6thrust23THRUST_200600_302600_NS11hip_rocprim26transform_input_iterator_tIlNS8_12zip_iteratorINS8_5tupleINS8_6detail15normal_iteratorINS8_10device_ptrIdEEEESH_NS8_9null_typeESI_SI_SI_SI_SI_SI_SI_EEEENS9_21zip_adj_not_predicateI22is_equal_div_10_uniqueIdEEEEEPllNS8_4plusIlEEEE10hipError_tPvRmT1_T2_T3_mT4_P12ihipStream_tbEUlT_E0_NS1_11comp_targetILNS1_3genE5ELNS1_11target_archE942ELNS1_3gpuE9ELNS1_3repE0EEENS1_30default_config_static_selectorELNS0_4arch9wavefront6targetE1EEEvSW_.num_agpr, 0
	.set _ZN7rocprim17ROCPRIM_400000_NS6detail17trampoline_kernelINS0_14default_configENS1_22reduce_config_selectorIlEEZNS1_11reduce_implILb1ES3_N6thrust23THRUST_200600_302600_NS11hip_rocprim26transform_input_iterator_tIlNS8_12zip_iteratorINS8_5tupleINS8_6detail15normal_iteratorINS8_10device_ptrIdEEEESH_NS8_9null_typeESI_SI_SI_SI_SI_SI_SI_EEEENS9_21zip_adj_not_predicateI22is_equal_div_10_uniqueIdEEEEEPllNS8_4plusIlEEEE10hipError_tPvRmT1_T2_T3_mT4_P12ihipStream_tbEUlT_E0_NS1_11comp_targetILNS1_3genE5ELNS1_11target_archE942ELNS1_3gpuE9ELNS1_3repE0EEENS1_30default_config_static_selectorELNS0_4arch9wavefront6targetE1EEEvSW_.numbered_sgpr, 0
	.set _ZN7rocprim17ROCPRIM_400000_NS6detail17trampoline_kernelINS0_14default_configENS1_22reduce_config_selectorIlEEZNS1_11reduce_implILb1ES3_N6thrust23THRUST_200600_302600_NS11hip_rocprim26transform_input_iterator_tIlNS8_12zip_iteratorINS8_5tupleINS8_6detail15normal_iteratorINS8_10device_ptrIdEEEESH_NS8_9null_typeESI_SI_SI_SI_SI_SI_SI_EEEENS9_21zip_adj_not_predicateI22is_equal_div_10_uniqueIdEEEEEPllNS8_4plusIlEEEE10hipError_tPvRmT1_T2_T3_mT4_P12ihipStream_tbEUlT_E0_NS1_11comp_targetILNS1_3genE5ELNS1_11target_archE942ELNS1_3gpuE9ELNS1_3repE0EEENS1_30default_config_static_selectorELNS0_4arch9wavefront6targetE1EEEvSW_.num_named_barrier, 0
	.set _ZN7rocprim17ROCPRIM_400000_NS6detail17trampoline_kernelINS0_14default_configENS1_22reduce_config_selectorIlEEZNS1_11reduce_implILb1ES3_N6thrust23THRUST_200600_302600_NS11hip_rocprim26transform_input_iterator_tIlNS8_12zip_iteratorINS8_5tupleINS8_6detail15normal_iteratorINS8_10device_ptrIdEEEESH_NS8_9null_typeESI_SI_SI_SI_SI_SI_SI_EEEENS9_21zip_adj_not_predicateI22is_equal_div_10_uniqueIdEEEEEPllNS8_4plusIlEEEE10hipError_tPvRmT1_T2_T3_mT4_P12ihipStream_tbEUlT_E0_NS1_11comp_targetILNS1_3genE5ELNS1_11target_archE942ELNS1_3gpuE9ELNS1_3repE0EEENS1_30default_config_static_selectorELNS0_4arch9wavefront6targetE1EEEvSW_.private_seg_size, 0
	.set _ZN7rocprim17ROCPRIM_400000_NS6detail17trampoline_kernelINS0_14default_configENS1_22reduce_config_selectorIlEEZNS1_11reduce_implILb1ES3_N6thrust23THRUST_200600_302600_NS11hip_rocprim26transform_input_iterator_tIlNS8_12zip_iteratorINS8_5tupleINS8_6detail15normal_iteratorINS8_10device_ptrIdEEEESH_NS8_9null_typeESI_SI_SI_SI_SI_SI_SI_EEEENS9_21zip_adj_not_predicateI22is_equal_div_10_uniqueIdEEEEEPllNS8_4plusIlEEEE10hipError_tPvRmT1_T2_T3_mT4_P12ihipStream_tbEUlT_E0_NS1_11comp_targetILNS1_3genE5ELNS1_11target_archE942ELNS1_3gpuE9ELNS1_3repE0EEENS1_30default_config_static_selectorELNS0_4arch9wavefront6targetE1EEEvSW_.uses_vcc, 0
	.set _ZN7rocprim17ROCPRIM_400000_NS6detail17trampoline_kernelINS0_14default_configENS1_22reduce_config_selectorIlEEZNS1_11reduce_implILb1ES3_N6thrust23THRUST_200600_302600_NS11hip_rocprim26transform_input_iterator_tIlNS8_12zip_iteratorINS8_5tupleINS8_6detail15normal_iteratorINS8_10device_ptrIdEEEESH_NS8_9null_typeESI_SI_SI_SI_SI_SI_SI_EEEENS9_21zip_adj_not_predicateI22is_equal_div_10_uniqueIdEEEEEPllNS8_4plusIlEEEE10hipError_tPvRmT1_T2_T3_mT4_P12ihipStream_tbEUlT_E0_NS1_11comp_targetILNS1_3genE5ELNS1_11target_archE942ELNS1_3gpuE9ELNS1_3repE0EEENS1_30default_config_static_selectorELNS0_4arch9wavefront6targetE1EEEvSW_.uses_flat_scratch, 0
	.set _ZN7rocprim17ROCPRIM_400000_NS6detail17trampoline_kernelINS0_14default_configENS1_22reduce_config_selectorIlEEZNS1_11reduce_implILb1ES3_N6thrust23THRUST_200600_302600_NS11hip_rocprim26transform_input_iterator_tIlNS8_12zip_iteratorINS8_5tupleINS8_6detail15normal_iteratorINS8_10device_ptrIdEEEESH_NS8_9null_typeESI_SI_SI_SI_SI_SI_SI_EEEENS9_21zip_adj_not_predicateI22is_equal_div_10_uniqueIdEEEEEPllNS8_4plusIlEEEE10hipError_tPvRmT1_T2_T3_mT4_P12ihipStream_tbEUlT_E0_NS1_11comp_targetILNS1_3genE5ELNS1_11target_archE942ELNS1_3gpuE9ELNS1_3repE0EEENS1_30default_config_static_selectorELNS0_4arch9wavefront6targetE1EEEvSW_.has_dyn_sized_stack, 0
	.set _ZN7rocprim17ROCPRIM_400000_NS6detail17trampoline_kernelINS0_14default_configENS1_22reduce_config_selectorIlEEZNS1_11reduce_implILb1ES3_N6thrust23THRUST_200600_302600_NS11hip_rocprim26transform_input_iterator_tIlNS8_12zip_iteratorINS8_5tupleINS8_6detail15normal_iteratorINS8_10device_ptrIdEEEESH_NS8_9null_typeESI_SI_SI_SI_SI_SI_SI_EEEENS9_21zip_adj_not_predicateI22is_equal_div_10_uniqueIdEEEEEPllNS8_4plusIlEEEE10hipError_tPvRmT1_T2_T3_mT4_P12ihipStream_tbEUlT_E0_NS1_11comp_targetILNS1_3genE5ELNS1_11target_archE942ELNS1_3gpuE9ELNS1_3repE0EEENS1_30default_config_static_selectorELNS0_4arch9wavefront6targetE1EEEvSW_.has_recursion, 0
	.set _ZN7rocprim17ROCPRIM_400000_NS6detail17trampoline_kernelINS0_14default_configENS1_22reduce_config_selectorIlEEZNS1_11reduce_implILb1ES3_N6thrust23THRUST_200600_302600_NS11hip_rocprim26transform_input_iterator_tIlNS8_12zip_iteratorINS8_5tupleINS8_6detail15normal_iteratorINS8_10device_ptrIdEEEESH_NS8_9null_typeESI_SI_SI_SI_SI_SI_SI_EEEENS9_21zip_adj_not_predicateI22is_equal_div_10_uniqueIdEEEEEPllNS8_4plusIlEEEE10hipError_tPvRmT1_T2_T3_mT4_P12ihipStream_tbEUlT_E0_NS1_11comp_targetILNS1_3genE5ELNS1_11target_archE942ELNS1_3gpuE9ELNS1_3repE0EEENS1_30default_config_static_selectorELNS0_4arch9wavefront6targetE1EEEvSW_.has_indirect_call, 0
	.section	.AMDGPU.csdata,"",@progbits
; Kernel info:
; codeLenInByte = 0
; TotalNumSgprs: 4
; NumVgprs: 0
; ScratchSize: 0
; MemoryBound: 0
; FloatMode: 240
; IeeeMode: 1
; LDSByteSize: 0 bytes/workgroup (compile time only)
; SGPRBlocks: 0
; VGPRBlocks: 0
; NumSGPRsForWavesPerEU: 4
; NumVGPRsForWavesPerEU: 1
; Occupancy: 10
; WaveLimiterHint : 0
; COMPUTE_PGM_RSRC2:SCRATCH_EN: 0
; COMPUTE_PGM_RSRC2:USER_SGPR: 6
; COMPUTE_PGM_RSRC2:TRAP_HANDLER: 0
; COMPUTE_PGM_RSRC2:TGID_X_EN: 1
; COMPUTE_PGM_RSRC2:TGID_Y_EN: 0
; COMPUTE_PGM_RSRC2:TGID_Z_EN: 0
; COMPUTE_PGM_RSRC2:TIDIG_COMP_CNT: 0
	.section	.text._ZN7rocprim17ROCPRIM_400000_NS6detail17trampoline_kernelINS0_14default_configENS1_22reduce_config_selectorIlEEZNS1_11reduce_implILb1ES3_N6thrust23THRUST_200600_302600_NS11hip_rocprim26transform_input_iterator_tIlNS8_12zip_iteratorINS8_5tupleINS8_6detail15normal_iteratorINS8_10device_ptrIdEEEESH_NS8_9null_typeESI_SI_SI_SI_SI_SI_SI_EEEENS9_21zip_adj_not_predicateI22is_equal_div_10_uniqueIdEEEEEPllNS8_4plusIlEEEE10hipError_tPvRmT1_T2_T3_mT4_P12ihipStream_tbEUlT_E0_NS1_11comp_targetILNS1_3genE4ELNS1_11target_archE910ELNS1_3gpuE8ELNS1_3repE0EEENS1_30default_config_static_selectorELNS0_4arch9wavefront6targetE1EEEvSW_,"axG",@progbits,_ZN7rocprim17ROCPRIM_400000_NS6detail17trampoline_kernelINS0_14default_configENS1_22reduce_config_selectorIlEEZNS1_11reduce_implILb1ES3_N6thrust23THRUST_200600_302600_NS11hip_rocprim26transform_input_iterator_tIlNS8_12zip_iteratorINS8_5tupleINS8_6detail15normal_iteratorINS8_10device_ptrIdEEEESH_NS8_9null_typeESI_SI_SI_SI_SI_SI_SI_EEEENS9_21zip_adj_not_predicateI22is_equal_div_10_uniqueIdEEEEEPllNS8_4plusIlEEEE10hipError_tPvRmT1_T2_T3_mT4_P12ihipStream_tbEUlT_E0_NS1_11comp_targetILNS1_3genE4ELNS1_11target_archE910ELNS1_3gpuE8ELNS1_3repE0EEENS1_30default_config_static_selectorELNS0_4arch9wavefront6targetE1EEEvSW_,comdat
	.protected	_ZN7rocprim17ROCPRIM_400000_NS6detail17trampoline_kernelINS0_14default_configENS1_22reduce_config_selectorIlEEZNS1_11reduce_implILb1ES3_N6thrust23THRUST_200600_302600_NS11hip_rocprim26transform_input_iterator_tIlNS8_12zip_iteratorINS8_5tupleINS8_6detail15normal_iteratorINS8_10device_ptrIdEEEESH_NS8_9null_typeESI_SI_SI_SI_SI_SI_SI_EEEENS9_21zip_adj_not_predicateI22is_equal_div_10_uniqueIdEEEEEPllNS8_4plusIlEEEE10hipError_tPvRmT1_T2_T3_mT4_P12ihipStream_tbEUlT_E0_NS1_11comp_targetILNS1_3genE4ELNS1_11target_archE910ELNS1_3gpuE8ELNS1_3repE0EEENS1_30default_config_static_selectorELNS0_4arch9wavefront6targetE1EEEvSW_ ; -- Begin function _ZN7rocprim17ROCPRIM_400000_NS6detail17trampoline_kernelINS0_14default_configENS1_22reduce_config_selectorIlEEZNS1_11reduce_implILb1ES3_N6thrust23THRUST_200600_302600_NS11hip_rocprim26transform_input_iterator_tIlNS8_12zip_iteratorINS8_5tupleINS8_6detail15normal_iteratorINS8_10device_ptrIdEEEESH_NS8_9null_typeESI_SI_SI_SI_SI_SI_SI_EEEENS9_21zip_adj_not_predicateI22is_equal_div_10_uniqueIdEEEEEPllNS8_4plusIlEEEE10hipError_tPvRmT1_T2_T3_mT4_P12ihipStream_tbEUlT_E0_NS1_11comp_targetILNS1_3genE4ELNS1_11target_archE910ELNS1_3gpuE8ELNS1_3repE0EEENS1_30default_config_static_selectorELNS0_4arch9wavefront6targetE1EEEvSW_
	.globl	_ZN7rocprim17ROCPRIM_400000_NS6detail17trampoline_kernelINS0_14default_configENS1_22reduce_config_selectorIlEEZNS1_11reduce_implILb1ES3_N6thrust23THRUST_200600_302600_NS11hip_rocprim26transform_input_iterator_tIlNS8_12zip_iteratorINS8_5tupleINS8_6detail15normal_iteratorINS8_10device_ptrIdEEEESH_NS8_9null_typeESI_SI_SI_SI_SI_SI_SI_EEEENS9_21zip_adj_not_predicateI22is_equal_div_10_uniqueIdEEEEEPllNS8_4plusIlEEEE10hipError_tPvRmT1_T2_T3_mT4_P12ihipStream_tbEUlT_E0_NS1_11comp_targetILNS1_3genE4ELNS1_11target_archE910ELNS1_3gpuE8ELNS1_3repE0EEENS1_30default_config_static_selectorELNS0_4arch9wavefront6targetE1EEEvSW_
	.p2align	8
	.type	_ZN7rocprim17ROCPRIM_400000_NS6detail17trampoline_kernelINS0_14default_configENS1_22reduce_config_selectorIlEEZNS1_11reduce_implILb1ES3_N6thrust23THRUST_200600_302600_NS11hip_rocprim26transform_input_iterator_tIlNS8_12zip_iteratorINS8_5tupleINS8_6detail15normal_iteratorINS8_10device_ptrIdEEEESH_NS8_9null_typeESI_SI_SI_SI_SI_SI_SI_EEEENS9_21zip_adj_not_predicateI22is_equal_div_10_uniqueIdEEEEEPllNS8_4plusIlEEEE10hipError_tPvRmT1_T2_T3_mT4_P12ihipStream_tbEUlT_E0_NS1_11comp_targetILNS1_3genE4ELNS1_11target_archE910ELNS1_3gpuE8ELNS1_3repE0EEENS1_30default_config_static_selectorELNS0_4arch9wavefront6targetE1EEEvSW_,@function
_ZN7rocprim17ROCPRIM_400000_NS6detail17trampoline_kernelINS0_14default_configENS1_22reduce_config_selectorIlEEZNS1_11reduce_implILb1ES3_N6thrust23THRUST_200600_302600_NS11hip_rocprim26transform_input_iterator_tIlNS8_12zip_iteratorINS8_5tupleINS8_6detail15normal_iteratorINS8_10device_ptrIdEEEESH_NS8_9null_typeESI_SI_SI_SI_SI_SI_SI_EEEENS9_21zip_adj_not_predicateI22is_equal_div_10_uniqueIdEEEEEPllNS8_4plusIlEEEE10hipError_tPvRmT1_T2_T3_mT4_P12ihipStream_tbEUlT_E0_NS1_11comp_targetILNS1_3genE4ELNS1_11target_archE910ELNS1_3gpuE8ELNS1_3repE0EEENS1_30default_config_static_selectorELNS0_4arch9wavefront6targetE1EEEvSW_: ; @_ZN7rocprim17ROCPRIM_400000_NS6detail17trampoline_kernelINS0_14default_configENS1_22reduce_config_selectorIlEEZNS1_11reduce_implILb1ES3_N6thrust23THRUST_200600_302600_NS11hip_rocprim26transform_input_iterator_tIlNS8_12zip_iteratorINS8_5tupleINS8_6detail15normal_iteratorINS8_10device_ptrIdEEEESH_NS8_9null_typeESI_SI_SI_SI_SI_SI_SI_EEEENS9_21zip_adj_not_predicateI22is_equal_div_10_uniqueIdEEEEEPllNS8_4plusIlEEEE10hipError_tPvRmT1_T2_T3_mT4_P12ihipStream_tbEUlT_E0_NS1_11comp_targetILNS1_3genE4ELNS1_11target_archE910ELNS1_3gpuE8ELNS1_3repE0EEENS1_30default_config_static_selectorELNS0_4arch9wavefront6targetE1EEEvSW_
; %bb.0:
	.section	.rodata,"a",@progbits
	.p2align	6, 0x0
	.amdhsa_kernel _ZN7rocprim17ROCPRIM_400000_NS6detail17trampoline_kernelINS0_14default_configENS1_22reduce_config_selectorIlEEZNS1_11reduce_implILb1ES3_N6thrust23THRUST_200600_302600_NS11hip_rocprim26transform_input_iterator_tIlNS8_12zip_iteratorINS8_5tupleINS8_6detail15normal_iteratorINS8_10device_ptrIdEEEESH_NS8_9null_typeESI_SI_SI_SI_SI_SI_SI_EEEENS9_21zip_adj_not_predicateI22is_equal_div_10_uniqueIdEEEEEPllNS8_4plusIlEEEE10hipError_tPvRmT1_T2_T3_mT4_P12ihipStream_tbEUlT_E0_NS1_11comp_targetILNS1_3genE4ELNS1_11target_archE910ELNS1_3gpuE8ELNS1_3repE0EEENS1_30default_config_static_selectorELNS0_4arch9wavefront6targetE1EEEvSW_
		.amdhsa_group_segment_fixed_size 0
		.amdhsa_private_segment_fixed_size 0
		.amdhsa_kernarg_size 80
		.amdhsa_user_sgpr_count 6
		.amdhsa_user_sgpr_private_segment_buffer 1
		.amdhsa_user_sgpr_dispatch_ptr 0
		.amdhsa_user_sgpr_queue_ptr 0
		.amdhsa_user_sgpr_kernarg_segment_ptr 1
		.amdhsa_user_sgpr_dispatch_id 0
		.amdhsa_user_sgpr_flat_scratch_init 0
		.amdhsa_user_sgpr_private_segment_size 0
		.amdhsa_uses_dynamic_stack 0
		.amdhsa_system_sgpr_private_segment_wavefront_offset 0
		.amdhsa_system_sgpr_workgroup_id_x 1
		.amdhsa_system_sgpr_workgroup_id_y 0
		.amdhsa_system_sgpr_workgroup_id_z 0
		.amdhsa_system_sgpr_workgroup_info 0
		.amdhsa_system_vgpr_workitem_id 0
		.amdhsa_next_free_vgpr 1
		.amdhsa_next_free_sgpr 0
		.amdhsa_reserve_vcc 0
		.amdhsa_reserve_flat_scratch 0
		.amdhsa_float_round_mode_32 0
		.amdhsa_float_round_mode_16_64 0
		.amdhsa_float_denorm_mode_32 3
		.amdhsa_float_denorm_mode_16_64 3
		.amdhsa_dx10_clamp 1
		.amdhsa_ieee_mode 1
		.amdhsa_fp16_overflow 0
		.amdhsa_exception_fp_ieee_invalid_op 0
		.amdhsa_exception_fp_denorm_src 0
		.amdhsa_exception_fp_ieee_div_zero 0
		.amdhsa_exception_fp_ieee_overflow 0
		.amdhsa_exception_fp_ieee_underflow 0
		.amdhsa_exception_fp_ieee_inexact 0
		.amdhsa_exception_int_div_zero 0
	.end_amdhsa_kernel
	.section	.text._ZN7rocprim17ROCPRIM_400000_NS6detail17trampoline_kernelINS0_14default_configENS1_22reduce_config_selectorIlEEZNS1_11reduce_implILb1ES3_N6thrust23THRUST_200600_302600_NS11hip_rocprim26transform_input_iterator_tIlNS8_12zip_iteratorINS8_5tupleINS8_6detail15normal_iteratorINS8_10device_ptrIdEEEESH_NS8_9null_typeESI_SI_SI_SI_SI_SI_SI_EEEENS9_21zip_adj_not_predicateI22is_equal_div_10_uniqueIdEEEEEPllNS8_4plusIlEEEE10hipError_tPvRmT1_T2_T3_mT4_P12ihipStream_tbEUlT_E0_NS1_11comp_targetILNS1_3genE4ELNS1_11target_archE910ELNS1_3gpuE8ELNS1_3repE0EEENS1_30default_config_static_selectorELNS0_4arch9wavefront6targetE1EEEvSW_,"axG",@progbits,_ZN7rocprim17ROCPRIM_400000_NS6detail17trampoline_kernelINS0_14default_configENS1_22reduce_config_selectorIlEEZNS1_11reduce_implILb1ES3_N6thrust23THRUST_200600_302600_NS11hip_rocprim26transform_input_iterator_tIlNS8_12zip_iteratorINS8_5tupleINS8_6detail15normal_iteratorINS8_10device_ptrIdEEEESH_NS8_9null_typeESI_SI_SI_SI_SI_SI_SI_EEEENS9_21zip_adj_not_predicateI22is_equal_div_10_uniqueIdEEEEEPllNS8_4plusIlEEEE10hipError_tPvRmT1_T2_T3_mT4_P12ihipStream_tbEUlT_E0_NS1_11comp_targetILNS1_3genE4ELNS1_11target_archE910ELNS1_3gpuE8ELNS1_3repE0EEENS1_30default_config_static_selectorELNS0_4arch9wavefront6targetE1EEEvSW_,comdat
.Lfunc_end763:
	.size	_ZN7rocprim17ROCPRIM_400000_NS6detail17trampoline_kernelINS0_14default_configENS1_22reduce_config_selectorIlEEZNS1_11reduce_implILb1ES3_N6thrust23THRUST_200600_302600_NS11hip_rocprim26transform_input_iterator_tIlNS8_12zip_iteratorINS8_5tupleINS8_6detail15normal_iteratorINS8_10device_ptrIdEEEESH_NS8_9null_typeESI_SI_SI_SI_SI_SI_SI_EEEENS9_21zip_adj_not_predicateI22is_equal_div_10_uniqueIdEEEEEPllNS8_4plusIlEEEE10hipError_tPvRmT1_T2_T3_mT4_P12ihipStream_tbEUlT_E0_NS1_11comp_targetILNS1_3genE4ELNS1_11target_archE910ELNS1_3gpuE8ELNS1_3repE0EEENS1_30default_config_static_selectorELNS0_4arch9wavefront6targetE1EEEvSW_, .Lfunc_end763-_ZN7rocprim17ROCPRIM_400000_NS6detail17trampoline_kernelINS0_14default_configENS1_22reduce_config_selectorIlEEZNS1_11reduce_implILb1ES3_N6thrust23THRUST_200600_302600_NS11hip_rocprim26transform_input_iterator_tIlNS8_12zip_iteratorINS8_5tupleINS8_6detail15normal_iteratorINS8_10device_ptrIdEEEESH_NS8_9null_typeESI_SI_SI_SI_SI_SI_SI_EEEENS9_21zip_adj_not_predicateI22is_equal_div_10_uniqueIdEEEEEPllNS8_4plusIlEEEE10hipError_tPvRmT1_T2_T3_mT4_P12ihipStream_tbEUlT_E0_NS1_11comp_targetILNS1_3genE4ELNS1_11target_archE910ELNS1_3gpuE8ELNS1_3repE0EEENS1_30default_config_static_selectorELNS0_4arch9wavefront6targetE1EEEvSW_
                                        ; -- End function
	.set _ZN7rocprim17ROCPRIM_400000_NS6detail17trampoline_kernelINS0_14default_configENS1_22reduce_config_selectorIlEEZNS1_11reduce_implILb1ES3_N6thrust23THRUST_200600_302600_NS11hip_rocprim26transform_input_iterator_tIlNS8_12zip_iteratorINS8_5tupleINS8_6detail15normal_iteratorINS8_10device_ptrIdEEEESH_NS8_9null_typeESI_SI_SI_SI_SI_SI_SI_EEEENS9_21zip_adj_not_predicateI22is_equal_div_10_uniqueIdEEEEEPllNS8_4plusIlEEEE10hipError_tPvRmT1_T2_T3_mT4_P12ihipStream_tbEUlT_E0_NS1_11comp_targetILNS1_3genE4ELNS1_11target_archE910ELNS1_3gpuE8ELNS1_3repE0EEENS1_30default_config_static_selectorELNS0_4arch9wavefront6targetE1EEEvSW_.num_vgpr, 0
	.set _ZN7rocprim17ROCPRIM_400000_NS6detail17trampoline_kernelINS0_14default_configENS1_22reduce_config_selectorIlEEZNS1_11reduce_implILb1ES3_N6thrust23THRUST_200600_302600_NS11hip_rocprim26transform_input_iterator_tIlNS8_12zip_iteratorINS8_5tupleINS8_6detail15normal_iteratorINS8_10device_ptrIdEEEESH_NS8_9null_typeESI_SI_SI_SI_SI_SI_SI_EEEENS9_21zip_adj_not_predicateI22is_equal_div_10_uniqueIdEEEEEPllNS8_4plusIlEEEE10hipError_tPvRmT1_T2_T3_mT4_P12ihipStream_tbEUlT_E0_NS1_11comp_targetILNS1_3genE4ELNS1_11target_archE910ELNS1_3gpuE8ELNS1_3repE0EEENS1_30default_config_static_selectorELNS0_4arch9wavefront6targetE1EEEvSW_.num_agpr, 0
	.set _ZN7rocprim17ROCPRIM_400000_NS6detail17trampoline_kernelINS0_14default_configENS1_22reduce_config_selectorIlEEZNS1_11reduce_implILb1ES3_N6thrust23THRUST_200600_302600_NS11hip_rocprim26transform_input_iterator_tIlNS8_12zip_iteratorINS8_5tupleINS8_6detail15normal_iteratorINS8_10device_ptrIdEEEESH_NS8_9null_typeESI_SI_SI_SI_SI_SI_SI_EEEENS9_21zip_adj_not_predicateI22is_equal_div_10_uniqueIdEEEEEPllNS8_4plusIlEEEE10hipError_tPvRmT1_T2_T3_mT4_P12ihipStream_tbEUlT_E0_NS1_11comp_targetILNS1_3genE4ELNS1_11target_archE910ELNS1_3gpuE8ELNS1_3repE0EEENS1_30default_config_static_selectorELNS0_4arch9wavefront6targetE1EEEvSW_.numbered_sgpr, 0
	.set _ZN7rocprim17ROCPRIM_400000_NS6detail17trampoline_kernelINS0_14default_configENS1_22reduce_config_selectorIlEEZNS1_11reduce_implILb1ES3_N6thrust23THRUST_200600_302600_NS11hip_rocprim26transform_input_iterator_tIlNS8_12zip_iteratorINS8_5tupleINS8_6detail15normal_iteratorINS8_10device_ptrIdEEEESH_NS8_9null_typeESI_SI_SI_SI_SI_SI_SI_EEEENS9_21zip_adj_not_predicateI22is_equal_div_10_uniqueIdEEEEEPllNS8_4plusIlEEEE10hipError_tPvRmT1_T2_T3_mT4_P12ihipStream_tbEUlT_E0_NS1_11comp_targetILNS1_3genE4ELNS1_11target_archE910ELNS1_3gpuE8ELNS1_3repE0EEENS1_30default_config_static_selectorELNS0_4arch9wavefront6targetE1EEEvSW_.num_named_barrier, 0
	.set _ZN7rocprim17ROCPRIM_400000_NS6detail17trampoline_kernelINS0_14default_configENS1_22reduce_config_selectorIlEEZNS1_11reduce_implILb1ES3_N6thrust23THRUST_200600_302600_NS11hip_rocprim26transform_input_iterator_tIlNS8_12zip_iteratorINS8_5tupleINS8_6detail15normal_iteratorINS8_10device_ptrIdEEEESH_NS8_9null_typeESI_SI_SI_SI_SI_SI_SI_EEEENS9_21zip_adj_not_predicateI22is_equal_div_10_uniqueIdEEEEEPllNS8_4plusIlEEEE10hipError_tPvRmT1_T2_T3_mT4_P12ihipStream_tbEUlT_E0_NS1_11comp_targetILNS1_3genE4ELNS1_11target_archE910ELNS1_3gpuE8ELNS1_3repE0EEENS1_30default_config_static_selectorELNS0_4arch9wavefront6targetE1EEEvSW_.private_seg_size, 0
	.set _ZN7rocprim17ROCPRIM_400000_NS6detail17trampoline_kernelINS0_14default_configENS1_22reduce_config_selectorIlEEZNS1_11reduce_implILb1ES3_N6thrust23THRUST_200600_302600_NS11hip_rocprim26transform_input_iterator_tIlNS8_12zip_iteratorINS8_5tupleINS8_6detail15normal_iteratorINS8_10device_ptrIdEEEESH_NS8_9null_typeESI_SI_SI_SI_SI_SI_SI_EEEENS9_21zip_adj_not_predicateI22is_equal_div_10_uniqueIdEEEEEPllNS8_4plusIlEEEE10hipError_tPvRmT1_T2_T3_mT4_P12ihipStream_tbEUlT_E0_NS1_11comp_targetILNS1_3genE4ELNS1_11target_archE910ELNS1_3gpuE8ELNS1_3repE0EEENS1_30default_config_static_selectorELNS0_4arch9wavefront6targetE1EEEvSW_.uses_vcc, 0
	.set _ZN7rocprim17ROCPRIM_400000_NS6detail17trampoline_kernelINS0_14default_configENS1_22reduce_config_selectorIlEEZNS1_11reduce_implILb1ES3_N6thrust23THRUST_200600_302600_NS11hip_rocprim26transform_input_iterator_tIlNS8_12zip_iteratorINS8_5tupleINS8_6detail15normal_iteratorINS8_10device_ptrIdEEEESH_NS8_9null_typeESI_SI_SI_SI_SI_SI_SI_EEEENS9_21zip_adj_not_predicateI22is_equal_div_10_uniqueIdEEEEEPllNS8_4plusIlEEEE10hipError_tPvRmT1_T2_T3_mT4_P12ihipStream_tbEUlT_E0_NS1_11comp_targetILNS1_3genE4ELNS1_11target_archE910ELNS1_3gpuE8ELNS1_3repE0EEENS1_30default_config_static_selectorELNS0_4arch9wavefront6targetE1EEEvSW_.uses_flat_scratch, 0
	.set _ZN7rocprim17ROCPRIM_400000_NS6detail17trampoline_kernelINS0_14default_configENS1_22reduce_config_selectorIlEEZNS1_11reduce_implILb1ES3_N6thrust23THRUST_200600_302600_NS11hip_rocprim26transform_input_iterator_tIlNS8_12zip_iteratorINS8_5tupleINS8_6detail15normal_iteratorINS8_10device_ptrIdEEEESH_NS8_9null_typeESI_SI_SI_SI_SI_SI_SI_EEEENS9_21zip_adj_not_predicateI22is_equal_div_10_uniqueIdEEEEEPllNS8_4plusIlEEEE10hipError_tPvRmT1_T2_T3_mT4_P12ihipStream_tbEUlT_E0_NS1_11comp_targetILNS1_3genE4ELNS1_11target_archE910ELNS1_3gpuE8ELNS1_3repE0EEENS1_30default_config_static_selectorELNS0_4arch9wavefront6targetE1EEEvSW_.has_dyn_sized_stack, 0
	.set _ZN7rocprim17ROCPRIM_400000_NS6detail17trampoline_kernelINS0_14default_configENS1_22reduce_config_selectorIlEEZNS1_11reduce_implILb1ES3_N6thrust23THRUST_200600_302600_NS11hip_rocprim26transform_input_iterator_tIlNS8_12zip_iteratorINS8_5tupleINS8_6detail15normal_iteratorINS8_10device_ptrIdEEEESH_NS8_9null_typeESI_SI_SI_SI_SI_SI_SI_EEEENS9_21zip_adj_not_predicateI22is_equal_div_10_uniqueIdEEEEEPllNS8_4plusIlEEEE10hipError_tPvRmT1_T2_T3_mT4_P12ihipStream_tbEUlT_E0_NS1_11comp_targetILNS1_3genE4ELNS1_11target_archE910ELNS1_3gpuE8ELNS1_3repE0EEENS1_30default_config_static_selectorELNS0_4arch9wavefront6targetE1EEEvSW_.has_recursion, 0
	.set _ZN7rocprim17ROCPRIM_400000_NS6detail17trampoline_kernelINS0_14default_configENS1_22reduce_config_selectorIlEEZNS1_11reduce_implILb1ES3_N6thrust23THRUST_200600_302600_NS11hip_rocprim26transform_input_iterator_tIlNS8_12zip_iteratorINS8_5tupleINS8_6detail15normal_iteratorINS8_10device_ptrIdEEEESH_NS8_9null_typeESI_SI_SI_SI_SI_SI_SI_EEEENS9_21zip_adj_not_predicateI22is_equal_div_10_uniqueIdEEEEEPllNS8_4plusIlEEEE10hipError_tPvRmT1_T2_T3_mT4_P12ihipStream_tbEUlT_E0_NS1_11comp_targetILNS1_3genE4ELNS1_11target_archE910ELNS1_3gpuE8ELNS1_3repE0EEENS1_30default_config_static_selectorELNS0_4arch9wavefront6targetE1EEEvSW_.has_indirect_call, 0
	.section	.AMDGPU.csdata,"",@progbits
; Kernel info:
; codeLenInByte = 0
; TotalNumSgprs: 4
; NumVgprs: 0
; ScratchSize: 0
; MemoryBound: 0
; FloatMode: 240
; IeeeMode: 1
; LDSByteSize: 0 bytes/workgroup (compile time only)
; SGPRBlocks: 0
; VGPRBlocks: 0
; NumSGPRsForWavesPerEU: 4
; NumVGPRsForWavesPerEU: 1
; Occupancy: 10
; WaveLimiterHint : 0
; COMPUTE_PGM_RSRC2:SCRATCH_EN: 0
; COMPUTE_PGM_RSRC2:USER_SGPR: 6
; COMPUTE_PGM_RSRC2:TRAP_HANDLER: 0
; COMPUTE_PGM_RSRC2:TGID_X_EN: 1
; COMPUTE_PGM_RSRC2:TGID_Y_EN: 0
; COMPUTE_PGM_RSRC2:TGID_Z_EN: 0
; COMPUTE_PGM_RSRC2:TIDIG_COMP_CNT: 0
	.section	.text._ZN7rocprim17ROCPRIM_400000_NS6detail17trampoline_kernelINS0_14default_configENS1_22reduce_config_selectorIlEEZNS1_11reduce_implILb1ES3_N6thrust23THRUST_200600_302600_NS11hip_rocprim26transform_input_iterator_tIlNS8_12zip_iteratorINS8_5tupleINS8_6detail15normal_iteratorINS8_10device_ptrIdEEEESH_NS8_9null_typeESI_SI_SI_SI_SI_SI_SI_EEEENS9_21zip_adj_not_predicateI22is_equal_div_10_uniqueIdEEEEEPllNS8_4plusIlEEEE10hipError_tPvRmT1_T2_T3_mT4_P12ihipStream_tbEUlT_E0_NS1_11comp_targetILNS1_3genE3ELNS1_11target_archE908ELNS1_3gpuE7ELNS1_3repE0EEENS1_30default_config_static_selectorELNS0_4arch9wavefront6targetE1EEEvSW_,"axG",@progbits,_ZN7rocprim17ROCPRIM_400000_NS6detail17trampoline_kernelINS0_14default_configENS1_22reduce_config_selectorIlEEZNS1_11reduce_implILb1ES3_N6thrust23THRUST_200600_302600_NS11hip_rocprim26transform_input_iterator_tIlNS8_12zip_iteratorINS8_5tupleINS8_6detail15normal_iteratorINS8_10device_ptrIdEEEESH_NS8_9null_typeESI_SI_SI_SI_SI_SI_SI_EEEENS9_21zip_adj_not_predicateI22is_equal_div_10_uniqueIdEEEEEPllNS8_4plusIlEEEE10hipError_tPvRmT1_T2_T3_mT4_P12ihipStream_tbEUlT_E0_NS1_11comp_targetILNS1_3genE3ELNS1_11target_archE908ELNS1_3gpuE7ELNS1_3repE0EEENS1_30default_config_static_selectorELNS0_4arch9wavefront6targetE1EEEvSW_,comdat
	.protected	_ZN7rocprim17ROCPRIM_400000_NS6detail17trampoline_kernelINS0_14default_configENS1_22reduce_config_selectorIlEEZNS1_11reduce_implILb1ES3_N6thrust23THRUST_200600_302600_NS11hip_rocprim26transform_input_iterator_tIlNS8_12zip_iteratorINS8_5tupleINS8_6detail15normal_iteratorINS8_10device_ptrIdEEEESH_NS8_9null_typeESI_SI_SI_SI_SI_SI_SI_EEEENS9_21zip_adj_not_predicateI22is_equal_div_10_uniqueIdEEEEEPllNS8_4plusIlEEEE10hipError_tPvRmT1_T2_T3_mT4_P12ihipStream_tbEUlT_E0_NS1_11comp_targetILNS1_3genE3ELNS1_11target_archE908ELNS1_3gpuE7ELNS1_3repE0EEENS1_30default_config_static_selectorELNS0_4arch9wavefront6targetE1EEEvSW_ ; -- Begin function _ZN7rocprim17ROCPRIM_400000_NS6detail17trampoline_kernelINS0_14default_configENS1_22reduce_config_selectorIlEEZNS1_11reduce_implILb1ES3_N6thrust23THRUST_200600_302600_NS11hip_rocprim26transform_input_iterator_tIlNS8_12zip_iteratorINS8_5tupleINS8_6detail15normal_iteratorINS8_10device_ptrIdEEEESH_NS8_9null_typeESI_SI_SI_SI_SI_SI_SI_EEEENS9_21zip_adj_not_predicateI22is_equal_div_10_uniqueIdEEEEEPllNS8_4plusIlEEEE10hipError_tPvRmT1_T2_T3_mT4_P12ihipStream_tbEUlT_E0_NS1_11comp_targetILNS1_3genE3ELNS1_11target_archE908ELNS1_3gpuE7ELNS1_3repE0EEENS1_30default_config_static_selectorELNS0_4arch9wavefront6targetE1EEEvSW_
	.globl	_ZN7rocprim17ROCPRIM_400000_NS6detail17trampoline_kernelINS0_14default_configENS1_22reduce_config_selectorIlEEZNS1_11reduce_implILb1ES3_N6thrust23THRUST_200600_302600_NS11hip_rocprim26transform_input_iterator_tIlNS8_12zip_iteratorINS8_5tupleINS8_6detail15normal_iteratorINS8_10device_ptrIdEEEESH_NS8_9null_typeESI_SI_SI_SI_SI_SI_SI_EEEENS9_21zip_adj_not_predicateI22is_equal_div_10_uniqueIdEEEEEPllNS8_4plusIlEEEE10hipError_tPvRmT1_T2_T3_mT4_P12ihipStream_tbEUlT_E0_NS1_11comp_targetILNS1_3genE3ELNS1_11target_archE908ELNS1_3gpuE7ELNS1_3repE0EEENS1_30default_config_static_selectorELNS0_4arch9wavefront6targetE1EEEvSW_
	.p2align	8
	.type	_ZN7rocprim17ROCPRIM_400000_NS6detail17trampoline_kernelINS0_14default_configENS1_22reduce_config_selectorIlEEZNS1_11reduce_implILb1ES3_N6thrust23THRUST_200600_302600_NS11hip_rocprim26transform_input_iterator_tIlNS8_12zip_iteratorINS8_5tupleINS8_6detail15normal_iteratorINS8_10device_ptrIdEEEESH_NS8_9null_typeESI_SI_SI_SI_SI_SI_SI_EEEENS9_21zip_adj_not_predicateI22is_equal_div_10_uniqueIdEEEEEPllNS8_4plusIlEEEE10hipError_tPvRmT1_T2_T3_mT4_P12ihipStream_tbEUlT_E0_NS1_11comp_targetILNS1_3genE3ELNS1_11target_archE908ELNS1_3gpuE7ELNS1_3repE0EEENS1_30default_config_static_selectorELNS0_4arch9wavefront6targetE1EEEvSW_,@function
_ZN7rocprim17ROCPRIM_400000_NS6detail17trampoline_kernelINS0_14default_configENS1_22reduce_config_selectorIlEEZNS1_11reduce_implILb1ES3_N6thrust23THRUST_200600_302600_NS11hip_rocprim26transform_input_iterator_tIlNS8_12zip_iteratorINS8_5tupleINS8_6detail15normal_iteratorINS8_10device_ptrIdEEEESH_NS8_9null_typeESI_SI_SI_SI_SI_SI_SI_EEEENS9_21zip_adj_not_predicateI22is_equal_div_10_uniqueIdEEEEEPllNS8_4plusIlEEEE10hipError_tPvRmT1_T2_T3_mT4_P12ihipStream_tbEUlT_E0_NS1_11comp_targetILNS1_3genE3ELNS1_11target_archE908ELNS1_3gpuE7ELNS1_3repE0EEENS1_30default_config_static_selectorELNS0_4arch9wavefront6targetE1EEEvSW_: ; @_ZN7rocprim17ROCPRIM_400000_NS6detail17trampoline_kernelINS0_14default_configENS1_22reduce_config_selectorIlEEZNS1_11reduce_implILb1ES3_N6thrust23THRUST_200600_302600_NS11hip_rocprim26transform_input_iterator_tIlNS8_12zip_iteratorINS8_5tupleINS8_6detail15normal_iteratorINS8_10device_ptrIdEEEESH_NS8_9null_typeESI_SI_SI_SI_SI_SI_SI_EEEENS9_21zip_adj_not_predicateI22is_equal_div_10_uniqueIdEEEEEPllNS8_4plusIlEEEE10hipError_tPvRmT1_T2_T3_mT4_P12ihipStream_tbEUlT_E0_NS1_11comp_targetILNS1_3genE3ELNS1_11target_archE908ELNS1_3gpuE7ELNS1_3repE0EEENS1_30default_config_static_selectorELNS0_4arch9wavefront6targetE1EEEvSW_
; %bb.0:
	.section	.rodata,"a",@progbits
	.p2align	6, 0x0
	.amdhsa_kernel _ZN7rocprim17ROCPRIM_400000_NS6detail17trampoline_kernelINS0_14default_configENS1_22reduce_config_selectorIlEEZNS1_11reduce_implILb1ES3_N6thrust23THRUST_200600_302600_NS11hip_rocprim26transform_input_iterator_tIlNS8_12zip_iteratorINS8_5tupleINS8_6detail15normal_iteratorINS8_10device_ptrIdEEEESH_NS8_9null_typeESI_SI_SI_SI_SI_SI_SI_EEEENS9_21zip_adj_not_predicateI22is_equal_div_10_uniqueIdEEEEEPllNS8_4plusIlEEEE10hipError_tPvRmT1_T2_T3_mT4_P12ihipStream_tbEUlT_E0_NS1_11comp_targetILNS1_3genE3ELNS1_11target_archE908ELNS1_3gpuE7ELNS1_3repE0EEENS1_30default_config_static_selectorELNS0_4arch9wavefront6targetE1EEEvSW_
		.amdhsa_group_segment_fixed_size 0
		.amdhsa_private_segment_fixed_size 0
		.amdhsa_kernarg_size 80
		.amdhsa_user_sgpr_count 6
		.amdhsa_user_sgpr_private_segment_buffer 1
		.amdhsa_user_sgpr_dispatch_ptr 0
		.amdhsa_user_sgpr_queue_ptr 0
		.amdhsa_user_sgpr_kernarg_segment_ptr 1
		.amdhsa_user_sgpr_dispatch_id 0
		.amdhsa_user_sgpr_flat_scratch_init 0
		.amdhsa_user_sgpr_private_segment_size 0
		.amdhsa_uses_dynamic_stack 0
		.amdhsa_system_sgpr_private_segment_wavefront_offset 0
		.amdhsa_system_sgpr_workgroup_id_x 1
		.amdhsa_system_sgpr_workgroup_id_y 0
		.amdhsa_system_sgpr_workgroup_id_z 0
		.amdhsa_system_sgpr_workgroup_info 0
		.amdhsa_system_vgpr_workitem_id 0
		.amdhsa_next_free_vgpr 1
		.amdhsa_next_free_sgpr 0
		.amdhsa_reserve_vcc 0
		.amdhsa_reserve_flat_scratch 0
		.amdhsa_float_round_mode_32 0
		.amdhsa_float_round_mode_16_64 0
		.amdhsa_float_denorm_mode_32 3
		.amdhsa_float_denorm_mode_16_64 3
		.amdhsa_dx10_clamp 1
		.amdhsa_ieee_mode 1
		.amdhsa_fp16_overflow 0
		.amdhsa_exception_fp_ieee_invalid_op 0
		.amdhsa_exception_fp_denorm_src 0
		.amdhsa_exception_fp_ieee_div_zero 0
		.amdhsa_exception_fp_ieee_overflow 0
		.amdhsa_exception_fp_ieee_underflow 0
		.amdhsa_exception_fp_ieee_inexact 0
		.amdhsa_exception_int_div_zero 0
	.end_amdhsa_kernel
	.section	.text._ZN7rocprim17ROCPRIM_400000_NS6detail17trampoline_kernelINS0_14default_configENS1_22reduce_config_selectorIlEEZNS1_11reduce_implILb1ES3_N6thrust23THRUST_200600_302600_NS11hip_rocprim26transform_input_iterator_tIlNS8_12zip_iteratorINS8_5tupleINS8_6detail15normal_iteratorINS8_10device_ptrIdEEEESH_NS8_9null_typeESI_SI_SI_SI_SI_SI_SI_EEEENS9_21zip_adj_not_predicateI22is_equal_div_10_uniqueIdEEEEEPllNS8_4plusIlEEEE10hipError_tPvRmT1_T2_T3_mT4_P12ihipStream_tbEUlT_E0_NS1_11comp_targetILNS1_3genE3ELNS1_11target_archE908ELNS1_3gpuE7ELNS1_3repE0EEENS1_30default_config_static_selectorELNS0_4arch9wavefront6targetE1EEEvSW_,"axG",@progbits,_ZN7rocprim17ROCPRIM_400000_NS6detail17trampoline_kernelINS0_14default_configENS1_22reduce_config_selectorIlEEZNS1_11reduce_implILb1ES3_N6thrust23THRUST_200600_302600_NS11hip_rocprim26transform_input_iterator_tIlNS8_12zip_iteratorINS8_5tupleINS8_6detail15normal_iteratorINS8_10device_ptrIdEEEESH_NS8_9null_typeESI_SI_SI_SI_SI_SI_SI_EEEENS9_21zip_adj_not_predicateI22is_equal_div_10_uniqueIdEEEEEPllNS8_4plusIlEEEE10hipError_tPvRmT1_T2_T3_mT4_P12ihipStream_tbEUlT_E0_NS1_11comp_targetILNS1_3genE3ELNS1_11target_archE908ELNS1_3gpuE7ELNS1_3repE0EEENS1_30default_config_static_selectorELNS0_4arch9wavefront6targetE1EEEvSW_,comdat
.Lfunc_end764:
	.size	_ZN7rocprim17ROCPRIM_400000_NS6detail17trampoline_kernelINS0_14default_configENS1_22reduce_config_selectorIlEEZNS1_11reduce_implILb1ES3_N6thrust23THRUST_200600_302600_NS11hip_rocprim26transform_input_iterator_tIlNS8_12zip_iteratorINS8_5tupleINS8_6detail15normal_iteratorINS8_10device_ptrIdEEEESH_NS8_9null_typeESI_SI_SI_SI_SI_SI_SI_EEEENS9_21zip_adj_not_predicateI22is_equal_div_10_uniqueIdEEEEEPllNS8_4plusIlEEEE10hipError_tPvRmT1_T2_T3_mT4_P12ihipStream_tbEUlT_E0_NS1_11comp_targetILNS1_3genE3ELNS1_11target_archE908ELNS1_3gpuE7ELNS1_3repE0EEENS1_30default_config_static_selectorELNS0_4arch9wavefront6targetE1EEEvSW_, .Lfunc_end764-_ZN7rocprim17ROCPRIM_400000_NS6detail17trampoline_kernelINS0_14default_configENS1_22reduce_config_selectorIlEEZNS1_11reduce_implILb1ES3_N6thrust23THRUST_200600_302600_NS11hip_rocprim26transform_input_iterator_tIlNS8_12zip_iteratorINS8_5tupleINS8_6detail15normal_iteratorINS8_10device_ptrIdEEEESH_NS8_9null_typeESI_SI_SI_SI_SI_SI_SI_EEEENS9_21zip_adj_not_predicateI22is_equal_div_10_uniqueIdEEEEEPllNS8_4plusIlEEEE10hipError_tPvRmT1_T2_T3_mT4_P12ihipStream_tbEUlT_E0_NS1_11comp_targetILNS1_3genE3ELNS1_11target_archE908ELNS1_3gpuE7ELNS1_3repE0EEENS1_30default_config_static_selectorELNS0_4arch9wavefront6targetE1EEEvSW_
                                        ; -- End function
	.set _ZN7rocprim17ROCPRIM_400000_NS6detail17trampoline_kernelINS0_14default_configENS1_22reduce_config_selectorIlEEZNS1_11reduce_implILb1ES3_N6thrust23THRUST_200600_302600_NS11hip_rocprim26transform_input_iterator_tIlNS8_12zip_iteratorINS8_5tupleINS8_6detail15normal_iteratorINS8_10device_ptrIdEEEESH_NS8_9null_typeESI_SI_SI_SI_SI_SI_SI_EEEENS9_21zip_adj_not_predicateI22is_equal_div_10_uniqueIdEEEEEPllNS8_4plusIlEEEE10hipError_tPvRmT1_T2_T3_mT4_P12ihipStream_tbEUlT_E0_NS1_11comp_targetILNS1_3genE3ELNS1_11target_archE908ELNS1_3gpuE7ELNS1_3repE0EEENS1_30default_config_static_selectorELNS0_4arch9wavefront6targetE1EEEvSW_.num_vgpr, 0
	.set _ZN7rocprim17ROCPRIM_400000_NS6detail17trampoline_kernelINS0_14default_configENS1_22reduce_config_selectorIlEEZNS1_11reduce_implILb1ES3_N6thrust23THRUST_200600_302600_NS11hip_rocprim26transform_input_iterator_tIlNS8_12zip_iteratorINS8_5tupleINS8_6detail15normal_iteratorINS8_10device_ptrIdEEEESH_NS8_9null_typeESI_SI_SI_SI_SI_SI_SI_EEEENS9_21zip_adj_not_predicateI22is_equal_div_10_uniqueIdEEEEEPllNS8_4plusIlEEEE10hipError_tPvRmT1_T2_T3_mT4_P12ihipStream_tbEUlT_E0_NS1_11comp_targetILNS1_3genE3ELNS1_11target_archE908ELNS1_3gpuE7ELNS1_3repE0EEENS1_30default_config_static_selectorELNS0_4arch9wavefront6targetE1EEEvSW_.num_agpr, 0
	.set _ZN7rocprim17ROCPRIM_400000_NS6detail17trampoline_kernelINS0_14default_configENS1_22reduce_config_selectorIlEEZNS1_11reduce_implILb1ES3_N6thrust23THRUST_200600_302600_NS11hip_rocprim26transform_input_iterator_tIlNS8_12zip_iteratorINS8_5tupleINS8_6detail15normal_iteratorINS8_10device_ptrIdEEEESH_NS8_9null_typeESI_SI_SI_SI_SI_SI_SI_EEEENS9_21zip_adj_not_predicateI22is_equal_div_10_uniqueIdEEEEEPllNS8_4plusIlEEEE10hipError_tPvRmT1_T2_T3_mT4_P12ihipStream_tbEUlT_E0_NS1_11comp_targetILNS1_3genE3ELNS1_11target_archE908ELNS1_3gpuE7ELNS1_3repE0EEENS1_30default_config_static_selectorELNS0_4arch9wavefront6targetE1EEEvSW_.numbered_sgpr, 0
	.set _ZN7rocprim17ROCPRIM_400000_NS6detail17trampoline_kernelINS0_14default_configENS1_22reduce_config_selectorIlEEZNS1_11reduce_implILb1ES3_N6thrust23THRUST_200600_302600_NS11hip_rocprim26transform_input_iterator_tIlNS8_12zip_iteratorINS8_5tupleINS8_6detail15normal_iteratorINS8_10device_ptrIdEEEESH_NS8_9null_typeESI_SI_SI_SI_SI_SI_SI_EEEENS9_21zip_adj_not_predicateI22is_equal_div_10_uniqueIdEEEEEPllNS8_4plusIlEEEE10hipError_tPvRmT1_T2_T3_mT4_P12ihipStream_tbEUlT_E0_NS1_11comp_targetILNS1_3genE3ELNS1_11target_archE908ELNS1_3gpuE7ELNS1_3repE0EEENS1_30default_config_static_selectorELNS0_4arch9wavefront6targetE1EEEvSW_.num_named_barrier, 0
	.set _ZN7rocprim17ROCPRIM_400000_NS6detail17trampoline_kernelINS0_14default_configENS1_22reduce_config_selectorIlEEZNS1_11reduce_implILb1ES3_N6thrust23THRUST_200600_302600_NS11hip_rocprim26transform_input_iterator_tIlNS8_12zip_iteratorINS8_5tupleINS8_6detail15normal_iteratorINS8_10device_ptrIdEEEESH_NS8_9null_typeESI_SI_SI_SI_SI_SI_SI_EEEENS9_21zip_adj_not_predicateI22is_equal_div_10_uniqueIdEEEEEPllNS8_4plusIlEEEE10hipError_tPvRmT1_T2_T3_mT4_P12ihipStream_tbEUlT_E0_NS1_11comp_targetILNS1_3genE3ELNS1_11target_archE908ELNS1_3gpuE7ELNS1_3repE0EEENS1_30default_config_static_selectorELNS0_4arch9wavefront6targetE1EEEvSW_.private_seg_size, 0
	.set _ZN7rocprim17ROCPRIM_400000_NS6detail17trampoline_kernelINS0_14default_configENS1_22reduce_config_selectorIlEEZNS1_11reduce_implILb1ES3_N6thrust23THRUST_200600_302600_NS11hip_rocprim26transform_input_iterator_tIlNS8_12zip_iteratorINS8_5tupleINS8_6detail15normal_iteratorINS8_10device_ptrIdEEEESH_NS8_9null_typeESI_SI_SI_SI_SI_SI_SI_EEEENS9_21zip_adj_not_predicateI22is_equal_div_10_uniqueIdEEEEEPllNS8_4plusIlEEEE10hipError_tPvRmT1_T2_T3_mT4_P12ihipStream_tbEUlT_E0_NS1_11comp_targetILNS1_3genE3ELNS1_11target_archE908ELNS1_3gpuE7ELNS1_3repE0EEENS1_30default_config_static_selectorELNS0_4arch9wavefront6targetE1EEEvSW_.uses_vcc, 0
	.set _ZN7rocprim17ROCPRIM_400000_NS6detail17trampoline_kernelINS0_14default_configENS1_22reduce_config_selectorIlEEZNS1_11reduce_implILb1ES3_N6thrust23THRUST_200600_302600_NS11hip_rocprim26transform_input_iterator_tIlNS8_12zip_iteratorINS8_5tupleINS8_6detail15normal_iteratorINS8_10device_ptrIdEEEESH_NS8_9null_typeESI_SI_SI_SI_SI_SI_SI_EEEENS9_21zip_adj_not_predicateI22is_equal_div_10_uniqueIdEEEEEPllNS8_4plusIlEEEE10hipError_tPvRmT1_T2_T3_mT4_P12ihipStream_tbEUlT_E0_NS1_11comp_targetILNS1_3genE3ELNS1_11target_archE908ELNS1_3gpuE7ELNS1_3repE0EEENS1_30default_config_static_selectorELNS0_4arch9wavefront6targetE1EEEvSW_.uses_flat_scratch, 0
	.set _ZN7rocprim17ROCPRIM_400000_NS6detail17trampoline_kernelINS0_14default_configENS1_22reduce_config_selectorIlEEZNS1_11reduce_implILb1ES3_N6thrust23THRUST_200600_302600_NS11hip_rocprim26transform_input_iterator_tIlNS8_12zip_iteratorINS8_5tupleINS8_6detail15normal_iteratorINS8_10device_ptrIdEEEESH_NS8_9null_typeESI_SI_SI_SI_SI_SI_SI_EEEENS9_21zip_adj_not_predicateI22is_equal_div_10_uniqueIdEEEEEPllNS8_4plusIlEEEE10hipError_tPvRmT1_T2_T3_mT4_P12ihipStream_tbEUlT_E0_NS1_11comp_targetILNS1_3genE3ELNS1_11target_archE908ELNS1_3gpuE7ELNS1_3repE0EEENS1_30default_config_static_selectorELNS0_4arch9wavefront6targetE1EEEvSW_.has_dyn_sized_stack, 0
	.set _ZN7rocprim17ROCPRIM_400000_NS6detail17trampoline_kernelINS0_14default_configENS1_22reduce_config_selectorIlEEZNS1_11reduce_implILb1ES3_N6thrust23THRUST_200600_302600_NS11hip_rocprim26transform_input_iterator_tIlNS8_12zip_iteratorINS8_5tupleINS8_6detail15normal_iteratorINS8_10device_ptrIdEEEESH_NS8_9null_typeESI_SI_SI_SI_SI_SI_SI_EEEENS9_21zip_adj_not_predicateI22is_equal_div_10_uniqueIdEEEEEPllNS8_4plusIlEEEE10hipError_tPvRmT1_T2_T3_mT4_P12ihipStream_tbEUlT_E0_NS1_11comp_targetILNS1_3genE3ELNS1_11target_archE908ELNS1_3gpuE7ELNS1_3repE0EEENS1_30default_config_static_selectorELNS0_4arch9wavefront6targetE1EEEvSW_.has_recursion, 0
	.set _ZN7rocprim17ROCPRIM_400000_NS6detail17trampoline_kernelINS0_14default_configENS1_22reduce_config_selectorIlEEZNS1_11reduce_implILb1ES3_N6thrust23THRUST_200600_302600_NS11hip_rocprim26transform_input_iterator_tIlNS8_12zip_iteratorINS8_5tupleINS8_6detail15normal_iteratorINS8_10device_ptrIdEEEESH_NS8_9null_typeESI_SI_SI_SI_SI_SI_SI_EEEENS9_21zip_adj_not_predicateI22is_equal_div_10_uniqueIdEEEEEPllNS8_4plusIlEEEE10hipError_tPvRmT1_T2_T3_mT4_P12ihipStream_tbEUlT_E0_NS1_11comp_targetILNS1_3genE3ELNS1_11target_archE908ELNS1_3gpuE7ELNS1_3repE0EEENS1_30default_config_static_selectorELNS0_4arch9wavefront6targetE1EEEvSW_.has_indirect_call, 0
	.section	.AMDGPU.csdata,"",@progbits
; Kernel info:
; codeLenInByte = 0
; TotalNumSgprs: 4
; NumVgprs: 0
; ScratchSize: 0
; MemoryBound: 0
; FloatMode: 240
; IeeeMode: 1
; LDSByteSize: 0 bytes/workgroup (compile time only)
; SGPRBlocks: 0
; VGPRBlocks: 0
; NumSGPRsForWavesPerEU: 4
; NumVGPRsForWavesPerEU: 1
; Occupancy: 10
; WaveLimiterHint : 0
; COMPUTE_PGM_RSRC2:SCRATCH_EN: 0
; COMPUTE_PGM_RSRC2:USER_SGPR: 6
; COMPUTE_PGM_RSRC2:TRAP_HANDLER: 0
; COMPUTE_PGM_RSRC2:TGID_X_EN: 1
; COMPUTE_PGM_RSRC2:TGID_Y_EN: 0
; COMPUTE_PGM_RSRC2:TGID_Z_EN: 0
; COMPUTE_PGM_RSRC2:TIDIG_COMP_CNT: 0
	.section	.text._ZN7rocprim17ROCPRIM_400000_NS6detail17trampoline_kernelINS0_14default_configENS1_22reduce_config_selectorIlEEZNS1_11reduce_implILb1ES3_N6thrust23THRUST_200600_302600_NS11hip_rocprim26transform_input_iterator_tIlNS8_12zip_iteratorINS8_5tupleINS8_6detail15normal_iteratorINS8_10device_ptrIdEEEESH_NS8_9null_typeESI_SI_SI_SI_SI_SI_SI_EEEENS9_21zip_adj_not_predicateI22is_equal_div_10_uniqueIdEEEEEPllNS8_4plusIlEEEE10hipError_tPvRmT1_T2_T3_mT4_P12ihipStream_tbEUlT_E0_NS1_11comp_targetILNS1_3genE2ELNS1_11target_archE906ELNS1_3gpuE6ELNS1_3repE0EEENS1_30default_config_static_selectorELNS0_4arch9wavefront6targetE1EEEvSW_,"axG",@progbits,_ZN7rocprim17ROCPRIM_400000_NS6detail17trampoline_kernelINS0_14default_configENS1_22reduce_config_selectorIlEEZNS1_11reduce_implILb1ES3_N6thrust23THRUST_200600_302600_NS11hip_rocprim26transform_input_iterator_tIlNS8_12zip_iteratorINS8_5tupleINS8_6detail15normal_iteratorINS8_10device_ptrIdEEEESH_NS8_9null_typeESI_SI_SI_SI_SI_SI_SI_EEEENS9_21zip_adj_not_predicateI22is_equal_div_10_uniqueIdEEEEEPllNS8_4plusIlEEEE10hipError_tPvRmT1_T2_T3_mT4_P12ihipStream_tbEUlT_E0_NS1_11comp_targetILNS1_3genE2ELNS1_11target_archE906ELNS1_3gpuE6ELNS1_3repE0EEENS1_30default_config_static_selectorELNS0_4arch9wavefront6targetE1EEEvSW_,comdat
	.protected	_ZN7rocprim17ROCPRIM_400000_NS6detail17trampoline_kernelINS0_14default_configENS1_22reduce_config_selectorIlEEZNS1_11reduce_implILb1ES3_N6thrust23THRUST_200600_302600_NS11hip_rocprim26transform_input_iterator_tIlNS8_12zip_iteratorINS8_5tupleINS8_6detail15normal_iteratorINS8_10device_ptrIdEEEESH_NS8_9null_typeESI_SI_SI_SI_SI_SI_SI_EEEENS9_21zip_adj_not_predicateI22is_equal_div_10_uniqueIdEEEEEPllNS8_4plusIlEEEE10hipError_tPvRmT1_T2_T3_mT4_P12ihipStream_tbEUlT_E0_NS1_11comp_targetILNS1_3genE2ELNS1_11target_archE906ELNS1_3gpuE6ELNS1_3repE0EEENS1_30default_config_static_selectorELNS0_4arch9wavefront6targetE1EEEvSW_ ; -- Begin function _ZN7rocprim17ROCPRIM_400000_NS6detail17trampoline_kernelINS0_14default_configENS1_22reduce_config_selectorIlEEZNS1_11reduce_implILb1ES3_N6thrust23THRUST_200600_302600_NS11hip_rocprim26transform_input_iterator_tIlNS8_12zip_iteratorINS8_5tupleINS8_6detail15normal_iteratorINS8_10device_ptrIdEEEESH_NS8_9null_typeESI_SI_SI_SI_SI_SI_SI_EEEENS9_21zip_adj_not_predicateI22is_equal_div_10_uniqueIdEEEEEPllNS8_4plusIlEEEE10hipError_tPvRmT1_T2_T3_mT4_P12ihipStream_tbEUlT_E0_NS1_11comp_targetILNS1_3genE2ELNS1_11target_archE906ELNS1_3gpuE6ELNS1_3repE0EEENS1_30default_config_static_selectorELNS0_4arch9wavefront6targetE1EEEvSW_
	.globl	_ZN7rocprim17ROCPRIM_400000_NS6detail17trampoline_kernelINS0_14default_configENS1_22reduce_config_selectorIlEEZNS1_11reduce_implILb1ES3_N6thrust23THRUST_200600_302600_NS11hip_rocprim26transform_input_iterator_tIlNS8_12zip_iteratorINS8_5tupleINS8_6detail15normal_iteratorINS8_10device_ptrIdEEEESH_NS8_9null_typeESI_SI_SI_SI_SI_SI_SI_EEEENS9_21zip_adj_not_predicateI22is_equal_div_10_uniqueIdEEEEEPllNS8_4plusIlEEEE10hipError_tPvRmT1_T2_T3_mT4_P12ihipStream_tbEUlT_E0_NS1_11comp_targetILNS1_3genE2ELNS1_11target_archE906ELNS1_3gpuE6ELNS1_3repE0EEENS1_30default_config_static_selectorELNS0_4arch9wavefront6targetE1EEEvSW_
	.p2align	8
	.type	_ZN7rocprim17ROCPRIM_400000_NS6detail17trampoline_kernelINS0_14default_configENS1_22reduce_config_selectorIlEEZNS1_11reduce_implILb1ES3_N6thrust23THRUST_200600_302600_NS11hip_rocprim26transform_input_iterator_tIlNS8_12zip_iteratorINS8_5tupleINS8_6detail15normal_iteratorINS8_10device_ptrIdEEEESH_NS8_9null_typeESI_SI_SI_SI_SI_SI_SI_EEEENS9_21zip_adj_not_predicateI22is_equal_div_10_uniqueIdEEEEEPllNS8_4plusIlEEEE10hipError_tPvRmT1_T2_T3_mT4_P12ihipStream_tbEUlT_E0_NS1_11comp_targetILNS1_3genE2ELNS1_11target_archE906ELNS1_3gpuE6ELNS1_3repE0EEENS1_30default_config_static_selectorELNS0_4arch9wavefront6targetE1EEEvSW_,@function
_ZN7rocprim17ROCPRIM_400000_NS6detail17trampoline_kernelINS0_14default_configENS1_22reduce_config_selectorIlEEZNS1_11reduce_implILb1ES3_N6thrust23THRUST_200600_302600_NS11hip_rocprim26transform_input_iterator_tIlNS8_12zip_iteratorINS8_5tupleINS8_6detail15normal_iteratorINS8_10device_ptrIdEEEESH_NS8_9null_typeESI_SI_SI_SI_SI_SI_SI_EEEENS9_21zip_adj_not_predicateI22is_equal_div_10_uniqueIdEEEEEPllNS8_4plusIlEEEE10hipError_tPvRmT1_T2_T3_mT4_P12ihipStream_tbEUlT_E0_NS1_11comp_targetILNS1_3genE2ELNS1_11target_archE906ELNS1_3gpuE6ELNS1_3repE0EEENS1_30default_config_static_selectorELNS0_4arch9wavefront6targetE1EEEvSW_: ; @_ZN7rocprim17ROCPRIM_400000_NS6detail17trampoline_kernelINS0_14default_configENS1_22reduce_config_selectorIlEEZNS1_11reduce_implILb1ES3_N6thrust23THRUST_200600_302600_NS11hip_rocprim26transform_input_iterator_tIlNS8_12zip_iteratorINS8_5tupleINS8_6detail15normal_iteratorINS8_10device_ptrIdEEEESH_NS8_9null_typeESI_SI_SI_SI_SI_SI_SI_EEEENS9_21zip_adj_not_predicateI22is_equal_div_10_uniqueIdEEEEEPllNS8_4plusIlEEEE10hipError_tPvRmT1_T2_T3_mT4_P12ihipStream_tbEUlT_E0_NS1_11comp_targetILNS1_3genE2ELNS1_11target_archE906ELNS1_3gpuE6ELNS1_3repE0EEENS1_30default_config_static_selectorELNS0_4arch9wavefront6targetE1EEEvSW_
; %bb.0:
	s_load_dwordx8 s[8:15], s[4:5], 0x18
	s_load_dwordx4 s[0:3], s[4:5], 0x0
	s_load_dwordx4 s[16:19], s[4:5], 0x38
	v_lshlrev_b32_e32 v6, 3, v0
	v_mbcnt_lo_u32_b32 v5, -1, 0
	s_waitcnt lgkmcnt(0)
	s_lshl_b64 s[4:5], s[8:9], 3
	s_add_u32 s0, s0, s4
	s_addc_u32 s1, s1, s5
	s_add_u32 s20, s2, s4
	s_addc_u32 s21, s3, s5
	s_lshl_b32 s4, s6, 9
	s_mov_b32 s5, 0
	s_lshr_b64 s[8:9], s[10:11], 9
	s_lshl_b64 s[2:3], s[4:5], 3
	s_add_u32 s0, s0, s2
	s_addc_u32 s1, s1, s3
	s_add_u32 s2, s20, s2
	s_mov_b32 s7, s5
	s_addc_u32 s3, s21, s3
	s_cmp_lg_u64 s[8:9], s[6:7]
	s_cbranch_scc0 .LBB765_6
; %bb.1:
	global_load_dwordx2 v[1:2], v6, s[0:1]
	global_load_dwordx2 v[7:8], v6, s[2:3]
	global_load_dwordx2 v[9:10], v6, s[2:3] offset:2048
	global_load_dwordx2 v[11:12], v6, s[0:1] offset:2048
	s_mov_b32 s5, 0x66666667
	v_mov_b32_e32 v4, 0
	v_mbcnt_hi_u32_b32 v3, -1, v5
	s_waitcnt vmcnt(3)
	v_cvt_i32_f64_e32 v1, v[1:2]
	s_waitcnt vmcnt(2)
	v_cvt_i32_f64_e32 v2, v[7:8]
	;; [unrolled: 2-line block ×4, first 2 shown]
	v_mul_hi_i32 v1, v1, s5
	v_mul_hi_i32 v2, v2, s5
	;; [unrolled: 1-line block ×4, first 2 shown]
	v_lshrrev_b32_e32 v9, 31, v1
	v_ashrrev_i32_e32 v1, 2, v1
	v_lshrrev_b32_e32 v10, 31, v2
	v_ashrrev_i32_e32 v2, 2, v2
	;; [unrolled: 2-line block ×4, first 2 shown]
	v_add_u32_e32 v1, v1, v9
	v_add_u32_e32 v2, v2, v10
	;; [unrolled: 1-line block ×4, first 2 shown]
	v_cmp_ne_u32_e32 vcc, v1, v2
	v_cndmask_b32_e64 v1, 0, 1, vcc
	v_cmp_ne_u32_e32 vcc, v7, v8
	v_addc_co_u32_e32 v1, vcc, 0, v1, vcc
	v_mov_b32_dpp v13, v4 quad_perm:[1,0,3,2] row_mask:0xf bank_mask:0xf bound_ctrl:1
	s_nop 0
	v_mov_b32_dpp v2, v1 quad_perm:[1,0,3,2] row_mask:0xf bank_mask:0xf bound_ctrl:1
	v_add_co_u32_e32 v1, vcc, v1, v2
	v_addc_co_u32_e64 v2, s[8:9], 0, 0, vcc
	v_add_co_u32_e32 v7, vcc, 0, v1
	v_addc_co_u32_e32 v2, vcc, v13, v2, vcc
	v_mov_b32_dpp v1, v1 quad_perm:[2,3,0,1] row_mask:0xf bank_mask:0xf bound_ctrl:1
	v_add_co_u32_e32 v1, vcc, v7, v1
	v_mov_b32_dpp v8, v2 quad_perm:[2,3,0,1] row_mask:0xf bank_mask:0xf bound_ctrl:1
	v_addc_co_u32_e32 v2, vcc, 0, v2, vcc
	v_add_co_u32_e32 v7, vcc, 0, v1
	v_addc_co_u32_e32 v2, vcc, v2, v8, vcc
	v_mov_b32_dpp v1, v1 row_ror:4 row_mask:0xf bank_mask:0xf bound_ctrl:1
	v_add_co_u32_e32 v1, vcc, v7, v1
	v_mov_b32_dpp v8, v2 row_ror:4 row_mask:0xf bank_mask:0xf bound_ctrl:1
	v_addc_co_u32_e32 v2, vcc, 0, v2, vcc
	v_add_co_u32_e32 v7, vcc, 0, v1
	v_addc_co_u32_e32 v2, vcc, v2, v8, vcc
	v_mov_b32_dpp v1, v1 row_ror:8 row_mask:0xf bank_mask:0xf bound_ctrl:1
	v_add_co_u32_e32 v1, vcc, v7, v1
	v_mov_b32_dpp v8, v2 row_ror:8 row_mask:0xf bank_mask:0xf bound_ctrl:1
	v_addc_co_u32_e32 v2, vcc, 0, v2, vcc
	v_add_co_u32_e32 v7, vcc, 0, v1
	v_addc_co_u32_e32 v2, vcc, v2, v8, vcc
	v_mov_b32_dpp v1, v1 row_bcast:15 row_mask:0xf bank_mask:0xf bound_ctrl:1
	v_add_co_u32_e32 v1, vcc, v7, v1
	v_mov_b32_dpp v8, v2 row_bcast:15 row_mask:0xf bank_mask:0xf bound_ctrl:1
	v_addc_co_u32_e32 v2, vcc, 0, v2, vcc
	v_add_co_u32_e32 v7, vcc, 0, v1
	v_addc_co_u32_e32 v2, vcc, v2, v8, vcc
	v_mov_b32_dpp v1, v1 row_bcast:31 row_mask:0xf bank_mask:0xf bound_ctrl:1
	v_add_co_u32_e32 v1, vcc, v7, v1
	v_lshlrev_b32_e32 v4, 2, v3
	v_addc_co_u32_e32 v7, vcc, 0, v2, vcc
	v_or_b32_e32 v14, 0xfc, v4
	s_nop 0
	v_add_u32_dpp v2, v2, v7 row_bcast:31 row_mask:0xf bank_mask:0xf bound_ctrl:1
	ds_bpermute_b32 v1, v14, v1
	ds_bpermute_b32 v2, v14, v2
	v_cmp_eq_u32_e32 vcc, 0, v3
	s_and_saveexec_b64 s[8:9], vcc
	s_cbranch_execz .LBB765_3
; %bb.2:
	v_lshrrev_b32_e32 v7, 3, v0
	v_and_b32_e32 v7, 24, v7
	s_waitcnt lgkmcnt(0)
	ds_write_b64 v7, v[1:2]
.LBB765_3:
	s_or_b64 exec, exec, s[8:9]
	v_cmp_gt_u32_e32 vcc, 64, v0
	s_waitcnt lgkmcnt(0)
	s_barrier
	s_and_saveexec_b64 s[8:9], vcc
	s_cbranch_execz .LBB765_5
; %bb.4:
	v_and_b32_e32 v7, 3, v3
	v_lshlrev_b32_e32 v1, 3, v7
	ds_read_b64 v[1:2], v1
	v_cmp_ne_u32_e32 vcc, 3, v7
	v_addc_co_u32_e32 v3, vcc, 0, v3, vcc
	v_lshlrev_b32_e32 v3, 2, v3
	s_waitcnt lgkmcnt(0)
	ds_bpermute_b32 v7, v3, v1
	ds_bpermute_b32 v3, v3, v2
	v_or_b32_e32 v4, 8, v4
	s_waitcnt lgkmcnt(1)
	v_add_co_u32_e32 v1, vcc, v1, v7
	v_addc_co_u32_e32 v2, vcc, 0, v2, vcc
	ds_bpermute_b32 v7, v4, v1
	v_add_co_u32_e32 v1, vcc, 0, v1
	s_waitcnt lgkmcnt(1)
	v_addc_co_u32_e32 v2, vcc, v3, v2, vcc
	ds_bpermute_b32 v3, v4, v2
	s_waitcnt lgkmcnt(1)
	v_add_co_u32_e32 v1, vcc, v1, v7
	v_addc_co_u32_e32 v2, vcc, 0, v2, vcc
	v_add_co_u32_e32 v1, vcc, 0, v1
	s_waitcnt lgkmcnt(0)
	v_addc_co_u32_e32 v2, vcc, v2, v3, vcc
.LBB765_5:
	s_or_b64 exec, exec, s[8:9]
	s_branch .LBB765_28
.LBB765_6:
                                        ; implicit-def: $vgpr1_vgpr2
	s_cbranch_execz .LBB765_28
; %bb.7:
	s_sub_i32 s8, s10, s4
	v_mov_b32_e32 v1, 0
	v_cmp_gt_u32_e32 vcc, s8, v0
	v_mov_b32_e32 v2, v1
	v_mov_b32_e32 v3, v1
	;; [unrolled: 1-line block ×3, first 2 shown]
	s_and_saveexec_b64 s[4:5], vcc
	s_cbranch_execz .LBB765_9
; %bb.8:
	global_load_dwordx2 v[2:3], v6, s[0:1]
	global_load_dwordx2 v[7:8], v6, s[2:3]
	s_mov_b32 s9, 0x66666667
	v_mov_b32_e32 v9, v1
	v_mov_b32_e32 v10, v1
	s_waitcnt vmcnt(1)
	v_cvt_i32_f64_e32 v2, v[2:3]
	s_waitcnt vmcnt(0)
	v_cvt_i32_f64_e32 v3, v[7:8]
	v_mov_b32_e32 v8, v1
	v_mul_hi_i32 v2, v2, s9
	v_mul_hi_i32 v3, v3, s9
	v_lshrrev_b32_e32 v4, 31, v2
	v_ashrrev_i32_e32 v2, 2, v2
	v_lshrrev_b32_e32 v7, 31, v3
	v_ashrrev_i32_e32 v3, 2, v3
	v_add_u32_e32 v2, v2, v4
	v_add_u32_e32 v3, v3, v7
	v_cmp_ne_u32_e32 vcc, v2, v3
	v_cndmask_b32_e64 v2, 0, 1, vcc
	v_and_b32_e32 v7, 0xffff, v2
	v_mov_b32_e32 v1, v7
	v_mov_b32_e32 v2, v8
	;; [unrolled: 1-line block ×4, first 2 shown]
.LBB765_9:
	s_or_b64 exec, exec, s[4:5]
	v_or_b32_e32 v7, 0x100, v0
	v_cmp_gt_u32_e32 vcc, s8, v7
	s_and_saveexec_b64 s[4:5], vcc
	s_cbranch_execz .LBB765_11
; %bb.10:
	global_load_dwordx2 v[3:4], v6, s[0:1] offset:2048
	global_load_dwordx2 v[7:8], v6, s[2:3] offset:2048
	s_mov_b32 s0, 0x66666667
	s_mov_b32 s2, 0
	s_waitcnt vmcnt(1)
	v_cvt_i32_f64_e32 v3, v[3:4]
	s_waitcnt vmcnt(0)
	v_cvt_i32_f64_e32 v4, v[7:8]
	v_mul_hi_i32 v3, v3, s0
	v_mul_hi_i32 v4, v4, s0
	v_lshrrev_b32_e32 v6, 31, v3
	v_ashrrev_i32_e32 v3, 2, v3
	v_lshrrev_b32_e32 v7, 31, v4
	v_ashrrev_i32_e32 v4, 2, v4
	v_add_u32_e32 v3, v3, v6
	v_add_u32_e32 v4, v4, v7
	v_cmp_ne_u32_e64 s[0:1], v3, v4
	v_cndmask_b32_e64 v3, 0, 1, s[0:1]
	v_mov_b32_e32 v4, s2
.LBB765_11:
	s_or_b64 exec, exec, s[4:5]
	v_cndmask_b32_e32 v3, 0, v3, vcc
	v_cndmask_b32_e32 v4, 0, v4, vcc
	v_add_co_u32_e32 v1, vcc, v3, v1
	v_mbcnt_hi_u32_b32 v3, -1, v5
	v_addc_co_u32_e32 v2, vcc, v4, v2, vcc
	v_and_b32_e32 v4, 63, v3
	v_cmp_ne_u32_e32 vcc, 63, v4
	v_addc_co_u32_e32 v6, vcc, 0, v3, vcc
	v_lshlrev_b32_e32 v6, 2, v6
	ds_bpermute_b32 v8, v6, v1
	ds_bpermute_b32 v7, v6, v2
	s_min_u32 s2, s8, 0x100
	v_and_b32_e32 v5, 0xc0, v0
	v_sub_u32_e64 v5, s2, v5 clamp
	v_add_u32_e32 v6, 1, v4
	v_cmp_lt_u32_e32 vcc, v6, v5
	v_mov_b32_e32 v6, v1
	s_and_saveexec_b64 s[0:1], vcc
	s_cbranch_execz .LBB765_13
; %bb.12:
	s_waitcnt lgkmcnt(1)
	v_add_co_u32_e32 v6, vcc, v1, v8
	v_addc_co_u32_e32 v2, vcc, 0, v2, vcc
	v_add_co_u32_e32 v1, vcc, 0, v6
	s_waitcnt lgkmcnt(0)
	v_addc_co_u32_e32 v2, vcc, v7, v2, vcc
.LBB765_13:
	s_or_b64 exec, exec, s[0:1]
	v_cmp_gt_u32_e32 vcc, 62, v4
	s_waitcnt lgkmcnt(0)
	v_cndmask_b32_e64 v7, 0, 2, vcc
	v_add_lshl_u32 v7, v7, v3, 2
	ds_bpermute_b32 v8, v7, v6
	ds_bpermute_b32 v7, v7, v2
	v_add_u32_e32 v9, 2, v4
	v_cmp_lt_u32_e32 vcc, v9, v5
	s_and_saveexec_b64 s[0:1], vcc
	s_cbranch_execz .LBB765_15
; %bb.14:
	s_waitcnt lgkmcnt(1)
	v_add_co_u32_e32 v6, vcc, v1, v8
	v_addc_co_u32_e32 v2, vcc, 0, v2, vcc
	v_add_co_u32_e32 v1, vcc, 0, v6
	s_waitcnt lgkmcnt(0)
	v_addc_co_u32_e32 v2, vcc, v7, v2, vcc
.LBB765_15:
	s_or_b64 exec, exec, s[0:1]
	v_cmp_gt_u32_e32 vcc, 60, v4
	s_waitcnt lgkmcnt(0)
	v_cndmask_b32_e64 v7, 0, 4, vcc
	v_add_lshl_u32 v7, v7, v3, 2
	ds_bpermute_b32 v8, v7, v6
	ds_bpermute_b32 v7, v7, v2
	v_add_u32_e32 v9, 4, v4
	v_cmp_lt_u32_e32 vcc, v9, v5
	;; [unrolled: 19-line block ×4, first 2 shown]
	s_and_saveexec_b64 s[0:1], vcc
	s_cbranch_execz .LBB765_21
; %bb.20:
	s_waitcnt lgkmcnt(1)
	v_add_co_u32_e32 v6, vcc, v1, v8
	v_addc_co_u32_e32 v2, vcc, 0, v2, vcc
	v_add_co_u32_e32 v1, vcc, 0, v6
	s_waitcnt lgkmcnt(0)
	v_addc_co_u32_e32 v2, vcc, v7, v2, vcc
.LBB765_21:
	s_or_b64 exec, exec, s[0:1]
	s_waitcnt lgkmcnt(0)
	v_lshlrev_b32_e32 v7, 2, v3
	v_or_b32_e32 v8, 0x80, v7
	ds_bpermute_b32 v6, v8, v6
	ds_bpermute_b32 v8, v8, v2
	v_add_u32_e32 v4, 32, v4
	s_waitcnt lgkmcnt(1)
	v_add_co_u32_e32 v6, vcc, v1, v6
	v_addc_co_u32_e32 v9, vcc, 0, v2, vcc
	v_add_co_u32_e32 v6, vcc, 0, v6
	s_waitcnt lgkmcnt(0)
	v_addc_co_u32_e32 v8, vcc, v9, v8, vcc
	v_cmp_lt_u32_e32 vcc, v4, v5
	v_cndmask_b32_e32 v2, v2, v8, vcc
	v_cndmask_b32_e32 v1, v1, v6, vcc
	v_cmp_eq_u32_e32 vcc, 0, v3
	s_and_saveexec_b64 s[0:1], vcc
; %bb.22:
	v_lshrrev_b32_e32 v4, 3, v0
	v_and_b32_e32 v4, 24, v4
	ds_write_b64 v4, v[1:2] offset:32
; %bb.23:
	s_or_b64 exec, exec, s[0:1]
	v_cmp_gt_u32_e32 vcc, 4, v0
	s_waitcnt lgkmcnt(0)
	s_barrier
	s_and_saveexec_b64 s[0:1], vcc
	s_cbranch_execz .LBB765_27
; %bb.24:
	v_lshlrev_b32_e32 v1, 3, v3
	ds_read_b64 v[1:2], v1 offset:32
	v_and_b32_e32 v4, 3, v3
	v_cmp_ne_u32_e32 vcc, 3, v4
	v_addc_co_u32_e32 v3, vcc, 0, v3, vcc
	v_lshlrev_b32_e32 v3, 2, v3
	s_waitcnt lgkmcnt(0)
	ds_bpermute_b32 v6, v3, v1
	ds_bpermute_b32 v5, v3, v2
	s_add_i32 s2, s2, 63
	s_lshr_b32 s4, s2, 6
	v_add_u32_e32 v3, 1, v4
	v_cmp_gt_u32_e32 vcc, s4, v3
	v_mov_b32_e32 v3, v1
	s_and_saveexec_b64 s[2:3], vcc
	s_cbranch_execz .LBB765_26
; %bb.25:
	s_waitcnt lgkmcnt(1)
	v_add_co_u32_e32 v3, vcc, v1, v6
	v_addc_co_u32_e32 v2, vcc, 0, v2, vcc
	v_add_co_u32_e32 v1, vcc, 0, v3
	s_waitcnt lgkmcnt(0)
	v_addc_co_u32_e32 v2, vcc, v5, v2, vcc
.LBB765_26:
	s_or_b64 exec, exec, s[2:3]
	s_waitcnt lgkmcnt(0)
	v_or_b32_e32 v5, 8, v7
	ds_bpermute_b32 v3, v5, v3
	ds_bpermute_b32 v5, v5, v2
	v_add_u32_e32 v4, 2, v4
	s_waitcnt lgkmcnt(1)
	v_add_co_u32_e32 v3, vcc, v1, v3
	v_addc_co_u32_e32 v6, vcc, 0, v2, vcc
	v_add_co_u32_e32 v3, vcc, 0, v3
	s_waitcnt lgkmcnt(0)
	v_addc_co_u32_e32 v5, vcc, v6, v5, vcc
	v_cmp_gt_u32_e32 vcc, s4, v4
	v_cndmask_b32_e32 v2, v2, v5, vcc
	v_cndmask_b32_e32 v1, v1, v3, vcc
.LBB765_27:
	s_or_b64 exec, exec, s[0:1]
.LBB765_28:
	v_cmp_eq_u32_e32 vcc, 0, v0
	s_and_saveexec_b64 s[0:1], vcc
	s_cbranch_execnz .LBB765_30
; %bb.29:
	s_endpgm
.LBB765_30:
	s_mul_i32 s0, s16, s15
	s_mul_hi_u32 s1, s16, s14
	s_add_i32 s0, s1, s0
	s_mul_i32 s1, s17, s14
	s_add_i32 s1, s0, s1
	s_mul_i32 s0, s16, s14
	s_lshl_b64 s[0:1], s[0:1], 3
	s_add_u32 s2, s12, s0
	s_addc_u32 s3, s13, s1
	s_cmp_eq_u64 s[10:11], 0
	v_mov_b32_e32 v0, s19
	s_cselect_b64 vcc, -1, 0
	s_lshl_b64 s[0:1], s[6:7], 3
	v_cndmask_b32_e32 v2, v2, v0, vcc
	v_mov_b32_e32 v0, s18
	s_add_u32 s0, s2, s0
	v_cndmask_b32_e32 v1, v1, v0, vcc
	s_addc_u32 s1, s3, s1
	v_mov_b32_e32 v0, 0
	global_store_dwordx2 v0, v[1:2], s[0:1]
	s_endpgm
	.section	.rodata,"a",@progbits
	.p2align	6, 0x0
	.amdhsa_kernel _ZN7rocprim17ROCPRIM_400000_NS6detail17trampoline_kernelINS0_14default_configENS1_22reduce_config_selectorIlEEZNS1_11reduce_implILb1ES3_N6thrust23THRUST_200600_302600_NS11hip_rocprim26transform_input_iterator_tIlNS8_12zip_iteratorINS8_5tupleINS8_6detail15normal_iteratorINS8_10device_ptrIdEEEESH_NS8_9null_typeESI_SI_SI_SI_SI_SI_SI_EEEENS9_21zip_adj_not_predicateI22is_equal_div_10_uniqueIdEEEEEPllNS8_4plusIlEEEE10hipError_tPvRmT1_T2_T3_mT4_P12ihipStream_tbEUlT_E0_NS1_11comp_targetILNS1_3genE2ELNS1_11target_archE906ELNS1_3gpuE6ELNS1_3repE0EEENS1_30default_config_static_selectorELNS0_4arch9wavefront6targetE1EEEvSW_
		.amdhsa_group_segment_fixed_size 64
		.amdhsa_private_segment_fixed_size 0
		.amdhsa_kernarg_size 80
		.amdhsa_user_sgpr_count 6
		.amdhsa_user_sgpr_private_segment_buffer 1
		.amdhsa_user_sgpr_dispatch_ptr 0
		.amdhsa_user_sgpr_queue_ptr 0
		.amdhsa_user_sgpr_kernarg_segment_ptr 1
		.amdhsa_user_sgpr_dispatch_id 0
		.amdhsa_user_sgpr_flat_scratch_init 0
		.amdhsa_user_sgpr_private_segment_size 0
		.amdhsa_uses_dynamic_stack 0
		.amdhsa_system_sgpr_private_segment_wavefront_offset 0
		.amdhsa_system_sgpr_workgroup_id_x 1
		.amdhsa_system_sgpr_workgroup_id_y 0
		.amdhsa_system_sgpr_workgroup_id_z 0
		.amdhsa_system_sgpr_workgroup_info 0
		.amdhsa_system_vgpr_workitem_id 0
		.amdhsa_next_free_vgpr 15
		.amdhsa_next_free_sgpr 22
		.amdhsa_reserve_vcc 1
		.amdhsa_reserve_flat_scratch 0
		.amdhsa_float_round_mode_32 0
		.amdhsa_float_round_mode_16_64 0
		.amdhsa_float_denorm_mode_32 3
		.amdhsa_float_denorm_mode_16_64 3
		.amdhsa_dx10_clamp 1
		.amdhsa_ieee_mode 1
		.amdhsa_fp16_overflow 0
		.amdhsa_exception_fp_ieee_invalid_op 0
		.amdhsa_exception_fp_denorm_src 0
		.amdhsa_exception_fp_ieee_div_zero 0
		.amdhsa_exception_fp_ieee_overflow 0
		.amdhsa_exception_fp_ieee_underflow 0
		.amdhsa_exception_fp_ieee_inexact 0
		.amdhsa_exception_int_div_zero 0
	.end_amdhsa_kernel
	.section	.text._ZN7rocprim17ROCPRIM_400000_NS6detail17trampoline_kernelINS0_14default_configENS1_22reduce_config_selectorIlEEZNS1_11reduce_implILb1ES3_N6thrust23THRUST_200600_302600_NS11hip_rocprim26transform_input_iterator_tIlNS8_12zip_iteratorINS8_5tupleINS8_6detail15normal_iteratorINS8_10device_ptrIdEEEESH_NS8_9null_typeESI_SI_SI_SI_SI_SI_SI_EEEENS9_21zip_adj_not_predicateI22is_equal_div_10_uniqueIdEEEEEPllNS8_4plusIlEEEE10hipError_tPvRmT1_T2_T3_mT4_P12ihipStream_tbEUlT_E0_NS1_11comp_targetILNS1_3genE2ELNS1_11target_archE906ELNS1_3gpuE6ELNS1_3repE0EEENS1_30default_config_static_selectorELNS0_4arch9wavefront6targetE1EEEvSW_,"axG",@progbits,_ZN7rocprim17ROCPRIM_400000_NS6detail17trampoline_kernelINS0_14default_configENS1_22reduce_config_selectorIlEEZNS1_11reduce_implILb1ES3_N6thrust23THRUST_200600_302600_NS11hip_rocprim26transform_input_iterator_tIlNS8_12zip_iteratorINS8_5tupleINS8_6detail15normal_iteratorINS8_10device_ptrIdEEEESH_NS8_9null_typeESI_SI_SI_SI_SI_SI_SI_EEEENS9_21zip_adj_not_predicateI22is_equal_div_10_uniqueIdEEEEEPllNS8_4plusIlEEEE10hipError_tPvRmT1_T2_T3_mT4_P12ihipStream_tbEUlT_E0_NS1_11comp_targetILNS1_3genE2ELNS1_11target_archE906ELNS1_3gpuE6ELNS1_3repE0EEENS1_30default_config_static_selectorELNS0_4arch9wavefront6targetE1EEEvSW_,comdat
.Lfunc_end765:
	.size	_ZN7rocprim17ROCPRIM_400000_NS6detail17trampoline_kernelINS0_14default_configENS1_22reduce_config_selectorIlEEZNS1_11reduce_implILb1ES3_N6thrust23THRUST_200600_302600_NS11hip_rocprim26transform_input_iterator_tIlNS8_12zip_iteratorINS8_5tupleINS8_6detail15normal_iteratorINS8_10device_ptrIdEEEESH_NS8_9null_typeESI_SI_SI_SI_SI_SI_SI_EEEENS9_21zip_adj_not_predicateI22is_equal_div_10_uniqueIdEEEEEPllNS8_4plusIlEEEE10hipError_tPvRmT1_T2_T3_mT4_P12ihipStream_tbEUlT_E0_NS1_11comp_targetILNS1_3genE2ELNS1_11target_archE906ELNS1_3gpuE6ELNS1_3repE0EEENS1_30default_config_static_selectorELNS0_4arch9wavefront6targetE1EEEvSW_, .Lfunc_end765-_ZN7rocprim17ROCPRIM_400000_NS6detail17trampoline_kernelINS0_14default_configENS1_22reduce_config_selectorIlEEZNS1_11reduce_implILb1ES3_N6thrust23THRUST_200600_302600_NS11hip_rocprim26transform_input_iterator_tIlNS8_12zip_iteratorINS8_5tupleINS8_6detail15normal_iteratorINS8_10device_ptrIdEEEESH_NS8_9null_typeESI_SI_SI_SI_SI_SI_SI_EEEENS9_21zip_adj_not_predicateI22is_equal_div_10_uniqueIdEEEEEPllNS8_4plusIlEEEE10hipError_tPvRmT1_T2_T3_mT4_P12ihipStream_tbEUlT_E0_NS1_11comp_targetILNS1_3genE2ELNS1_11target_archE906ELNS1_3gpuE6ELNS1_3repE0EEENS1_30default_config_static_selectorELNS0_4arch9wavefront6targetE1EEEvSW_
                                        ; -- End function
	.set _ZN7rocprim17ROCPRIM_400000_NS6detail17trampoline_kernelINS0_14default_configENS1_22reduce_config_selectorIlEEZNS1_11reduce_implILb1ES3_N6thrust23THRUST_200600_302600_NS11hip_rocprim26transform_input_iterator_tIlNS8_12zip_iteratorINS8_5tupleINS8_6detail15normal_iteratorINS8_10device_ptrIdEEEESH_NS8_9null_typeESI_SI_SI_SI_SI_SI_SI_EEEENS9_21zip_adj_not_predicateI22is_equal_div_10_uniqueIdEEEEEPllNS8_4plusIlEEEE10hipError_tPvRmT1_T2_T3_mT4_P12ihipStream_tbEUlT_E0_NS1_11comp_targetILNS1_3genE2ELNS1_11target_archE906ELNS1_3gpuE6ELNS1_3repE0EEENS1_30default_config_static_selectorELNS0_4arch9wavefront6targetE1EEEvSW_.num_vgpr, 15
	.set _ZN7rocprim17ROCPRIM_400000_NS6detail17trampoline_kernelINS0_14default_configENS1_22reduce_config_selectorIlEEZNS1_11reduce_implILb1ES3_N6thrust23THRUST_200600_302600_NS11hip_rocprim26transform_input_iterator_tIlNS8_12zip_iteratorINS8_5tupleINS8_6detail15normal_iteratorINS8_10device_ptrIdEEEESH_NS8_9null_typeESI_SI_SI_SI_SI_SI_SI_EEEENS9_21zip_adj_not_predicateI22is_equal_div_10_uniqueIdEEEEEPllNS8_4plusIlEEEE10hipError_tPvRmT1_T2_T3_mT4_P12ihipStream_tbEUlT_E0_NS1_11comp_targetILNS1_3genE2ELNS1_11target_archE906ELNS1_3gpuE6ELNS1_3repE0EEENS1_30default_config_static_selectorELNS0_4arch9wavefront6targetE1EEEvSW_.num_agpr, 0
	.set _ZN7rocprim17ROCPRIM_400000_NS6detail17trampoline_kernelINS0_14default_configENS1_22reduce_config_selectorIlEEZNS1_11reduce_implILb1ES3_N6thrust23THRUST_200600_302600_NS11hip_rocprim26transform_input_iterator_tIlNS8_12zip_iteratorINS8_5tupleINS8_6detail15normal_iteratorINS8_10device_ptrIdEEEESH_NS8_9null_typeESI_SI_SI_SI_SI_SI_SI_EEEENS9_21zip_adj_not_predicateI22is_equal_div_10_uniqueIdEEEEEPllNS8_4plusIlEEEE10hipError_tPvRmT1_T2_T3_mT4_P12ihipStream_tbEUlT_E0_NS1_11comp_targetILNS1_3genE2ELNS1_11target_archE906ELNS1_3gpuE6ELNS1_3repE0EEENS1_30default_config_static_selectorELNS0_4arch9wavefront6targetE1EEEvSW_.numbered_sgpr, 22
	.set _ZN7rocprim17ROCPRIM_400000_NS6detail17trampoline_kernelINS0_14default_configENS1_22reduce_config_selectorIlEEZNS1_11reduce_implILb1ES3_N6thrust23THRUST_200600_302600_NS11hip_rocprim26transform_input_iterator_tIlNS8_12zip_iteratorINS8_5tupleINS8_6detail15normal_iteratorINS8_10device_ptrIdEEEESH_NS8_9null_typeESI_SI_SI_SI_SI_SI_SI_EEEENS9_21zip_adj_not_predicateI22is_equal_div_10_uniqueIdEEEEEPllNS8_4plusIlEEEE10hipError_tPvRmT1_T2_T3_mT4_P12ihipStream_tbEUlT_E0_NS1_11comp_targetILNS1_3genE2ELNS1_11target_archE906ELNS1_3gpuE6ELNS1_3repE0EEENS1_30default_config_static_selectorELNS0_4arch9wavefront6targetE1EEEvSW_.num_named_barrier, 0
	.set _ZN7rocprim17ROCPRIM_400000_NS6detail17trampoline_kernelINS0_14default_configENS1_22reduce_config_selectorIlEEZNS1_11reduce_implILb1ES3_N6thrust23THRUST_200600_302600_NS11hip_rocprim26transform_input_iterator_tIlNS8_12zip_iteratorINS8_5tupleINS8_6detail15normal_iteratorINS8_10device_ptrIdEEEESH_NS8_9null_typeESI_SI_SI_SI_SI_SI_SI_EEEENS9_21zip_adj_not_predicateI22is_equal_div_10_uniqueIdEEEEEPllNS8_4plusIlEEEE10hipError_tPvRmT1_T2_T3_mT4_P12ihipStream_tbEUlT_E0_NS1_11comp_targetILNS1_3genE2ELNS1_11target_archE906ELNS1_3gpuE6ELNS1_3repE0EEENS1_30default_config_static_selectorELNS0_4arch9wavefront6targetE1EEEvSW_.private_seg_size, 0
	.set _ZN7rocprim17ROCPRIM_400000_NS6detail17trampoline_kernelINS0_14default_configENS1_22reduce_config_selectorIlEEZNS1_11reduce_implILb1ES3_N6thrust23THRUST_200600_302600_NS11hip_rocprim26transform_input_iterator_tIlNS8_12zip_iteratorINS8_5tupleINS8_6detail15normal_iteratorINS8_10device_ptrIdEEEESH_NS8_9null_typeESI_SI_SI_SI_SI_SI_SI_EEEENS9_21zip_adj_not_predicateI22is_equal_div_10_uniqueIdEEEEEPllNS8_4plusIlEEEE10hipError_tPvRmT1_T2_T3_mT4_P12ihipStream_tbEUlT_E0_NS1_11comp_targetILNS1_3genE2ELNS1_11target_archE906ELNS1_3gpuE6ELNS1_3repE0EEENS1_30default_config_static_selectorELNS0_4arch9wavefront6targetE1EEEvSW_.uses_vcc, 1
	.set _ZN7rocprim17ROCPRIM_400000_NS6detail17trampoline_kernelINS0_14default_configENS1_22reduce_config_selectorIlEEZNS1_11reduce_implILb1ES3_N6thrust23THRUST_200600_302600_NS11hip_rocprim26transform_input_iterator_tIlNS8_12zip_iteratorINS8_5tupleINS8_6detail15normal_iteratorINS8_10device_ptrIdEEEESH_NS8_9null_typeESI_SI_SI_SI_SI_SI_SI_EEEENS9_21zip_adj_not_predicateI22is_equal_div_10_uniqueIdEEEEEPllNS8_4plusIlEEEE10hipError_tPvRmT1_T2_T3_mT4_P12ihipStream_tbEUlT_E0_NS1_11comp_targetILNS1_3genE2ELNS1_11target_archE906ELNS1_3gpuE6ELNS1_3repE0EEENS1_30default_config_static_selectorELNS0_4arch9wavefront6targetE1EEEvSW_.uses_flat_scratch, 0
	.set _ZN7rocprim17ROCPRIM_400000_NS6detail17trampoline_kernelINS0_14default_configENS1_22reduce_config_selectorIlEEZNS1_11reduce_implILb1ES3_N6thrust23THRUST_200600_302600_NS11hip_rocprim26transform_input_iterator_tIlNS8_12zip_iteratorINS8_5tupleINS8_6detail15normal_iteratorINS8_10device_ptrIdEEEESH_NS8_9null_typeESI_SI_SI_SI_SI_SI_SI_EEEENS9_21zip_adj_not_predicateI22is_equal_div_10_uniqueIdEEEEEPllNS8_4plusIlEEEE10hipError_tPvRmT1_T2_T3_mT4_P12ihipStream_tbEUlT_E0_NS1_11comp_targetILNS1_3genE2ELNS1_11target_archE906ELNS1_3gpuE6ELNS1_3repE0EEENS1_30default_config_static_selectorELNS0_4arch9wavefront6targetE1EEEvSW_.has_dyn_sized_stack, 0
	.set _ZN7rocprim17ROCPRIM_400000_NS6detail17trampoline_kernelINS0_14default_configENS1_22reduce_config_selectorIlEEZNS1_11reduce_implILb1ES3_N6thrust23THRUST_200600_302600_NS11hip_rocprim26transform_input_iterator_tIlNS8_12zip_iteratorINS8_5tupleINS8_6detail15normal_iteratorINS8_10device_ptrIdEEEESH_NS8_9null_typeESI_SI_SI_SI_SI_SI_SI_EEEENS9_21zip_adj_not_predicateI22is_equal_div_10_uniqueIdEEEEEPllNS8_4plusIlEEEE10hipError_tPvRmT1_T2_T3_mT4_P12ihipStream_tbEUlT_E0_NS1_11comp_targetILNS1_3genE2ELNS1_11target_archE906ELNS1_3gpuE6ELNS1_3repE0EEENS1_30default_config_static_selectorELNS0_4arch9wavefront6targetE1EEEvSW_.has_recursion, 0
	.set _ZN7rocprim17ROCPRIM_400000_NS6detail17trampoline_kernelINS0_14default_configENS1_22reduce_config_selectorIlEEZNS1_11reduce_implILb1ES3_N6thrust23THRUST_200600_302600_NS11hip_rocprim26transform_input_iterator_tIlNS8_12zip_iteratorINS8_5tupleINS8_6detail15normal_iteratorINS8_10device_ptrIdEEEESH_NS8_9null_typeESI_SI_SI_SI_SI_SI_SI_EEEENS9_21zip_adj_not_predicateI22is_equal_div_10_uniqueIdEEEEEPllNS8_4plusIlEEEE10hipError_tPvRmT1_T2_T3_mT4_P12ihipStream_tbEUlT_E0_NS1_11comp_targetILNS1_3genE2ELNS1_11target_archE906ELNS1_3gpuE6ELNS1_3repE0EEENS1_30default_config_static_selectorELNS0_4arch9wavefront6targetE1EEEvSW_.has_indirect_call, 0
	.section	.AMDGPU.csdata,"",@progbits
; Kernel info:
; codeLenInByte = 1848
; TotalNumSgprs: 26
; NumVgprs: 15
; ScratchSize: 0
; MemoryBound: 0
; FloatMode: 240
; IeeeMode: 1
; LDSByteSize: 64 bytes/workgroup (compile time only)
; SGPRBlocks: 3
; VGPRBlocks: 3
; NumSGPRsForWavesPerEU: 26
; NumVGPRsForWavesPerEU: 15
; Occupancy: 10
; WaveLimiterHint : 0
; COMPUTE_PGM_RSRC2:SCRATCH_EN: 0
; COMPUTE_PGM_RSRC2:USER_SGPR: 6
; COMPUTE_PGM_RSRC2:TRAP_HANDLER: 0
; COMPUTE_PGM_RSRC2:TGID_X_EN: 1
; COMPUTE_PGM_RSRC2:TGID_Y_EN: 0
; COMPUTE_PGM_RSRC2:TGID_Z_EN: 0
; COMPUTE_PGM_RSRC2:TIDIG_COMP_CNT: 0
	.section	.text._ZN7rocprim17ROCPRIM_400000_NS6detail17trampoline_kernelINS0_14default_configENS1_22reduce_config_selectorIlEEZNS1_11reduce_implILb1ES3_N6thrust23THRUST_200600_302600_NS11hip_rocprim26transform_input_iterator_tIlNS8_12zip_iteratorINS8_5tupleINS8_6detail15normal_iteratorINS8_10device_ptrIdEEEESH_NS8_9null_typeESI_SI_SI_SI_SI_SI_SI_EEEENS9_21zip_adj_not_predicateI22is_equal_div_10_uniqueIdEEEEEPllNS8_4plusIlEEEE10hipError_tPvRmT1_T2_T3_mT4_P12ihipStream_tbEUlT_E0_NS1_11comp_targetILNS1_3genE10ELNS1_11target_archE1201ELNS1_3gpuE5ELNS1_3repE0EEENS1_30default_config_static_selectorELNS0_4arch9wavefront6targetE1EEEvSW_,"axG",@progbits,_ZN7rocprim17ROCPRIM_400000_NS6detail17trampoline_kernelINS0_14default_configENS1_22reduce_config_selectorIlEEZNS1_11reduce_implILb1ES3_N6thrust23THRUST_200600_302600_NS11hip_rocprim26transform_input_iterator_tIlNS8_12zip_iteratorINS8_5tupleINS8_6detail15normal_iteratorINS8_10device_ptrIdEEEESH_NS8_9null_typeESI_SI_SI_SI_SI_SI_SI_EEEENS9_21zip_adj_not_predicateI22is_equal_div_10_uniqueIdEEEEEPllNS8_4plusIlEEEE10hipError_tPvRmT1_T2_T3_mT4_P12ihipStream_tbEUlT_E0_NS1_11comp_targetILNS1_3genE10ELNS1_11target_archE1201ELNS1_3gpuE5ELNS1_3repE0EEENS1_30default_config_static_selectorELNS0_4arch9wavefront6targetE1EEEvSW_,comdat
	.protected	_ZN7rocprim17ROCPRIM_400000_NS6detail17trampoline_kernelINS0_14default_configENS1_22reduce_config_selectorIlEEZNS1_11reduce_implILb1ES3_N6thrust23THRUST_200600_302600_NS11hip_rocprim26transform_input_iterator_tIlNS8_12zip_iteratorINS8_5tupleINS8_6detail15normal_iteratorINS8_10device_ptrIdEEEESH_NS8_9null_typeESI_SI_SI_SI_SI_SI_SI_EEEENS9_21zip_adj_not_predicateI22is_equal_div_10_uniqueIdEEEEEPllNS8_4plusIlEEEE10hipError_tPvRmT1_T2_T3_mT4_P12ihipStream_tbEUlT_E0_NS1_11comp_targetILNS1_3genE10ELNS1_11target_archE1201ELNS1_3gpuE5ELNS1_3repE0EEENS1_30default_config_static_selectorELNS0_4arch9wavefront6targetE1EEEvSW_ ; -- Begin function _ZN7rocprim17ROCPRIM_400000_NS6detail17trampoline_kernelINS0_14default_configENS1_22reduce_config_selectorIlEEZNS1_11reduce_implILb1ES3_N6thrust23THRUST_200600_302600_NS11hip_rocprim26transform_input_iterator_tIlNS8_12zip_iteratorINS8_5tupleINS8_6detail15normal_iteratorINS8_10device_ptrIdEEEESH_NS8_9null_typeESI_SI_SI_SI_SI_SI_SI_EEEENS9_21zip_adj_not_predicateI22is_equal_div_10_uniqueIdEEEEEPllNS8_4plusIlEEEE10hipError_tPvRmT1_T2_T3_mT4_P12ihipStream_tbEUlT_E0_NS1_11comp_targetILNS1_3genE10ELNS1_11target_archE1201ELNS1_3gpuE5ELNS1_3repE0EEENS1_30default_config_static_selectorELNS0_4arch9wavefront6targetE1EEEvSW_
	.globl	_ZN7rocprim17ROCPRIM_400000_NS6detail17trampoline_kernelINS0_14default_configENS1_22reduce_config_selectorIlEEZNS1_11reduce_implILb1ES3_N6thrust23THRUST_200600_302600_NS11hip_rocprim26transform_input_iterator_tIlNS8_12zip_iteratorINS8_5tupleINS8_6detail15normal_iteratorINS8_10device_ptrIdEEEESH_NS8_9null_typeESI_SI_SI_SI_SI_SI_SI_EEEENS9_21zip_adj_not_predicateI22is_equal_div_10_uniqueIdEEEEEPllNS8_4plusIlEEEE10hipError_tPvRmT1_T2_T3_mT4_P12ihipStream_tbEUlT_E0_NS1_11comp_targetILNS1_3genE10ELNS1_11target_archE1201ELNS1_3gpuE5ELNS1_3repE0EEENS1_30default_config_static_selectorELNS0_4arch9wavefront6targetE1EEEvSW_
	.p2align	8
	.type	_ZN7rocprim17ROCPRIM_400000_NS6detail17trampoline_kernelINS0_14default_configENS1_22reduce_config_selectorIlEEZNS1_11reduce_implILb1ES3_N6thrust23THRUST_200600_302600_NS11hip_rocprim26transform_input_iterator_tIlNS8_12zip_iteratorINS8_5tupleINS8_6detail15normal_iteratorINS8_10device_ptrIdEEEESH_NS8_9null_typeESI_SI_SI_SI_SI_SI_SI_EEEENS9_21zip_adj_not_predicateI22is_equal_div_10_uniqueIdEEEEEPllNS8_4plusIlEEEE10hipError_tPvRmT1_T2_T3_mT4_P12ihipStream_tbEUlT_E0_NS1_11comp_targetILNS1_3genE10ELNS1_11target_archE1201ELNS1_3gpuE5ELNS1_3repE0EEENS1_30default_config_static_selectorELNS0_4arch9wavefront6targetE1EEEvSW_,@function
_ZN7rocprim17ROCPRIM_400000_NS6detail17trampoline_kernelINS0_14default_configENS1_22reduce_config_selectorIlEEZNS1_11reduce_implILb1ES3_N6thrust23THRUST_200600_302600_NS11hip_rocprim26transform_input_iterator_tIlNS8_12zip_iteratorINS8_5tupleINS8_6detail15normal_iteratorINS8_10device_ptrIdEEEESH_NS8_9null_typeESI_SI_SI_SI_SI_SI_SI_EEEENS9_21zip_adj_not_predicateI22is_equal_div_10_uniqueIdEEEEEPllNS8_4plusIlEEEE10hipError_tPvRmT1_T2_T3_mT4_P12ihipStream_tbEUlT_E0_NS1_11comp_targetILNS1_3genE10ELNS1_11target_archE1201ELNS1_3gpuE5ELNS1_3repE0EEENS1_30default_config_static_selectorELNS0_4arch9wavefront6targetE1EEEvSW_: ; @_ZN7rocprim17ROCPRIM_400000_NS6detail17trampoline_kernelINS0_14default_configENS1_22reduce_config_selectorIlEEZNS1_11reduce_implILb1ES3_N6thrust23THRUST_200600_302600_NS11hip_rocprim26transform_input_iterator_tIlNS8_12zip_iteratorINS8_5tupleINS8_6detail15normal_iteratorINS8_10device_ptrIdEEEESH_NS8_9null_typeESI_SI_SI_SI_SI_SI_SI_EEEENS9_21zip_adj_not_predicateI22is_equal_div_10_uniqueIdEEEEEPllNS8_4plusIlEEEE10hipError_tPvRmT1_T2_T3_mT4_P12ihipStream_tbEUlT_E0_NS1_11comp_targetILNS1_3genE10ELNS1_11target_archE1201ELNS1_3gpuE5ELNS1_3repE0EEENS1_30default_config_static_selectorELNS0_4arch9wavefront6targetE1EEEvSW_
; %bb.0:
	.section	.rodata,"a",@progbits
	.p2align	6, 0x0
	.amdhsa_kernel _ZN7rocprim17ROCPRIM_400000_NS6detail17trampoline_kernelINS0_14default_configENS1_22reduce_config_selectorIlEEZNS1_11reduce_implILb1ES3_N6thrust23THRUST_200600_302600_NS11hip_rocprim26transform_input_iterator_tIlNS8_12zip_iteratorINS8_5tupleINS8_6detail15normal_iteratorINS8_10device_ptrIdEEEESH_NS8_9null_typeESI_SI_SI_SI_SI_SI_SI_EEEENS9_21zip_adj_not_predicateI22is_equal_div_10_uniqueIdEEEEEPllNS8_4plusIlEEEE10hipError_tPvRmT1_T2_T3_mT4_P12ihipStream_tbEUlT_E0_NS1_11comp_targetILNS1_3genE10ELNS1_11target_archE1201ELNS1_3gpuE5ELNS1_3repE0EEENS1_30default_config_static_selectorELNS0_4arch9wavefront6targetE1EEEvSW_
		.amdhsa_group_segment_fixed_size 0
		.amdhsa_private_segment_fixed_size 0
		.amdhsa_kernarg_size 80
		.amdhsa_user_sgpr_count 6
		.amdhsa_user_sgpr_private_segment_buffer 1
		.amdhsa_user_sgpr_dispatch_ptr 0
		.amdhsa_user_sgpr_queue_ptr 0
		.amdhsa_user_sgpr_kernarg_segment_ptr 1
		.amdhsa_user_sgpr_dispatch_id 0
		.amdhsa_user_sgpr_flat_scratch_init 0
		.amdhsa_user_sgpr_private_segment_size 0
		.amdhsa_uses_dynamic_stack 0
		.amdhsa_system_sgpr_private_segment_wavefront_offset 0
		.amdhsa_system_sgpr_workgroup_id_x 1
		.amdhsa_system_sgpr_workgroup_id_y 0
		.amdhsa_system_sgpr_workgroup_id_z 0
		.amdhsa_system_sgpr_workgroup_info 0
		.amdhsa_system_vgpr_workitem_id 0
		.amdhsa_next_free_vgpr 1
		.amdhsa_next_free_sgpr 0
		.amdhsa_reserve_vcc 0
		.amdhsa_reserve_flat_scratch 0
		.amdhsa_float_round_mode_32 0
		.amdhsa_float_round_mode_16_64 0
		.amdhsa_float_denorm_mode_32 3
		.amdhsa_float_denorm_mode_16_64 3
		.amdhsa_dx10_clamp 1
		.amdhsa_ieee_mode 1
		.amdhsa_fp16_overflow 0
		.amdhsa_exception_fp_ieee_invalid_op 0
		.amdhsa_exception_fp_denorm_src 0
		.amdhsa_exception_fp_ieee_div_zero 0
		.amdhsa_exception_fp_ieee_overflow 0
		.amdhsa_exception_fp_ieee_underflow 0
		.amdhsa_exception_fp_ieee_inexact 0
		.amdhsa_exception_int_div_zero 0
	.end_amdhsa_kernel
	.section	.text._ZN7rocprim17ROCPRIM_400000_NS6detail17trampoline_kernelINS0_14default_configENS1_22reduce_config_selectorIlEEZNS1_11reduce_implILb1ES3_N6thrust23THRUST_200600_302600_NS11hip_rocprim26transform_input_iterator_tIlNS8_12zip_iteratorINS8_5tupleINS8_6detail15normal_iteratorINS8_10device_ptrIdEEEESH_NS8_9null_typeESI_SI_SI_SI_SI_SI_SI_EEEENS9_21zip_adj_not_predicateI22is_equal_div_10_uniqueIdEEEEEPllNS8_4plusIlEEEE10hipError_tPvRmT1_T2_T3_mT4_P12ihipStream_tbEUlT_E0_NS1_11comp_targetILNS1_3genE10ELNS1_11target_archE1201ELNS1_3gpuE5ELNS1_3repE0EEENS1_30default_config_static_selectorELNS0_4arch9wavefront6targetE1EEEvSW_,"axG",@progbits,_ZN7rocprim17ROCPRIM_400000_NS6detail17trampoline_kernelINS0_14default_configENS1_22reduce_config_selectorIlEEZNS1_11reduce_implILb1ES3_N6thrust23THRUST_200600_302600_NS11hip_rocprim26transform_input_iterator_tIlNS8_12zip_iteratorINS8_5tupleINS8_6detail15normal_iteratorINS8_10device_ptrIdEEEESH_NS8_9null_typeESI_SI_SI_SI_SI_SI_SI_EEEENS9_21zip_adj_not_predicateI22is_equal_div_10_uniqueIdEEEEEPllNS8_4plusIlEEEE10hipError_tPvRmT1_T2_T3_mT4_P12ihipStream_tbEUlT_E0_NS1_11comp_targetILNS1_3genE10ELNS1_11target_archE1201ELNS1_3gpuE5ELNS1_3repE0EEENS1_30default_config_static_selectorELNS0_4arch9wavefront6targetE1EEEvSW_,comdat
.Lfunc_end766:
	.size	_ZN7rocprim17ROCPRIM_400000_NS6detail17trampoline_kernelINS0_14default_configENS1_22reduce_config_selectorIlEEZNS1_11reduce_implILb1ES3_N6thrust23THRUST_200600_302600_NS11hip_rocprim26transform_input_iterator_tIlNS8_12zip_iteratorINS8_5tupleINS8_6detail15normal_iteratorINS8_10device_ptrIdEEEESH_NS8_9null_typeESI_SI_SI_SI_SI_SI_SI_EEEENS9_21zip_adj_not_predicateI22is_equal_div_10_uniqueIdEEEEEPllNS8_4plusIlEEEE10hipError_tPvRmT1_T2_T3_mT4_P12ihipStream_tbEUlT_E0_NS1_11comp_targetILNS1_3genE10ELNS1_11target_archE1201ELNS1_3gpuE5ELNS1_3repE0EEENS1_30default_config_static_selectorELNS0_4arch9wavefront6targetE1EEEvSW_, .Lfunc_end766-_ZN7rocprim17ROCPRIM_400000_NS6detail17trampoline_kernelINS0_14default_configENS1_22reduce_config_selectorIlEEZNS1_11reduce_implILb1ES3_N6thrust23THRUST_200600_302600_NS11hip_rocprim26transform_input_iterator_tIlNS8_12zip_iteratorINS8_5tupleINS8_6detail15normal_iteratorINS8_10device_ptrIdEEEESH_NS8_9null_typeESI_SI_SI_SI_SI_SI_SI_EEEENS9_21zip_adj_not_predicateI22is_equal_div_10_uniqueIdEEEEEPllNS8_4plusIlEEEE10hipError_tPvRmT1_T2_T3_mT4_P12ihipStream_tbEUlT_E0_NS1_11comp_targetILNS1_3genE10ELNS1_11target_archE1201ELNS1_3gpuE5ELNS1_3repE0EEENS1_30default_config_static_selectorELNS0_4arch9wavefront6targetE1EEEvSW_
                                        ; -- End function
	.set _ZN7rocprim17ROCPRIM_400000_NS6detail17trampoline_kernelINS0_14default_configENS1_22reduce_config_selectorIlEEZNS1_11reduce_implILb1ES3_N6thrust23THRUST_200600_302600_NS11hip_rocprim26transform_input_iterator_tIlNS8_12zip_iteratorINS8_5tupleINS8_6detail15normal_iteratorINS8_10device_ptrIdEEEESH_NS8_9null_typeESI_SI_SI_SI_SI_SI_SI_EEEENS9_21zip_adj_not_predicateI22is_equal_div_10_uniqueIdEEEEEPllNS8_4plusIlEEEE10hipError_tPvRmT1_T2_T3_mT4_P12ihipStream_tbEUlT_E0_NS1_11comp_targetILNS1_3genE10ELNS1_11target_archE1201ELNS1_3gpuE5ELNS1_3repE0EEENS1_30default_config_static_selectorELNS0_4arch9wavefront6targetE1EEEvSW_.num_vgpr, 0
	.set _ZN7rocprim17ROCPRIM_400000_NS6detail17trampoline_kernelINS0_14default_configENS1_22reduce_config_selectorIlEEZNS1_11reduce_implILb1ES3_N6thrust23THRUST_200600_302600_NS11hip_rocprim26transform_input_iterator_tIlNS8_12zip_iteratorINS8_5tupleINS8_6detail15normal_iteratorINS8_10device_ptrIdEEEESH_NS8_9null_typeESI_SI_SI_SI_SI_SI_SI_EEEENS9_21zip_adj_not_predicateI22is_equal_div_10_uniqueIdEEEEEPllNS8_4plusIlEEEE10hipError_tPvRmT1_T2_T3_mT4_P12ihipStream_tbEUlT_E0_NS1_11comp_targetILNS1_3genE10ELNS1_11target_archE1201ELNS1_3gpuE5ELNS1_3repE0EEENS1_30default_config_static_selectorELNS0_4arch9wavefront6targetE1EEEvSW_.num_agpr, 0
	.set _ZN7rocprim17ROCPRIM_400000_NS6detail17trampoline_kernelINS0_14default_configENS1_22reduce_config_selectorIlEEZNS1_11reduce_implILb1ES3_N6thrust23THRUST_200600_302600_NS11hip_rocprim26transform_input_iterator_tIlNS8_12zip_iteratorINS8_5tupleINS8_6detail15normal_iteratorINS8_10device_ptrIdEEEESH_NS8_9null_typeESI_SI_SI_SI_SI_SI_SI_EEEENS9_21zip_adj_not_predicateI22is_equal_div_10_uniqueIdEEEEEPllNS8_4plusIlEEEE10hipError_tPvRmT1_T2_T3_mT4_P12ihipStream_tbEUlT_E0_NS1_11comp_targetILNS1_3genE10ELNS1_11target_archE1201ELNS1_3gpuE5ELNS1_3repE0EEENS1_30default_config_static_selectorELNS0_4arch9wavefront6targetE1EEEvSW_.numbered_sgpr, 0
	.set _ZN7rocprim17ROCPRIM_400000_NS6detail17trampoline_kernelINS0_14default_configENS1_22reduce_config_selectorIlEEZNS1_11reduce_implILb1ES3_N6thrust23THRUST_200600_302600_NS11hip_rocprim26transform_input_iterator_tIlNS8_12zip_iteratorINS8_5tupleINS8_6detail15normal_iteratorINS8_10device_ptrIdEEEESH_NS8_9null_typeESI_SI_SI_SI_SI_SI_SI_EEEENS9_21zip_adj_not_predicateI22is_equal_div_10_uniqueIdEEEEEPllNS8_4plusIlEEEE10hipError_tPvRmT1_T2_T3_mT4_P12ihipStream_tbEUlT_E0_NS1_11comp_targetILNS1_3genE10ELNS1_11target_archE1201ELNS1_3gpuE5ELNS1_3repE0EEENS1_30default_config_static_selectorELNS0_4arch9wavefront6targetE1EEEvSW_.num_named_barrier, 0
	.set _ZN7rocprim17ROCPRIM_400000_NS6detail17trampoline_kernelINS0_14default_configENS1_22reduce_config_selectorIlEEZNS1_11reduce_implILb1ES3_N6thrust23THRUST_200600_302600_NS11hip_rocprim26transform_input_iterator_tIlNS8_12zip_iteratorINS8_5tupleINS8_6detail15normal_iteratorINS8_10device_ptrIdEEEESH_NS8_9null_typeESI_SI_SI_SI_SI_SI_SI_EEEENS9_21zip_adj_not_predicateI22is_equal_div_10_uniqueIdEEEEEPllNS8_4plusIlEEEE10hipError_tPvRmT1_T2_T3_mT4_P12ihipStream_tbEUlT_E0_NS1_11comp_targetILNS1_3genE10ELNS1_11target_archE1201ELNS1_3gpuE5ELNS1_3repE0EEENS1_30default_config_static_selectorELNS0_4arch9wavefront6targetE1EEEvSW_.private_seg_size, 0
	.set _ZN7rocprim17ROCPRIM_400000_NS6detail17trampoline_kernelINS0_14default_configENS1_22reduce_config_selectorIlEEZNS1_11reduce_implILb1ES3_N6thrust23THRUST_200600_302600_NS11hip_rocprim26transform_input_iterator_tIlNS8_12zip_iteratorINS8_5tupleINS8_6detail15normal_iteratorINS8_10device_ptrIdEEEESH_NS8_9null_typeESI_SI_SI_SI_SI_SI_SI_EEEENS9_21zip_adj_not_predicateI22is_equal_div_10_uniqueIdEEEEEPllNS8_4plusIlEEEE10hipError_tPvRmT1_T2_T3_mT4_P12ihipStream_tbEUlT_E0_NS1_11comp_targetILNS1_3genE10ELNS1_11target_archE1201ELNS1_3gpuE5ELNS1_3repE0EEENS1_30default_config_static_selectorELNS0_4arch9wavefront6targetE1EEEvSW_.uses_vcc, 0
	.set _ZN7rocprim17ROCPRIM_400000_NS6detail17trampoline_kernelINS0_14default_configENS1_22reduce_config_selectorIlEEZNS1_11reduce_implILb1ES3_N6thrust23THRUST_200600_302600_NS11hip_rocprim26transform_input_iterator_tIlNS8_12zip_iteratorINS8_5tupleINS8_6detail15normal_iteratorINS8_10device_ptrIdEEEESH_NS8_9null_typeESI_SI_SI_SI_SI_SI_SI_EEEENS9_21zip_adj_not_predicateI22is_equal_div_10_uniqueIdEEEEEPllNS8_4plusIlEEEE10hipError_tPvRmT1_T2_T3_mT4_P12ihipStream_tbEUlT_E0_NS1_11comp_targetILNS1_3genE10ELNS1_11target_archE1201ELNS1_3gpuE5ELNS1_3repE0EEENS1_30default_config_static_selectorELNS0_4arch9wavefront6targetE1EEEvSW_.uses_flat_scratch, 0
	.set _ZN7rocprim17ROCPRIM_400000_NS6detail17trampoline_kernelINS0_14default_configENS1_22reduce_config_selectorIlEEZNS1_11reduce_implILb1ES3_N6thrust23THRUST_200600_302600_NS11hip_rocprim26transform_input_iterator_tIlNS8_12zip_iteratorINS8_5tupleINS8_6detail15normal_iteratorINS8_10device_ptrIdEEEESH_NS8_9null_typeESI_SI_SI_SI_SI_SI_SI_EEEENS9_21zip_adj_not_predicateI22is_equal_div_10_uniqueIdEEEEEPllNS8_4plusIlEEEE10hipError_tPvRmT1_T2_T3_mT4_P12ihipStream_tbEUlT_E0_NS1_11comp_targetILNS1_3genE10ELNS1_11target_archE1201ELNS1_3gpuE5ELNS1_3repE0EEENS1_30default_config_static_selectorELNS0_4arch9wavefront6targetE1EEEvSW_.has_dyn_sized_stack, 0
	.set _ZN7rocprim17ROCPRIM_400000_NS6detail17trampoline_kernelINS0_14default_configENS1_22reduce_config_selectorIlEEZNS1_11reduce_implILb1ES3_N6thrust23THRUST_200600_302600_NS11hip_rocprim26transform_input_iterator_tIlNS8_12zip_iteratorINS8_5tupleINS8_6detail15normal_iteratorINS8_10device_ptrIdEEEESH_NS8_9null_typeESI_SI_SI_SI_SI_SI_SI_EEEENS9_21zip_adj_not_predicateI22is_equal_div_10_uniqueIdEEEEEPllNS8_4plusIlEEEE10hipError_tPvRmT1_T2_T3_mT4_P12ihipStream_tbEUlT_E0_NS1_11comp_targetILNS1_3genE10ELNS1_11target_archE1201ELNS1_3gpuE5ELNS1_3repE0EEENS1_30default_config_static_selectorELNS0_4arch9wavefront6targetE1EEEvSW_.has_recursion, 0
	.set _ZN7rocprim17ROCPRIM_400000_NS6detail17trampoline_kernelINS0_14default_configENS1_22reduce_config_selectorIlEEZNS1_11reduce_implILb1ES3_N6thrust23THRUST_200600_302600_NS11hip_rocprim26transform_input_iterator_tIlNS8_12zip_iteratorINS8_5tupleINS8_6detail15normal_iteratorINS8_10device_ptrIdEEEESH_NS8_9null_typeESI_SI_SI_SI_SI_SI_SI_EEEENS9_21zip_adj_not_predicateI22is_equal_div_10_uniqueIdEEEEEPllNS8_4plusIlEEEE10hipError_tPvRmT1_T2_T3_mT4_P12ihipStream_tbEUlT_E0_NS1_11comp_targetILNS1_3genE10ELNS1_11target_archE1201ELNS1_3gpuE5ELNS1_3repE0EEENS1_30default_config_static_selectorELNS0_4arch9wavefront6targetE1EEEvSW_.has_indirect_call, 0
	.section	.AMDGPU.csdata,"",@progbits
; Kernel info:
; codeLenInByte = 0
; TotalNumSgprs: 4
; NumVgprs: 0
; ScratchSize: 0
; MemoryBound: 0
; FloatMode: 240
; IeeeMode: 1
; LDSByteSize: 0 bytes/workgroup (compile time only)
; SGPRBlocks: 0
; VGPRBlocks: 0
; NumSGPRsForWavesPerEU: 4
; NumVGPRsForWavesPerEU: 1
; Occupancy: 10
; WaveLimiterHint : 0
; COMPUTE_PGM_RSRC2:SCRATCH_EN: 0
; COMPUTE_PGM_RSRC2:USER_SGPR: 6
; COMPUTE_PGM_RSRC2:TRAP_HANDLER: 0
; COMPUTE_PGM_RSRC2:TGID_X_EN: 1
; COMPUTE_PGM_RSRC2:TGID_Y_EN: 0
; COMPUTE_PGM_RSRC2:TGID_Z_EN: 0
; COMPUTE_PGM_RSRC2:TIDIG_COMP_CNT: 0
	.section	.text._ZN7rocprim17ROCPRIM_400000_NS6detail17trampoline_kernelINS0_14default_configENS1_22reduce_config_selectorIlEEZNS1_11reduce_implILb1ES3_N6thrust23THRUST_200600_302600_NS11hip_rocprim26transform_input_iterator_tIlNS8_12zip_iteratorINS8_5tupleINS8_6detail15normal_iteratorINS8_10device_ptrIdEEEESH_NS8_9null_typeESI_SI_SI_SI_SI_SI_SI_EEEENS9_21zip_adj_not_predicateI22is_equal_div_10_uniqueIdEEEEEPllNS8_4plusIlEEEE10hipError_tPvRmT1_T2_T3_mT4_P12ihipStream_tbEUlT_E0_NS1_11comp_targetILNS1_3genE10ELNS1_11target_archE1200ELNS1_3gpuE4ELNS1_3repE0EEENS1_30default_config_static_selectorELNS0_4arch9wavefront6targetE1EEEvSW_,"axG",@progbits,_ZN7rocprim17ROCPRIM_400000_NS6detail17trampoline_kernelINS0_14default_configENS1_22reduce_config_selectorIlEEZNS1_11reduce_implILb1ES3_N6thrust23THRUST_200600_302600_NS11hip_rocprim26transform_input_iterator_tIlNS8_12zip_iteratorINS8_5tupleINS8_6detail15normal_iteratorINS8_10device_ptrIdEEEESH_NS8_9null_typeESI_SI_SI_SI_SI_SI_SI_EEEENS9_21zip_adj_not_predicateI22is_equal_div_10_uniqueIdEEEEEPllNS8_4plusIlEEEE10hipError_tPvRmT1_T2_T3_mT4_P12ihipStream_tbEUlT_E0_NS1_11comp_targetILNS1_3genE10ELNS1_11target_archE1200ELNS1_3gpuE4ELNS1_3repE0EEENS1_30default_config_static_selectorELNS0_4arch9wavefront6targetE1EEEvSW_,comdat
	.protected	_ZN7rocprim17ROCPRIM_400000_NS6detail17trampoline_kernelINS0_14default_configENS1_22reduce_config_selectorIlEEZNS1_11reduce_implILb1ES3_N6thrust23THRUST_200600_302600_NS11hip_rocprim26transform_input_iterator_tIlNS8_12zip_iteratorINS8_5tupleINS8_6detail15normal_iteratorINS8_10device_ptrIdEEEESH_NS8_9null_typeESI_SI_SI_SI_SI_SI_SI_EEEENS9_21zip_adj_not_predicateI22is_equal_div_10_uniqueIdEEEEEPllNS8_4plusIlEEEE10hipError_tPvRmT1_T2_T3_mT4_P12ihipStream_tbEUlT_E0_NS1_11comp_targetILNS1_3genE10ELNS1_11target_archE1200ELNS1_3gpuE4ELNS1_3repE0EEENS1_30default_config_static_selectorELNS0_4arch9wavefront6targetE1EEEvSW_ ; -- Begin function _ZN7rocprim17ROCPRIM_400000_NS6detail17trampoline_kernelINS0_14default_configENS1_22reduce_config_selectorIlEEZNS1_11reduce_implILb1ES3_N6thrust23THRUST_200600_302600_NS11hip_rocprim26transform_input_iterator_tIlNS8_12zip_iteratorINS8_5tupleINS8_6detail15normal_iteratorINS8_10device_ptrIdEEEESH_NS8_9null_typeESI_SI_SI_SI_SI_SI_SI_EEEENS9_21zip_adj_not_predicateI22is_equal_div_10_uniqueIdEEEEEPllNS8_4plusIlEEEE10hipError_tPvRmT1_T2_T3_mT4_P12ihipStream_tbEUlT_E0_NS1_11comp_targetILNS1_3genE10ELNS1_11target_archE1200ELNS1_3gpuE4ELNS1_3repE0EEENS1_30default_config_static_selectorELNS0_4arch9wavefront6targetE1EEEvSW_
	.globl	_ZN7rocprim17ROCPRIM_400000_NS6detail17trampoline_kernelINS0_14default_configENS1_22reduce_config_selectorIlEEZNS1_11reduce_implILb1ES3_N6thrust23THRUST_200600_302600_NS11hip_rocprim26transform_input_iterator_tIlNS8_12zip_iteratorINS8_5tupleINS8_6detail15normal_iteratorINS8_10device_ptrIdEEEESH_NS8_9null_typeESI_SI_SI_SI_SI_SI_SI_EEEENS9_21zip_adj_not_predicateI22is_equal_div_10_uniqueIdEEEEEPllNS8_4plusIlEEEE10hipError_tPvRmT1_T2_T3_mT4_P12ihipStream_tbEUlT_E0_NS1_11comp_targetILNS1_3genE10ELNS1_11target_archE1200ELNS1_3gpuE4ELNS1_3repE0EEENS1_30default_config_static_selectorELNS0_4arch9wavefront6targetE1EEEvSW_
	.p2align	8
	.type	_ZN7rocprim17ROCPRIM_400000_NS6detail17trampoline_kernelINS0_14default_configENS1_22reduce_config_selectorIlEEZNS1_11reduce_implILb1ES3_N6thrust23THRUST_200600_302600_NS11hip_rocprim26transform_input_iterator_tIlNS8_12zip_iteratorINS8_5tupleINS8_6detail15normal_iteratorINS8_10device_ptrIdEEEESH_NS8_9null_typeESI_SI_SI_SI_SI_SI_SI_EEEENS9_21zip_adj_not_predicateI22is_equal_div_10_uniqueIdEEEEEPllNS8_4plusIlEEEE10hipError_tPvRmT1_T2_T3_mT4_P12ihipStream_tbEUlT_E0_NS1_11comp_targetILNS1_3genE10ELNS1_11target_archE1200ELNS1_3gpuE4ELNS1_3repE0EEENS1_30default_config_static_selectorELNS0_4arch9wavefront6targetE1EEEvSW_,@function
_ZN7rocprim17ROCPRIM_400000_NS6detail17trampoline_kernelINS0_14default_configENS1_22reduce_config_selectorIlEEZNS1_11reduce_implILb1ES3_N6thrust23THRUST_200600_302600_NS11hip_rocprim26transform_input_iterator_tIlNS8_12zip_iteratorINS8_5tupleINS8_6detail15normal_iteratorINS8_10device_ptrIdEEEESH_NS8_9null_typeESI_SI_SI_SI_SI_SI_SI_EEEENS9_21zip_adj_not_predicateI22is_equal_div_10_uniqueIdEEEEEPllNS8_4plusIlEEEE10hipError_tPvRmT1_T2_T3_mT4_P12ihipStream_tbEUlT_E0_NS1_11comp_targetILNS1_3genE10ELNS1_11target_archE1200ELNS1_3gpuE4ELNS1_3repE0EEENS1_30default_config_static_selectorELNS0_4arch9wavefront6targetE1EEEvSW_: ; @_ZN7rocprim17ROCPRIM_400000_NS6detail17trampoline_kernelINS0_14default_configENS1_22reduce_config_selectorIlEEZNS1_11reduce_implILb1ES3_N6thrust23THRUST_200600_302600_NS11hip_rocprim26transform_input_iterator_tIlNS8_12zip_iteratorINS8_5tupleINS8_6detail15normal_iteratorINS8_10device_ptrIdEEEESH_NS8_9null_typeESI_SI_SI_SI_SI_SI_SI_EEEENS9_21zip_adj_not_predicateI22is_equal_div_10_uniqueIdEEEEEPllNS8_4plusIlEEEE10hipError_tPvRmT1_T2_T3_mT4_P12ihipStream_tbEUlT_E0_NS1_11comp_targetILNS1_3genE10ELNS1_11target_archE1200ELNS1_3gpuE4ELNS1_3repE0EEENS1_30default_config_static_selectorELNS0_4arch9wavefront6targetE1EEEvSW_
; %bb.0:
	.section	.rodata,"a",@progbits
	.p2align	6, 0x0
	.amdhsa_kernel _ZN7rocprim17ROCPRIM_400000_NS6detail17trampoline_kernelINS0_14default_configENS1_22reduce_config_selectorIlEEZNS1_11reduce_implILb1ES3_N6thrust23THRUST_200600_302600_NS11hip_rocprim26transform_input_iterator_tIlNS8_12zip_iteratorINS8_5tupleINS8_6detail15normal_iteratorINS8_10device_ptrIdEEEESH_NS8_9null_typeESI_SI_SI_SI_SI_SI_SI_EEEENS9_21zip_adj_not_predicateI22is_equal_div_10_uniqueIdEEEEEPllNS8_4plusIlEEEE10hipError_tPvRmT1_T2_T3_mT4_P12ihipStream_tbEUlT_E0_NS1_11comp_targetILNS1_3genE10ELNS1_11target_archE1200ELNS1_3gpuE4ELNS1_3repE0EEENS1_30default_config_static_selectorELNS0_4arch9wavefront6targetE1EEEvSW_
		.amdhsa_group_segment_fixed_size 0
		.amdhsa_private_segment_fixed_size 0
		.amdhsa_kernarg_size 80
		.amdhsa_user_sgpr_count 6
		.amdhsa_user_sgpr_private_segment_buffer 1
		.amdhsa_user_sgpr_dispatch_ptr 0
		.amdhsa_user_sgpr_queue_ptr 0
		.amdhsa_user_sgpr_kernarg_segment_ptr 1
		.amdhsa_user_sgpr_dispatch_id 0
		.amdhsa_user_sgpr_flat_scratch_init 0
		.amdhsa_user_sgpr_private_segment_size 0
		.amdhsa_uses_dynamic_stack 0
		.amdhsa_system_sgpr_private_segment_wavefront_offset 0
		.amdhsa_system_sgpr_workgroup_id_x 1
		.amdhsa_system_sgpr_workgroup_id_y 0
		.amdhsa_system_sgpr_workgroup_id_z 0
		.amdhsa_system_sgpr_workgroup_info 0
		.amdhsa_system_vgpr_workitem_id 0
		.amdhsa_next_free_vgpr 1
		.amdhsa_next_free_sgpr 0
		.amdhsa_reserve_vcc 0
		.amdhsa_reserve_flat_scratch 0
		.amdhsa_float_round_mode_32 0
		.amdhsa_float_round_mode_16_64 0
		.amdhsa_float_denorm_mode_32 3
		.amdhsa_float_denorm_mode_16_64 3
		.amdhsa_dx10_clamp 1
		.amdhsa_ieee_mode 1
		.amdhsa_fp16_overflow 0
		.amdhsa_exception_fp_ieee_invalid_op 0
		.amdhsa_exception_fp_denorm_src 0
		.amdhsa_exception_fp_ieee_div_zero 0
		.amdhsa_exception_fp_ieee_overflow 0
		.amdhsa_exception_fp_ieee_underflow 0
		.amdhsa_exception_fp_ieee_inexact 0
		.amdhsa_exception_int_div_zero 0
	.end_amdhsa_kernel
	.section	.text._ZN7rocprim17ROCPRIM_400000_NS6detail17trampoline_kernelINS0_14default_configENS1_22reduce_config_selectorIlEEZNS1_11reduce_implILb1ES3_N6thrust23THRUST_200600_302600_NS11hip_rocprim26transform_input_iterator_tIlNS8_12zip_iteratorINS8_5tupleINS8_6detail15normal_iteratorINS8_10device_ptrIdEEEESH_NS8_9null_typeESI_SI_SI_SI_SI_SI_SI_EEEENS9_21zip_adj_not_predicateI22is_equal_div_10_uniqueIdEEEEEPllNS8_4plusIlEEEE10hipError_tPvRmT1_T2_T3_mT4_P12ihipStream_tbEUlT_E0_NS1_11comp_targetILNS1_3genE10ELNS1_11target_archE1200ELNS1_3gpuE4ELNS1_3repE0EEENS1_30default_config_static_selectorELNS0_4arch9wavefront6targetE1EEEvSW_,"axG",@progbits,_ZN7rocprim17ROCPRIM_400000_NS6detail17trampoline_kernelINS0_14default_configENS1_22reduce_config_selectorIlEEZNS1_11reduce_implILb1ES3_N6thrust23THRUST_200600_302600_NS11hip_rocprim26transform_input_iterator_tIlNS8_12zip_iteratorINS8_5tupleINS8_6detail15normal_iteratorINS8_10device_ptrIdEEEESH_NS8_9null_typeESI_SI_SI_SI_SI_SI_SI_EEEENS9_21zip_adj_not_predicateI22is_equal_div_10_uniqueIdEEEEEPllNS8_4plusIlEEEE10hipError_tPvRmT1_T2_T3_mT4_P12ihipStream_tbEUlT_E0_NS1_11comp_targetILNS1_3genE10ELNS1_11target_archE1200ELNS1_3gpuE4ELNS1_3repE0EEENS1_30default_config_static_selectorELNS0_4arch9wavefront6targetE1EEEvSW_,comdat
.Lfunc_end767:
	.size	_ZN7rocprim17ROCPRIM_400000_NS6detail17trampoline_kernelINS0_14default_configENS1_22reduce_config_selectorIlEEZNS1_11reduce_implILb1ES3_N6thrust23THRUST_200600_302600_NS11hip_rocprim26transform_input_iterator_tIlNS8_12zip_iteratorINS8_5tupleINS8_6detail15normal_iteratorINS8_10device_ptrIdEEEESH_NS8_9null_typeESI_SI_SI_SI_SI_SI_SI_EEEENS9_21zip_adj_not_predicateI22is_equal_div_10_uniqueIdEEEEEPllNS8_4plusIlEEEE10hipError_tPvRmT1_T2_T3_mT4_P12ihipStream_tbEUlT_E0_NS1_11comp_targetILNS1_3genE10ELNS1_11target_archE1200ELNS1_3gpuE4ELNS1_3repE0EEENS1_30default_config_static_selectorELNS0_4arch9wavefront6targetE1EEEvSW_, .Lfunc_end767-_ZN7rocprim17ROCPRIM_400000_NS6detail17trampoline_kernelINS0_14default_configENS1_22reduce_config_selectorIlEEZNS1_11reduce_implILb1ES3_N6thrust23THRUST_200600_302600_NS11hip_rocprim26transform_input_iterator_tIlNS8_12zip_iteratorINS8_5tupleINS8_6detail15normal_iteratorINS8_10device_ptrIdEEEESH_NS8_9null_typeESI_SI_SI_SI_SI_SI_SI_EEEENS9_21zip_adj_not_predicateI22is_equal_div_10_uniqueIdEEEEEPllNS8_4plusIlEEEE10hipError_tPvRmT1_T2_T3_mT4_P12ihipStream_tbEUlT_E0_NS1_11comp_targetILNS1_3genE10ELNS1_11target_archE1200ELNS1_3gpuE4ELNS1_3repE0EEENS1_30default_config_static_selectorELNS0_4arch9wavefront6targetE1EEEvSW_
                                        ; -- End function
	.set _ZN7rocprim17ROCPRIM_400000_NS6detail17trampoline_kernelINS0_14default_configENS1_22reduce_config_selectorIlEEZNS1_11reduce_implILb1ES3_N6thrust23THRUST_200600_302600_NS11hip_rocprim26transform_input_iterator_tIlNS8_12zip_iteratorINS8_5tupleINS8_6detail15normal_iteratorINS8_10device_ptrIdEEEESH_NS8_9null_typeESI_SI_SI_SI_SI_SI_SI_EEEENS9_21zip_adj_not_predicateI22is_equal_div_10_uniqueIdEEEEEPllNS8_4plusIlEEEE10hipError_tPvRmT1_T2_T3_mT4_P12ihipStream_tbEUlT_E0_NS1_11comp_targetILNS1_3genE10ELNS1_11target_archE1200ELNS1_3gpuE4ELNS1_3repE0EEENS1_30default_config_static_selectorELNS0_4arch9wavefront6targetE1EEEvSW_.num_vgpr, 0
	.set _ZN7rocprim17ROCPRIM_400000_NS6detail17trampoline_kernelINS0_14default_configENS1_22reduce_config_selectorIlEEZNS1_11reduce_implILb1ES3_N6thrust23THRUST_200600_302600_NS11hip_rocprim26transform_input_iterator_tIlNS8_12zip_iteratorINS8_5tupleINS8_6detail15normal_iteratorINS8_10device_ptrIdEEEESH_NS8_9null_typeESI_SI_SI_SI_SI_SI_SI_EEEENS9_21zip_adj_not_predicateI22is_equal_div_10_uniqueIdEEEEEPllNS8_4plusIlEEEE10hipError_tPvRmT1_T2_T3_mT4_P12ihipStream_tbEUlT_E0_NS1_11comp_targetILNS1_3genE10ELNS1_11target_archE1200ELNS1_3gpuE4ELNS1_3repE0EEENS1_30default_config_static_selectorELNS0_4arch9wavefront6targetE1EEEvSW_.num_agpr, 0
	.set _ZN7rocprim17ROCPRIM_400000_NS6detail17trampoline_kernelINS0_14default_configENS1_22reduce_config_selectorIlEEZNS1_11reduce_implILb1ES3_N6thrust23THRUST_200600_302600_NS11hip_rocprim26transform_input_iterator_tIlNS8_12zip_iteratorINS8_5tupleINS8_6detail15normal_iteratorINS8_10device_ptrIdEEEESH_NS8_9null_typeESI_SI_SI_SI_SI_SI_SI_EEEENS9_21zip_adj_not_predicateI22is_equal_div_10_uniqueIdEEEEEPllNS8_4plusIlEEEE10hipError_tPvRmT1_T2_T3_mT4_P12ihipStream_tbEUlT_E0_NS1_11comp_targetILNS1_3genE10ELNS1_11target_archE1200ELNS1_3gpuE4ELNS1_3repE0EEENS1_30default_config_static_selectorELNS0_4arch9wavefront6targetE1EEEvSW_.numbered_sgpr, 0
	.set _ZN7rocprim17ROCPRIM_400000_NS6detail17trampoline_kernelINS0_14default_configENS1_22reduce_config_selectorIlEEZNS1_11reduce_implILb1ES3_N6thrust23THRUST_200600_302600_NS11hip_rocprim26transform_input_iterator_tIlNS8_12zip_iteratorINS8_5tupleINS8_6detail15normal_iteratorINS8_10device_ptrIdEEEESH_NS8_9null_typeESI_SI_SI_SI_SI_SI_SI_EEEENS9_21zip_adj_not_predicateI22is_equal_div_10_uniqueIdEEEEEPllNS8_4plusIlEEEE10hipError_tPvRmT1_T2_T3_mT4_P12ihipStream_tbEUlT_E0_NS1_11comp_targetILNS1_3genE10ELNS1_11target_archE1200ELNS1_3gpuE4ELNS1_3repE0EEENS1_30default_config_static_selectorELNS0_4arch9wavefront6targetE1EEEvSW_.num_named_barrier, 0
	.set _ZN7rocprim17ROCPRIM_400000_NS6detail17trampoline_kernelINS0_14default_configENS1_22reduce_config_selectorIlEEZNS1_11reduce_implILb1ES3_N6thrust23THRUST_200600_302600_NS11hip_rocprim26transform_input_iterator_tIlNS8_12zip_iteratorINS8_5tupleINS8_6detail15normal_iteratorINS8_10device_ptrIdEEEESH_NS8_9null_typeESI_SI_SI_SI_SI_SI_SI_EEEENS9_21zip_adj_not_predicateI22is_equal_div_10_uniqueIdEEEEEPllNS8_4plusIlEEEE10hipError_tPvRmT1_T2_T3_mT4_P12ihipStream_tbEUlT_E0_NS1_11comp_targetILNS1_3genE10ELNS1_11target_archE1200ELNS1_3gpuE4ELNS1_3repE0EEENS1_30default_config_static_selectorELNS0_4arch9wavefront6targetE1EEEvSW_.private_seg_size, 0
	.set _ZN7rocprim17ROCPRIM_400000_NS6detail17trampoline_kernelINS0_14default_configENS1_22reduce_config_selectorIlEEZNS1_11reduce_implILb1ES3_N6thrust23THRUST_200600_302600_NS11hip_rocprim26transform_input_iterator_tIlNS8_12zip_iteratorINS8_5tupleINS8_6detail15normal_iteratorINS8_10device_ptrIdEEEESH_NS8_9null_typeESI_SI_SI_SI_SI_SI_SI_EEEENS9_21zip_adj_not_predicateI22is_equal_div_10_uniqueIdEEEEEPllNS8_4plusIlEEEE10hipError_tPvRmT1_T2_T3_mT4_P12ihipStream_tbEUlT_E0_NS1_11comp_targetILNS1_3genE10ELNS1_11target_archE1200ELNS1_3gpuE4ELNS1_3repE0EEENS1_30default_config_static_selectorELNS0_4arch9wavefront6targetE1EEEvSW_.uses_vcc, 0
	.set _ZN7rocprim17ROCPRIM_400000_NS6detail17trampoline_kernelINS0_14default_configENS1_22reduce_config_selectorIlEEZNS1_11reduce_implILb1ES3_N6thrust23THRUST_200600_302600_NS11hip_rocprim26transform_input_iterator_tIlNS8_12zip_iteratorINS8_5tupleINS8_6detail15normal_iteratorINS8_10device_ptrIdEEEESH_NS8_9null_typeESI_SI_SI_SI_SI_SI_SI_EEEENS9_21zip_adj_not_predicateI22is_equal_div_10_uniqueIdEEEEEPllNS8_4plusIlEEEE10hipError_tPvRmT1_T2_T3_mT4_P12ihipStream_tbEUlT_E0_NS1_11comp_targetILNS1_3genE10ELNS1_11target_archE1200ELNS1_3gpuE4ELNS1_3repE0EEENS1_30default_config_static_selectorELNS0_4arch9wavefront6targetE1EEEvSW_.uses_flat_scratch, 0
	.set _ZN7rocprim17ROCPRIM_400000_NS6detail17trampoline_kernelINS0_14default_configENS1_22reduce_config_selectorIlEEZNS1_11reduce_implILb1ES3_N6thrust23THRUST_200600_302600_NS11hip_rocprim26transform_input_iterator_tIlNS8_12zip_iteratorINS8_5tupleINS8_6detail15normal_iteratorINS8_10device_ptrIdEEEESH_NS8_9null_typeESI_SI_SI_SI_SI_SI_SI_EEEENS9_21zip_adj_not_predicateI22is_equal_div_10_uniqueIdEEEEEPllNS8_4plusIlEEEE10hipError_tPvRmT1_T2_T3_mT4_P12ihipStream_tbEUlT_E0_NS1_11comp_targetILNS1_3genE10ELNS1_11target_archE1200ELNS1_3gpuE4ELNS1_3repE0EEENS1_30default_config_static_selectorELNS0_4arch9wavefront6targetE1EEEvSW_.has_dyn_sized_stack, 0
	.set _ZN7rocprim17ROCPRIM_400000_NS6detail17trampoline_kernelINS0_14default_configENS1_22reduce_config_selectorIlEEZNS1_11reduce_implILb1ES3_N6thrust23THRUST_200600_302600_NS11hip_rocprim26transform_input_iterator_tIlNS8_12zip_iteratorINS8_5tupleINS8_6detail15normal_iteratorINS8_10device_ptrIdEEEESH_NS8_9null_typeESI_SI_SI_SI_SI_SI_SI_EEEENS9_21zip_adj_not_predicateI22is_equal_div_10_uniqueIdEEEEEPllNS8_4plusIlEEEE10hipError_tPvRmT1_T2_T3_mT4_P12ihipStream_tbEUlT_E0_NS1_11comp_targetILNS1_3genE10ELNS1_11target_archE1200ELNS1_3gpuE4ELNS1_3repE0EEENS1_30default_config_static_selectorELNS0_4arch9wavefront6targetE1EEEvSW_.has_recursion, 0
	.set _ZN7rocprim17ROCPRIM_400000_NS6detail17trampoline_kernelINS0_14default_configENS1_22reduce_config_selectorIlEEZNS1_11reduce_implILb1ES3_N6thrust23THRUST_200600_302600_NS11hip_rocprim26transform_input_iterator_tIlNS8_12zip_iteratorINS8_5tupleINS8_6detail15normal_iteratorINS8_10device_ptrIdEEEESH_NS8_9null_typeESI_SI_SI_SI_SI_SI_SI_EEEENS9_21zip_adj_not_predicateI22is_equal_div_10_uniqueIdEEEEEPllNS8_4plusIlEEEE10hipError_tPvRmT1_T2_T3_mT4_P12ihipStream_tbEUlT_E0_NS1_11comp_targetILNS1_3genE10ELNS1_11target_archE1200ELNS1_3gpuE4ELNS1_3repE0EEENS1_30default_config_static_selectorELNS0_4arch9wavefront6targetE1EEEvSW_.has_indirect_call, 0
	.section	.AMDGPU.csdata,"",@progbits
; Kernel info:
; codeLenInByte = 0
; TotalNumSgprs: 4
; NumVgprs: 0
; ScratchSize: 0
; MemoryBound: 0
; FloatMode: 240
; IeeeMode: 1
; LDSByteSize: 0 bytes/workgroup (compile time only)
; SGPRBlocks: 0
; VGPRBlocks: 0
; NumSGPRsForWavesPerEU: 4
; NumVGPRsForWavesPerEU: 1
; Occupancy: 10
; WaveLimiterHint : 0
; COMPUTE_PGM_RSRC2:SCRATCH_EN: 0
; COMPUTE_PGM_RSRC2:USER_SGPR: 6
; COMPUTE_PGM_RSRC2:TRAP_HANDLER: 0
; COMPUTE_PGM_RSRC2:TGID_X_EN: 1
; COMPUTE_PGM_RSRC2:TGID_Y_EN: 0
; COMPUTE_PGM_RSRC2:TGID_Z_EN: 0
; COMPUTE_PGM_RSRC2:TIDIG_COMP_CNT: 0
	.section	.text._ZN7rocprim17ROCPRIM_400000_NS6detail17trampoline_kernelINS0_14default_configENS1_22reduce_config_selectorIlEEZNS1_11reduce_implILb1ES3_N6thrust23THRUST_200600_302600_NS11hip_rocprim26transform_input_iterator_tIlNS8_12zip_iteratorINS8_5tupleINS8_6detail15normal_iteratorINS8_10device_ptrIdEEEESH_NS8_9null_typeESI_SI_SI_SI_SI_SI_SI_EEEENS9_21zip_adj_not_predicateI22is_equal_div_10_uniqueIdEEEEEPllNS8_4plusIlEEEE10hipError_tPvRmT1_T2_T3_mT4_P12ihipStream_tbEUlT_E0_NS1_11comp_targetILNS1_3genE9ELNS1_11target_archE1100ELNS1_3gpuE3ELNS1_3repE0EEENS1_30default_config_static_selectorELNS0_4arch9wavefront6targetE1EEEvSW_,"axG",@progbits,_ZN7rocprim17ROCPRIM_400000_NS6detail17trampoline_kernelINS0_14default_configENS1_22reduce_config_selectorIlEEZNS1_11reduce_implILb1ES3_N6thrust23THRUST_200600_302600_NS11hip_rocprim26transform_input_iterator_tIlNS8_12zip_iteratorINS8_5tupleINS8_6detail15normal_iteratorINS8_10device_ptrIdEEEESH_NS8_9null_typeESI_SI_SI_SI_SI_SI_SI_EEEENS9_21zip_adj_not_predicateI22is_equal_div_10_uniqueIdEEEEEPllNS8_4plusIlEEEE10hipError_tPvRmT1_T2_T3_mT4_P12ihipStream_tbEUlT_E0_NS1_11comp_targetILNS1_3genE9ELNS1_11target_archE1100ELNS1_3gpuE3ELNS1_3repE0EEENS1_30default_config_static_selectorELNS0_4arch9wavefront6targetE1EEEvSW_,comdat
	.protected	_ZN7rocprim17ROCPRIM_400000_NS6detail17trampoline_kernelINS0_14default_configENS1_22reduce_config_selectorIlEEZNS1_11reduce_implILb1ES3_N6thrust23THRUST_200600_302600_NS11hip_rocprim26transform_input_iterator_tIlNS8_12zip_iteratorINS8_5tupleINS8_6detail15normal_iteratorINS8_10device_ptrIdEEEESH_NS8_9null_typeESI_SI_SI_SI_SI_SI_SI_EEEENS9_21zip_adj_not_predicateI22is_equal_div_10_uniqueIdEEEEEPllNS8_4plusIlEEEE10hipError_tPvRmT1_T2_T3_mT4_P12ihipStream_tbEUlT_E0_NS1_11comp_targetILNS1_3genE9ELNS1_11target_archE1100ELNS1_3gpuE3ELNS1_3repE0EEENS1_30default_config_static_selectorELNS0_4arch9wavefront6targetE1EEEvSW_ ; -- Begin function _ZN7rocprim17ROCPRIM_400000_NS6detail17trampoline_kernelINS0_14default_configENS1_22reduce_config_selectorIlEEZNS1_11reduce_implILb1ES3_N6thrust23THRUST_200600_302600_NS11hip_rocprim26transform_input_iterator_tIlNS8_12zip_iteratorINS8_5tupleINS8_6detail15normal_iteratorINS8_10device_ptrIdEEEESH_NS8_9null_typeESI_SI_SI_SI_SI_SI_SI_EEEENS9_21zip_adj_not_predicateI22is_equal_div_10_uniqueIdEEEEEPllNS8_4plusIlEEEE10hipError_tPvRmT1_T2_T3_mT4_P12ihipStream_tbEUlT_E0_NS1_11comp_targetILNS1_3genE9ELNS1_11target_archE1100ELNS1_3gpuE3ELNS1_3repE0EEENS1_30default_config_static_selectorELNS0_4arch9wavefront6targetE1EEEvSW_
	.globl	_ZN7rocprim17ROCPRIM_400000_NS6detail17trampoline_kernelINS0_14default_configENS1_22reduce_config_selectorIlEEZNS1_11reduce_implILb1ES3_N6thrust23THRUST_200600_302600_NS11hip_rocprim26transform_input_iterator_tIlNS8_12zip_iteratorINS8_5tupleINS8_6detail15normal_iteratorINS8_10device_ptrIdEEEESH_NS8_9null_typeESI_SI_SI_SI_SI_SI_SI_EEEENS9_21zip_adj_not_predicateI22is_equal_div_10_uniqueIdEEEEEPllNS8_4plusIlEEEE10hipError_tPvRmT1_T2_T3_mT4_P12ihipStream_tbEUlT_E0_NS1_11comp_targetILNS1_3genE9ELNS1_11target_archE1100ELNS1_3gpuE3ELNS1_3repE0EEENS1_30default_config_static_selectorELNS0_4arch9wavefront6targetE1EEEvSW_
	.p2align	8
	.type	_ZN7rocprim17ROCPRIM_400000_NS6detail17trampoline_kernelINS0_14default_configENS1_22reduce_config_selectorIlEEZNS1_11reduce_implILb1ES3_N6thrust23THRUST_200600_302600_NS11hip_rocprim26transform_input_iterator_tIlNS8_12zip_iteratorINS8_5tupleINS8_6detail15normal_iteratorINS8_10device_ptrIdEEEESH_NS8_9null_typeESI_SI_SI_SI_SI_SI_SI_EEEENS9_21zip_adj_not_predicateI22is_equal_div_10_uniqueIdEEEEEPllNS8_4plusIlEEEE10hipError_tPvRmT1_T2_T3_mT4_P12ihipStream_tbEUlT_E0_NS1_11comp_targetILNS1_3genE9ELNS1_11target_archE1100ELNS1_3gpuE3ELNS1_3repE0EEENS1_30default_config_static_selectorELNS0_4arch9wavefront6targetE1EEEvSW_,@function
_ZN7rocprim17ROCPRIM_400000_NS6detail17trampoline_kernelINS0_14default_configENS1_22reduce_config_selectorIlEEZNS1_11reduce_implILb1ES3_N6thrust23THRUST_200600_302600_NS11hip_rocprim26transform_input_iterator_tIlNS8_12zip_iteratorINS8_5tupleINS8_6detail15normal_iteratorINS8_10device_ptrIdEEEESH_NS8_9null_typeESI_SI_SI_SI_SI_SI_SI_EEEENS9_21zip_adj_not_predicateI22is_equal_div_10_uniqueIdEEEEEPllNS8_4plusIlEEEE10hipError_tPvRmT1_T2_T3_mT4_P12ihipStream_tbEUlT_E0_NS1_11comp_targetILNS1_3genE9ELNS1_11target_archE1100ELNS1_3gpuE3ELNS1_3repE0EEENS1_30default_config_static_selectorELNS0_4arch9wavefront6targetE1EEEvSW_: ; @_ZN7rocprim17ROCPRIM_400000_NS6detail17trampoline_kernelINS0_14default_configENS1_22reduce_config_selectorIlEEZNS1_11reduce_implILb1ES3_N6thrust23THRUST_200600_302600_NS11hip_rocprim26transform_input_iterator_tIlNS8_12zip_iteratorINS8_5tupleINS8_6detail15normal_iteratorINS8_10device_ptrIdEEEESH_NS8_9null_typeESI_SI_SI_SI_SI_SI_SI_EEEENS9_21zip_adj_not_predicateI22is_equal_div_10_uniqueIdEEEEEPllNS8_4plusIlEEEE10hipError_tPvRmT1_T2_T3_mT4_P12ihipStream_tbEUlT_E0_NS1_11comp_targetILNS1_3genE9ELNS1_11target_archE1100ELNS1_3gpuE3ELNS1_3repE0EEENS1_30default_config_static_selectorELNS0_4arch9wavefront6targetE1EEEvSW_
; %bb.0:
	.section	.rodata,"a",@progbits
	.p2align	6, 0x0
	.amdhsa_kernel _ZN7rocprim17ROCPRIM_400000_NS6detail17trampoline_kernelINS0_14default_configENS1_22reduce_config_selectorIlEEZNS1_11reduce_implILb1ES3_N6thrust23THRUST_200600_302600_NS11hip_rocprim26transform_input_iterator_tIlNS8_12zip_iteratorINS8_5tupleINS8_6detail15normal_iteratorINS8_10device_ptrIdEEEESH_NS8_9null_typeESI_SI_SI_SI_SI_SI_SI_EEEENS9_21zip_adj_not_predicateI22is_equal_div_10_uniqueIdEEEEEPllNS8_4plusIlEEEE10hipError_tPvRmT1_T2_T3_mT4_P12ihipStream_tbEUlT_E0_NS1_11comp_targetILNS1_3genE9ELNS1_11target_archE1100ELNS1_3gpuE3ELNS1_3repE0EEENS1_30default_config_static_selectorELNS0_4arch9wavefront6targetE1EEEvSW_
		.amdhsa_group_segment_fixed_size 0
		.amdhsa_private_segment_fixed_size 0
		.amdhsa_kernarg_size 80
		.amdhsa_user_sgpr_count 6
		.amdhsa_user_sgpr_private_segment_buffer 1
		.amdhsa_user_sgpr_dispatch_ptr 0
		.amdhsa_user_sgpr_queue_ptr 0
		.amdhsa_user_sgpr_kernarg_segment_ptr 1
		.amdhsa_user_sgpr_dispatch_id 0
		.amdhsa_user_sgpr_flat_scratch_init 0
		.amdhsa_user_sgpr_private_segment_size 0
		.amdhsa_uses_dynamic_stack 0
		.amdhsa_system_sgpr_private_segment_wavefront_offset 0
		.amdhsa_system_sgpr_workgroup_id_x 1
		.amdhsa_system_sgpr_workgroup_id_y 0
		.amdhsa_system_sgpr_workgroup_id_z 0
		.amdhsa_system_sgpr_workgroup_info 0
		.amdhsa_system_vgpr_workitem_id 0
		.amdhsa_next_free_vgpr 1
		.amdhsa_next_free_sgpr 0
		.amdhsa_reserve_vcc 0
		.amdhsa_reserve_flat_scratch 0
		.amdhsa_float_round_mode_32 0
		.amdhsa_float_round_mode_16_64 0
		.amdhsa_float_denorm_mode_32 3
		.amdhsa_float_denorm_mode_16_64 3
		.amdhsa_dx10_clamp 1
		.amdhsa_ieee_mode 1
		.amdhsa_fp16_overflow 0
		.amdhsa_exception_fp_ieee_invalid_op 0
		.amdhsa_exception_fp_denorm_src 0
		.amdhsa_exception_fp_ieee_div_zero 0
		.amdhsa_exception_fp_ieee_overflow 0
		.amdhsa_exception_fp_ieee_underflow 0
		.amdhsa_exception_fp_ieee_inexact 0
		.amdhsa_exception_int_div_zero 0
	.end_amdhsa_kernel
	.section	.text._ZN7rocprim17ROCPRIM_400000_NS6detail17trampoline_kernelINS0_14default_configENS1_22reduce_config_selectorIlEEZNS1_11reduce_implILb1ES3_N6thrust23THRUST_200600_302600_NS11hip_rocprim26transform_input_iterator_tIlNS8_12zip_iteratorINS8_5tupleINS8_6detail15normal_iteratorINS8_10device_ptrIdEEEESH_NS8_9null_typeESI_SI_SI_SI_SI_SI_SI_EEEENS9_21zip_adj_not_predicateI22is_equal_div_10_uniqueIdEEEEEPllNS8_4plusIlEEEE10hipError_tPvRmT1_T2_T3_mT4_P12ihipStream_tbEUlT_E0_NS1_11comp_targetILNS1_3genE9ELNS1_11target_archE1100ELNS1_3gpuE3ELNS1_3repE0EEENS1_30default_config_static_selectorELNS0_4arch9wavefront6targetE1EEEvSW_,"axG",@progbits,_ZN7rocprim17ROCPRIM_400000_NS6detail17trampoline_kernelINS0_14default_configENS1_22reduce_config_selectorIlEEZNS1_11reduce_implILb1ES3_N6thrust23THRUST_200600_302600_NS11hip_rocprim26transform_input_iterator_tIlNS8_12zip_iteratorINS8_5tupleINS8_6detail15normal_iteratorINS8_10device_ptrIdEEEESH_NS8_9null_typeESI_SI_SI_SI_SI_SI_SI_EEEENS9_21zip_adj_not_predicateI22is_equal_div_10_uniqueIdEEEEEPllNS8_4plusIlEEEE10hipError_tPvRmT1_T2_T3_mT4_P12ihipStream_tbEUlT_E0_NS1_11comp_targetILNS1_3genE9ELNS1_11target_archE1100ELNS1_3gpuE3ELNS1_3repE0EEENS1_30default_config_static_selectorELNS0_4arch9wavefront6targetE1EEEvSW_,comdat
.Lfunc_end768:
	.size	_ZN7rocprim17ROCPRIM_400000_NS6detail17trampoline_kernelINS0_14default_configENS1_22reduce_config_selectorIlEEZNS1_11reduce_implILb1ES3_N6thrust23THRUST_200600_302600_NS11hip_rocprim26transform_input_iterator_tIlNS8_12zip_iteratorINS8_5tupleINS8_6detail15normal_iteratorINS8_10device_ptrIdEEEESH_NS8_9null_typeESI_SI_SI_SI_SI_SI_SI_EEEENS9_21zip_adj_not_predicateI22is_equal_div_10_uniqueIdEEEEEPllNS8_4plusIlEEEE10hipError_tPvRmT1_T2_T3_mT4_P12ihipStream_tbEUlT_E0_NS1_11comp_targetILNS1_3genE9ELNS1_11target_archE1100ELNS1_3gpuE3ELNS1_3repE0EEENS1_30default_config_static_selectorELNS0_4arch9wavefront6targetE1EEEvSW_, .Lfunc_end768-_ZN7rocprim17ROCPRIM_400000_NS6detail17trampoline_kernelINS0_14default_configENS1_22reduce_config_selectorIlEEZNS1_11reduce_implILb1ES3_N6thrust23THRUST_200600_302600_NS11hip_rocprim26transform_input_iterator_tIlNS8_12zip_iteratorINS8_5tupleINS8_6detail15normal_iteratorINS8_10device_ptrIdEEEESH_NS8_9null_typeESI_SI_SI_SI_SI_SI_SI_EEEENS9_21zip_adj_not_predicateI22is_equal_div_10_uniqueIdEEEEEPllNS8_4plusIlEEEE10hipError_tPvRmT1_T2_T3_mT4_P12ihipStream_tbEUlT_E0_NS1_11comp_targetILNS1_3genE9ELNS1_11target_archE1100ELNS1_3gpuE3ELNS1_3repE0EEENS1_30default_config_static_selectorELNS0_4arch9wavefront6targetE1EEEvSW_
                                        ; -- End function
	.set _ZN7rocprim17ROCPRIM_400000_NS6detail17trampoline_kernelINS0_14default_configENS1_22reduce_config_selectorIlEEZNS1_11reduce_implILb1ES3_N6thrust23THRUST_200600_302600_NS11hip_rocprim26transform_input_iterator_tIlNS8_12zip_iteratorINS8_5tupleINS8_6detail15normal_iteratorINS8_10device_ptrIdEEEESH_NS8_9null_typeESI_SI_SI_SI_SI_SI_SI_EEEENS9_21zip_adj_not_predicateI22is_equal_div_10_uniqueIdEEEEEPllNS8_4plusIlEEEE10hipError_tPvRmT1_T2_T3_mT4_P12ihipStream_tbEUlT_E0_NS1_11comp_targetILNS1_3genE9ELNS1_11target_archE1100ELNS1_3gpuE3ELNS1_3repE0EEENS1_30default_config_static_selectorELNS0_4arch9wavefront6targetE1EEEvSW_.num_vgpr, 0
	.set _ZN7rocprim17ROCPRIM_400000_NS6detail17trampoline_kernelINS0_14default_configENS1_22reduce_config_selectorIlEEZNS1_11reduce_implILb1ES3_N6thrust23THRUST_200600_302600_NS11hip_rocprim26transform_input_iterator_tIlNS8_12zip_iteratorINS8_5tupleINS8_6detail15normal_iteratorINS8_10device_ptrIdEEEESH_NS8_9null_typeESI_SI_SI_SI_SI_SI_SI_EEEENS9_21zip_adj_not_predicateI22is_equal_div_10_uniqueIdEEEEEPllNS8_4plusIlEEEE10hipError_tPvRmT1_T2_T3_mT4_P12ihipStream_tbEUlT_E0_NS1_11comp_targetILNS1_3genE9ELNS1_11target_archE1100ELNS1_3gpuE3ELNS1_3repE0EEENS1_30default_config_static_selectorELNS0_4arch9wavefront6targetE1EEEvSW_.num_agpr, 0
	.set _ZN7rocprim17ROCPRIM_400000_NS6detail17trampoline_kernelINS0_14default_configENS1_22reduce_config_selectorIlEEZNS1_11reduce_implILb1ES3_N6thrust23THRUST_200600_302600_NS11hip_rocprim26transform_input_iterator_tIlNS8_12zip_iteratorINS8_5tupleINS8_6detail15normal_iteratorINS8_10device_ptrIdEEEESH_NS8_9null_typeESI_SI_SI_SI_SI_SI_SI_EEEENS9_21zip_adj_not_predicateI22is_equal_div_10_uniqueIdEEEEEPllNS8_4plusIlEEEE10hipError_tPvRmT1_T2_T3_mT4_P12ihipStream_tbEUlT_E0_NS1_11comp_targetILNS1_3genE9ELNS1_11target_archE1100ELNS1_3gpuE3ELNS1_3repE0EEENS1_30default_config_static_selectorELNS0_4arch9wavefront6targetE1EEEvSW_.numbered_sgpr, 0
	.set _ZN7rocprim17ROCPRIM_400000_NS6detail17trampoline_kernelINS0_14default_configENS1_22reduce_config_selectorIlEEZNS1_11reduce_implILb1ES3_N6thrust23THRUST_200600_302600_NS11hip_rocprim26transform_input_iterator_tIlNS8_12zip_iteratorINS8_5tupleINS8_6detail15normal_iteratorINS8_10device_ptrIdEEEESH_NS8_9null_typeESI_SI_SI_SI_SI_SI_SI_EEEENS9_21zip_adj_not_predicateI22is_equal_div_10_uniqueIdEEEEEPllNS8_4plusIlEEEE10hipError_tPvRmT1_T2_T3_mT4_P12ihipStream_tbEUlT_E0_NS1_11comp_targetILNS1_3genE9ELNS1_11target_archE1100ELNS1_3gpuE3ELNS1_3repE0EEENS1_30default_config_static_selectorELNS0_4arch9wavefront6targetE1EEEvSW_.num_named_barrier, 0
	.set _ZN7rocprim17ROCPRIM_400000_NS6detail17trampoline_kernelINS0_14default_configENS1_22reduce_config_selectorIlEEZNS1_11reduce_implILb1ES3_N6thrust23THRUST_200600_302600_NS11hip_rocprim26transform_input_iterator_tIlNS8_12zip_iteratorINS8_5tupleINS8_6detail15normal_iteratorINS8_10device_ptrIdEEEESH_NS8_9null_typeESI_SI_SI_SI_SI_SI_SI_EEEENS9_21zip_adj_not_predicateI22is_equal_div_10_uniqueIdEEEEEPllNS8_4plusIlEEEE10hipError_tPvRmT1_T2_T3_mT4_P12ihipStream_tbEUlT_E0_NS1_11comp_targetILNS1_3genE9ELNS1_11target_archE1100ELNS1_3gpuE3ELNS1_3repE0EEENS1_30default_config_static_selectorELNS0_4arch9wavefront6targetE1EEEvSW_.private_seg_size, 0
	.set _ZN7rocprim17ROCPRIM_400000_NS6detail17trampoline_kernelINS0_14default_configENS1_22reduce_config_selectorIlEEZNS1_11reduce_implILb1ES3_N6thrust23THRUST_200600_302600_NS11hip_rocprim26transform_input_iterator_tIlNS8_12zip_iteratorINS8_5tupleINS8_6detail15normal_iteratorINS8_10device_ptrIdEEEESH_NS8_9null_typeESI_SI_SI_SI_SI_SI_SI_EEEENS9_21zip_adj_not_predicateI22is_equal_div_10_uniqueIdEEEEEPllNS8_4plusIlEEEE10hipError_tPvRmT1_T2_T3_mT4_P12ihipStream_tbEUlT_E0_NS1_11comp_targetILNS1_3genE9ELNS1_11target_archE1100ELNS1_3gpuE3ELNS1_3repE0EEENS1_30default_config_static_selectorELNS0_4arch9wavefront6targetE1EEEvSW_.uses_vcc, 0
	.set _ZN7rocprim17ROCPRIM_400000_NS6detail17trampoline_kernelINS0_14default_configENS1_22reduce_config_selectorIlEEZNS1_11reduce_implILb1ES3_N6thrust23THRUST_200600_302600_NS11hip_rocprim26transform_input_iterator_tIlNS8_12zip_iteratorINS8_5tupleINS8_6detail15normal_iteratorINS8_10device_ptrIdEEEESH_NS8_9null_typeESI_SI_SI_SI_SI_SI_SI_EEEENS9_21zip_adj_not_predicateI22is_equal_div_10_uniqueIdEEEEEPllNS8_4plusIlEEEE10hipError_tPvRmT1_T2_T3_mT4_P12ihipStream_tbEUlT_E0_NS1_11comp_targetILNS1_3genE9ELNS1_11target_archE1100ELNS1_3gpuE3ELNS1_3repE0EEENS1_30default_config_static_selectorELNS0_4arch9wavefront6targetE1EEEvSW_.uses_flat_scratch, 0
	.set _ZN7rocprim17ROCPRIM_400000_NS6detail17trampoline_kernelINS0_14default_configENS1_22reduce_config_selectorIlEEZNS1_11reduce_implILb1ES3_N6thrust23THRUST_200600_302600_NS11hip_rocprim26transform_input_iterator_tIlNS8_12zip_iteratorINS8_5tupleINS8_6detail15normal_iteratorINS8_10device_ptrIdEEEESH_NS8_9null_typeESI_SI_SI_SI_SI_SI_SI_EEEENS9_21zip_adj_not_predicateI22is_equal_div_10_uniqueIdEEEEEPllNS8_4plusIlEEEE10hipError_tPvRmT1_T2_T3_mT4_P12ihipStream_tbEUlT_E0_NS1_11comp_targetILNS1_3genE9ELNS1_11target_archE1100ELNS1_3gpuE3ELNS1_3repE0EEENS1_30default_config_static_selectorELNS0_4arch9wavefront6targetE1EEEvSW_.has_dyn_sized_stack, 0
	.set _ZN7rocprim17ROCPRIM_400000_NS6detail17trampoline_kernelINS0_14default_configENS1_22reduce_config_selectorIlEEZNS1_11reduce_implILb1ES3_N6thrust23THRUST_200600_302600_NS11hip_rocprim26transform_input_iterator_tIlNS8_12zip_iteratorINS8_5tupleINS8_6detail15normal_iteratorINS8_10device_ptrIdEEEESH_NS8_9null_typeESI_SI_SI_SI_SI_SI_SI_EEEENS9_21zip_adj_not_predicateI22is_equal_div_10_uniqueIdEEEEEPllNS8_4plusIlEEEE10hipError_tPvRmT1_T2_T3_mT4_P12ihipStream_tbEUlT_E0_NS1_11comp_targetILNS1_3genE9ELNS1_11target_archE1100ELNS1_3gpuE3ELNS1_3repE0EEENS1_30default_config_static_selectorELNS0_4arch9wavefront6targetE1EEEvSW_.has_recursion, 0
	.set _ZN7rocprim17ROCPRIM_400000_NS6detail17trampoline_kernelINS0_14default_configENS1_22reduce_config_selectorIlEEZNS1_11reduce_implILb1ES3_N6thrust23THRUST_200600_302600_NS11hip_rocprim26transform_input_iterator_tIlNS8_12zip_iteratorINS8_5tupleINS8_6detail15normal_iteratorINS8_10device_ptrIdEEEESH_NS8_9null_typeESI_SI_SI_SI_SI_SI_SI_EEEENS9_21zip_adj_not_predicateI22is_equal_div_10_uniqueIdEEEEEPllNS8_4plusIlEEEE10hipError_tPvRmT1_T2_T3_mT4_P12ihipStream_tbEUlT_E0_NS1_11comp_targetILNS1_3genE9ELNS1_11target_archE1100ELNS1_3gpuE3ELNS1_3repE0EEENS1_30default_config_static_selectorELNS0_4arch9wavefront6targetE1EEEvSW_.has_indirect_call, 0
	.section	.AMDGPU.csdata,"",@progbits
; Kernel info:
; codeLenInByte = 0
; TotalNumSgprs: 4
; NumVgprs: 0
; ScratchSize: 0
; MemoryBound: 0
; FloatMode: 240
; IeeeMode: 1
; LDSByteSize: 0 bytes/workgroup (compile time only)
; SGPRBlocks: 0
; VGPRBlocks: 0
; NumSGPRsForWavesPerEU: 4
; NumVGPRsForWavesPerEU: 1
; Occupancy: 10
; WaveLimiterHint : 0
; COMPUTE_PGM_RSRC2:SCRATCH_EN: 0
; COMPUTE_PGM_RSRC2:USER_SGPR: 6
; COMPUTE_PGM_RSRC2:TRAP_HANDLER: 0
; COMPUTE_PGM_RSRC2:TGID_X_EN: 1
; COMPUTE_PGM_RSRC2:TGID_Y_EN: 0
; COMPUTE_PGM_RSRC2:TGID_Z_EN: 0
; COMPUTE_PGM_RSRC2:TIDIG_COMP_CNT: 0
	.section	.text._ZN7rocprim17ROCPRIM_400000_NS6detail17trampoline_kernelINS0_14default_configENS1_22reduce_config_selectorIlEEZNS1_11reduce_implILb1ES3_N6thrust23THRUST_200600_302600_NS11hip_rocprim26transform_input_iterator_tIlNS8_12zip_iteratorINS8_5tupleINS8_6detail15normal_iteratorINS8_10device_ptrIdEEEESH_NS8_9null_typeESI_SI_SI_SI_SI_SI_SI_EEEENS9_21zip_adj_not_predicateI22is_equal_div_10_uniqueIdEEEEEPllNS8_4plusIlEEEE10hipError_tPvRmT1_T2_T3_mT4_P12ihipStream_tbEUlT_E0_NS1_11comp_targetILNS1_3genE8ELNS1_11target_archE1030ELNS1_3gpuE2ELNS1_3repE0EEENS1_30default_config_static_selectorELNS0_4arch9wavefront6targetE1EEEvSW_,"axG",@progbits,_ZN7rocprim17ROCPRIM_400000_NS6detail17trampoline_kernelINS0_14default_configENS1_22reduce_config_selectorIlEEZNS1_11reduce_implILb1ES3_N6thrust23THRUST_200600_302600_NS11hip_rocprim26transform_input_iterator_tIlNS8_12zip_iteratorINS8_5tupleINS8_6detail15normal_iteratorINS8_10device_ptrIdEEEESH_NS8_9null_typeESI_SI_SI_SI_SI_SI_SI_EEEENS9_21zip_adj_not_predicateI22is_equal_div_10_uniqueIdEEEEEPllNS8_4plusIlEEEE10hipError_tPvRmT1_T2_T3_mT4_P12ihipStream_tbEUlT_E0_NS1_11comp_targetILNS1_3genE8ELNS1_11target_archE1030ELNS1_3gpuE2ELNS1_3repE0EEENS1_30default_config_static_selectorELNS0_4arch9wavefront6targetE1EEEvSW_,comdat
	.protected	_ZN7rocprim17ROCPRIM_400000_NS6detail17trampoline_kernelINS0_14default_configENS1_22reduce_config_selectorIlEEZNS1_11reduce_implILb1ES3_N6thrust23THRUST_200600_302600_NS11hip_rocprim26transform_input_iterator_tIlNS8_12zip_iteratorINS8_5tupleINS8_6detail15normal_iteratorINS8_10device_ptrIdEEEESH_NS8_9null_typeESI_SI_SI_SI_SI_SI_SI_EEEENS9_21zip_adj_not_predicateI22is_equal_div_10_uniqueIdEEEEEPllNS8_4plusIlEEEE10hipError_tPvRmT1_T2_T3_mT4_P12ihipStream_tbEUlT_E0_NS1_11comp_targetILNS1_3genE8ELNS1_11target_archE1030ELNS1_3gpuE2ELNS1_3repE0EEENS1_30default_config_static_selectorELNS0_4arch9wavefront6targetE1EEEvSW_ ; -- Begin function _ZN7rocprim17ROCPRIM_400000_NS6detail17trampoline_kernelINS0_14default_configENS1_22reduce_config_selectorIlEEZNS1_11reduce_implILb1ES3_N6thrust23THRUST_200600_302600_NS11hip_rocprim26transform_input_iterator_tIlNS8_12zip_iteratorINS8_5tupleINS8_6detail15normal_iteratorINS8_10device_ptrIdEEEESH_NS8_9null_typeESI_SI_SI_SI_SI_SI_SI_EEEENS9_21zip_adj_not_predicateI22is_equal_div_10_uniqueIdEEEEEPllNS8_4plusIlEEEE10hipError_tPvRmT1_T2_T3_mT4_P12ihipStream_tbEUlT_E0_NS1_11comp_targetILNS1_3genE8ELNS1_11target_archE1030ELNS1_3gpuE2ELNS1_3repE0EEENS1_30default_config_static_selectorELNS0_4arch9wavefront6targetE1EEEvSW_
	.globl	_ZN7rocprim17ROCPRIM_400000_NS6detail17trampoline_kernelINS0_14default_configENS1_22reduce_config_selectorIlEEZNS1_11reduce_implILb1ES3_N6thrust23THRUST_200600_302600_NS11hip_rocprim26transform_input_iterator_tIlNS8_12zip_iteratorINS8_5tupleINS8_6detail15normal_iteratorINS8_10device_ptrIdEEEESH_NS8_9null_typeESI_SI_SI_SI_SI_SI_SI_EEEENS9_21zip_adj_not_predicateI22is_equal_div_10_uniqueIdEEEEEPllNS8_4plusIlEEEE10hipError_tPvRmT1_T2_T3_mT4_P12ihipStream_tbEUlT_E0_NS1_11comp_targetILNS1_3genE8ELNS1_11target_archE1030ELNS1_3gpuE2ELNS1_3repE0EEENS1_30default_config_static_selectorELNS0_4arch9wavefront6targetE1EEEvSW_
	.p2align	8
	.type	_ZN7rocprim17ROCPRIM_400000_NS6detail17trampoline_kernelINS0_14default_configENS1_22reduce_config_selectorIlEEZNS1_11reduce_implILb1ES3_N6thrust23THRUST_200600_302600_NS11hip_rocprim26transform_input_iterator_tIlNS8_12zip_iteratorINS8_5tupleINS8_6detail15normal_iteratorINS8_10device_ptrIdEEEESH_NS8_9null_typeESI_SI_SI_SI_SI_SI_SI_EEEENS9_21zip_adj_not_predicateI22is_equal_div_10_uniqueIdEEEEEPllNS8_4plusIlEEEE10hipError_tPvRmT1_T2_T3_mT4_P12ihipStream_tbEUlT_E0_NS1_11comp_targetILNS1_3genE8ELNS1_11target_archE1030ELNS1_3gpuE2ELNS1_3repE0EEENS1_30default_config_static_selectorELNS0_4arch9wavefront6targetE1EEEvSW_,@function
_ZN7rocprim17ROCPRIM_400000_NS6detail17trampoline_kernelINS0_14default_configENS1_22reduce_config_selectorIlEEZNS1_11reduce_implILb1ES3_N6thrust23THRUST_200600_302600_NS11hip_rocprim26transform_input_iterator_tIlNS8_12zip_iteratorINS8_5tupleINS8_6detail15normal_iteratorINS8_10device_ptrIdEEEESH_NS8_9null_typeESI_SI_SI_SI_SI_SI_SI_EEEENS9_21zip_adj_not_predicateI22is_equal_div_10_uniqueIdEEEEEPllNS8_4plusIlEEEE10hipError_tPvRmT1_T2_T3_mT4_P12ihipStream_tbEUlT_E0_NS1_11comp_targetILNS1_3genE8ELNS1_11target_archE1030ELNS1_3gpuE2ELNS1_3repE0EEENS1_30default_config_static_selectorELNS0_4arch9wavefront6targetE1EEEvSW_: ; @_ZN7rocprim17ROCPRIM_400000_NS6detail17trampoline_kernelINS0_14default_configENS1_22reduce_config_selectorIlEEZNS1_11reduce_implILb1ES3_N6thrust23THRUST_200600_302600_NS11hip_rocprim26transform_input_iterator_tIlNS8_12zip_iteratorINS8_5tupleINS8_6detail15normal_iteratorINS8_10device_ptrIdEEEESH_NS8_9null_typeESI_SI_SI_SI_SI_SI_SI_EEEENS9_21zip_adj_not_predicateI22is_equal_div_10_uniqueIdEEEEEPllNS8_4plusIlEEEE10hipError_tPvRmT1_T2_T3_mT4_P12ihipStream_tbEUlT_E0_NS1_11comp_targetILNS1_3genE8ELNS1_11target_archE1030ELNS1_3gpuE2ELNS1_3repE0EEENS1_30default_config_static_selectorELNS0_4arch9wavefront6targetE1EEEvSW_
; %bb.0:
	.section	.rodata,"a",@progbits
	.p2align	6, 0x0
	.amdhsa_kernel _ZN7rocprim17ROCPRIM_400000_NS6detail17trampoline_kernelINS0_14default_configENS1_22reduce_config_selectorIlEEZNS1_11reduce_implILb1ES3_N6thrust23THRUST_200600_302600_NS11hip_rocprim26transform_input_iterator_tIlNS8_12zip_iteratorINS8_5tupleINS8_6detail15normal_iteratorINS8_10device_ptrIdEEEESH_NS8_9null_typeESI_SI_SI_SI_SI_SI_SI_EEEENS9_21zip_adj_not_predicateI22is_equal_div_10_uniqueIdEEEEEPllNS8_4plusIlEEEE10hipError_tPvRmT1_T2_T3_mT4_P12ihipStream_tbEUlT_E0_NS1_11comp_targetILNS1_3genE8ELNS1_11target_archE1030ELNS1_3gpuE2ELNS1_3repE0EEENS1_30default_config_static_selectorELNS0_4arch9wavefront6targetE1EEEvSW_
		.amdhsa_group_segment_fixed_size 0
		.amdhsa_private_segment_fixed_size 0
		.amdhsa_kernarg_size 80
		.amdhsa_user_sgpr_count 6
		.amdhsa_user_sgpr_private_segment_buffer 1
		.amdhsa_user_sgpr_dispatch_ptr 0
		.amdhsa_user_sgpr_queue_ptr 0
		.amdhsa_user_sgpr_kernarg_segment_ptr 1
		.amdhsa_user_sgpr_dispatch_id 0
		.amdhsa_user_sgpr_flat_scratch_init 0
		.amdhsa_user_sgpr_private_segment_size 0
		.amdhsa_uses_dynamic_stack 0
		.amdhsa_system_sgpr_private_segment_wavefront_offset 0
		.amdhsa_system_sgpr_workgroup_id_x 1
		.amdhsa_system_sgpr_workgroup_id_y 0
		.amdhsa_system_sgpr_workgroup_id_z 0
		.amdhsa_system_sgpr_workgroup_info 0
		.amdhsa_system_vgpr_workitem_id 0
		.amdhsa_next_free_vgpr 1
		.amdhsa_next_free_sgpr 0
		.amdhsa_reserve_vcc 0
		.amdhsa_reserve_flat_scratch 0
		.amdhsa_float_round_mode_32 0
		.amdhsa_float_round_mode_16_64 0
		.amdhsa_float_denorm_mode_32 3
		.amdhsa_float_denorm_mode_16_64 3
		.amdhsa_dx10_clamp 1
		.amdhsa_ieee_mode 1
		.amdhsa_fp16_overflow 0
		.amdhsa_exception_fp_ieee_invalid_op 0
		.amdhsa_exception_fp_denorm_src 0
		.amdhsa_exception_fp_ieee_div_zero 0
		.amdhsa_exception_fp_ieee_overflow 0
		.amdhsa_exception_fp_ieee_underflow 0
		.amdhsa_exception_fp_ieee_inexact 0
		.amdhsa_exception_int_div_zero 0
	.end_amdhsa_kernel
	.section	.text._ZN7rocprim17ROCPRIM_400000_NS6detail17trampoline_kernelINS0_14default_configENS1_22reduce_config_selectorIlEEZNS1_11reduce_implILb1ES3_N6thrust23THRUST_200600_302600_NS11hip_rocprim26transform_input_iterator_tIlNS8_12zip_iteratorINS8_5tupleINS8_6detail15normal_iteratorINS8_10device_ptrIdEEEESH_NS8_9null_typeESI_SI_SI_SI_SI_SI_SI_EEEENS9_21zip_adj_not_predicateI22is_equal_div_10_uniqueIdEEEEEPllNS8_4plusIlEEEE10hipError_tPvRmT1_T2_T3_mT4_P12ihipStream_tbEUlT_E0_NS1_11comp_targetILNS1_3genE8ELNS1_11target_archE1030ELNS1_3gpuE2ELNS1_3repE0EEENS1_30default_config_static_selectorELNS0_4arch9wavefront6targetE1EEEvSW_,"axG",@progbits,_ZN7rocprim17ROCPRIM_400000_NS6detail17trampoline_kernelINS0_14default_configENS1_22reduce_config_selectorIlEEZNS1_11reduce_implILb1ES3_N6thrust23THRUST_200600_302600_NS11hip_rocprim26transform_input_iterator_tIlNS8_12zip_iteratorINS8_5tupleINS8_6detail15normal_iteratorINS8_10device_ptrIdEEEESH_NS8_9null_typeESI_SI_SI_SI_SI_SI_SI_EEEENS9_21zip_adj_not_predicateI22is_equal_div_10_uniqueIdEEEEEPllNS8_4plusIlEEEE10hipError_tPvRmT1_T2_T3_mT4_P12ihipStream_tbEUlT_E0_NS1_11comp_targetILNS1_3genE8ELNS1_11target_archE1030ELNS1_3gpuE2ELNS1_3repE0EEENS1_30default_config_static_selectorELNS0_4arch9wavefront6targetE1EEEvSW_,comdat
.Lfunc_end769:
	.size	_ZN7rocprim17ROCPRIM_400000_NS6detail17trampoline_kernelINS0_14default_configENS1_22reduce_config_selectorIlEEZNS1_11reduce_implILb1ES3_N6thrust23THRUST_200600_302600_NS11hip_rocprim26transform_input_iterator_tIlNS8_12zip_iteratorINS8_5tupleINS8_6detail15normal_iteratorINS8_10device_ptrIdEEEESH_NS8_9null_typeESI_SI_SI_SI_SI_SI_SI_EEEENS9_21zip_adj_not_predicateI22is_equal_div_10_uniqueIdEEEEEPllNS8_4plusIlEEEE10hipError_tPvRmT1_T2_T3_mT4_P12ihipStream_tbEUlT_E0_NS1_11comp_targetILNS1_3genE8ELNS1_11target_archE1030ELNS1_3gpuE2ELNS1_3repE0EEENS1_30default_config_static_selectorELNS0_4arch9wavefront6targetE1EEEvSW_, .Lfunc_end769-_ZN7rocprim17ROCPRIM_400000_NS6detail17trampoline_kernelINS0_14default_configENS1_22reduce_config_selectorIlEEZNS1_11reduce_implILb1ES3_N6thrust23THRUST_200600_302600_NS11hip_rocprim26transform_input_iterator_tIlNS8_12zip_iteratorINS8_5tupleINS8_6detail15normal_iteratorINS8_10device_ptrIdEEEESH_NS8_9null_typeESI_SI_SI_SI_SI_SI_SI_EEEENS9_21zip_adj_not_predicateI22is_equal_div_10_uniqueIdEEEEEPllNS8_4plusIlEEEE10hipError_tPvRmT1_T2_T3_mT4_P12ihipStream_tbEUlT_E0_NS1_11comp_targetILNS1_3genE8ELNS1_11target_archE1030ELNS1_3gpuE2ELNS1_3repE0EEENS1_30default_config_static_selectorELNS0_4arch9wavefront6targetE1EEEvSW_
                                        ; -- End function
	.set _ZN7rocprim17ROCPRIM_400000_NS6detail17trampoline_kernelINS0_14default_configENS1_22reduce_config_selectorIlEEZNS1_11reduce_implILb1ES3_N6thrust23THRUST_200600_302600_NS11hip_rocprim26transform_input_iterator_tIlNS8_12zip_iteratorINS8_5tupleINS8_6detail15normal_iteratorINS8_10device_ptrIdEEEESH_NS8_9null_typeESI_SI_SI_SI_SI_SI_SI_EEEENS9_21zip_adj_not_predicateI22is_equal_div_10_uniqueIdEEEEEPllNS8_4plusIlEEEE10hipError_tPvRmT1_T2_T3_mT4_P12ihipStream_tbEUlT_E0_NS1_11comp_targetILNS1_3genE8ELNS1_11target_archE1030ELNS1_3gpuE2ELNS1_3repE0EEENS1_30default_config_static_selectorELNS0_4arch9wavefront6targetE1EEEvSW_.num_vgpr, 0
	.set _ZN7rocprim17ROCPRIM_400000_NS6detail17trampoline_kernelINS0_14default_configENS1_22reduce_config_selectorIlEEZNS1_11reduce_implILb1ES3_N6thrust23THRUST_200600_302600_NS11hip_rocprim26transform_input_iterator_tIlNS8_12zip_iteratorINS8_5tupleINS8_6detail15normal_iteratorINS8_10device_ptrIdEEEESH_NS8_9null_typeESI_SI_SI_SI_SI_SI_SI_EEEENS9_21zip_adj_not_predicateI22is_equal_div_10_uniqueIdEEEEEPllNS8_4plusIlEEEE10hipError_tPvRmT1_T2_T3_mT4_P12ihipStream_tbEUlT_E0_NS1_11comp_targetILNS1_3genE8ELNS1_11target_archE1030ELNS1_3gpuE2ELNS1_3repE0EEENS1_30default_config_static_selectorELNS0_4arch9wavefront6targetE1EEEvSW_.num_agpr, 0
	.set _ZN7rocprim17ROCPRIM_400000_NS6detail17trampoline_kernelINS0_14default_configENS1_22reduce_config_selectorIlEEZNS1_11reduce_implILb1ES3_N6thrust23THRUST_200600_302600_NS11hip_rocprim26transform_input_iterator_tIlNS8_12zip_iteratorINS8_5tupleINS8_6detail15normal_iteratorINS8_10device_ptrIdEEEESH_NS8_9null_typeESI_SI_SI_SI_SI_SI_SI_EEEENS9_21zip_adj_not_predicateI22is_equal_div_10_uniqueIdEEEEEPllNS8_4plusIlEEEE10hipError_tPvRmT1_T2_T3_mT4_P12ihipStream_tbEUlT_E0_NS1_11comp_targetILNS1_3genE8ELNS1_11target_archE1030ELNS1_3gpuE2ELNS1_3repE0EEENS1_30default_config_static_selectorELNS0_4arch9wavefront6targetE1EEEvSW_.numbered_sgpr, 0
	.set _ZN7rocprim17ROCPRIM_400000_NS6detail17trampoline_kernelINS0_14default_configENS1_22reduce_config_selectorIlEEZNS1_11reduce_implILb1ES3_N6thrust23THRUST_200600_302600_NS11hip_rocprim26transform_input_iterator_tIlNS8_12zip_iteratorINS8_5tupleINS8_6detail15normal_iteratorINS8_10device_ptrIdEEEESH_NS8_9null_typeESI_SI_SI_SI_SI_SI_SI_EEEENS9_21zip_adj_not_predicateI22is_equal_div_10_uniqueIdEEEEEPllNS8_4plusIlEEEE10hipError_tPvRmT1_T2_T3_mT4_P12ihipStream_tbEUlT_E0_NS1_11comp_targetILNS1_3genE8ELNS1_11target_archE1030ELNS1_3gpuE2ELNS1_3repE0EEENS1_30default_config_static_selectorELNS0_4arch9wavefront6targetE1EEEvSW_.num_named_barrier, 0
	.set _ZN7rocprim17ROCPRIM_400000_NS6detail17trampoline_kernelINS0_14default_configENS1_22reduce_config_selectorIlEEZNS1_11reduce_implILb1ES3_N6thrust23THRUST_200600_302600_NS11hip_rocprim26transform_input_iterator_tIlNS8_12zip_iteratorINS8_5tupleINS8_6detail15normal_iteratorINS8_10device_ptrIdEEEESH_NS8_9null_typeESI_SI_SI_SI_SI_SI_SI_EEEENS9_21zip_adj_not_predicateI22is_equal_div_10_uniqueIdEEEEEPllNS8_4plusIlEEEE10hipError_tPvRmT1_T2_T3_mT4_P12ihipStream_tbEUlT_E0_NS1_11comp_targetILNS1_3genE8ELNS1_11target_archE1030ELNS1_3gpuE2ELNS1_3repE0EEENS1_30default_config_static_selectorELNS0_4arch9wavefront6targetE1EEEvSW_.private_seg_size, 0
	.set _ZN7rocprim17ROCPRIM_400000_NS6detail17trampoline_kernelINS0_14default_configENS1_22reduce_config_selectorIlEEZNS1_11reduce_implILb1ES3_N6thrust23THRUST_200600_302600_NS11hip_rocprim26transform_input_iterator_tIlNS8_12zip_iteratorINS8_5tupleINS8_6detail15normal_iteratorINS8_10device_ptrIdEEEESH_NS8_9null_typeESI_SI_SI_SI_SI_SI_SI_EEEENS9_21zip_adj_not_predicateI22is_equal_div_10_uniqueIdEEEEEPllNS8_4plusIlEEEE10hipError_tPvRmT1_T2_T3_mT4_P12ihipStream_tbEUlT_E0_NS1_11comp_targetILNS1_3genE8ELNS1_11target_archE1030ELNS1_3gpuE2ELNS1_3repE0EEENS1_30default_config_static_selectorELNS0_4arch9wavefront6targetE1EEEvSW_.uses_vcc, 0
	.set _ZN7rocprim17ROCPRIM_400000_NS6detail17trampoline_kernelINS0_14default_configENS1_22reduce_config_selectorIlEEZNS1_11reduce_implILb1ES3_N6thrust23THRUST_200600_302600_NS11hip_rocprim26transform_input_iterator_tIlNS8_12zip_iteratorINS8_5tupleINS8_6detail15normal_iteratorINS8_10device_ptrIdEEEESH_NS8_9null_typeESI_SI_SI_SI_SI_SI_SI_EEEENS9_21zip_adj_not_predicateI22is_equal_div_10_uniqueIdEEEEEPllNS8_4plusIlEEEE10hipError_tPvRmT1_T2_T3_mT4_P12ihipStream_tbEUlT_E0_NS1_11comp_targetILNS1_3genE8ELNS1_11target_archE1030ELNS1_3gpuE2ELNS1_3repE0EEENS1_30default_config_static_selectorELNS0_4arch9wavefront6targetE1EEEvSW_.uses_flat_scratch, 0
	.set _ZN7rocprim17ROCPRIM_400000_NS6detail17trampoline_kernelINS0_14default_configENS1_22reduce_config_selectorIlEEZNS1_11reduce_implILb1ES3_N6thrust23THRUST_200600_302600_NS11hip_rocprim26transform_input_iterator_tIlNS8_12zip_iteratorINS8_5tupleINS8_6detail15normal_iteratorINS8_10device_ptrIdEEEESH_NS8_9null_typeESI_SI_SI_SI_SI_SI_SI_EEEENS9_21zip_adj_not_predicateI22is_equal_div_10_uniqueIdEEEEEPllNS8_4plusIlEEEE10hipError_tPvRmT1_T2_T3_mT4_P12ihipStream_tbEUlT_E0_NS1_11comp_targetILNS1_3genE8ELNS1_11target_archE1030ELNS1_3gpuE2ELNS1_3repE0EEENS1_30default_config_static_selectorELNS0_4arch9wavefront6targetE1EEEvSW_.has_dyn_sized_stack, 0
	.set _ZN7rocprim17ROCPRIM_400000_NS6detail17trampoline_kernelINS0_14default_configENS1_22reduce_config_selectorIlEEZNS1_11reduce_implILb1ES3_N6thrust23THRUST_200600_302600_NS11hip_rocprim26transform_input_iterator_tIlNS8_12zip_iteratorINS8_5tupleINS8_6detail15normal_iteratorINS8_10device_ptrIdEEEESH_NS8_9null_typeESI_SI_SI_SI_SI_SI_SI_EEEENS9_21zip_adj_not_predicateI22is_equal_div_10_uniqueIdEEEEEPllNS8_4plusIlEEEE10hipError_tPvRmT1_T2_T3_mT4_P12ihipStream_tbEUlT_E0_NS1_11comp_targetILNS1_3genE8ELNS1_11target_archE1030ELNS1_3gpuE2ELNS1_3repE0EEENS1_30default_config_static_selectorELNS0_4arch9wavefront6targetE1EEEvSW_.has_recursion, 0
	.set _ZN7rocprim17ROCPRIM_400000_NS6detail17trampoline_kernelINS0_14default_configENS1_22reduce_config_selectorIlEEZNS1_11reduce_implILb1ES3_N6thrust23THRUST_200600_302600_NS11hip_rocprim26transform_input_iterator_tIlNS8_12zip_iteratorINS8_5tupleINS8_6detail15normal_iteratorINS8_10device_ptrIdEEEESH_NS8_9null_typeESI_SI_SI_SI_SI_SI_SI_EEEENS9_21zip_adj_not_predicateI22is_equal_div_10_uniqueIdEEEEEPllNS8_4plusIlEEEE10hipError_tPvRmT1_T2_T3_mT4_P12ihipStream_tbEUlT_E0_NS1_11comp_targetILNS1_3genE8ELNS1_11target_archE1030ELNS1_3gpuE2ELNS1_3repE0EEENS1_30default_config_static_selectorELNS0_4arch9wavefront6targetE1EEEvSW_.has_indirect_call, 0
	.section	.AMDGPU.csdata,"",@progbits
; Kernel info:
; codeLenInByte = 0
; TotalNumSgprs: 4
; NumVgprs: 0
; ScratchSize: 0
; MemoryBound: 0
; FloatMode: 240
; IeeeMode: 1
; LDSByteSize: 0 bytes/workgroup (compile time only)
; SGPRBlocks: 0
; VGPRBlocks: 0
; NumSGPRsForWavesPerEU: 4
; NumVGPRsForWavesPerEU: 1
; Occupancy: 10
; WaveLimiterHint : 0
; COMPUTE_PGM_RSRC2:SCRATCH_EN: 0
; COMPUTE_PGM_RSRC2:USER_SGPR: 6
; COMPUTE_PGM_RSRC2:TRAP_HANDLER: 0
; COMPUTE_PGM_RSRC2:TGID_X_EN: 1
; COMPUTE_PGM_RSRC2:TGID_Y_EN: 0
; COMPUTE_PGM_RSRC2:TGID_Z_EN: 0
; COMPUTE_PGM_RSRC2:TIDIG_COMP_CNT: 0
	.section	.text._ZN7rocprim17ROCPRIM_400000_NS6detail17trampoline_kernelINS0_14default_configENS1_22reduce_config_selectorIlEEZNS1_11reduce_implILb1ES3_N6thrust23THRUST_200600_302600_NS11hip_rocprim26transform_input_iterator_tIlNS8_12zip_iteratorINS8_5tupleINS8_6detail15normal_iteratorINS8_10device_ptrIdEEEESH_NS8_9null_typeESI_SI_SI_SI_SI_SI_SI_EEEENS9_21zip_adj_not_predicateI22is_equal_div_10_uniqueIdEEEEEPllNS8_4plusIlEEEE10hipError_tPvRmT1_T2_T3_mT4_P12ihipStream_tbEUlT_E1_NS1_11comp_targetILNS1_3genE0ELNS1_11target_archE4294967295ELNS1_3gpuE0ELNS1_3repE0EEENS1_30default_config_static_selectorELNS0_4arch9wavefront6targetE1EEEvSW_,"axG",@progbits,_ZN7rocprim17ROCPRIM_400000_NS6detail17trampoline_kernelINS0_14default_configENS1_22reduce_config_selectorIlEEZNS1_11reduce_implILb1ES3_N6thrust23THRUST_200600_302600_NS11hip_rocprim26transform_input_iterator_tIlNS8_12zip_iteratorINS8_5tupleINS8_6detail15normal_iteratorINS8_10device_ptrIdEEEESH_NS8_9null_typeESI_SI_SI_SI_SI_SI_SI_EEEENS9_21zip_adj_not_predicateI22is_equal_div_10_uniqueIdEEEEEPllNS8_4plusIlEEEE10hipError_tPvRmT1_T2_T3_mT4_P12ihipStream_tbEUlT_E1_NS1_11comp_targetILNS1_3genE0ELNS1_11target_archE4294967295ELNS1_3gpuE0ELNS1_3repE0EEENS1_30default_config_static_selectorELNS0_4arch9wavefront6targetE1EEEvSW_,comdat
	.protected	_ZN7rocprim17ROCPRIM_400000_NS6detail17trampoline_kernelINS0_14default_configENS1_22reduce_config_selectorIlEEZNS1_11reduce_implILb1ES3_N6thrust23THRUST_200600_302600_NS11hip_rocprim26transform_input_iterator_tIlNS8_12zip_iteratorINS8_5tupleINS8_6detail15normal_iteratorINS8_10device_ptrIdEEEESH_NS8_9null_typeESI_SI_SI_SI_SI_SI_SI_EEEENS9_21zip_adj_not_predicateI22is_equal_div_10_uniqueIdEEEEEPllNS8_4plusIlEEEE10hipError_tPvRmT1_T2_T3_mT4_P12ihipStream_tbEUlT_E1_NS1_11comp_targetILNS1_3genE0ELNS1_11target_archE4294967295ELNS1_3gpuE0ELNS1_3repE0EEENS1_30default_config_static_selectorELNS0_4arch9wavefront6targetE1EEEvSW_ ; -- Begin function _ZN7rocprim17ROCPRIM_400000_NS6detail17trampoline_kernelINS0_14default_configENS1_22reduce_config_selectorIlEEZNS1_11reduce_implILb1ES3_N6thrust23THRUST_200600_302600_NS11hip_rocprim26transform_input_iterator_tIlNS8_12zip_iteratorINS8_5tupleINS8_6detail15normal_iteratorINS8_10device_ptrIdEEEESH_NS8_9null_typeESI_SI_SI_SI_SI_SI_SI_EEEENS9_21zip_adj_not_predicateI22is_equal_div_10_uniqueIdEEEEEPllNS8_4plusIlEEEE10hipError_tPvRmT1_T2_T3_mT4_P12ihipStream_tbEUlT_E1_NS1_11comp_targetILNS1_3genE0ELNS1_11target_archE4294967295ELNS1_3gpuE0ELNS1_3repE0EEENS1_30default_config_static_selectorELNS0_4arch9wavefront6targetE1EEEvSW_
	.globl	_ZN7rocprim17ROCPRIM_400000_NS6detail17trampoline_kernelINS0_14default_configENS1_22reduce_config_selectorIlEEZNS1_11reduce_implILb1ES3_N6thrust23THRUST_200600_302600_NS11hip_rocprim26transform_input_iterator_tIlNS8_12zip_iteratorINS8_5tupleINS8_6detail15normal_iteratorINS8_10device_ptrIdEEEESH_NS8_9null_typeESI_SI_SI_SI_SI_SI_SI_EEEENS9_21zip_adj_not_predicateI22is_equal_div_10_uniqueIdEEEEEPllNS8_4plusIlEEEE10hipError_tPvRmT1_T2_T3_mT4_P12ihipStream_tbEUlT_E1_NS1_11comp_targetILNS1_3genE0ELNS1_11target_archE4294967295ELNS1_3gpuE0ELNS1_3repE0EEENS1_30default_config_static_selectorELNS0_4arch9wavefront6targetE1EEEvSW_
	.p2align	8
	.type	_ZN7rocprim17ROCPRIM_400000_NS6detail17trampoline_kernelINS0_14default_configENS1_22reduce_config_selectorIlEEZNS1_11reduce_implILb1ES3_N6thrust23THRUST_200600_302600_NS11hip_rocprim26transform_input_iterator_tIlNS8_12zip_iteratorINS8_5tupleINS8_6detail15normal_iteratorINS8_10device_ptrIdEEEESH_NS8_9null_typeESI_SI_SI_SI_SI_SI_SI_EEEENS9_21zip_adj_not_predicateI22is_equal_div_10_uniqueIdEEEEEPllNS8_4plusIlEEEE10hipError_tPvRmT1_T2_T3_mT4_P12ihipStream_tbEUlT_E1_NS1_11comp_targetILNS1_3genE0ELNS1_11target_archE4294967295ELNS1_3gpuE0ELNS1_3repE0EEENS1_30default_config_static_selectorELNS0_4arch9wavefront6targetE1EEEvSW_,@function
_ZN7rocprim17ROCPRIM_400000_NS6detail17trampoline_kernelINS0_14default_configENS1_22reduce_config_selectorIlEEZNS1_11reduce_implILb1ES3_N6thrust23THRUST_200600_302600_NS11hip_rocprim26transform_input_iterator_tIlNS8_12zip_iteratorINS8_5tupleINS8_6detail15normal_iteratorINS8_10device_ptrIdEEEESH_NS8_9null_typeESI_SI_SI_SI_SI_SI_SI_EEEENS9_21zip_adj_not_predicateI22is_equal_div_10_uniqueIdEEEEEPllNS8_4plusIlEEEE10hipError_tPvRmT1_T2_T3_mT4_P12ihipStream_tbEUlT_E1_NS1_11comp_targetILNS1_3genE0ELNS1_11target_archE4294967295ELNS1_3gpuE0ELNS1_3repE0EEENS1_30default_config_static_selectorELNS0_4arch9wavefront6targetE1EEEvSW_: ; @_ZN7rocprim17ROCPRIM_400000_NS6detail17trampoline_kernelINS0_14default_configENS1_22reduce_config_selectorIlEEZNS1_11reduce_implILb1ES3_N6thrust23THRUST_200600_302600_NS11hip_rocprim26transform_input_iterator_tIlNS8_12zip_iteratorINS8_5tupleINS8_6detail15normal_iteratorINS8_10device_ptrIdEEEESH_NS8_9null_typeESI_SI_SI_SI_SI_SI_SI_EEEENS9_21zip_adj_not_predicateI22is_equal_div_10_uniqueIdEEEEEPllNS8_4plusIlEEEE10hipError_tPvRmT1_T2_T3_mT4_P12ihipStream_tbEUlT_E1_NS1_11comp_targetILNS1_3genE0ELNS1_11target_archE4294967295ELNS1_3gpuE0ELNS1_3repE0EEENS1_30default_config_static_selectorELNS0_4arch9wavefront6targetE1EEEvSW_
; %bb.0:
	.section	.rodata,"a",@progbits
	.p2align	6, 0x0
	.amdhsa_kernel _ZN7rocprim17ROCPRIM_400000_NS6detail17trampoline_kernelINS0_14default_configENS1_22reduce_config_selectorIlEEZNS1_11reduce_implILb1ES3_N6thrust23THRUST_200600_302600_NS11hip_rocprim26transform_input_iterator_tIlNS8_12zip_iteratorINS8_5tupleINS8_6detail15normal_iteratorINS8_10device_ptrIdEEEESH_NS8_9null_typeESI_SI_SI_SI_SI_SI_SI_EEEENS9_21zip_adj_not_predicateI22is_equal_div_10_uniqueIdEEEEEPllNS8_4plusIlEEEE10hipError_tPvRmT1_T2_T3_mT4_P12ihipStream_tbEUlT_E1_NS1_11comp_targetILNS1_3genE0ELNS1_11target_archE4294967295ELNS1_3gpuE0ELNS1_3repE0EEENS1_30default_config_static_selectorELNS0_4arch9wavefront6targetE1EEEvSW_
		.amdhsa_group_segment_fixed_size 0
		.amdhsa_private_segment_fixed_size 0
		.amdhsa_kernarg_size 64
		.amdhsa_user_sgpr_count 6
		.amdhsa_user_sgpr_private_segment_buffer 1
		.amdhsa_user_sgpr_dispatch_ptr 0
		.amdhsa_user_sgpr_queue_ptr 0
		.amdhsa_user_sgpr_kernarg_segment_ptr 1
		.amdhsa_user_sgpr_dispatch_id 0
		.amdhsa_user_sgpr_flat_scratch_init 0
		.amdhsa_user_sgpr_private_segment_size 0
		.amdhsa_uses_dynamic_stack 0
		.amdhsa_system_sgpr_private_segment_wavefront_offset 0
		.amdhsa_system_sgpr_workgroup_id_x 1
		.amdhsa_system_sgpr_workgroup_id_y 0
		.amdhsa_system_sgpr_workgroup_id_z 0
		.amdhsa_system_sgpr_workgroup_info 0
		.amdhsa_system_vgpr_workitem_id 0
		.amdhsa_next_free_vgpr 1
		.amdhsa_next_free_sgpr 0
		.amdhsa_reserve_vcc 0
		.amdhsa_reserve_flat_scratch 0
		.amdhsa_float_round_mode_32 0
		.amdhsa_float_round_mode_16_64 0
		.amdhsa_float_denorm_mode_32 3
		.amdhsa_float_denorm_mode_16_64 3
		.amdhsa_dx10_clamp 1
		.amdhsa_ieee_mode 1
		.amdhsa_fp16_overflow 0
		.amdhsa_exception_fp_ieee_invalid_op 0
		.amdhsa_exception_fp_denorm_src 0
		.amdhsa_exception_fp_ieee_div_zero 0
		.amdhsa_exception_fp_ieee_overflow 0
		.amdhsa_exception_fp_ieee_underflow 0
		.amdhsa_exception_fp_ieee_inexact 0
		.amdhsa_exception_int_div_zero 0
	.end_amdhsa_kernel
	.section	.text._ZN7rocprim17ROCPRIM_400000_NS6detail17trampoline_kernelINS0_14default_configENS1_22reduce_config_selectorIlEEZNS1_11reduce_implILb1ES3_N6thrust23THRUST_200600_302600_NS11hip_rocprim26transform_input_iterator_tIlNS8_12zip_iteratorINS8_5tupleINS8_6detail15normal_iteratorINS8_10device_ptrIdEEEESH_NS8_9null_typeESI_SI_SI_SI_SI_SI_SI_EEEENS9_21zip_adj_not_predicateI22is_equal_div_10_uniqueIdEEEEEPllNS8_4plusIlEEEE10hipError_tPvRmT1_T2_T3_mT4_P12ihipStream_tbEUlT_E1_NS1_11comp_targetILNS1_3genE0ELNS1_11target_archE4294967295ELNS1_3gpuE0ELNS1_3repE0EEENS1_30default_config_static_selectorELNS0_4arch9wavefront6targetE1EEEvSW_,"axG",@progbits,_ZN7rocprim17ROCPRIM_400000_NS6detail17trampoline_kernelINS0_14default_configENS1_22reduce_config_selectorIlEEZNS1_11reduce_implILb1ES3_N6thrust23THRUST_200600_302600_NS11hip_rocprim26transform_input_iterator_tIlNS8_12zip_iteratorINS8_5tupleINS8_6detail15normal_iteratorINS8_10device_ptrIdEEEESH_NS8_9null_typeESI_SI_SI_SI_SI_SI_SI_EEEENS9_21zip_adj_not_predicateI22is_equal_div_10_uniqueIdEEEEEPllNS8_4plusIlEEEE10hipError_tPvRmT1_T2_T3_mT4_P12ihipStream_tbEUlT_E1_NS1_11comp_targetILNS1_3genE0ELNS1_11target_archE4294967295ELNS1_3gpuE0ELNS1_3repE0EEENS1_30default_config_static_selectorELNS0_4arch9wavefront6targetE1EEEvSW_,comdat
.Lfunc_end770:
	.size	_ZN7rocprim17ROCPRIM_400000_NS6detail17trampoline_kernelINS0_14default_configENS1_22reduce_config_selectorIlEEZNS1_11reduce_implILb1ES3_N6thrust23THRUST_200600_302600_NS11hip_rocprim26transform_input_iterator_tIlNS8_12zip_iteratorINS8_5tupleINS8_6detail15normal_iteratorINS8_10device_ptrIdEEEESH_NS8_9null_typeESI_SI_SI_SI_SI_SI_SI_EEEENS9_21zip_adj_not_predicateI22is_equal_div_10_uniqueIdEEEEEPllNS8_4plusIlEEEE10hipError_tPvRmT1_T2_T3_mT4_P12ihipStream_tbEUlT_E1_NS1_11comp_targetILNS1_3genE0ELNS1_11target_archE4294967295ELNS1_3gpuE0ELNS1_3repE0EEENS1_30default_config_static_selectorELNS0_4arch9wavefront6targetE1EEEvSW_, .Lfunc_end770-_ZN7rocprim17ROCPRIM_400000_NS6detail17trampoline_kernelINS0_14default_configENS1_22reduce_config_selectorIlEEZNS1_11reduce_implILb1ES3_N6thrust23THRUST_200600_302600_NS11hip_rocprim26transform_input_iterator_tIlNS8_12zip_iteratorINS8_5tupleINS8_6detail15normal_iteratorINS8_10device_ptrIdEEEESH_NS8_9null_typeESI_SI_SI_SI_SI_SI_SI_EEEENS9_21zip_adj_not_predicateI22is_equal_div_10_uniqueIdEEEEEPllNS8_4plusIlEEEE10hipError_tPvRmT1_T2_T3_mT4_P12ihipStream_tbEUlT_E1_NS1_11comp_targetILNS1_3genE0ELNS1_11target_archE4294967295ELNS1_3gpuE0ELNS1_3repE0EEENS1_30default_config_static_selectorELNS0_4arch9wavefront6targetE1EEEvSW_
                                        ; -- End function
	.set _ZN7rocprim17ROCPRIM_400000_NS6detail17trampoline_kernelINS0_14default_configENS1_22reduce_config_selectorIlEEZNS1_11reduce_implILb1ES3_N6thrust23THRUST_200600_302600_NS11hip_rocprim26transform_input_iterator_tIlNS8_12zip_iteratorINS8_5tupleINS8_6detail15normal_iteratorINS8_10device_ptrIdEEEESH_NS8_9null_typeESI_SI_SI_SI_SI_SI_SI_EEEENS9_21zip_adj_not_predicateI22is_equal_div_10_uniqueIdEEEEEPllNS8_4plusIlEEEE10hipError_tPvRmT1_T2_T3_mT4_P12ihipStream_tbEUlT_E1_NS1_11comp_targetILNS1_3genE0ELNS1_11target_archE4294967295ELNS1_3gpuE0ELNS1_3repE0EEENS1_30default_config_static_selectorELNS0_4arch9wavefront6targetE1EEEvSW_.num_vgpr, 0
	.set _ZN7rocprim17ROCPRIM_400000_NS6detail17trampoline_kernelINS0_14default_configENS1_22reduce_config_selectorIlEEZNS1_11reduce_implILb1ES3_N6thrust23THRUST_200600_302600_NS11hip_rocprim26transform_input_iterator_tIlNS8_12zip_iteratorINS8_5tupleINS8_6detail15normal_iteratorINS8_10device_ptrIdEEEESH_NS8_9null_typeESI_SI_SI_SI_SI_SI_SI_EEEENS9_21zip_adj_not_predicateI22is_equal_div_10_uniqueIdEEEEEPllNS8_4plusIlEEEE10hipError_tPvRmT1_T2_T3_mT4_P12ihipStream_tbEUlT_E1_NS1_11comp_targetILNS1_3genE0ELNS1_11target_archE4294967295ELNS1_3gpuE0ELNS1_3repE0EEENS1_30default_config_static_selectorELNS0_4arch9wavefront6targetE1EEEvSW_.num_agpr, 0
	.set _ZN7rocprim17ROCPRIM_400000_NS6detail17trampoline_kernelINS0_14default_configENS1_22reduce_config_selectorIlEEZNS1_11reduce_implILb1ES3_N6thrust23THRUST_200600_302600_NS11hip_rocprim26transform_input_iterator_tIlNS8_12zip_iteratorINS8_5tupleINS8_6detail15normal_iteratorINS8_10device_ptrIdEEEESH_NS8_9null_typeESI_SI_SI_SI_SI_SI_SI_EEEENS9_21zip_adj_not_predicateI22is_equal_div_10_uniqueIdEEEEEPllNS8_4plusIlEEEE10hipError_tPvRmT1_T2_T3_mT4_P12ihipStream_tbEUlT_E1_NS1_11comp_targetILNS1_3genE0ELNS1_11target_archE4294967295ELNS1_3gpuE0ELNS1_3repE0EEENS1_30default_config_static_selectorELNS0_4arch9wavefront6targetE1EEEvSW_.numbered_sgpr, 0
	.set _ZN7rocprim17ROCPRIM_400000_NS6detail17trampoline_kernelINS0_14default_configENS1_22reduce_config_selectorIlEEZNS1_11reduce_implILb1ES3_N6thrust23THRUST_200600_302600_NS11hip_rocprim26transform_input_iterator_tIlNS8_12zip_iteratorINS8_5tupleINS8_6detail15normal_iteratorINS8_10device_ptrIdEEEESH_NS8_9null_typeESI_SI_SI_SI_SI_SI_SI_EEEENS9_21zip_adj_not_predicateI22is_equal_div_10_uniqueIdEEEEEPllNS8_4plusIlEEEE10hipError_tPvRmT1_T2_T3_mT4_P12ihipStream_tbEUlT_E1_NS1_11comp_targetILNS1_3genE0ELNS1_11target_archE4294967295ELNS1_3gpuE0ELNS1_3repE0EEENS1_30default_config_static_selectorELNS0_4arch9wavefront6targetE1EEEvSW_.num_named_barrier, 0
	.set _ZN7rocprim17ROCPRIM_400000_NS6detail17trampoline_kernelINS0_14default_configENS1_22reduce_config_selectorIlEEZNS1_11reduce_implILb1ES3_N6thrust23THRUST_200600_302600_NS11hip_rocprim26transform_input_iterator_tIlNS8_12zip_iteratorINS8_5tupleINS8_6detail15normal_iteratorINS8_10device_ptrIdEEEESH_NS8_9null_typeESI_SI_SI_SI_SI_SI_SI_EEEENS9_21zip_adj_not_predicateI22is_equal_div_10_uniqueIdEEEEEPllNS8_4plusIlEEEE10hipError_tPvRmT1_T2_T3_mT4_P12ihipStream_tbEUlT_E1_NS1_11comp_targetILNS1_3genE0ELNS1_11target_archE4294967295ELNS1_3gpuE0ELNS1_3repE0EEENS1_30default_config_static_selectorELNS0_4arch9wavefront6targetE1EEEvSW_.private_seg_size, 0
	.set _ZN7rocprim17ROCPRIM_400000_NS6detail17trampoline_kernelINS0_14default_configENS1_22reduce_config_selectorIlEEZNS1_11reduce_implILb1ES3_N6thrust23THRUST_200600_302600_NS11hip_rocprim26transform_input_iterator_tIlNS8_12zip_iteratorINS8_5tupleINS8_6detail15normal_iteratorINS8_10device_ptrIdEEEESH_NS8_9null_typeESI_SI_SI_SI_SI_SI_SI_EEEENS9_21zip_adj_not_predicateI22is_equal_div_10_uniqueIdEEEEEPllNS8_4plusIlEEEE10hipError_tPvRmT1_T2_T3_mT4_P12ihipStream_tbEUlT_E1_NS1_11comp_targetILNS1_3genE0ELNS1_11target_archE4294967295ELNS1_3gpuE0ELNS1_3repE0EEENS1_30default_config_static_selectorELNS0_4arch9wavefront6targetE1EEEvSW_.uses_vcc, 0
	.set _ZN7rocprim17ROCPRIM_400000_NS6detail17trampoline_kernelINS0_14default_configENS1_22reduce_config_selectorIlEEZNS1_11reduce_implILb1ES3_N6thrust23THRUST_200600_302600_NS11hip_rocprim26transform_input_iterator_tIlNS8_12zip_iteratorINS8_5tupleINS8_6detail15normal_iteratorINS8_10device_ptrIdEEEESH_NS8_9null_typeESI_SI_SI_SI_SI_SI_SI_EEEENS9_21zip_adj_not_predicateI22is_equal_div_10_uniqueIdEEEEEPllNS8_4plusIlEEEE10hipError_tPvRmT1_T2_T3_mT4_P12ihipStream_tbEUlT_E1_NS1_11comp_targetILNS1_3genE0ELNS1_11target_archE4294967295ELNS1_3gpuE0ELNS1_3repE0EEENS1_30default_config_static_selectorELNS0_4arch9wavefront6targetE1EEEvSW_.uses_flat_scratch, 0
	.set _ZN7rocprim17ROCPRIM_400000_NS6detail17trampoline_kernelINS0_14default_configENS1_22reduce_config_selectorIlEEZNS1_11reduce_implILb1ES3_N6thrust23THRUST_200600_302600_NS11hip_rocprim26transform_input_iterator_tIlNS8_12zip_iteratorINS8_5tupleINS8_6detail15normal_iteratorINS8_10device_ptrIdEEEESH_NS8_9null_typeESI_SI_SI_SI_SI_SI_SI_EEEENS9_21zip_adj_not_predicateI22is_equal_div_10_uniqueIdEEEEEPllNS8_4plusIlEEEE10hipError_tPvRmT1_T2_T3_mT4_P12ihipStream_tbEUlT_E1_NS1_11comp_targetILNS1_3genE0ELNS1_11target_archE4294967295ELNS1_3gpuE0ELNS1_3repE0EEENS1_30default_config_static_selectorELNS0_4arch9wavefront6targetE1EEEvSW_.has_dyn_sized_stack, 0
	.set _ZN7rocprim17ROCPRIM_400000_NS6detail17trampoline_kernelINS0_14default_configENS1_22reduce_config_selectorIlEEZNS1_11reduce_implILb1ES3_N6thrust23THRUST_200600_302600_NS11hip_rocprim26transform_input_iterator_tIlNS8_12zip_iteratorINS8_5tupleINS8_6detail15normal_iteratorINS8_10device_ptrIdEEEESH_NS8_9null_typeESI_SI_SI_SI_SI_SI_SI_EEEENS9_21zip_adj_not_predicateI22is_equal_div_10_uniqueIdEEEEEPllNS8_4plusIlEEEE10hipError_tPvRmT1_T2_T3_mT4_P12ihipStream_tbEUlT_E1_NS1_11comp_targetILNS1_3genE0ELNS1_11target_archE4294967295ELNS1_3gpuE0ELNS1_3repE0EEENS1_30default_config_static_selectorELNS0_4arch9wavefront6targetE1EEEvSW_.has_recursion, 0
	.set _ZN7rocprim17ROCPRIM_400000_NS6detail17trampoline_kernelINS0_14default_configENS1_22reduce_config_selectorIlEEZNS1_11reduce_implILb1ES3_N6thrust23THRUST_200600_302600_NS11hip_rocprim26transform_input_iterator_tIlNS8_12zip_iteratorINS8_5tupleINS8_6detail15normal_iteratorINS8_10device_ptrIdEEEESH_NS8_9null_typeESI_SI_SI_SI_SI_SI_SI_EEEENS9_21zip_adj_not_predicateI22is_equal_div_10_uniqueIdEEEEEPllNS8_4plusIlEEEE10hipError_tPvRmT1_T2_T3_mT4_P12ihipStream_tbEUlT_E1_NS1_11comp_targetILNS1_3genE0ELNS1_11target_archE4294967295ELNS1_3gpuE0ELNS1_3repE0EEENS1_30default_config_static_selectorELNS0_4arch9wavefront6targetE1EEEvSW_.has_indirect_call, 0
	.section	.AMDGPU.csdata,"",@progbits
; Kernel info:
; codeLenInByte = 0
; TotalNumSgprs: 4
; NumVgprs: 0
; ScratchSize: 0
; MemoryBound: 0
; FloatMode: 240
; IeeeMode: 1
; LDSByteSize: 0 bytes/workgroup (compile time only)
; SGPRBlocks: 0
; VGPRBlocks: 0
; NumSGPRsForWavesPerEU: 4
; NumVGPRsForWavesPerEU: 1
; Occupancy: 10
; WaveLimiterHint : 0
; COMPUTE_PGM_RSRC2:SCRATCH_EN: 0
; COMPUTE_PGM_RSRC2:USER_SGPR: 6
; COMPUTE_PGM_RSRC2:TRAP_HANDLER: 0
; COMPUTE_PGM_RSRC2:TGID_X_EN: 1
; COMPUTE_PGM_RSRC2:TGID_Y_EN: 0
; COMPUTE_PGM_RSRC2:TGID_Z_EN: 0
; COMPUTE_PGM_RSRC2:TIDIG_COMP_CNT: 0
	.section	.text._ZN7rocprim17ROCPRIM_400000_NS6detail17trampoline_kernelINS0_14default_configENS1_22reduce_config_selectorIlEEZNS1_11reduce_implILb1ES3_N6thrust23THRUST_200600_302600_NS11hip_rocprim26transform_input_iterator_tIlNS8_12zip_iteratorINS8_5tupleINS8_6detail15normal_iteratorINS8_10device_ptrIdEEEESH_NS8_9null_typeESI_SI_SI_SI_SI_SI_SI_EEEENS9_21zip_adj_not_predicateI22is_equal_div_10_uniqueIdEEEEEPllNS8_4plusIlEEEE10hipError_tPvRmT1_T2_T3_mT4_P12ihipStream_tbEUlT_E1_NS1_11comp_targetILNS1_3genE5ELNS1_11target_archE942ELNS1_3gpuE9ELNS1_3repE0EEENS1_30default_config_static_selectorELNS0_4arch9wavefront6targetE1EEEvSW_,"axG",@progbits,_ZN7rocprim17ROCPRIM_400000_NS6detail17trampoline_kernelINS0_14default_configENS1_22reduce_config_selectorIlEEZNS1_11reduce_implILb1ES3_N6thrust23THRUST_200600_302600_NS11hip_rocprim26transform_input_iterator_tIlNS8_12zip_iteratorINS8_5tupleINS8_6detail15normal_iteratorINS8_10device_ptrIdEEEESH_NS8_9null_typeESI_SI_SI_SI_SI_SI_SI_EEEENS9_21zip_adj_not_predicateI22is_equal_div_10_uniqueIdEEEEEPllNS8_4plusIlEEEE10hipError_tPvRmT1_T2_T3_mT4_P12ihipStream_tbEUlT_E1_NS1_11comp_targetILNS1_3genE5ELNS1_11target_archE942ELNS1_3gpuE9ELNS1_3repE0EEENS1_30default_config_static_selectorELNS0_4arch9wavefront6targetE1EEEvSW_,comdat
	.protected	_ZN7rocprim17ROCPRIM_400000_NS6detail17trampoline_kernelINS0_14default_configENS1_22reduce_config_selectorIlEEZNS1_11reduce_implILb1ES3_N6thrust23THRUST_200600_302600_NS11hip_rocprim26transform_input_iterator_tIlNS8_12zip_iteratorINS8_5tupleINS8_6detail15normal_iteratorINS8_10device_ptrIdEEEESH_NS8_9null_typeESI_SI_SI_SI_SI_SI_SI_EEEENS9_21zip_adj_not_predicateI22is_equal_div_10_uniqueIdEEEEEPllNS8_4plusIlEEEE10hipError_tPvRmT1_T2_T3_mT4_P12ihipStream_tbEUlT_E1_NS1_11comp_targetILNS1_3genE5ELNS1_11target_archE942ELNS1_3gpuE9ELNS1_3repE0EEENS1_30default_config_static_selectorELNS0_4arch9wavefront6targetE1EEEvSW_ ; -- Begin function _ZN7rocprim17ROCPRIM_400000_NS6detail17trampoline_kernelINS0_14default_configENS1_22reduce_config_selectorIlEEZNS1_11reduce_implILb1ES3_N6thrust23THRUST_200600_302600_NS11hip_rocprim26transform_input_iterator_tIlNS8_12zip_iteratorINS8_5tupleINS8_6detail15normal_iteratorINS8_10device_ptrIdEEEESH_NS8_9null_typeESI_SI_SI_SI_SI_SI_SI_EEEENS9_21zip_adj_not_predicateI22is_equal_div_10_uniqueIdEEEEEPllNS8_4plusIlEEEE10hipError_tPvRmT1_T2_T3_mT4_P12ihipStream_tbEUlT_E1_NS1_11comp_targetILNS1_3genE5ELNS1_11target_archE942ELNS1_3gpuE9ELNS1_3repE0EEENS1_30default_config_static_selectorELNS0_4arch9wavefront6targetE1EEEvSW_
	.globl	_ZN7rocprim17ROCPRIM_400000_NS6detail17trampoline_kernelINS0_14default_configENS1_22reduce_config_selectorIlEEZNS1_11reduce_implILb1ES3_N6thrust23THRUST_200600_302600_NS11hip_rocprim26transform_input_iterator_tIlNS8_12zip_iteratorINS8_5tupleINS8_6detail15normal_iteratorINS8_10device_ptrIdEEEESH_NS8_9null_typeESI_SI_SI_SI_SI_SI_SI_EEEENS9_21zip_adj_not_predicateI22is_equal_div_10_uniqueIdEEEEEPllNS8_4plusIlEEEE10hipError_tPvRmT1_T2_T3_mT4_P12ihipStream_tbEUlT_E1_NS1_11comp_targetILNS1_3genE5ELNS1_11target_archE942ELNS1_3gpuE9ELNS1_3repE0EEENS1_30default_config_static_selectorELNS0_4arch9wavefront6targetE1EEEvSW_
	.p2align	8
	.type	_ZN7rocprim17ROCPRIM_400000_NS6detail17trampoline_kernelINS0_14default_configENS1_22reduce_config_selectorIlEEZNS1_11reduce_implILb1ES3_N6thrust23THRUST_200600_302600_NS11hip_rocprim26transform_input_iterator_tIlNS8_12zip_iteratorINS8_5tupleINS8_6detail15normal_iteratorINS8_10device_ptrIdEEEESH_NS8_9null_typeESI_SI_SI_SI_SI_SI_SI_EEEENS9_21zip_adj_not_predicateI22is_equal_div_10_uniqueIdEEEEEPllNS8_4plusIlEEEE10hipError_tPvRmT1_T2_T3_mT4_P12ihipStream_tbEUlT_E1_NS1_11comp_targetILNS1_3genE5ELNS1_11target_archE942ELNS1_3gpuE9ELNS1_3repE0EEENS1_30default_config_static_selectorELNS0_4arch9wavefront6targetE1EEEvSW_,@function
_ZN7rocprim17ROCPRIM_400000_NS6detail17trampoline_kernelINS0_14default_configENS1_22reduce_config_selectorIlEEZNS1_11reduce_implILb1ES3_N6thrust23THRUST_200600_302600_NS11hip_rocprim26transform_input_iterator_tIlNS8_12zip_iteratorINS8_5tupleINS8_6detail15normal_iteratorINS8_10device_ptrIdEEEESH_NS8_9null_typeESI_SI_SI_SI_SI_SI_SI_EEEENS9_21zip_adj_not_predicateI22is_equal_div_10_uniqueIdEEEEEPllNS8_4plusIlEEEE10hipError_tPvRmT1_T2_T3_mT4_P12ihipStream_tbEUlT_E1_NS1_11comp_targetILNS1_3genE5ELNS1_11target_archE942ELNS1_3gpuE9ELNS1_3repE0EEENS1_30default_config_static_selectorELNS0_4arch9wavefront6targetE1EEEvSW_: ; @_ZN7rocprim17ROCPRIM_400000_NS6detail17trampoline_kernelINS0_14default_configENS1_22reduce_config_selectorIlEEZNS1_11reduce_implILb1ES3_N6thrust23THRUST_200600_302600_NS11hip_rocprim26transform_input_iterator_tIlNS8_12zip_iteratorINS8_5tupleINS8_6detail15normal_iteratorINS8_10device_ptrIdEEEESH_NS8_9null_typeESI_SI_SI_SI_SI_SI_SI_EEEENS9_21zip_adj_not_predicateI22is_equal_div_10_uniqueIdEEEEEPllNS8_4plusIlEEEE10hipError_tPvRmT1_T2_T3_mT4_P12ihipStream_tbEUlT_E1_NS1_11comp_targetILNS1_3genE5ELNS1_11target_archE942ELNS1_3gpuE9ELNS1_3repE0EEENS1_30default_config_static_selectorELNS0_4arch9wavefront6targetE1EEEvSW_
; %bb.0:
	.section	.rodata,"a",@progbits
	.p2align	6, 0x0
	.amdhsa_kernel _ZN7rocprim17ROCPRIM_400000_NS6detail17trampoline_kernelINS0_14default_configENS1_22reduce_config_selectorIlEEZNS1_11reduce_implILb1ES3_N6thrust23THRUST_200600_302600_NS11hip_rocprim26transform_input_iterator_tIlNS8_12zip_iteratorINS8_5tupleINS8_6detail15normal_iteratorINS8_10device_ptrIdEEEESH_NS8_9null_typeESI_SI_SI_SI_SI_SI_SI_EEEENS9_21zip_adj_not_predicateI22is_equal_div_10_uniqueIdEEEEEPllNS8_4plusIlEEEE10hipError_tPvRmT1_T2_T3_mT4_P12ihipStream_tbEUlT_E1_NS1_11comp_targetILNS1_3genE5ELNS1_11target_archE942ELNS1_3gpuE9ELNS1_3repE0EEENS1_30default_config_static_selectorELNS0_4arch9wavefront6targetE1EEEvSW_
		.amdhsa_group_segment_fixed_size 0
		.amdhsa_private_segment_fixed_size 0
		.amdhsa_kernarg_size 64
		.amdhsa_user_sgpr_count 6
		.amdhsa_user_sgpr_private_segment_buffer 1
		.amdhsa_user_sgpr_dispatch_ptr 0
		.amdhsa_user_sgpr_queue_ptr 0
		.amdhsa_user_sgpr_kernarg_segment_ptr 1
		.amdhsa_user_sgpr_dispatch_id 0
		.amdhsa_user_sgpr_flat_scratch_init 0
		.amdhsa_user_sgpr_private_segment_size 0
		.amdhsa_uses_dynamic_stack 0
		.amdhsa_system_sgpr_private_segment_wavefront_offset 0
		.amdhsa_system_sgpr_workgroup_id_x 1
		.amdhsa_system_sgpr_workgroup_id_y 0
		.amdhsa_system_sgpr_workgroup_id_z 0
		.amdhsa_system_sgpr_workgroup_info 0
		.amdhsa_system_vgpr_workitem_id 0
		.amdhsa_next_free_vgpr 1
		.amdhsa_next_free_sgpr 0
		.amdhsa_reserve_vcc 0
		.amdhsa_reserve_flat_scratch 0
		.amdhsa_float_round_mode_32 0
		.amdhsa_float_round_mode_16_64 0
		.amdhsa_float_denorm_mode_32 3
		.amdhsa_float_denorm_mode_16_64 3
		.amdhsa_dx10_clamp 1
		.amdhsa_ieee_mode 1
		.amdhsa_fp16_overflow 0
		.amdhsa_exception_fp_ieee_invalid_op 0
		.amdhsa_exception_fp_denorm_src 0
		.amdhsa_exception_fp_ieee_div_zero 0
		.amdhsa_exception_fp_ieee_overflow 0
		.amdhsa_exception_fp_ieee_underflow 0
		.amdhsa_exception_fp_ieee_inexact 0
		.amdhsa_exception_int_div_zero 0
	.end_amdhsa_kernel
	.section	.text._ZN7rocprim17ROCPRIM_400000_NS6detail17trampoline_kernelINS0_14default_configENS1_22reduce_config_selectorIlEEZNS1_11reduce_implILb1ES3_N6thrust23THRUST_200600_302600_NS11hip_rocprim26transform_input_iterator_tIlNS8_12zip_iteratorINS8_5tupleINS8_6detail15normal_iteratorINS8_10device_ptrIdEEEESH_NS8_9null_typeESI_SI_SI_SI_SI_SI_SI_EEEENS9_21zip_adj_not_predicateI22is_equal_div_10_uniqueIdEEEEEPllNS8_4plusIlEEEE10hipError_tPvRmT1_T2_T3_mT4_P12ihipStream_tbEUlT_E1_NS1_11comp_targetILNS1_3genE5ELNS1_11target_archE942ELNS1_3gpuE9ELNS1_3repE0EEENS1_30default_config_static_selectorELNS0_4arch9wavefront6targetE1EEEvSW_,"axG",@progbits,_ZN7rocprim17ROCPRIM_400000_NS6detail17trampoline_kernelINS0_14default_configENS1_22reduce_config_selectorIlEEZNS1_11reduce_implILb1ES3_N6thrust23THRUST_200600_302600_NS11hip_rocprim26transform_input_iterator_tIlNS8_12zip_iteratorINS8_5tupleINS8_6detail15normal_iteratorINS8_10device_ptrIdEEEESH_NS8_9null_typeESI_SI_SI_SI_SI_SI_SI_EEEENS9_21zip_adj_not_predicateI22is_equal_div_10_uniqueIdEEEEEPllNS8_4plusIlEEEE10hipError_tPvRmT1_T2_T3_mT4_P12ihipStream_tbEUlT_E1_NS1_11comp_targetILNS1_3genE5ELNS1_11target_archE942ELNS1_3gpuE9ELNS1_3repE0EEENS1_30default_config_static_selectorELNS0_4arch9wavefront6targetE1EEEvSW_,comdat
.Lfunc_end771:
	.size	_ZN7rocprim17ROCPRIM_400000_NS6detail17trampoline_kernelINS0_14default_configENS1_22reduce_config_selectorIlEEZNS1_11reduce_implILb1ES3_N6thrust23THRUST_200600_302600_NS11hip_rocprim26transform_input_iterator_tIlNS8_12zip_iteratorINS8_5tupleINS8_6detail15normal_iteratorINS8_10device_ptrIdEEEESH_NS8_9null_typeESI_SI_SI_SI_SI_SI_SI_EEEENS9_21zip_adj_not_predicateI22is_equal_div_10_uniqueIdEEEEEPllNS8_4plusIlEEEE10hipError_tPvRmT1_T2_T3_mT4_P12ihipStream_tbEUlT_E1_NS1_11comp_targetILNS1_3genE5ELNS1_11target_archE942ELNS1_3gpuE9ELNS1_3repE0EEENS1_30default_config_static_selectorELNS0_4arch9wavefront6targetE1EEEvSW_, .Lfunc_end771-_ZN7rocprim17ROCPRIM_400000_NS6detail17trampoline_kernelINS0_14default_configENS1_22reduce_config_selectorIlEEZNS1_11reduce_implILb1ES3_N6thrust23THRUST_200600_302600_NS11hip_rocprim26transform_input_iterator_tIlNS8_12zip_iteratorINS8_5tupleINS8_6detail15normal_iteratorINS8_10device_ptrIdEEEESH_NS8_9null_typeESI_SI_SI_SI_SI_SI_SI_EEEENS9_21zip_adj_not_predicateI22is_equal_div_10_uniqueIdEEEEEPllNS8_4plusIlEEEE10hipError_tPvRmT1_T2_T3_mT4_P12ihipStream_tbEUlT_E1_NS1_11comp_targetILNS1_3genE5ELNS1_11target_archE942ELNS1_3gpuE9ELNS1_3repE0EEENS1_30default_config_static_selectorELNS0_4arch9wavefront6targetE1EEEvSW_
                                        ; -- End function
	.set _ZN7rocprim17ROCPRIM_400000_NS6detail17trampoline_kernelINS0_14default_configENS1_22reduce_config_selectorIlEEZNS1_11reduce_implILb1ES3_N6thrust23THRUST_200600_302600_NS11hip_rocprim26transform_input_iterator_tIlNS8_12zip_iteratorINS8_5tupleINS8_6detail15normal_iteratorINS8_10device_ptrIdEEEESH_NS8_9null_typeESI_SI_SI_SI_SI_SI_SI_EEEENS9_21zip_adj_not_predicateI22is_equal_div_10_uniqueIdEEEEEPllNS8_4plusIlEEEE10hipError_tPvRmT1_T2_T3_mT4_P12ihipStream_tbEUlT_E1_NS1_11comp_targetILNS1_3genE5ELNS1_11target_archE942ELNS1_3gpuE9ELNS1_3repE0EEENS1_30default_config_static_selectorELNS0_4arch9wavefront6targetE1EEEvSW_.num_vgpr, 0
	.set _ZN7rocprim17ROCPRIM_400000_NS6detail17trampoline_kernelINS0_14default_configENS1_22reduce_config_selectorIlEEZNS1_11reduce_implILb1ES3_N6thrust23THRUST_200600_302600_NS11hip_rocprim26transform_input_iterator_tIlNS8_12zip_iteratorINS8_5tupleINS8_6detail15normal_iteratorINS8_10device_ptrIdEEEESH_NS8_9null_typeESI_SI_SI_SI_SI_SI_SI_EEEENS9_21zip_adj_not_predicateI22is_equal_div_10_uniqueIdEEEEEPllNS8_4plusIlEEEE10hipError_tPvRmT1_T2_T3_mT4_P12ihipStream_tbEUlT_E1_NS1_11comp_targetILNS1_3genE5ELNS1_11target_archE942ELNS1_3gpuE9ELNS1_3repE0EEENS1_30default_config_static_selectorELNS0_4arch9wavefront6targetE1EEEvSW_.num_agpr, 0
	.set _ZN7rocprim17ROCPRIM_400000_NS6detail17trampoline_kernelINS0_14default_configENS1_22reduce_config_selectorIlEEZNS1_11reduce_implILb1ES3_N6thrust23THRUST_200600_302600_NS11hip_rocprim26transform_input_iterator_tIlNS8_12zip_iteratorINS8_5tupleINS8_6detail15normal_iteratorINS8_10device_ptrIdEEEESH_NS8_9null_typeESI_SI_SI_SI_SI_SI_SI_EEEENS9_21zip_adj_not_predicateI22is_equal_div_10_uniqueIdEEEEEPllNS8_4plusIlEEEE10hipError_tPvRmT1_T2_T3_mT4_P12ihipStream_tbEUlT_E1_NS1_11comp_targetILNS1_3genE5ELNS1_11target_archE942ELNS1_3gpuE9ELNS1_3repE0EEENS1_30default_config_static_selectorELNS0_4arch9wavefront6targetE1EEEvSW_.numbered_sgpr, 0
	.set _ZN7rocprim17ROCPRIM_400000_NS6detail17trampoline_kernelINS0_14default_configENS1_22reduce_config_selectorIlEEZNS1_11reduce_implILb1ES3_N6thrust23THRUST_200600_302600_NS11hip_rocprim26transform_input_iterator_tIlNS8_12zip_iteratorINS8_5tupleINS8_6detail15normal_iteratorINS8_10device_ptrIdEEEESH_NS8_9null_typeESI_SI_SI_SI_SI_SI_SI_EEEENS9_21zip_adj_not_predicateI22is_equal_div_10_uniqueIdEEEEEPllNS8_4plusIlEEEE10hipError_tPvRmT1_T2_T3_mT4_P12ihipStream_tbEUlT_E1_NS1_11comp_targetILNS1_3genE5ELNS1_11target_archE942ELNS1_3gpuE9ELNS1_3repE0EEENS1_30default_config_static_selectorELNS0_4arch9wavefront6targetE1EEEvSW_.num_named_barrier, 0
	.set _ZN7rocprim17ROCPRIM_400000_NS6detail17trampoline_kernelINS0_14default_configENS1_22reduce_config_selectorIlEEZNS1_11reduce_implILb1ES3_N6thrust23THRUST_200600_302600_NS11hip_rocprim26transform_input_iterator_tIlNS8_12zip_iteratorINS8_5tupleINS8_6detail15normal_iteratorINS8_10device_ptrIdEEEESH_NS8_9null_typeESI_SI_SI_SI_SI_SI_SI_EEEENS9_21zip_adj_not_predicateI22is_equal_div_10_uniqueIdEEEEEPllNS8_4plusIlEEEE10hipError_tPvRmT1_T2_T3_mT4_P12ihipStream_tbEUlT_E1_NS1_11comp_targetILNS1_3genE5ELNS1_11target_archE942ELNS1_3gpuE9ELNS1_3repE0EEENS1_30default_config_static_selectorELNS0_4arch9wavefront6targetE1EEEvSW_.private_seg_size, 0
	.set _ZN7rocprim17ROCPRIM_400000_NS6detail17trampoline_kernelINS0_14default_configENS1_22reduce_config_selectorIlEEZNS1_11reduce_implILb1ES3_N6thrust23THRUST_200600_302600_NS11hip_rocprim26transform_input_iterator_tIlNS8_12zip_iteratorINS8_5tupleINS8_6detail15normal_iteratorINS8_10device_ptrIdEEEESH_NS8_9null_typeESI_SI_SI_SI_SI_SI_SI_EEEENS9_21zip_adj_not_predicateI22is_equal_div_10_uniqueIdEEEEEPllNS8_4plusIlEEEE10hipError_tPvRmT1_T2_T3_mT4_P12ihipStream_tbEUlT_E1_NS1_11comp_targetILNS1_3genE5ELNS1_11target_archE942ELNS1_3gpuE9ELNS1_3repE0EEENS1_30default_config_static_selectorELNS0_4arch9wavefront6targetE1EEEvSW_.uses_vcc, 0
	.set _ZN7rocprim17ROCPRIM_400000_NS6detail17trampoline_kernelINS0_14default_configENS1_22reduce_config_selectorIlEEZNS1_11reduce_implILb1ES3_N6thrust23THRUST_200600_302600_NS11hip_rocprim26transform_input_iterator_tIlNS8_12zip_iteratorINS8_5tupleINS8_6detail15normal_iteratorINS8_10device_ptrIdEEEESH_NS8_9null_typeESI_SI_SI_SI_SI_SI_SI_EEEENS9_21zip_adj_not_predicateI22is_equal_div_10_uniqueIdEEEEEPllNS8_4plusIlEEEE10hipError_tPvRmT1_T2_T3_mT4_P12ihipStream_tbEUlT_E1_NS1_11comp_targetILNS1_3genE5ELNS1_11target_archE942ELNS1_3gpuE9ELNS1_3repE0EEENS1_30default_config_static_selectorELNS0_4arch9wavefront6targetE1EEEvSW_.uses_flat_scratch, 0
	.set _ZN7rocprim17ROCPRIM_400000_NS6detail17trampoline_kernelINS0_14default_configENS1_22reduce_config_selectorIlEEZNS1_11reduce_implILb1ES3_N6thrust23THRUST_200600_302600_NS11hip_rocprim26transform_input_iterator_tIlNS8_12zip_iteratorINS8_5tupleINS8_6detail15normal_iteratorINS8_10device_ptrIdEEEESH_NS8_9null_typeESI_SI_SI_SI_SI_SI_SI_EEEENS9_21zip_adj_not_predicateI22is_equal_div_10_uniqueIdEEEEEPllNS8_4plusIlEEEE10hipError_tPvRmT1_T2_T3_mT4_P12ihipStream_tbEUlT_E1_NS1_11comp_targetILNS1_3genE5ELNS1_11target_archE942ELNS1_3gpuE9ELNS1_3repE0EEENS1_30default_config_static_selectorELNS0_4arch9wavefront6targetE1EEEvSW_.has_dyn_sized_stack, 0
	.set _ZN7rocprim17ROCPRIM_400000_NS6detail17trampoline_kernelINS0_14default_configENS1_22reduce_config_selectorIlEEZNS1_11reduce_implILb1ES3_N6thrust23THRUST_200600_302600_NS11hip_rocprim26transform_input_iterator_tIlNS8_12zip_iteratorINS8_5tupleINS8_6detail15normal_iteratorINS8_10device_ptrIdEEEESH_NS8_9null_typeESI_SI_SI_SI_SI_SI_SI_EEEENS9_21zip_adj_not_predicateI22is_equal_div_10_uniqueIdEEEEEPllNS8_4plusIlEEEE10hipError_tPvRmT1_T2_T3_mT4_P12ihipStream_tbEUlT_E1_NS1_11comp_targetILNS1_3genE5ELNS1_11target_archE942ELNS1_3gpuE9ELNS1_3repE0EEENS1_30default_config_static_selectorELNS0_4arch9wavefront6targetE1EEEvSW_.has_recursion, 0
	.set _ZN7rocprim17ROCPRIM_400000_NS6detail17trampoline_kernelINS0_14default_configENS1_22reduce_config_selectorIlEEZNS1_11reduce_implILb1ES3_N6thrust23THRUST_200600_302600_NS11hip_rocprim26transform_input_iterator_tIlNS8_12zip_iteratorINS8_5tupleINS8_6detail15normal_iteratorINS8_10device_ptrIdEEEESH_NS8_9null_typeESI_SI_SI_SI_SI_SI_SI_EEEENS9_21zip_adj_not_predicateI22is_equal_div_10_uniqueIdEEEEEPllNS8_4plusIlEEEE10hipError_tPvRmT1_T2_T3_mT4_P12ihipStream_tbEUlT_E1_NS1_11comp_targetILNS1_3genE5ELNS1_11target_archE942ELNS1_3gpuE9ELNS1_3repE0EEENS1_30default_config_static_selectorELNS0_4arch9wavefront6targetE1EEEvSW_.has_indirect_call, 0
	.section	.AMDGPU.csdata,"",@progbits
; Kernel info:
; codeLenInByte = 0
; TotalNumSgprs: 4
; NumVgprs: 0
; ScratchSize: 0
; MemoryBound: 0
; FloatMode: 240
; IeeeMode: 1
; LDSByteSize: 0 bytes/workgroup (compile time only)
; SGPRBlocks: 0
; VGPRBlocks: 0
; NumSGPRsForWavesPerEU: 4
; NumVGPRsForWavesPerEU: 1
; Occupancy: 10
; WaveLimiterHint : 0
; COMPUTE_PGM_RSRC2:SCRATCH_EN: 0
; COMPUTE_PGM_RSRC2:USER_SGPR: 6
; COMPUTE_PGM_RSRC2:TRAP_HANDLER: 0
; COMPUTE_PGM_RSRC2:TGID_X_EN: 1
; COMPUTE_PGM_RSRC2:TGID_Y_EN: 0
; COMPUTE_PGM_RSRC2:TGID_Z_EN: 0
; COMPUTE_PGM_RSRC2:TIDIG_COMP_CNT: 0
	.section	.text._ZN7rocprim17ROCPRIM_400000_NS6detail17trampoline_kernelINS0_14default_configENS1_22reduce_config_selectorIlEEZNS1_11reduce_implILb1ES3_N6thrust23THRUST_200600_302600_NS11hip_rocprim26transform_input_iterator_tIlNS8_12zip_iteratorINS8_5tupleINS8_6detail15normal_iteratorINS8_10device_ptrIdEEEESH_NS8_9null_typeESI_SI_SI_SI_SI_SI_SI_EEEENS9_21zip_adj_not_predicateI22is_equal_div_10_uniqueIdEEEEEPllNS8_4plusIlEEEE10hipError_tPvRmT1_T2_T3_mT4_P12ihipStream_tbEUlT_E1_NS1_11comp_targetILNS1_3genE4ELNS1_11target_archE910ELNS1_3gpuE8ELNS1_3repE0EEENS1_30default_config_static_selectorELNS0_4arch9wavefront6targetE1EEEvSW_,"axG",@progbits,_ZN7rocprim17ROCPRIM_400000_NS6detail17trampoline_kernelINS0_14default_configENS1_22reduce_config_selectorIlEEZNS1_11reduce_implILb1ES3_N6thrust23THRUST_200600_302600_NS11hip_rocprim26transform_input_iterator_tIlNS8_12zip_iteratorINS8_5tupleINS8_6detail15normal_iteratorINS8_10device_ptrIdEEEESH_NS8_9null_typeESI_SI_SI_SI_SI_SI_SI_EEEENS9_21zip_adj_not_predicateI22is_equal_div_10_uniqueIdEEEEEPllNS8_4plusIlEEEE10hipError_tPvRmT1_T2_T3_mT4_P12ihipStream_tbEUlT_E1_NS1_11comp_targetILNS1_3genE4ELNS1_11target_archE910ELNS1_3gpuE8ELNS1_3repE0EEENS1_30default_config_static_selectorELNS0_4arch9wavefront6targetE1EEEvSW_,comdat
	.protected	_ZN7rocprim17ROCPRIM_400000_NS6detail17trampoline_kernelINS0_14default_configENS1_22reduce_config_selectorIlEEZNS1_11reduce_implILb1ES3_N6thrust23THRUST_200600_302600_NS11hip_rocprim26transform_input_iterator_tIlNS8_12zip_iteratorINS8_5tupleINS8_6detail15normal_iteratorINS8_10device_ptrIdEEEESH_NS8_9null_typeESI_SI_SI_SI_SI_SI_SI_EEEENS9_21zip_adj_not_predicateI22is_equal_div_10_uniqueIdEEEEEPllNS8_4plusIlEEEE10hipError_tPvRmT1_T2_T3_mT4_P12ihipStream_tbEUlT_E1_NS1_11comp_targetILNS1_3genE4ELNS1_11target_archE910ELNS1_3gpuE8ELNS1_3repE0EEENS1_30default_config_static_selectorELNS0_4arch9wavefront6targetE1EEEvSW_ ; -- Begin function _ZN7rocprim17ROCPRIM_400000_NS6detail17trampoline_kernelINS0_14default_configENS1_22reduce_config_selectorIlEEZNS1_11reduce_implILb1ES3_N6thrust23THRUST_200600_302600_NS11hip_rocprim26transform_input_iterator_tIlNS8_12zip_iteratorINS8_5tupleINS8_6detail15normal_iteratorINS8_10device_ptrIdEEEESH_NS8_9null_typeESI_SI_SI_SI_SI_SI_SI_EEEENS9_21zip_adj_not_predicateI22is_equal_div_10_uniqueIdEEEEEPllNS8_4plusIlEEEE10hipError_tPvRmT1_T2_T3_mT4_P12ihipStream_tbEUlT_E1_NS1_11comp_targetILNS1_3genE4ELNS1_11target_archE910ELNS1_3gpuE8ELNS1_3repE0EEENS1_30default_config_static_selectorELNS0_4arch9wavefront6targetE1EEEvSW_
	.globl	_ZN7rocprim17ROCPRIM_400000_NS6detail17trampoline_kernelINS0_14default_configENS1_22reduce_config_selectorIlEEZNS1_11reduce_implILb1ES3_N6thrust23THRUST_200600_302600_NS11hip_rocprim26transform_input_iterator_tIlNS8_12zip_iteratorINS8_5tupleINS8_6detail15normal_iteratorINS8_10device_ptrIdEEEESH_NS8_9null_typeESI_SI_SI_SI_SI_SI_SI_EEEENS9_21zip_adj_not_predicateI22is_equal_div_10_uniqueIdEEEEEPllNS8_4plusIlEEEE10hipError_tPvRmT1_T2_T3_mT4_P12ihipStream_tbEUlT_E1_NS1_11comp_targetILNS1_3genE4ELNS1_11target_archE910ELNS1_3gpuE8ELNS1_3repE0EEENS1_30default_config_static_selectorELNS0_4arch9wavefront6targetE1EEEvSW_
	.p2align	8
	.type	_ZN7rocprim17ROCPRIM_400000_NS6detail17trampoline_kernelINS0_14default_configENS1_22reduce_config_selectorIlEEZNS1_11reduce_implILb1ES3_N6thrust23THRUST_200600_302600_NS11hip_rocprim26transform_input_iterator_tIlNS8_12zip_iteratorINS8_5tupleINS8_6detail15normal_iteratorINS8_10device_ptrIdEEEESH_NS8_9null_typeESI_SI_SI_SI_SI_SI_SI_EEEENS9_21zip_adj_not_predicateI22is_equal_div_10_uniqueIdEEEEEPllNS8_4plusIlEEEE10hipError_tPvRmT1_T2_T3_mT4_P12ihipStream_tbEUlT_E1_NS1_11comp_targetILNS1_3genE4ELNS1_11target_archE910ELNS1_3gpuE8ELNS1_3repE0EEENS1_30default_config_static_selectorELNS0_4arch9wavefront6targetE1EEEvSW_,@function
_ZN7rocprim17ROCPRIM_400000_NS6detail17trampoline_kernelINS0_14default_configENS1_22reduce_config_selectorIlEEZNS1_11reduce_implILb1ES3_N6thrust23THRUST_200600_302600_NS11hip_rocprim26transform_input_iterator_tIlNS8_12zip_iteratorINS8_5tupleINS8_6detail15normal_iteratorINS8_10device_ptrIdEEEESH_NS8_9null_typeESI_SI_SI_SI_SI_SI_SI_EEEENS9_21zip_adj_not_predicateI22is_equal_div_10_uniqueIdEEEEEPllNS8_4plusIlEEEE10hipError_tPvRmT1_T2_T3_mT4_P12ihipStream_tbEUlT_E1_NS1_11comp_targetILNS1_3genE4ELNS1_11target_archE910ELNS1_3gpuE8ELNS1_3repE0EEENS1_30default_config_static_selectorELNS0_4arch9wavefront6targetE1EEEvSW_: ; @_ZN7rocprim17ROCPRIM_400000_NS6detail17trampoline_kernelINS0_14default_configENS1_22reduce_config_selectorIlEEZNS1_11reduce_implILb1ES3_N6thrust23THRUST_200600_302600_NS11hip_rocprim26transform_input_iterator_tIlNS8_12zip_iteratorINS8_5tupleINS8_6detail15normal_iteratorINS8_10device_ptrIdEEEESH_NS8_9null_typeESI_SI_SI_SI_SI_SI_SI_EEEENS9_21zip_adj_not_predicateI22is_equal_div_10_uniqueIdEEEEEPllNS8_4plusIlEEEE10hipError_tPvRmT1_T2_T3_mT4_P12ihipStream_tbEUlT_E1_NS1_11comp_targetILNS1_3genE4ELNS1_11target_archE910ELNS1_3gpuE8ELNS1_3repE0EEENS1_30default_config_static_selectorELNS0_4arch9wavefront6targetE1EEEvSW_
; %bb.0:
	.section	.rodata,"a",@progbits
	.p2align	6, 0x0
	.amdhsa_kernel _ZN7rocprim17ROCPRIM_400000_NS6detail17trampoline_kernelINS0_14default_configENS1_22reduce_config_selectorIlEEZNS1_11reduce_implILb1ES3_N6thrust23THRUST_200600_302600_NS11hip_rocprim26transform_input_iterator_tIlNS8_12zip_iteratorINS8_5tupleINS8_6detail15normal_iteratorINS8_10device_ptrIdEEEESH_NS8_9null_typeESI_SI_SI_SI_SI_SI_SI_EEEENS9_21zip_adj_not_predicateI22is_equal_div_10_uniqueIdEEEEEPllNS8_4plusIlEEEE10hipError_tPvRmT1_T2_T3_mT4_P12ihipStream_tbEUlT_E1_NS1_11comp_targetILNS1_3genE4ELNS1_11target_archE910ELNS1_3gpuE8ELNS1_3repE0EEENS1_30default_config_static_selectorELNS0_4arch9wavefront6targetE1EEEvSW_
		.amdhsa_group_segment_fixed_size 0
		.amdhsa_private_segment_fixed_size 0
		.amdhsa_kernarg_size 64
		.amdhsa_user_sgpr_count 6
		.amdhsa_user_sgpr_private_segment_buffer 1
		.amdhsa_user_sgpr_dispatch_ptr 0
		.amdhsa_user_sgpr_queue_ptr 0
		.amdhsa_user_sgpr_kernarg_segment_ptr 1
		.amdhsa_user_sgpr_dispatch_id 0
		.amdhsa_user_sgpr_flat_scratch_init 0
		.amdhsa_user_sgpr_private_segment_size 0
		.amdhsa_uses_dynamic_stack 0
		.amdhsa_system_sgpr_private_segment_wavefront_offset 0
		.amdhsa_system_sgpr_workgroup_id_x 1
		.amdhsa_system_sgpr_workgroup_id_y 0
		.amdhsa_system_sgpr_workgroup_id_z 0
		.amdhsa_system_sgpr_workgroup_info 0
		.amdhsa_system_vgpr_workitem_id 0
		.amdhsa_next_free_vgpr 1
		.amdhsa_next_free_sgpr 0
		.amdhsa_reserve_vcc 0
		.amdhsa_reserve_flat_scratch 0
		.amdhsa_float_round_mode_32 0
		.amdhsa_float_round_mode_16_64 0
		.amdhsa_float_denorm_mode_32 3
		.amdhsa_float_denorm_mode_16_64 3
		.amdhsa_dx10_clamp 1
		.amdhsa_ieee_mode 1
		.amdhsa_fp16_overflow 0
		.amdhsa_exception_fp_ieee_invalid_op 0
		.amdhsa_exception_fp_denorm_src 0
		.amdhsa_exception_fp_ieee_div_zero 0
		.amdhsa_exception_fp_ieee_overflow 0
		.amdhsa_exception_fp_ieee_underflow 0
		.amdhsa_exception_fp_ieee_inexact 0
		.amdhsa_exception_int_div_zero 0
	.end_amdhsa_kernel
	.section	.text._ZN7rocprim17ROCPRIM_400000_NS6detail17trampoline_kernelINS0_14default_configENS1_22reduce_config_selectorIlEEZNS1_11reduce_implILb1ES3_N6thrust23THRUST_200600_302600_NS11hip_rocprim26transform_input_iterator_tIlNS8_12zip_iteratorINS8_5tupleINS8_6detail15normal_iteratorINS8_10device_ptrIdEEEESH_NS8_9null_typeESI_SI_SI_SI_SI_SI_SI_EEEENS9_21zip_adj_not_predicateI22is_equal_div_10_uniqueIdEEEEEPllNS8_4plusIlEEEE10hipError_tPvRmT1_T2_T3_mT4_P12ihipStream_tbEUlT_E1_NS1_11comp_targetILNS1_3genE4ELNS1_11target_archE910ELNS1_3gpuE8ELNS1_3repE0EEENS1_30default_config_static_selectorELNS0_4arch9wavefront6targetE1EEEvSW_,"axG",@progbits,_ZN7rocprim17ROCPRIM_400000_NS6detail17trampoline_kernelINS0_14default_configENS1_22reduce_config_selectorIlEEZNS1_11reduce_implILb1ES3_N6thrust23THRUST_200600_302600_NS11hip_rocprim26transform_input_iterator_tIlNS8_12zip_iteratorINS8_5tupleINS8_6detail15normal_iteratorINS8_10device_ptrIdEEEESH_NS8_9null_typeESI_SI_SI_SI_SI_SI_SI_EEEENS9_21zip_adj_not_predicateI22is_equal_div_10_uniqueIdEEEEEPllNS8_4plusIlEEEE10hipError_tPvRmT1_T2_T3_mT4_P12ihipStream_tbEUlT_E1_NS1_11comp_targetILNS1_3genE4ELNS1_11target_archE910ELNS1_3gpuE8ELNS1_3repE0EEENS1_30default_config_static_selectorELNS0_4arch9wavefront6targetE1EEEvSW_,comdat
.Lfunc_end772:
	.size	_ZN7rocprim17ROCPRIM_400000_NS6detail17trampoline_kernelINS0_14default_configENS1_22reduce_config_selectorIlEEZNS1_11reduce_implILb1ES3_N6thrust23THRUST_200600_302600_NS11hip_rocprim26transform_input_iterator_tIlNS8_12zip_iteratorINS8_5tupleINS8_6detail15normal_iteratorINS8_10device_ptrIdEEEESH_NS8_9null_typeESI_SI_SI_SI_SI_SI_SI_EEEENS9_21zip_adj_not_predicateI22is_equal_div_10_uniqueIdEEEEEPllNS8_4plusIlEEEE10hipError_tPvRmT1_T2_T3_mT4_P12ihipStream_tbEUlT_E1_NS1_11comp_targetILNS1_3genE4ELNS1_11target_archE910ELNS1_3gpuE8ELNS1_3repE0EEENS1_30default_config_static_selectorELNS0_4arch9wavefront6targetE1EEEvSW_, .Lfunc_end772-_ZN7rocprim17ROCPRIM_400000_NS6detail17trampoline_kernelINS0_14default_configENS1_22reduce_config_selectorIlEEZNS1_11reduce_implILb1ES3_N6thrust23THRUST_200600_302600_NS11hip_rocprim26transform_input_iterator_tIlNS8_12zip_iteratorINS8_5tupleINS8_6detail15normal_iteratorINS8_10device_ptrIdEEEESH_NS8_9null_typeESI_SI_SI_SI_SI_SI_SI_EEEENS9_21zip_adj_not_predicateI22is_equal_div_10_uniqueIdEEEEEPllNS8_4plusIlEEEE10hipError_tPvRmT1_T2_T3_mT4_P12ihipStream_tbEUlT_E1_NS1_11comp_targetILNS1_3genE4ELNS1_11target_archE910ELNS1_3gpuE8ELNS1_3repE0EEENS1_30default_config_static_selectorELNS0_4arch9wavefront6targetE1EEEvSW_
                                        ; -- End function
	.set _ZN7rocprim17ROCPRIM_400000_NS6detail17trampoline_kernelINS0_14default_configENS1_22reduce_config_selectorIlEEZNS1_11reduce_implILb1ES3_N6thrust23THRUST_200600_302600_NS11hip_rocprim26transform_input_iterator_tIlNS8_12zip_iteratorINS8_5tupleINS8_6detail15normal_iteratorINS8_10device_ptrIdEEEESH_NS8_9null_typeESI_SI_SI_SI_SI_SI_SI_EEEENS9_21zip_adj_not_predicateI22is_equal_div_10_uniqueIdEEEEEPllNS8_4plusIlEEEE10hipError_tPvRmT1_T2_T3_mT4_P12ihipStream_tbEUlT_E1_NS1_11comp_targetILNS1_3genE4ELNS1_11target_archE910ELNS1_3gpuE8ELNS1_3repE0EEENS1_30default_config_static_selectorELNS0_4arch9wavefront6targetE1EEEvSW_.num_vgpr, 0
	.set _ZN7rocprim17ROCPRIM_400000_NS6detail17trampoline_kernelINS0_14default_configENS1_22reduce_config_selectorIlEEZNS1_11reduce_implILb1ES3_N6thrust23THRUST_200600_302600_NS11hip_rocprim26transform_input_iterator_tIlNS8_12zip_iteratorINS8_5tupleINS8_6detail15normal_iteratorINS8_10device_ptrIdEEEESH_NS8_9null_typeESI_SI_SI_SI_SI_SI_SI_EEEENS9_21zip_adj_not_predicateI22is_equal_div_10_uniqueIdEEEEEPllNS8_4plusIlEEEE10hipError_tPvRmT1_T2_T3_mT4_P12ihipStream_tbEUlT_E1_NS1_11comp_targetILNS1_3genE4ELNS1_11target_archE910ELNS1_3gpuE8ELNS1_3repE0EEENS1_30default_config_static_selectorELNS0_4arch9wavefront6targetE1EEEvSW_.num_agpr, 0
	.set _ZN7rocprim17ROCPRIM_400000_NS6detail17trampoline_kernelINS0_14default_configENS1_22reduce_config_selectorIlEEZNS1_11reduce_implILb1ES3_N6thrust23THRUST_200600_302600_NS11hip_rocprim26transform_input_iterator_tIlNS8_12zip_iteratorINS8_5tupleINS8_6detail15normal_iteratorINS8_10device_ptrIdEEEESH_NS8_9null_typeESI_SI_SI_SI_SI_SI_SI_EEEENS9_21zip_adj_not_predicateI22is_equal_div_10_uniqueIdEEEEEPllNS8_4plusIlEEEE10hipError_tPvRmT1_T2_T3_mT4_P12ihipStream_tbEUlT_E1_NS1_11comp_targetILNS1_3genE4ELNS1_11target_archE910ELNS1_3gpuE8ELNS1_3repE0EEENS1_30default_config_static_selectorELNS0_4arch9wavefront6targetE1EEEvSW_.numbered_sgpr, 0
	.set _ZN7rocprim17ROCPRIM_400000_NS6detail17trampoline_kernelINS0_14default_configENS1_22reduce_config_selectorIlEEZNS1_11reduce_implILb1ES3_N6thrust23THRUST_200600_302600_NS11hip_rocprim26transform_input_iterator_tIlNS8_12zip_iteratorINS8_5tupleINS8_6detail15normal_iteratorINS8_10device_ptrIdEEEESH_NS8_9null_typeESI_SI_SI_SI_SI_SI_SI_EEEENS9_21zip_adj_not_predicateI22is_equal_div_10_uniqueIdEEEEEPllNS8_4plusIlEEEE10hipError_tPvRmT1_T2_T3_mT4_P12ihipStream_tbEUlT_E1_NS1_11comp_targetILNS1_3genE4ELNS1_11target_archE910ELNS1_3gpuE8ELNS1_3repE0EEENS1_30default_config_static_selectorELNS0_4arch9wavefront6targetE1EEEvSW_.num_named_barrier, 0
	.set _ZN7rocprim17ROCPRIM_400000_NS6detail17trampoline_kernelINS0_14default_configENS1_22reduce_config_selectorIlEEZNS1_11reduce_implILb1ES3_N6thrust23THRUST_200600_302600_NS11hip_rocprim26transform_input_iterator_tIlNS8_12zip_iteratorINS8_5tupleINS8_6detail15normal_iteratorINS8_10device_ptrIdEEEESH_NS8_9null_typeESI_SI_SI_SI_SI_SI_SI_EEEENS9_21zip_adj_not_predicateI22is_equal_div_10_uniqueIdEEEEEPllNS8_4plusIlEEEE10hipError_tPvRmT1_T2_T3_mT4_P12ihipStream_tbEUlT_E1_NS1_11comp_targetILNS1_3genE4ELNS1_11target_archE910ELNS1_3gpuE8ELNS1_3repE0EEENS1_30default_config_static_selectorELNS0_4arch9wavefront6targetE1EEEvSW_.private_seg_size, 0
	.set _ZN7rocprim17ROCPRIM_400000_NS6detail17trampoline_kernelINS0_14default_configENS1_22reduce_config_selectorIlEEZNS1_11reduce_implILb1ES3_N6thrust23THRUST_200600_302600_NS11hip_rocprim26transform_input_iterator_tIlNS8_12zip_iteratorINS8_5tupleINS8_6detail15normal_iteratorINS8_10device_ptrIdEEEESH_NS8_9null_typeESI_SI_SI_SI_SI_SI_SI_EEEENS9_21zip_adj_not_predicateI22is_equal_div_10_uniqueIdEEEEEPllNS8_4plusIlEEEE10hipError_tPvRmT1_T2_T3_mT4_P12ihipStream_tbEUlT_E1_NS1_11comp_targetILNS1_3genE4ELNS1_11target_archE910ELNS1_3gpuE8ELNS1_3repE0EEENS1_30default_config_static_selectorELNS0_4arch9wavefront6targetE1EEEvSW_.uses_vcc, 0
	.set _ZN7rocprim17ROCPRIM_400000_NS6detail17trampoline_kernelINS0_14default_configENS1_22reduce_config_selectorIlEEZNS1_11reduce_implILb1ES3_N6thrust23THRUST_200600_302600_NS11hip_rocprim26transform_input_iterator_tIlNS8_12zip_iteratorINS8_5tupleINS8_6detail15normal_iteratorINS8_10device_ptrIdEEEESH_NS8_9null_typeESI_SI_SI_SI_SI_SI_SI_EEEENS9_21zip_adj_not_predicateI22is_equal_div_10_uniqueIdEEEEEPllNS8_4plusIlEEEE10hipError_tPvRmT1_T2_T3_mT4_P12ihipStream_tbEUlT_E1_NS1_11comp_targetILNS1_3genE4ELNS1_11target_archE910ELNS1_3gpuE8ELNS1_3repE0EEENS1_30default_config_static_selectorELNS0_4arch9wavefront6targetE1EEEvSW_.uses_flat_scratch, 0
	.set _ZN7rocprim17ROCPRIM_400000_NS6detail17trampoline_kernelINS0_14default_configENS1_22reduce_config_selectorIlEEZNS1_11reduce_implILb1ES3_N6thrust23THRUST_200600_302600_NS11hip_rocprim26transform_input_iterator_tIlNS8_12zip_iteratorINS8_5tupleINS8_6detail15normal_iteratorINS8_10device_ptrIdEEEESH_NS8_9null_typeESI_SI_SI_SI_SI_SI_SI_EEEENS9_21zip_adj_not_predicateI22is_equal_div_10_uniqueIdEEEEEPllNS8_4plusIlEEEE10hipError_tPvRmT1_T2_T3_mT4_P12ihipStream_tbEUlT_E1_NS1_11comp_targetILNS1_3genE4ELNS1_11target_archE910ELNS1_3gpuE8ELNS1_3repE0EEENS1_30default_config_static_selectorELNS0_4arch9wavefront6targetE1EEEvSW_.has_dyn_sized_stack, 0
	.set _ZN7rocprim17ROCPRIM_400000_NS6detail17trampoline_kernelINS0_14default_configENS1_22reduce_config_selectorIlEEZNS1_11reduce_implILb1ES3_N6thrust23THRUST_200600_302600_NS11hip_rocprim26transform_input_iterator_tIlNS8_12zip_iteratorINS8_5tupleINS8_6detail15normal_iteratorINS8_10device_ptrIdEEEESH_NS8_9null_typeESI_SI_SI_SI_SI_SI_SI_EEEENS9_21zip_adj_not_predicateI22is_equal_div_10_uniqueIdEEEEEPllNS8_4plusIlEEEE10hipError_tPvRmT1_T2_T3_mT4_P12ihipStream_tbEUlT_E1_NS1_11comp_targetILNS1_3genE4ELNS1_11target_archE910ELNS1_3gpuE8ELNS1_3repE0EEENS1_30default_config_static_selectorELNS0_4arch9wavefront6targetE1EEEvSW_.has_recursion, 0
	.set _ZN7rocprim17ROCPRIM_400000_NS6detail17trampoline_kernelINS0_14default_configENS1_22reduce_config_selectorIlEEZNS1_11reduce_implILb1ES3_N6thrust23THRUST_200600_302600_NS11hip_rocprim26transform_input_iterator_tIlNS8_12zip_iteratorINS8_5tupleINS8_6detail15normal_iteratorINS8_10device_ptrIdEEEESH_NS8_9null_typeESI_SI_SI_SI_SI_SI_SI_EEEENS9_21zip_adj_not_predicateI22is_equal_div_10_uniqueIdEEEEEPllNS8_4plusIlEEEE10hipError_tPvRmT1_T2_T3_mT4_P12ihipStream_tbEUlT_E1_NS1_11comp_targetILNS1_3genE4ELNS1_11target_archE910ELNS1_3gpuE8ELNS1_3repE0EEENS1_30default_config_static_selectorELNS0_4arch9wavefront6targetE1EEEvSW_.has_indirect_call, 0
	.section	.AMDGPU.csdata,"",@progbits
; Kernel info:
; codeLenInByte = 0
; TotalNumSgprs: 4
; NumVgprs: 0
; ScratchSize: 0
; MemoryBound: 0
; FloatMode: 240
; IeeeMode: 1
; LDSByteSize: 0 bytes/workgroup (compile time only)
; SGPRBlocks: 0
; VGPRBlocks: 0
; NumSGPRsForWavesPerEU: 4
; NumVGPRsForWavesPerEU: 1
; Occupancy: 10
; WaveLimiterHint : 0
; COMPUTE_PGM_RSRC2:SCRATCH_EN: 0
; COMPUTE_PGM_RSRC2:USER_SGPR: 6
; COMPUTE_PGM_RSRC2:TRAP_HANDLER: 0
; COMPUTE_PGM_RSRC2:TGID_X_EN: 1
; COMPUTE_PGM_RSRC2:TGID_Y_EN: 0
; COMPUTE_PGM_RSRC2:TGID_Z_EN: 0
; COMPUTE_PGM_RSRC2:TIDIG_COMP_CNT: 0
	.section	.text._ZN7rocprim17ROCPRIM_400000_NS6detail17trampoline_kernelINS0_14default_configENS1_22reduce_config_selectorIlEEZNS1_11reduce_implILb1ES3_N6thrust23THRUST_200600_302600_NS11hip_rocprim26transform_input_iterator_tIlNS8_12zip_iteratorINS8_5tupleINS8_6detail15normal_iteratorINS8_10device_ptrIdEEEESH_NS8_9null_typeESI_SI_SI_SI_SI_SI_SI_EEEENS9_21zip_adj_not_predicateI22is_equal_div_10_uniqueIdEEEEEPllNS8_4plusIlEEEE10hipError_tPvRmT1_T2_T3_mT4_P12ihipStream_tbEUlT_E1_NS1_11comp_targetILNS1_3genE3ELNS1_11target_archE908ELNS1_3gpuE7ELNS1_3repE0EEENS1_30default_config_static_selectorELNS0_4arch9wavefront6targetE1EEEvSW_,"axG",@progbits,_ZN7rocprim17ROCPRIM_400000_NS6detail17trampoline_kernelINS0_14default_configENS1_22reduce_config_selectorIlEEZNS1_11reduce_implILb1ES3_N6thrust23THRUST_200600_302600_NS11hip_rocprim26transform_input_iterator_tIlNS8_12zip_iteratorINS8_5tupleINS8_6detail15normal_iteratorINS8_10device_ptrIdEEEESH_NS8_9null_typeESI_SI_SI_SI_SI_SI_SI_EEEENS9_21zip_adj_not_predicateI22is_equal_div_10_uniqueIdEEEEEPllNS8_4plusIlEEEE10hipError_tPvRmT1_T2_T3_mT4_P12ihipStream_tbEUlT_E1_NS1_11comp_targetILNS1_3genE3ELNS1_11target_archE908ELNS1_3gpuE7ELNS1_3repE0EEENS1_30default_config_static_selectorELNS0_4arch9wavefront6targetE1EEEvSW_,comdat
	.protected	_ZN7rocprim17ROCPRIM_400000_NS6detail17trampoline_kernelINS0_14default_configENS1_22reduce_config_selectorIlEEZNS1_11reduce_implILb1ES3_N6thrust23THRUST_200600_302600_NS11hip_rocprim26transform_input_iterator_tIlNS8_12zip_iteratorINS8_5tupleINS8_6detail15normal_iteratorINS8_10device_ptrIdEEEESH_NS8_9null_typeESI_SI_SI_SI_SI_SI_SI_EEEENS9_21zip_adj_not_predicateI22is_equal_div_10_uniqueIdEEEEEPllNS8_4plusIlEEEE10hipError_tPvRmT1_T2_T3_mT4_P12ihipStream_tbEUlT_E1_NS1_11comp_targetILNS1_3genE3ELNS1_11target_archE908ELNS1_3gpuE7ELNS1_3repE0EEENS1_30default_config_static_selectorELNS0_4arch9wavefront6targetE1EEEvSW_ ; -- Begin function _ZN7rocprim17ROCPRIM_400000_NS6detail17trampoline_kernelINS0_14default_configENS1_22reduce_config_selectorIlEEZNS1_11reduce_implILb1ES3_N6thrust23THRUST_200600_302600_NS11hip_rocprim26transform_input_iterator_tIlNS8_12zip_iteratorINS8_5tupleINS8_6detail15normal_iteratorINS8_10device_ptrIdEEEESH_NS8_9null_typeESI_SI_SI_SI_SI_SI_SI_EEEENS9_21zip_adj_not_predicateI22is_equal_div_10_uniqueIdEEEEEPllNS8_4plusIlEEEE10hipError_tPvRmT1_T2_T3_mT4_P12ihipStream_tbEUlT_E1_NS1_11comp_targetILNS1_3genE3ELNS1_11target_archE908ELNS1_3gpuE7ELNS1_3repE0EEENS1_30default_config_static_selectorELNS0_4arch9wavefront6targetE1EEEvSW_
	.globl	_ZN7rocprim17ROCPRIM_400000_NS6detail17trampoline_kernelINS0_14default_configENS1_22reduce_config_selectorIlEEZNS1_11reduce_implILb1ES3_N6thrust23THRUST_200600_302600_NS11hip_rocprim26transform_input_iterator_tIlNS8_12zip_iteratorINS8_5tupleINS8_6detail15normal_iteratorINS8_10device_ptrIdEEEESH_NS8_9null_typeESI_SI_SI_SI_SI_SI_SI_EEEENS9_21zip_adj_not_predicateI22is_equal_div_10_uniqueIdEEEEEPllNS8_4plusIlEEEE10hipError_tPvRmT1_T2_T3_mT4_P12ihipStream_tbEUlT_E1_NS1_11comp_targetILNS1_3genE3ELNS1_11target_archE908ELNS1_3gpuE7ELNS1_3repE0EEENS1_30default_config_static_selectorELNS0_4arch9wavefront6targetE1EEEvSW_
	.p2align	8
	.type	_ZN7rocprim17ROCPRIM_400000_NS6detail17trampoline_kernelINS0_14default_configENS1_22reduce_config_selectorIlEEZNS1_11reduce_implILb1ES3_N6thrust23THRUST_200600_302600_NS11hip_rocprim26transform_input_iterator_tIlNS8_12zip_iteratorINS8_5tupleINS8_6detail15normal_iteratorINS8_10device_ptrIdEEEESH_NS8_9null_typeESI_SI_SI_SI_SI_SI_SI_EEEENS9_21zip_adj_not_predicateI22is_equal_div_10_uniqueIdEEEEEPllNS8_4plusIlEEEE10hipError_tPvRmT1_T2_T3_mT4_P12ihipStream_tbEUlT_E1_NS1_11comp_targetILNS1_3genE3ELNS1_11target_archE908ELNS1_3gpuE7ELNS1_3repE0EEENS1_30default_config_static_selectorELNS0_4arch9wavefront6targetE1EEEvSW_,@function
_ZN7rocprim17ROCPRIM_400000_NS6detail17trampoline_kernelINS0_14default_configENS1_22reduce_config_selectorIlEEZNS1_11reduce_implILb1ES3_N6thrust23THRUST_200600_302600_NS11hip_rocprim26transform_input_iterator_tIlNS8_12zip_iteratorINS8_5tupleINS8_6detail15normal_iteratorINS8_10device_ptrIdEEEESH_NS8_9null_typeESI_SI_SI_SI_SI_SI_SI_EEEENS9_21zip_adj_not_predicateI22is_equal_div_10_uniqueIdEEEEEPllNS8_4plusIlEEEE10hipError_tPvRmT1_T2_T3_mT4_P12ihipStream_tbEUlT_E1_NS1_11comp_targetILNS1_3genE3ELNS1_11target_archE908ELNS1_3gpuE7ELNS1_3repE0EEENS1_30default_config_static_selectorELNS0_4arch9wavefront6targetE1EEEvSW_: ; @_ZN7rocprim17ROCPRIM_400000_NS6detail17trampoline_kernelINS0_14default_configENS1_22reduce_config_selectorIlEEZNS1_11reduce_implILb1ES3_N6thrust23THRUST_200600_302600_NS11hip_rocprim26transform_input_iterator_tIlNS8_12zip_iteratorINS8_5tupleINS8_6detail15normal_iteratorINS8_10device_ptrIdEEEESH_NS8_9null_typeESI_SI_SI_SI_SI_SI_SI_EEEENS9_21zip_adj_not_predicateI22is_equal_div_10_uniqueIdEEEEEPllNS8_4plusIlEEEE10hipError_tPvRmT1_T2_T3_mT4_P12ihipStream_tbEUlT_E1_NS1_11comp_targetILNS1_3genE3ELNS1_11target_archE908ELNS1_3gpuE7ELNS1_3repE0EEENS1_30default_config_static_selectorELNS0_4arch9wavefront6targetE1EEEvSW_
; %bb.0:
	.section	.rodata,"a",@progbits
	.p2align	6, 0x0
	.amdhsa_kernel _ZN7rocprim17ROCPRIM_400000_NS6detail17trampoline_kernelINS0_14default_configENS1_22reduce_config_selectorIlEEZNS1_11reduce_implILb1ES3_N6thrust23THRUST_200600_302600_NS11hip_rocprim26transform_input_iterator_tIlNS8_12zip_iteratorINS8_5tupleINS8_6detail15normal_iteratorINS8_10device_ptrIdEEEESH_NS8_9null_typeESI_SI_SI_SI_SI_SI_SI_EEEENS9_21zip_adj_not_predicateI22is_equal_div_10_uniqueIdEEEEEPllNS8_4plusIlEEEE10hipError_tPvRmT1_T2_T3_mT4_P12ihipStream_tbEUlT_E1_NS1_11comp_targetILNS1_3genE3ELNS1_11target_archE908ELNS1_3gpuE7ELNS1_3repE0EEENS1_30default_config_static_selectorELNS0_4arch9wavefront6targetE1EEEvSW_
		.amdhsa_group_segment_fixed_size 0
		.amdhsa_private_segment_fixed_size 0
		.amdhsa_kernarg_size 64
		.amdhsa_user_sgpr_count 6
		.amdhsa_user_sgpr_private_segment_buffer 1
		.amdhsa_user_sgpr_dispatch_ptr 0
		.amdhsa_user_sgpr_queue_ptr 0
		.amdhsa_user_sgpr_kernarg_segment_ptr 1
		.amdhsa_user_sgpr_dispatch_id 0
		.amdhsa_user_sgpr_flat_scratch_init 0
		.amdhsa_user_sgpr_private_segment_size 0
		.amdhsa_uses_dynamic_stack 0
		.amdhsa_system_sgpr_private_segment_wavefront_offset 0
		.amdhsa_system_sgpr_workgroup_id_x 1
		.amdhsa_system_sgpr_workgroup_id_y 0
		.amdhsa_system_sgpr_workgroup_id_z 0
		.amdhsa_system_sgpr_workgroup_info 0
		.amdhsa_system_vgpr_workitem_id 0
		.amdhsa_next_free_vgpr 1
		.amdhsa_next_free_sgpr 0
		.amdhsa_reserve_vcc 0
		.amdhsa_reserve_flat_scratch 0
		.amdhsa_float_round_mode_32 0
		.amdhsa_float_round_mode_16_64 0
		.amdhsa_float_denorm_mode_32 3
		.amdhsa_float_denorm_mode_16_64 3
		.amdhsa_dx10_clamp 1
		.amdhsa_ieee_mode 1
		.amdhsa_fp16_overflow 0
		.amdhsa_exception_fp_ieee_invalid_op 0
		.amdhsa_exception_fp_denorm_src 0
		.amdhsa_exception_fp_ieee_div_zero 0
		.amdhsa_exception_fp_ieee_overflow 0
		.amdhsa_exception_fp_ieee_underflow 0
		.amdhsa_exception_fp_ieee_inexact 0
		.amdhsa_exception_int_div_zero 0
	.end_amdhsa_kernel
	.section	.text._ZN7rocprim17ROCPRIM_400000_NS6detail17trampoline_kernelINS0_14default_configENS1_22reduce_config_selectorIlEEZNS1_11reduce_implILb1ES3_N6thrust23THRUST_200600_302600_NS11hip_rocprim26transform_input_iterator_tIlNS8_12zip_iteratorINS8_5tupleINS8_6detail15normal_iteratorINS8_10device_ptrIdEEEESH_NS8_9null_typeESI_SI_SI_SI_SI_SI_SI_EEEENS9_21zip_adj_not_predicateI22is_equal_div_10_uniqueIdEEEEEPllNS8_4plusIlEEEE10hipError_tPvRmT1_T2_T3_mT4_P12ihipStream_tbEUlT_E1_NS1_11comp_targetILNS1_3genE3ELNS1_11target_archE908ELNS1_3gpuE7ELNS1_3repE0EEENS1_30default_config_static_selectorELNS0_4arch9wavefront6targetE1EEEvSW_,"axG",@progbits,_ZN7rocprim17ROCPRIM_400000_NS6detail17trampoline_kernelINS0_14default_configENS1_22reduce_config_selectorIlEEZNS1_11reduce_implILb1ES3_N6thrust23THRUST_200600_302600_NS11hip_rocprim26transform_input_iterator_tIlNS8_12zip_iteratorINS8_5tupleINS8_6detail15normal_iteratorINS8_10device_ptrIdEEEESH_NS8_9null_typeESI_SI_SI_SI_SI_SI_SI_EEEENS9_21zip_adj_not_predicateI22is_equal_div_10_uniqueIdEEEEEPllNS8_4plusIlEEEE10hipError_tPvRmT1_T2_T3_mT4_P12ihipStream_tbEUlT_E1_NS1_11comp_targetILNS1_3genE3ELNS1_11target_archE908ELNS1_3gpuE7ELNS1_3repE0EEENS1_30default_config_static_selectorELNS0_4arch9wavefront6targetE1EEEvSW_,comdat
.Lfunc_end773:
	.size	_ZN7rocprim17ROCPRIM_400000_NS6detail17trampoline_kernelINS0_14default_configENS1_22reduce_config_selectorIlEEZNS1_11reduce_implILb1ES3_N6thrust23THRUST_200600_302600_NS11hip_rocprim26transform_input_iterator_tIlNS8_12zip_iteratorINS8_5tupleINS8_6detail15normal_iteratorINS8_10device_ptrIdEEEESH_NS8_9null_typeESI_SI_SI_SI_SI_SI_SI_EEEENS9_21zip_adj_not_predicateI22is_equal_div_10_uniqueIdEEEEEPllNS8_4plusIlEEEE10hipError_tPvRmT1_T2_T3_mT4_P12ihipStream_tbEUlT_E1_NS1_11comp_targetILNS1_3genE3ELNS1_11target_archE908ELNS1_3gpuE7ELNS1_3repE0EEENS1_30default_config_static_selectorELNS0_4arch9wavefront6targetE1EEEvSW_, .Lfunc_end773-_ZN7rocprim17ROCPRIM_400000_NS6detail17trampoline_kernelINS0_14default_configENS1_22reduce_config_selectorIlEEZNS1_11reduce_implILb1ES3_N6thrust23THRUST_200600_302600_NS11hip_rocprim26transform_input_iterator_tIlNS8_12zip_iteratorINS8_5tupleINS8_6detail15normal_iteratorINS8_10device_ptrIdEEEESH_NS8_9null_typeESI_SI_SI_SI_SI_SI_SI_EEEENS9_21zip_adj_not_predicateI22is_equal_div_10_uniqueIdEEEEEPllNS8_4plusIlEEEE10hipError_tPvRmT1_T2_T3_mT4_P12ihipStream_tbEUlT_E1_NS1_11comp_targetILNS1_3genE3ELNS1_11target_archE908ELNS1_3gpuE7ELNS1_3repE0EEENS1_30default_config_static_selectorELNS0_4arch9wavefront6targetE1EEEvSW_
                                        ; -- End function
	.set _ZN7rocprim17ROCPRIM_400000_NS6detail17trampoline_kernelINS0_14default_configENS1_22reduce_config_selectorIlEEZNS1_11reduce_implILb1ES3_N6thrust23THRUST_200600_302600_NS11hip_rocprim26transform_input_iterator_tIlNS8_12zip_iteratorINS8_5tupleINS8_6detail15normal_iteratorINS8_10device_ptrIdEEEESH_NS8_9null_typeESI_SI_SI_SI_SI_SI_SI_EEEENS9_21zip_adj_not_predicateI22is_equal_div_10_uniqueIdEEEEEPllNS8_4plusIlEEEE10hipError_tPvRmT1_T2_T3_mT4_P12ihipStream_tbEUlT_E1_NS1_11comp_targetILNS1_3genE3ELNS1_11target_archE908ELNS1_3gpuE7ELNS1_3repE0EEENS1_30default_config_static_selectorELNS0_4arch9wavefront6targetE1EEEvSW_.num_vgpr, 0
	.set _ZN7rocprim17ROCPRIM_400000_NS6detail17trampoline_kernelINS0_14default_configENS1_22reduce_config_selectorIlEEZNS1_11reduce_implILb1ES3_N6thrust23THRUST_200600_302600_NS11hip_rocprim26transform_input_iterator_tIlNS8_12zip_iteratorINS8_5tupleINS8_6detail15normal_iteratorINS8_10device_ptrIdEEEESH_NS8_9null_typeESI_SI_SI_SI_SI_SI_SI_EEEENS9_21zip_adj_not_predicateI22is_equal_div_10_uniqueIdEEEEEPllNS8_4plusIlEEEE10hipError_tPvRmT1_T2_T3_mT4_P12ihipStream_tbEUlT_E1_NS1_11comp_targetILNS1_3genE3ELNS1_11target_archE908ELNS1_3gpuE7ELNS1_3repE0EEENS1_30default_config_static_selectorELNS0_4arch9wavefront6targetE1EEEvSW_.num_agpr, 0
	.set _ZN7rocprim17ROCPRIM_400000_NS6detail17trampoline_kernelINS0_14default_configENS1_22reduce_config_selectorIlEEZNS1_11reduce_implILb1ES3_N6thrust23THRUST_200600_302600_NS11hip_rocprim26transform_input_iterator_tIlNS8_12zip_iteratorINS8_5tupleINS8_6detail15normal_iteratorINS8_10device_ptrIdEEEESH_NS8_9null_typeESI_SI_SI_SI_SI_SI_SI_EEEENS9_21zip_adj_not_predicateI22is_equal_div_10_uniqueIdEEEEEPllNS8_4plusIlEEEE10hipError_tPvRmT1_T2_T3_mT4_P12ihipStream_tbEUlT_E1_NS1_11comp_targetILNS1_3genE3ELNS1_11target_archE908ELNS1_3gpuE7ELNS1_3repE0EEENS1_30default_config_static_selectorELNS0_4arch9wavefront6targetE1EEEvSW_.numbered_sgpr, 0
	.set _ZN7rocprim17ROCPRIM_400000_NS6detail17trampoline_kernelINS0_14default_configENS1_22reduce_config_selectorIlEEZNS1_11reduce_implILb1ES3_N6thrust23THRUST_200600_302600_NS11hip_rocprim26transform_input_iterator_tIlNS8_12zip_iteratorINS8_5tupleINS8_6detail15normal_iteratorINS8_10device_ptrIdEEEESH_NS8_9null_typeESI_SI_SI_SI_SI_SI_SI_EEEENS9_21zip_adj_not_predicateI22is_equal_div_10_uniqueIdEEEEEPllNS8_4plusIlEEEE10hipError_tPvRmT1_T2_T3_mT4_P12ihipStream_tbEUlT_E1_NS1_11comp_targetILNS1_3genE3ELNS1_11target_archE908ELNS1_3gpuE7ELNS1_3repE0EEENS1_30default_config_static_selectorELNS0_4arch9wavefront6targetE1EEEvSW_.num_named_barrier, 0
	.set _ZN7rocprim17ROCPRIM_400000_NS6detail17trampoline_kernelINS0_14default_configENS1_22reduce_config_selectorIlEEZNS1_11reduce_implILb1ES3_N6thrust23THRUST_200600_302600_NS11hip_rocprim26transform_input_iterator_tIlNS8_12zip_iteratorINS8_5tupleINS8_6detail15normal_iteratorINS8_10device_ptrIdEEEESH_NS8_9null_typeESI_SI_SI_SI_SI_SI_SI_EEEENS9_21zip_adj_not_predicateI22is_equal_div_10_uniqueIdEEEEEPllNS8_4plusIlEEEE10hipError_tPvRmT1_T2_T3_mT4_P12ihipStream_tbEUlT_E1_NS1_11comp_targetILNS1_3genE3ELNS1_11target_archE908ELNS1_3gpuE7ELNS1_3repE0EEENS1_30default_config_static_selectorELNS0_4arch9wavefront6targetE1EEEvSW_.private_seg_size, 0
	.set _ZN7rocprim17ROCPRIM_400000_NS6detail17trampoline_kernelINS0_14default_configENS1_22reduce_config_selectorIlEEZNS1_11reduce_implILb1ES3_N6thrust23THRUST_200600_302600_NS11hip_rocprim26transform_input_iterator_tIlNS8_12zip_iteratorINS8_5tupleINS8_6detail15normal_iteratorINS8_10device_ptrIdEEEESH_NS8_9null_typeESI_SI_SI_SI_SI_SI_SI_EEEENS9_21zip_adj_not_predicateI22is_equal_div_10_uniqueIdEEEEEPllNS8_4plusIlEEEE10hipError_tPvRmT1_T2_T3_mT4_P12ihipStream_tbEUlT_E1_NS1_11comp_targetILNS1_3genE3ELNS1_11target_archE908ELNS1_3gpuE7ELNS1_3repE0EEENS1_30default_config_static_selectorELNS0_4arch9wavefront6targetE1EEEvSW_.uses_vcc, 0
	.set _ZN7rocprim17ROCPRIM_400000_NS6detail17trampoline_kernelINS0_14default_configENS1_22reduce_config_selectorIlEEZNS1_11reduce_implILb1ES3_N6thrust23THRUST_200600_302600_NS11hip_rocprim26transform_input_iterator_tIlNS8_12zip_iteratorINS8_5tupleINS8_6detail15normal_iteratorINS8_10device_ptrIdEEEESH_NS8_9null_typeESI_SI_SI_SI_SI_SI_SI_EEEENS9_21zip_adj_not_predicateI22is_equal_div_10_uniqueIdEEEEEPllNS8_4plusIlEEEE10hipError_tPvRmT1_T2_T3_mT4_P12ihipStream_tbEUlT_E1_NS1_11comp_targetILNS1_3genE3ELNS1_11target_archE908ELNS1_3gpuE7ELNS1_3repE0EEENS1_30default_config_static_selectorELNS0_4arch9wavefront6targetE1EEEvSW_.uses_flat_scratch, 0
	.set _ZN7rocprim17ROCPRIM_400000_NS6detail17trampoline_kernelINS0_14default_configENS1_22reduce_config_selectorIlEEZNS1_11reduce_implILb1ES3_N6thrust23THRUST_200600_302600_NS11hip_rocprim26transform_input_iterator_tIlNS8_12zip_iteratorINS8_5tupleINS8_6detail15normal_iteratorINS8_10device_ptrIdEEEESH_NS8_9null_typeESI_SI_SI_SI_SI_SI_SI_EEEENS9_21zip_adj_not_predicateI22is_equal_div_10_uniqueIdEEEEEPllNS8_4plusIlEEEE10hipError_tPvRmT1_T2_T3_mT4_P12ihipStream_tbEUlT_E1_NS1_11comp_targetILNS1_3genE3ELNS1_11target_archE908ELNS1_3gpuE7ELNS1_3repE0EEENS1_30default_config_static_selectorELNS0_4arch9wavefront6targetE1EEEvSW_.has_dyn_sized_stack, 0
	.set _ZN7rocprim17ROCPRIM_400000_NS6detail17trampoline_kernelINS0_14default_configENS1_22reduce_config_selectorIlEEZNS1_11reduce_implILb1ES3_N6thrust23THRUST_200600_302600_NS11hip_rocprim26transform_input_iterator_tIlNS8_12zip_iteratorINS8_5tupleINS8_6detail15normal_iteratorINS8_10device_ptrIdEEEESH_NS8_9null_typeESI_SI_SI_SI_SI_SI_SI_EEEENS9_21zip_adj_not_predicateI22is_equal_div_10_uniqueIdEEEEEPllNS8_4plusIlEEEE10hipError_tPvRmT1_T2_T3_mT4_P12ihipStream_tbEUlT_E1_NS1_11comp_targetILNS1_3genE3ELNS1_11target_archE908ELNS1_3gpuE7ELNS1_3repE0EEENS1_30default_config_static_selectorELNS0_4arch9wavefront6targetE1EEEvSW_.has_recursion, 0
	.set _ZN7rocprim17ROCPRIM_400000_NS6detail17trampoline_kernelINS0_14default_configENS1_22reduce_config_selectorIlEEZNS1_11reduce_implILb1ES3_N6thrust23THRUST_200600_302600_NS11hip_rocprim26transform_input_iterator_tIlNS8_12zip_iteratorINS8_5tupleINS8_6detail15normal_iteratorINS8_10device_ptrIdEEEESH_NS8_9null_typeESI_SI_SI_SI_SI_SI_SI_EEEENS9_21zip_adj_not_predicateI22is_equal_div_10_uniqueIdEEEEEPllNS8_4plusIlEEEE10hipError_tPvRmT1_T2_T3_mT4_P12ihipStream_tbEUlT_E1_NS1_11comp_targetILNS1_3genE3ELNS1_11target_archE908ELNS1_3gpuE7ELNS1_3repE0EEENS1_30default_config_static_selectorELNS0_4arch9wavefront6targetE1EEEvSW_.has_indirect_call, 0
	.section	.AMDGPU.csdata,"",@progbits
; Kernel info:
; codeLenInByte = 0
; TotalNumSgprs: 4
; NumVgprs: 0
; ScratchSize: 0
; MemoryBound: 0
; FloatMode: 240
; IeeeMode: 1
; LDSByteSize: 0 bytes/workgroup (compile time only)
; SGPRBlocks: 0
; VGPRBlocks: 0
; NumSGPRsForWavesPerEU: 4
; NumVGPRsForWavesPerEU: 1
; Occupancy: 10
; WaveLimiterHint : 0
; COMPUTE_PGM_RSRC2:SCRATCH_EN: 0
; COMPUTE_PGM_RSRC2:USER_SGPR: 6
; COMPUTE_PGM_RSRC2:TRAP_HANDLER: 0
; COMPUTE_PGM_RSRC2:TGID_X_EN: 1
; COMPUTE_PGM_RSRC2:TGID_Y_EN: 0
; COMPUTE_PGM_RSRC2:TGID_Z_EN: 0
; COMPUTE_PGM_RSRC2:TIDIG_COMP_CNT: 0
	.section	.text._ZN7rocprim17ROCPRIM_400000_NS6detail17trampoline_kernelINS0_14default_configENS1_22reduce_config_selectorIlEEZNS1_11reduce_implILb1ES3_N6thrust23THRUST_200600_302600_NS11hip_rocprim26transform_input_iterator_tIlNS8_12zip_iteratorINS8_5tupleINS8_6detail15normal_iteratorINS8_10device_ptrIdEEEESH_NS8_9null_typeESI_SI_SI_SI_SI_SI_SI_EEEENS9_21zip_adj_not_predicateI22is_equal_div_10_uniqueIdEEEEEPllNS8_4plusIlEEEE10hipError_tPvRmT1_T2_T3_mT4_P12ihipStream_tbEUlT_E1_NS1_11comp_targetILNS1_3genE2ELNS1_11target_archE906ELNS1_3gpuE6ELNS1_3repE0EEENS1_30default_config_static_selectorELNS0_4arch9wavefront6targetE1EEEvSW_,"axG",@progbits,_ZN7rocprim17ROCPRIM_400000_NS6detail17trampoline_kernelINS0_14default_configENS1_22reduce_config_selectorIlEEZNS1_11reduce_implILb1ES3_N6thrust23THRUST_200600_302600_NS11hip_rocprim26transform_input_iterator_tIlNS8_12zip_iteratorINS8_5tupleINS8_6detail15normal_iteratorINS8_10device_ptrIdEEEESH_NS8_9null_typeESI_SI_SI_SI_SI_SI_SI_EEEENS9_21zip_adj_not_predicateI22is_equal_div_10_uniqueIdEEEEEPllNS8_4plusIlEEEE10hipError_tPvRmT1_T2_T3_mT4_P12ihipStream_tbEUlT_E1_NS1_11comp_targetILNS1_3genE2ELNS1_11target_archE906ELNS1_3gpuE6ELNS1_3repE0EEENS1_30default_config_static_selectorELNS0_4arch9wavefront6targetE1EEEvSW_,comdat
	.protected	_ZN7rocprim17ROCPRIM_400000_NS6detail17trampoline_kernelINS0_14default_configENS1_22reduce_config_selectorIlEEZNS1_11reduce_implILb1ES3_N6thrust23THRUST_200600_302600_NS11hip_rocprim26transform_input_iterator_tIlNS8_12zip_iteratorINS8_5tupleINS8_6detail15normal_iteratorINS8_10device_ptrIdEEEESH_NS8_9null_typeESI_SI_SI_SI_SI_SI_SI_EEEENS9_21zip_adj_not_predicateI22is_equal_div_10_uniqueIdEEEEEPllNS8_4plusIlEEEE10hipError_tPvRmT1_T2_T3_mT4_P12ihipStream_tbEUlT_E1_NS1_11comp_targetILNS1_3genE2ELNS1_11target_archE906ELNS1_3gpuE6ELNS1_3repE0EEENS1_30default_config_static_selectorELNS0_4arch9wavefront6targetE1EEEvSW_ ; -- Begin function _ZN7rocprim17ROCPRIM_400000_NS6detail17trampoline_kernelINS0_14default_configENS1_22reduce_config_selectorIlEEZNS1_11reduce_implILb1ES3_N6thrust23THRUST_200600_302600_NS11hip_rocprim26transform_input_iterator_tIlNS8_12zip_iteratorINS8_5tupleINS8_6detail15normal_iteratorINS8_10device_ptrIdEEEESH_NS8_9null_typeESI_SI_SI_SI_SI_SI_SI_EEEENS9_21zip_adj_not_predicateI22is_equal_div_10_uniqueIdEEEEEPllNS8_4plusIlEEEE10hipError_tPvRmT1_T2_T3_mT4_P12ihipStream_tbEUlT_E1_NS1_11comp_targetILNS1_3genE2ELNS1_11target_archE906ELNS1_3gpuE6ELNS1_3repE0EEENS1_30default_config_static_selectorELNS0_4arch9wavefront6targetE1EEEvSW_
	.globl	_ZN7rocprim17ROCPRIM_400000_NS6detail17trampoline_kernelINS0_14default_configENS1_22reduce_config_selectorIlEEZNS1_11reduce_implILb1ES3_N6thrust23THRUST_200600_302600_NS11hip_rocprim26transform_input_iterator_tIlNS8_12zip_iteratorINS8_5tupleINS8_6detail15normal_iteratorINS8_10device_ptrIdEEEESH_NS8_9null_typeESI_SI_SI_SI_SI_SI_SI_EEEENS9_21zip_adj_not_predicateI22is_equal_div_10_uniqueIdEEEEEPllNS8_4plusIlEEEE10hipError_tPvRmT1_T2_T3_mT4_P12ihipStream_tbEUlT_E1_NS1_11comp_targetILNS1_3genE2ELNS1_11target_archE906ELNS1_3gpuE6ELNS1_3repE0EEENS1_30default_config_static_selectorELNS0_4arch9wavefront6targetE1EEEvSW_
	.p2align	8
	.type	_ZN7rocprim17ROCPRIM_400000_NS6detail17trampoline_kernelINS0_14default_configENS1_22reduce_config_selectorIlEEZNS1_11reduce_implILb1ES3_N6thrust23THRUST_200600_302600_NS11hip_rocprim26transform_input_iterator_tIlNS8_12zip_iteratorINS8_5tupleINS8_6detail15normal_iteratorINS8_10device_ptrIdEEEESH_NS8_9null_typeESI_SI_SI_SI_SI_SI_SI_EEEENS9_21zip_adj_not_predicateI22is_equal_div_10_uniqueIdEEEEEPllNS8_4plusIlEEEE10hipError_tPvRmT1_T2_T3_mT4_P12ihipStream_tbEUlT_E1_NS1_11comp_targetILNS1_3genE2ELNS1_11target_archE906ELNS1_3gpuE6ELNS1_3repE0EEENS1_30default_config_static_selectorELNS0_4arch9wavefront6targetE1EEEvSW_,@function
_ZN7rocprim17ROCPRIM_400000_NS6detail17trampoline_kernelINS0_14default_configENS1_22reduce_config_selectorIlEEZNS1_11reduce_implILb1ES3_N6thrust23THRUST_200600_302600_NS11hip_rocprim26transform_input_iterator_tIlNS8_12zip_iteratorINS8_5tupleINS8_6detail15normal_iteratorINS8_10device_ptrIdEEEESH_NS8_9null_typeESI_SI_SI_SI_SI_SI_SI_EEEENS9_21zip_adj_not_predicateI22is_equal_div_10_uniqueIdEEEEEPllNS8_4plusIlEEEE10hipError_tPvRmT1_T2_T3_mT4_P12ihipStream_tbEUlT_E1_NS1_11comp_targetILNS1_3genE2ELNS1_11target_archE906ELNS1_3gpuE6ELNS1_3repE0EEENS1_30default_config_static_selectorELNS0_4arch9wavefront6targetE1EEEvSW_: ; @_ZN7rocprim17ROCPRIM_400000_NS6detail17trampoline_kernelINS0_14default_configENS1_22reduce_config_selectorIlEEZNS1_11reduce_implILb1ES3_N6thrust23THRUST_200600_302600_NS11hip_rocprim26transform_input_iterator_tIlNS8_12zip_iteratorINS8_5tupleINS8_6detail15normal_iteratorINS8_10device_ptrIdEEEESH_NS8_9null_typeESI_SI_SI_SI_SI_SI_SI_EEEENS9_21zip_adj_not_predicateI22is_equal_div_10_uniqueIdEEEEEPllNS8_4plusIlEEEE10hipError_tPvRmT1_T2_T3_mT4_P12ihipStream_tbEUlT_E1_NS1_11comp_targetILNS1_3genE2ELNS1_11target_archE906ELNS1_3gpuE6ELNS1_3repE0EEENS1_30default_config_static_selectorELNS0_4arch9wavefront6targetE1EEEvSW_
; %bb.0:
	s_load_dword s33, s[4:5], 0x4
	s_load_dwordx4 s[24:27], s[4:5], 0x8
	s_load_dwordx4 s[20:23], s[4:5], 0x20
	s_waitcnt lgkmcnt(0)
	s_cmp_lt_i32 s33, 4
	s_cbranch_scc1 .LBB774_10
; %bb.1:
	s_cmp_gt_i32 s33, 7
	s_cbranch_scc0 .LBB774_11
; %bb.2:
	s_cmp_gt_i32 s33, 15
	s_cbranch_scc0 .LBB774_12
; %bb.3:
	s_mov_b64 s[16:17], 0
	s_cmp_eq_u32 s33, 16
	s_mov_b64 s[0:1], 0
                                        ; implicit-def: $vgpr1_vgpr2
                                        ; implicit-def: $vgpr3_vgpr4
	s_cbranch_scc0 .LBB774_13
; %bb.4:
	s_mov_b32 s7, 0
	s_lshl_b32 s30, s6, 12
	s_mov_b32 s31, s7
	s_lshr_b64 s[0:1], s[20:21], 12
	s_lshl_b64 s[2:3], s[30:31], 3
	s_add_u32 s18, s24, s2
	s_addc_u32 s19, s25, s3
	s_add_u32 s28, s26, s2
	s_addc_u32 s29, s27, s3
	s_cmp_lg_u64 s[0:1], s[6:7]
	s_cbranch_scc0 .LBB774_21
; %bb.5:
	v_lshlrev_b32_e32 v9, 3, v0
	global_load_dwordx2 v[1:2], v9, s[18:19]
	global_load_dwordx2 v[3:4], v9, s[28:29]
	global_load_dwordx2 v[5:6], v9, s[28:29] offset:2048
	global_load_dwordx2 v[7:8], v9, s[18:19] offset:2048
	v_mov_b32_e32 v10, s19
	v_add_co_u32_e32 v29, vcc, s18, v9
	v_addc_co_u32_e32 v30, vcc, 0, v10, vcc
	v_mov_b32_e32 v11, s29
	v_add_co_u32_e32 v31, vcc, s28, v9
	s_movk_i32 s1, 0x2000
	v_addc_co_u32_e32 v32, vcc, 0, v11, vcc
	v_add_co_u32_e32 v9, vcc, s1, v29
	s_movk_i32 s0, 0x1000
	v_addc_co_u32_e32 v10, vcc, 0, v30, vcc
	v_add_co_u32_e32 v13, vcc, s0, v29
	v_addc_co_u32_e32 v14, vcc, 0, v30, vcc
	global_load_dwordx2 v[11:12], v[9:10], off offset:-4096
	v_add_co_u32_e32 v15, vcc, s1, v31
	v_addc_co_u32_e32 v16, vcc, 0, v32, vcc
	global_load_dwordx2 v[17:18], v[15:16], off offset:-4096
	global_load_dwordx2 v[19:20], v[13:14], off offset:2048
	global_load_dwordx2 v[21:22], v[9:10], off
	global_load_dwordx2 v[23:24], v[15:16], off
	global_load_dwordx2 v[25:26], v[9:10], off offset:2048
	global_load_dwordx2 v[27:28], v[15:16], off offset:2048
	s_movk_i32 s1, 0x4000
	v_add_co_u32_e32 v9, vcc, s1, v29
	v_addc_co_u32_e32 v10, vcc, 0, v30, vcc
	v_add_co_u32_e32 v13, vcc, s1, v31
	v_addc_co_u32_e32 v14, vcc, 0, v32, vcc
	s_mov_b32 s31, 0x66666667
	s_movk_i32 s10, 0x3000
	s_movk_i32 s11, 0x6000
	;; [unrolled: 1-line block ×4, first 2 shown]
	s_waitcnt vmcnt(10)
	v_cvt_i32_f64_e32 v15, v[1:2]
	global_load_dwordx2 v[1:2], v[9:10], off offset:-4096
	s_waitcnt vmcnt(10)
	v_cvt_i32_f64_e32 v16, v[3:4]
	global_load_dwordx2 v[3:4], v[13:14], off offset:-4096
	s_waitcnt vmcnt(9)
	v_cvt_i32_f64_e32 v7, v[7:8]
	v_cvt_i32_f64_e32 v8, v[5:6]
	v_mul_hi_i32 v15, v15, s31
	v_mul_hi_i32 v16, v16, s31
	;; [unrolled: 1-line block ×4, first 2 shown]
	v_add_co_u32_e32 v5, vcc, s0, v31
	v_addc_co_u32_e32 v6, vcc, 0, v32, vcc
	global_load_dwordx2 v[5:6], v[5:6], off offset:2048
	s_waitcnt vmcnt(9)
	v_cvt_i32_f64_e32 v11, v[11:12]
	s_waitcnt vmcnt(8)
	v_cvt_i32_f64_e32 v33, v[17:18]
	;; [unrolled: 2-line block ×4, first 2 shown]
	v_mul_hi_i32 v11, v11, s31
	v_cvt_i32_f64_e32 v34, v[19:20]
	v_mul_hi_i32 v12, v12, s31
	v_mul_hi_i32 v17, v17, s31
	v_lshrrev_b32_e32 v20, 31, v15
	v_ashrrev_i32_e32 v15, 2, v15
	v_lshrrev_b32_e32 v21, 31, v16
	v_ashrrev_i32_e32 v16, 2, v16
	v_lshrrev_b32_e32 v22, 31, v7
	v_ashrrev_i32_e32 v7, 2, v7
	v_lshrrev_b32_e32 v23, 31, v8
	v_ashrrev_i32_e32 v8, 2, v8
	s_waitcnt vmcnt(4)
	v_cvt_i32_f64_e32 v18, v[25:26]
	s_waitcnt vmcnt(3)
	v_cvt_i32_f64_e32 v19, v[27:28]
	v_add_u32_e32 v27, v15, v20
	v_add_u32_e32 v28, v16, v21
	;; [unrolled: 1-line block ×4, first 2 shown]
	v_lshrrev_b32_e32 v7, 31, v11
	v_ashrrev_i32_e32 v8, 2, v11
	v_lshrrev_b32_e32 v11, 31, v12
	v_ashrrev_i32_e32 v12, 2, v12
	;; [unrolled: 2-line block ×3, first 2 shown]
	v_add_u32_e32 v37, v8, v7
	v_add_u32_e32 v7, v12, v11
	;; [unrolled: 1-line block ×3, first 2 shown]
	v_cmp_ne_u32_e32 vcc, v7, v8
	global_load_dwordx2 v[7:8], v[9:10], off
	global_load_dwordx2 v[11:12], v[13:14], off
	v_mul_hi_i32 v18, v18, s31
	global_load_dwordx2 v[9:10], v[9:10], off offset:2048
	v_mul_hi_i32 v19, v19, s31
	v_add_co_u32_e64 v15, s[0:1], s10, v29
	v_lshrrev_b32_e32 v17, 31, v18
	v_ashrrev_i32_e32 v18, 2, v18
	v_add_u32_e32 v17, v18, v17
	v_lshrrev_b32_e32 v18, 31, v19
	v_ashrrev_i32_e32 v19, 2, v19
	v_addc_co_u32_e64 v16, s[0:1], 0, v30, s[0:1]
	global_load_dwordx2 v[15:16], v[15:16], off offset:2048
	v_mul_hi_i32 v21, v33, s31
	v_mul_hi_i32 v22, v34, s31
	s_waitcnt vmcnt(6)
	v_cvt_i32_f64_e32 v20, v[1:2]
	global_load_dwordx2 v[1:2], v[13:14], off offset:2048
	s_waitcnt vmcnt(6)
	v_cvt_i32_f64_e32 v3, v[3:4]
	v_add_u32_e32 v13, v19, v18
	v_mul_hi_i32 v4, v20, s31
	v_cmp_ne_u32_e64 s[0:1], v17, v13
	v_mul_hi_i32 v3, v3, s31
	v_lshrrev_b32_e32 v13, 31, v4
	v_ashrrev_i32_e32 v4, 2, v4
	v_add_u32_e32 v4, v4, v13
	v_lshrrev_b32_e32 v13, 31, v3
	v_ashrrev_i32_e32 v3, 2, v3
	v_add_u32_e32 v3, v3, v13
	v_cmp_ne_u32_e64 s[2:3], v4, v3
	v_add_co_u32_e64 v3, s[8:9], s11, v29
	v_addc_co_u32_e64 v4, s[8:9], 0, v30, s[8:9]
	global_load_dwordx2 v[13:14], v[3:4], off offset:-4096
	v_add_co_u32_e64 v17, s[8:9], s11, v31
	v_addc_co_u32_e64 v18, s[8:9], 0, v32, s[8:9]
	global_load_dwordx2 v[19:20], v[17:18], off offset:-4096
	s_waitcnt vmcnt(7)
	v_cvt_i32_f64_e32 v5, v[5:6]
	v_lshrrev_b32_e32 v6, 31, v21
	v_ashrrev_i32_e32 v21, 2, v21
	v_add_u32_e32 v33, v21, v6
	v_mul_hi_i32 v5, v5, s31
	v_lshrrev_b32_e32 v6, 31, v22
	v_ashrrev_i32_e32 v21, 2, v22
	v_add_u32_e32 v34, v21, v6
	v_lshrrev_b32_e32 v6, 31, v5
	v_ashrrev_i32_e32 v5, 2, v5
	v_add_u32_e32 v38, v5, v6
	v_add_co_u32_e64 v5, s[8:9], s10, v31
	v_addc_co_u32_e64 v6, s[8:9], 0, v32, s[8:9]
	global_load_dwordx2 v[5:6], v[5:6], off offset:2048
	s_waitcnt vmcnt(7)
	v_cvt_i32_f64_e32 v7, v[7:8]
	s_waitcnt vmcnt(6)
	v_cvt_i32_f64_e32 v8, v[11:12]
	;; [unrolled: 2-line block ×3, first 2 shown]
	v_mul_hi_i32 v7, v7, s31
	v_mul_hi_i32 v8, v8, s31
	v_lshrrev_b32_e32 v11, 31, v7
	v_ashrrev_i32_e32 v7, 2, v7
	v_lshrrev_b32_e32 v10, 31, v8
	v_ashrrev_i32_e32 v8, 2, v8
	v_add_u32_e32 v7, v7, v11
	v_add_u32_e32 v8, v8, v10
	v_cmp_ne_u32_e64 s[8:9], v7, v8
	s_waitcnt vmcnt(4)
	v_cvt_i32_f64_e32 v39, v[15:16]
	s_waitcnt vmcnt(3)
	v_cvt_i32_f64_e32 v1, v[1:2]
	v_mul_hi_i32 v2, v9, s31
	v_mul_hi_i32 v1, v1, s31
	v_lshrrev_b32_e32 v7, 31, v2
	v_ashrrev_i32_e32 v2, 2, v2
	v_add_u32_e32 v15, v2, v7
	v_lshrrev_b32_e32 v2, 31, v1
	v_ashrrev_i32_e32 v1, 2, v1
	v_add_u32_e32 v16, v1, v2
	v_add_co_u32_e64 v1, s[10:11], s12, v29
	v_addc_co_u32_e64 v2, s[10:11], 0, v30, s[10:11]
	global_load_dwordx2 v[7:8], v[3:4], off
	global_load_dwordx2 v[9:10], v[3:4], off offset:2048
	s_nop 0
	global_load_dwordx2 v[3:4], v[17:18], off
	global_load_dwordx2 v[11:12], v[17:18], off offset:2048
	s_waitcnt vmcnt(6)
	v_cvt_i32_f64_e32 v21, v[13:14]
	v_add_co_u32_e64 v13, s[10:11], s12, v31
	global_load_dwordx2 v[1:2], v[1:2], off offset:2048
	v_addc_co_u32_e64 v14, s[10:11], 0, v32, s[10:11]
	global_load_dwordx2 v[13:14], v[13:14], off offset:2048
	s_waitcnt vmcnt(7)
	v_cvt_i32_f64_e32 v17, v[19:20]
	v_mul_hi_i32 v18, v21, s31
	v_cmp_ne_u32_e64 s[10:11], v15, v16
	v_mul_hi_i32 v15, v17, s31
	v_lshrrev_b32_e32 v16, 31, v18
	v_ashrrev_i32_e32 v17, 2, v18
	v_add_u32_e32 v16, v17, v16
	v_lshrrev_b32_e32 v17, 31, v15
	v_ashrrev_i32_e32 v15, 2, v15
	v_add_u32_e32 v15, v15, v17
	v_cmp_ne_u32_e64 s[12:13], v16, v15
	v_add_co_u32_e64 v15, s[14:15], s34, v29
	v_addc_co_u32_e64 v16, s[14:15], 0, v30, s[14:15]
	global_load_dwordx2 v[17:18], v[15:16], off
	v_add_co_u32_e64 v19, s[14:15], s34, v31
	v_addc_co_u32_e64 v20, s[14:15], 0, v32, s[14:15]
	global_load_dwordx2 v[21:22], v[19:20], off
	global_load_dwordx2 v[23:24], v[15:16], off offset:2048
	global_load_dwordx2 v[25:26], v[19:20], off offset:2048
	s_waitcnt vmcnt(10)
	v_cvt_i32_f64_e32 v5, v[5:6]
	v_mul_hi_i32 v15, v39, s31
	v_cmp_ne_u32_e64 s[14:15], v34, v38
	v_cndmask_b32_e64 v16, 0, 1, s[14:15]
	v_mul_hi_i32 v5, v5, s31
	v_lshrrev_b32_e32 v19, 31, v15
	v_ashrrev_i32_e32 v15, 2, v15
	v_add_u32_e32 v15, v15, v19
	v_lshrrev_b32_e32 v19, 31, v5
	v_ashrrev_i32_e32 v5, 2, v5
	v_add_u32_e32 v5, v5, v19
	v_cndmask_b32_e64 v19, 0, 1, vcc
	v_cmp_ne_u32_e32 vcc, v15, v5
	v_cndmask_b32_e64 v5, 0, 1, vcc
	v_mov_b32_e32 v6, 0
	s_waitcnt vmcnt(9)
	v_cvt_i32_f64_e32 v7, v[7:8]
	s_waitcnt vmcnt(7)
	v_cvt_i32_f64_e32 v3, v[3:4]
	v_cvt_i32_f64_e32 v9, v[9:10]
	s_waitcnt vmcnt(6)
	v_cvt_i32_f64_e32 v10, v[11:12]
	v_mul_hi_i32 v7, v7, s31
	v_mul_hi_i32 v3, v3, s31
	;; [unrolled: 1-line block ×3, first 2 shown]
	s_waitcnt vmcnt(5)
	v_cvt_i32_f64_e32 v1, v[1:2]
	v_cndmask_b32_e64 v2, 0, 1, s[0:1]
	v_cndmask_b32_e64 v8, 0, 1, s[10:11]
	s_waitcnt vmcnt(4)
	v_cvt_i32_f64_e32 v13, v[13:14]
	v_mul_hi_i32 v1, v1, s31
	v_cndmask_b32_e64 v14, 0, 1, s[2:3]
	v_cndmask_b32_e64 v4, 0, 1, s[12:13]
	v_mul_hi_i32 v13, v13, s31
	v_lshrrev_b32_e32 v15, 31, v1
	v_ashrrev_i32_e32 v1, 2, v1
	v_add_u32_e32 v1, v1, v15
	v_lshrrev_b32_e32 v15, 31, v13
	v_ashrrev_i32_e32 v13, 2, v13
	v_add_u32_e32 v13, v13, v15
	v_cmp_ne_u32_e32 vcc, v1, v13
	v_lshrrev_b32_e32 v13, 31, v7
	v_ashrrev_i32_e32 v7, 2, v7
	v_add_u32_e32 v7, v7, v13
	v_lshrrev_b32_e32 v13, 31, v3
	v_ashrrev_i32_e32 v3, 2, v3
	v_add_u32_e32 v3, v3, v13
	v_cndmask_b32_e64 v1, 0, 1, vcc
	v_cmp_ne_u32_e32 vcc, v7, v3
	v_mul_hi_i32 v7, v10, s31
	v_lshrrev_b32_e32 v10, 31, v9
	v_ashrrev_i32_e32 v9, 2, v9
	v_add_u32_e32 v9, v9, v10
	v_lshrrev_b32_e32 v10, 31, v7
	s_waitcnt vmcnt(3)
	v_cvt_i32_f64_e32 v11, v[17:18]
	v_ashrrev_i32_e32 v7, 2, v7
	v_add_u32_e32 v7, v7, v10
	s_waitcnt vmcnt(2)
	v_cvt_i32_f64_e32 v10, v[21:22]
	v_mul_hi_i32 v11, v11, s31
	v_cndmask_b32_e64 v3, 0, 1, vcc
	v_cmp_ne_u32_e32 vcc, v9, v7
	v_mul_hi_i32 v9, v10, s31
	v_lshrrev_b32_e32 v10, 31, v11
	v_ashrrev_i32_e32 v11, 2, v11
	v_add_u32_e32 v10, v11, v10
	v_lshrrev_b32_e32 v11, 31, v9
	s_waitcnt vmcnt(1)
	v_cvt_i32_f64_e32 v12, v[23:24]
	v_ashrrev_i32_e32 v9, 2, v9
	v_add_u32_e32 v9, v9, v11
	s_waitcnt vmcnt(0)
	v_cvt_i32_f64_e32 v11, v[25:26]
	v_mul_hi_i32 v12, v12, s31
	v_cndmask_b32_e64 v7, 0, 1, vcc
	v_cmp_ne_u32_e32 vcc, v10, v9
	v_mul_hi_i32 v10, v11, s31
	v_lshrrev_b32_e32 v11, 31, v12
	v_ashrrev_i32_e32 v12, 2, v12
	v_add_u32_e32 v11, v12, v11
	v_lshrrev_b32_e32 v12, 31, v10
	v_ashrrev_i32_e32 v10, 2, v10
	v_add_u32_e32 v10, v10, v12
	v_cndmask_b32_e64 v9, 0, 1, vcc
	v_cmp_ne_u32_e32 vcc, v11, v10
	v_cndmask_b32_e64 v10, 0, 1, vcc
	v_cmp_ne_u32_e32 vcc, v35, v36
	;; [unrolled: 2-line block ×4, first 2 shown]
	v_addc_co_u32_e32 v11, vcc, v11, v12, vcc
	v_add_co_u32_e32 v11, vcc, v11, v16
	v_addc_co_u32_e64 v12, s[0:1], 0, 0, vcc
	v_add_co_u32_e32 v11, vcc, v11, v19
	v_addc_co_u32_e32 v12, vcc, 0, v12, vcc
	v_add_co_u32_e32 v2, vcc, v11, v2
	v_addc_co_u32_e32 v11, vcc, 0, v12, vcc
	v_add_co_u32_e32 v2, vcc, v2, v14
	v_addc_co_u32_e32 v11, vcc, 0, v11, vcc
	v_add_co_u32_e32 v2, vcc, v2, v5
	v_cndmask_b32_e64 v15, 0, 1, s[8:9]
	v_addc_co_u32_e32 v5, vcc, 0, v11, vcc
	v_add_co_u32_e32 v2, vcc, v2, v15
	v_addc_co_u32_e32 v5, vcc, 0, v5, vcc
	v_add_co_u32_e32 v2, vcc, v2, v8
	;; [unrolled: 2-line block ×8, first 2 shown]
	v_addc_co_u32_e32 v2, vcc, 0, v2, vcc
	s_nop 0
	v_mov_b32_dpp v4, v1 quad_perm:[1,0,3,2] row_mask:0xf bank_mask:0xf bound_ctrl:1
	v_add_co_u32_e32 v1, vcc, v1, v4
	v_addc_co_u32_e32 v2, vcc, 0, v2, vcc
	v_mov_b32_dpp v5, v6 quad_perm:[1,0,3,2] row_mask:0xf bank_mask:0xf bound_ctrl:1
	v_add_co_u32_e32 v4, vcc, 0, v1
	v_addc_co_u32_e32 v2, vcc, v5, v2, vcc
	v_mov_b32_dpp v1, v1 quad_perm:[2,3,0,1] row_mask:0xf bank_mask:0xf bound_ctrl:1
	v_add_co_u32_e32 v1, vcc, v4, v1
	v_mov_b32_dpp v5, v2 quad_perm:[2,3,0,1] row_mask:0xf bank_mask:0xf bound_ctrl:1
	v_addc_co_u32_e32 v2, vcc, 0, v2, vcc
	v_add_co_u32_e32 v4, vcc, 0, v1
	v_addc_co_u32_e32 v2, vcc, v2, v5, vcc
	v_mov_b32_dpp v1, v1 row_ror:4 row_mask:0xf bank_mask:0xf bound_ctrl:1
	v_add_co_u32_e32 v1, vcc, v4, v1
	v_mov_b32_dpp v5, v2 row_ror:4 row_mask:0xf bank_mask:0xf bound_ctrl:1
	v_addc_co_u32_e32 v2, vcc, 0, v2, vcc
	v_add_co_u32_e32 v4, vcc, 0, v1
	v_addc_co_u32_e32 v2, vcc, v2, v5, vcc
	v_mov_b32_dpp v1, v1 row_ror:8 row_mask:0xf bank_mask:0xf bound_ctrl:1
	v_add_co_u32_e32 v1, vcc, v4, v1
	v_mov_b32_dpp v5, v2 row_ror:8 row_mask:0xf bank_mask:0xf bound_ctrl:1
	v_addc_co_u32_e32 v2, vcc, 0, v2, vcc
	v_add_co_u32_e32 v4, vcc, 0, v1
	v_addc_co_u32_e32 v2, vcc, v2, v5, vcc
	v_mov_b32_dpp v1, v1 row_bcast:15 row_mask:0xf bank_mask:0xf bound_ctrl:1
	v_add_co_u32_e32 v1, vcc, v4, v1
	v_mov_b32_dpp v5, v2 row_bcast:15 row_mask:0xf bank_mask:0xf bound_ctrl:1
	v_addc_co_u32_e32 v2, vcc, 0, v2, vcc
	v_add_co_u32_e32 v4, vcc, 0, v1
	v_addc_co_u32_e32 v2, vcc, v2, v5, vcc
	v_mov_b32_dpp v1, v1 row_bcast:31 row_mask:0xf bank_mask:0xf bound_ctrl:1
	v_mbcnt_lo_u32_b32 v3, -1, 0
	v_add_co_u32_e32 v1, vcc, v4, v1
	v_mbcnt_hi_u32_b32 v3, -1, v3
	v_addc_co_u32_e32 v4, vcc, 0, v2, vcc
	v_cmp_eq_u32_e32 vcc, 0, v3
	s_nop 0
	v_add_u32_dpp v2, v2, v4 row_bcast:31 row_mask:0xf bank_mask:0xf bound_ctrl:1
	v_lshlrev_b32_e32 v4, 2, v3
	v_or_b32_e32 v5, 0xfc, v4
	ds_bpermute_b32 v1, v5, v1
	ds_bpermute_b32 v2, v5, v2
	s_and_saveexec_b64 s[0:1], vcc
	s_cbranch_execz .LBB774_7
; %bb.6:
	v_lshrrev_b32_e32 v5, 3, v0
	v_and_b32_e32 v5, 24, v5
	s_waitcnt lgkmcnt(0)
	ds_write_b64 v5, v[1:2]
.LBB774_7:
	s_or_b64 exec, exec, s[0:1]
	v_cmp_gt_u32_e32 vcc, 64, v0
	s_waitcnt lgkmcnt(0)
	s_barrier
	s_and_saveexec_b64 s[0:1], vcc
	s_cbranch_execz .LBB774_9
; %bb.8:
	v_and_b32_e32 v5, 3, v3
	v_lshlrev_b32_e32 v1, 3, v5
	ds_read_b64 v[1:2], v1
	v_cmp_ne_u32_e32 vcc, 3, v5
	v_addc_co_u32_e32 v3, vcc, 0, v3, vcc
	v_lshlrev_b32_e32 v3, 2, v3
	s_waitcnt lgkmcnt(0)
	ds_bpermute_b32 v5, v3, v1
	ds_bpermute_b32 v3, v3, v2
	v_or_b32_e32 v4, 8, v4
	s_waitcnt lgkmcnt(1)
	v_add_co_u32_e32 v1, vcc, v1, v5
	v_addc_co_u32_e32 v2, vcc, 0, v2, vcc
	ds_bpermute_b32 v5, v4, v1
	v_add_co_u32_e32 v1, vcc, 0, v1
	s_waitcnt lgkmcnt(1)
	v_addc_co_u32_e32 v2, vcc, v3, v2, vcc
	ds_bpermute_b32 v3, v4, v2
	s_waitcnt lgkmcnt(1)
	v_add_co_u32_e32 v1, vcc, v1, v5
	v_addc_co_u32_e32 v2, vcc, 0, v2, vcc
	v_add_co_u32_e32 v1, vcc, 0, v1
	s_waitcnt lgkmcnt(0)
	v_addc_co_u32_e32 v2, vcc, v2, v3, vcc
.LBB774_9:
	s_or_b64 exec, exec, s[0:1]
	s_mov_b64 s[0:1], 0
	s_branch .LBB774_22
.LBB774_10:
	s_mov_b64 s[0:1], 0
                                        ; implicit-def: $vgpr1_vgpr2
                                        ; implicit-def: $vgpr3_vgpr4
	s_cbranch_execnz .LBB774_145
	s_branch .LBB774_206
.LBB774_11:
	s_mov_b64 s[0:1], 0
                                        ; implicit-def: $vgpr1_vgpr2
                                        ; implicit-def: $vgpr3_vgpr4
	s_cbranch_execnz .LBB774_110
	s_branch .LBB774_144
.LBB774_12:
	s_mov_b64 s[16:17], -1
	s_mov_b64 s[0:1], 0
                                        ; implicit-def: $vgpr1_vgpr2
                                        ; implicit-def: $vgpr3_vgpr4
.LBB774_13:
	s_and_b64 vcc, exec, s[16:17]
	s_cbranch_vccz .LBB774_109
.LBB774_14:
	s_cmp_eq_u32 s33, 8
                                        ; implicit-def: $vgpr1_vgpr2
                                        ; implicit-def: $vgpr3_vgpr4
	s_cbranch_scc0 .LBB774_109
; %bb.15:
	s_mov_b32 s7, 0
	s_lshl_b32 s0, s6, 11
	s_mov_b32 s1, s7
	s_lshr_b64 s[2:3], s[20:21], 11
	s_lshl_b64 s[8:9], s[0:1], 3
	s_add_u32 s16, s24, s8
	s_addc_u32 s17, s25, s9
	s_add_u32 s18, s26, s8
	s_addc_u32 s19, s27, s9
	s_cmp_lg_u64 s[2:3], s[6:7]
	s_cbranch_scc0 .LBB774_73
; %bb.16:
	v_lshlrev_b32_e32 v9, 3, v0
	v_mov_b32_e32 v1, s17
	v_add_co_u32_e32 v31, vcc, s16, v9
	v_addc_co_u32_e32 v32, vcc, 0, v1, vcc
	v_mov_b32_e32 v1, s19
	v_add_co_u32_e32 v33, vcc, s18, v9
	v_addc_co_u32_e32 v34, vcc, 0, v1, vcc
	global_load_dwordx2 v[1:2], v9, s[16:17]
	global_load_dwordx2 v[3:4], v9, s[18:19]
	global_load_dwordx2 v[5:6], v9, s[18:19] offset:2048
	global_load_dwordx2 v[7:8], v9, s[16:17] offset:2048
	s_movk_i32 s1, 0x1000
	v_add_co_u32_e32 v9, vcc, s1, v31
	v_addc_co_u32_e32 v10, vcc, 0, v32, vcc
	s_movk_i32 s2, 0x2000
	v_add_co_u32_e32 v11, vcc, s2, v31
	v_addc_co_u32_e32 v12, vcc, 0, v32, vcc
	global_load_dwordx2 v[13:14], v[11:12], off offset:-4096
	v_add_co_u32_e32 v15, vcc, s1, v33
	v_addc_co_u32_e32 v16, vcc, 0, v34, vcc
	v_add_co_u32_e32 v17, vcc, s2, v33
	v_addc_co_u32_e32 v18, vcc, 0, v34, vcc
	global_load_dwordx2 v[19:20], v[17:18], off offset:-4096
	global_load_dwordx2 v[21:22], v[9:10], off offset:2048
	global_load_dwordx2 v[23:24], v[15:16], off offset:2048
	global_load_dwordx2 v[25:26], v[11:12], off
	global_load_dwordx2 v[27:28], v[17:18], off
	global_load_dwordx2 v[29:30], v[11:12], off offset:2048
                                        ; kill: killed $vgpr9 killed $vgpr10
                                        ; kill: killed $vgpr11 killed $vgpr12
                                        ; kill: killed $vgpr15 killed $vgpr16
	s_nop 0
	global_load_dwordx2 v[9:10], v[17:18], off offset:2048
	s_movk_i32 s1, 0x3000
	v_add_co_u32_e32 v11, vcc, s1, v31
	v_addc_co_u32_e32 v12, vcc, 0, v32, vcc
	global_load_dwordx2 v[15:16], v[11:12], off
	v_add_co_u32_e32 v17, vcc, s1, v33
	v_addc_co_u32_e32 v18, vcc, 0, v34, vcc
	s_mov_b32 s1, 0x66666667
	s_waitcnt vmcnt(12)
	v_cvt_i32_f64_e32 v35, v[1:2]
	global_load_dwordx2 v[1:2], v[17:18], off
	global_load_dwordx2 v[31:32], v[11:12], off offset:2048
	global_load_dwordx2 v[33:34], v[17:18], off offset:2048
	s_waitcnt vmcnt(14)
	v_cvt_i32_f64_e32 v3, v[3:4]
	s_waitcnt vmcnt(12)
	v_cvt_i32_f64_e32 v7, v[7:8]
	v_cvt_i32_f64_e32 v5, v[5:6]
	v_mov_b32_e32 v4, 0
	v_mul_hi_i32 v3, v3, s1
	v_mul_hi_i32 v7, v7, s1
	;; [unrolled: 1-line block ×3, first 2 shown]
	v_mov_b32_dpp v4, v4 quad_perm:[1,0,3,2] row_mask:0xf bank_mask:0xf bound_ctrl:1
	v_lshrrev_b32_e32 v17, 31, v3
	v_ashrrev_i32_e32 v3, 2, v3
	v_add_u32_e32 v3, v3, v17
	v_lshrrev_b32_e32 v18, 31, v7
	s_waitcnt vmcnt(11)
	v_cvt_i32_f64_e32 v6, v[13:14]
	s_waitcnt vmcnt(10)
	v_cvt_i32_f64_e32 v8, v[19:20]
	;; [unrolled: 2-line block ×3, first 2 shown]
	v_cvt_i32_f64_e32 v11, v[21:22]
	v_mul_hi_i32 v13, v35, s1
	v_mul_hi_i32 v6, v6, s1
	;; [unrolled: 1-line block ×5, first 2 shown]
	v_lshrrev_b32_e32 v14, 31, v13
	v_ashrrev_i32_e32 v13, 2, v13
	v_add_u32_e32 v13, v13, v14
	v_lshrrev_b32_e32 v14, 31, v6
	v_ashrrev_i32_e32 v6, 2, v6
	v_lshrrev_b32_e32 v17, 31, v8
	v_ashrrev_i32_e32 v8, 2, v8
	v_add_u32_e32 v6, v6, v14
	v_add_u32_e32 v8, v8, v17
	v_lshrrev_b32_e32 v14, 31, v12
	s_waitcnt vmcnt(7)
	v_cvt_i32_f64_e32 v17, v[25:26]
	v_ashrrev_i32_e32 v12, 2, v12
	v_ashrrev_i32_e32 v7, 2, v7
	v_add_u32_e32 v12, v12, v14
	s_waitcnt vmcnt(6)
	v_cvt_i32_f64_e32 v14, v[27:28]
	v_add_u32_e32 v7, v7, v18
	v_lshrrev_b32_e32 v18, 31, v11
	v_ashrrev_i32_e32 v11, 2, v11
	v_add_u32_e32 v11, v11, v18
	s_waitcnt vmcnt(5)
	v_cvt_i32_f64_e32 v18, v[29:30]
	v_mul_hi_i32 v17, v17, s1
	s_waitcnt vmcnt(4)
	v_cvt_i32_f64_e32 v9, v[9:10]
	v_cmp_ne_u32_e32 vcc, v11, v12
	v_mul_hi_i32 v12, v14, s1
	s_waitcnt vmcnt(3)
	v_cvt_i32_f64_e32 v15, v[15:16]
	v_mul_hi_i32 v10, v18, s1
	v_lshrrev_b32_e32 v14, 31, v17
	v_ashrrev_i32_e32 v17, 2, v17
	v_mul_hi_i32 v9, v9, s1
	v_add_u32_e32 v14, v17, v14
	v_lshrrev_b32_e32 v17, 31, v12
	v_ashrrev_i32_e32 v12, 2, v12
	v_add_u32_e32 v12, v12, v17
	v_cndmask_b32_e64 v11, 0, 1, vcc
	v_cmp_ne_u32_e32 vcc, v14, v12
	v_lshrrev_b32_e32 v14, 31, v10
	v_ashrrev_i32_e32 v10, 2, v10
	v_add_u32_e32 v10, v10, v14
	v_lshrrev_b32_e32 v14, 31, v9
	v_ashrrev_i32_e32 v9, 2, v9
	v_add_u32_e32 v9, v9, v14
	v_cndmask_b32_e64 v12, 0, 1, vcc
	v_cmp_ne_u32_e32 vcc, v10, v9
	v_cndmask_b32_e64 v9, 0, 1, vcc
	v_lshrrev_b32_e32 v19, 31, v5
	v_ashrrev_i32_e32 v5, 2, v5
	v_add_u32_e32 v5, v5, v19
	s_waitcnt vmcnt(2)
	v_cvt_i32_f64_e32 v1, v[1:2]
	v_mul_hi_i32 v2, v15, s1
	s_waitcnt vmcnt(1)
	v_cvt_i32_f64_e32 v14, v[31:32]
	v_mul_hi_i32 v1, v1, s1
	v_lshrrev_b32_e32 v10, 31, v2
	v_ashrrev_i32_e32 v2, 2, v2
	v_add_u32_e32 v2, v2, v10
	v_lshrrev_b32_e32 v10, 31, v1
	v_ashrrev_i32_e32 v1, 2, v1
	v_add_u32_e32 v1, v1, v10
	s_waitcnt vmcnt(0)
	v_cvt_i32_f64_e32 v10, v[33:34]
	v_mul_hi_i32 v14, v14, s1
	v_cmp_ne_u32_e32 vcc, v2, v1
	v_cndmask_b32_e64 v1, 0, 1, vcc
	v_mul_hi_i32 v2, v10, s1
	v_lshrrev_b32_e32 v10, 31, v14
	v_ashrrev_i32_e32 v14, 2, v14
	v_add_u32_e32 v10, v14, v10
	v_lshrrev_b32_e32 v14, 31, v2
	v_ashrrev_i32_e32 v2, 2, v2
	v_add_u32_e32 v2, v2, v14
	v_cmp_ne_u32_e32 vcc, v10, v2
	v_cndmask_b32_e64 v2, 0, 1, vcc
	v_cmp_ne_u32_e32 vcc, v7, v5
	v_cndmask_b32_e64 v5, 0, 1, vcc
	;; [unrolled: 2-line block ×3, first 2 shown]
	v_cmp_ne_u32_e32 vcc, v6, v8
	v_addc_co_u32_e32 v3, vcc, v5, v3, vcc
	v_add_co_u32_e32 v3, vcc, v3, v11
	v_addc_co_u32_e64 v5, s[2:3], 0, 0, vcc
	v_add_co_u32_e32 v3, vcc, v3, v12
	v_addc_co_u32_e32 v5, vcc, 0, v5, vcc
	v_add_co_u32_e32 v3, vcc, v3, v9
	v_addc_co_u32_e32 v5, vcc, 0, v5, vcc
	;; [unrolled: 2-line block ×4, first 2 shown]
	s_nop 0
	v_mov_b32_dpp v5, v1 quad_perm:[1,0,3,2] row_mask:0xf bank_mask:0xf bound_ctrl:1
	v_add_co_u32_e32 v1, vcc, v1, v5
	v_addc_co_u32_e32 v2, vcc, 0, v2, vcc
	v_add_co_u32_e32 v5, vcc, 0, v1
	v_addc_co_u32_e32 v2, vcc, v4, v2, vcc
	v_mov_b32_dpp v1, v1 quad_perm:[2,3,0,1] row_mask:0xf bank_mask:0xf bound_ctrl:1
	v_add_co_u32_e32 v1, vcc, v5, v1
	v_mov_b32_dpp v4, v2 quad_perm:[2,3,0,1] row_mask:0xf bank_mask:0xf bound_ctrl:1
	v_addc_co_u32_e32 v2, vcc, 0, v2, vcc
	v_add_co_u32_e32 v5, vcc, 0, v1
	v_addc_co_u32_e32 v2, vcc, v2, v4, vcc
	v_mov_b32_dpp v1, v1 row_ror:4 row_mask:0xf bank_mask:0xf bound_ctrl:1
	v_add_co_u32_e32 v1, vcc, v5, v1
	v_mov_b32_dpp v4, v2 row_ror:4 row_mask:0xf bank_mask:0xf bound_ctrl:1
	v_addc_co_u32_e32 v2, vcc, 0, v2, vcc
	v_add_co_u32_e32 v5, vcc, 0, v1
	v_addc_co_u32_e32 v2, vcc, v2, v4, vcc
	v_mov_b32_dpp v1, v1 row_ror:8 row_mask:0xf bank_mask:0xf bound_ctrl:1
	v_add_co_u32_e32 v1, vcc, v5, v1
	v_mov_b32_dpp v4, v2 row_ror:8 row_mask:0xf bank_mask:0xf bound_ctrl:1
	v_addc_co_u32_e32 v2, vcc, 0, v2, vcc
	v_add_co_u32_e32 v5, vcc, 0, v1
	v_addc_co_u32_e32 v2, vcc, v2, v4, vcc
	v_mov_b32_dpp v1, v1 row_bcast:15 row_mask:0xf bank_mask:0xf bound_ctrl:1
	v_add_co_u32_e32 v1, vcc, v5, v1
	v_mov_b32_dpp v4, v2 row_bcast:15 row_mask:0xf bank_mask:0xf bound_ctrl:1
	v_addc_co_u32_e32 v2, vcc, 0, v2, vcc
	v_add_co_u32_e32 v5, vcc, 0, v1
	v_addc_co_u32_e32 v2, vcc, v2, v4, vcc
	v_mov_b32_dpp v1, v1 row_bcast:31 row_mask:0xf bank_mask:0xf bound_ctrl:1
	v_mbcnt_lo_u32_b32 v3, -1, 0
	v_add_co_u32_e32 v1, vcc, v5, v1
	v_mbcnt_hi_u32_b32 v3, -1, v3
	v_addc_co_u32_e32 v4, vcc, 0, v2, vcc
	v_cmp_eq_u32_e32 vcc, 0, v3
	s_nop 0
	v_add_u32_dpp v2, v2, v4 row_bcast:31 row_mask:0xf bank_mask:0xf bound_ctrl:1
	v_lshlrev_b32_e32 v4, 2, v3
	v_or_b32_e32 v5, 0xfc, v4
	ds_bpermute_b32 v1, v5, v1
	ds_bpermute_b32 v2, v5, v2
	s_and_saveexec_b64 s[2:3], vcc
	s_cbranch_execz .LBB774_18
; %bb.17:
	v_lshrrev_b32_e32 v5, 3, v0
	v_and_b32_e32 v5, 24, v5
	s_waitcnt lgkmcnt(0)
	ds_write_b64 v5, v[1:2] offset:128
.LBB774_18:
	s_or_b64 exec, exec, s[2:3]
	v_cmp_gt_u32_e32 vcc, 64, v0
	s_waitcnt lgkmcnt(0)
	s_barrier
	s_and_saveexec_b64 s[2:3], vcc
	s_cbranch_execz .LBB774_20
; %bb.19:
	v_and_b32_e32 v5, 3, v3
	v_lshlrev_b32_e32 v1, 3, v5
	ds_read_b64 v[1:2], v1 offset:128
	v_cmp_ne_u32_e32 vcc, 3, v5
	v_addc_co_u32_e32 v3, vcc, 0, v3, vcc
	v_lshlrev_b32_e32 v3, 2, v3
	s_waitcnt lgkmcnt(0)
	ds_bpermute_b32 v5, v3, v1
	ds_bpermute_b32 v3, v3, v2
	v_or_b32_e32 v4, 8, v4
	s_waitcnt lgkmcnt(1)
	v_add_co_u32_e32 v1, vcc, v1, v5
	v_addc_co_u32_e32 v2, vcc, 0, v2, vcc
	ds_bpermute_b32 v5, v4, v1
	v_add_co_u32_e32 v1, vcc, 0, v1
	s_waitcnt lgkmcnt(1)
	v_addc_co_u32_e32 v2, vcc, v3, v2, vcc
	ds_bpermute_b32 v3, v4, v2
	s_waitcnt lgkmcnt(1)
	v_add_co_u32_e32 v1, vcc, v1, v5
	v_addc_co_u32_e32 v2, vcc, 0, v2, vcc
	v_add_co_u32_e32 v1, vcc, 0, v1
	s_waitcnt lgkmcnt(0)
	v_addc_co_u32_e32 v2, vcc, v2, v3, vcc
.LBB774_20:
	s_or_b64 exec, exec, s[2:3]
	s_mov_b64 s[2:3], 0
	s_branch .LBB774_74
.LBB774_21:
	s_mov_b64 s[0:1], -1
                                        ; implicit-def: $vgpr1_vgpr2
.LBB774_22:
	s_and_b64 vcc, exec, s[0:1]
	s_cbranch_vccz .LBB774_72
; %bb.23:
	s_sub_i32 s2, s20, s30
	v_cmp_gt_u32_e32 vcc, s2, v0
                                        ; implicit-def: $vgpr1_vgpr2
	s_and_saveexec_b64 s[0:1], vcc
	s_cbranch_execz .LBB774_25
; %bb.24:
	v_lshlrev_b32_e32 v5, 3, v0
	global_load_dwordx2 v[1:2], v5, s[18:19]
	global_load_dwordx2 v[3:4], v5, s[28:29]
	s_mov_b32 s3, 0x66666667
	s_waitcnt vmcnt(1)
	v_cvt_i32_f64_e32 v1, v[1:2]
	s_waitcnt vmcnt(0)
	v_cvt_i32_f64_e32 v2, v[3:4]
	v_mul_hi_i32 v1, v1, s3
	v_mul_hi_i32 v2, v2, s3
	s_mov_b32 s3, 0
	v_lshrrev_b32_e32 v3, 31, v1
	v_ashrrev_i32_e32 v1, 2, v1
	v_lshrrev_b32_e32 v4, 31, v2
	v_ashrrev_i32_e32 v2, 2, v2
	v_add_u32_e32 v1, v1, v3
	v_add_u32_e32 v2, v2, v4
	v_cmp_ne_u32_e32 vcc, v1, v2
	v_cndmask_b32_e64 v1, 0, 1, vcc
	v_mov_b32_e32 v2, s3
.LBB774_25:
	s_or_b64 exec, exec, s[0:1]
	v_or_b32_e32 v7, 0x100, v0
	v_mov_b32_e32 v3, 0
	v_mov_b32_e32 v5, 0
	;; [unrolled: 1-line block ×4, first 2 shown]
	v_cmp_gt_u32_e32 vcc, s2, v7
	s_and_saveexec_b64 s[0:1], vcc
	s_cbranch_execz .LBB774_27
; %bb.26:
	v_lshlrev_b32_e32 v9, 3, v0
	global_load_dwordx2 v[5:6], v9, s[18:19] offset:2048
	global_load_dwordx2 v[7:8], v9, s[28:29] offset:2048
	s_mov_b32 s3, 0x66666667
	s_waitcnt vmcnt(1)
	v_cvt_i32_f64_e32 v5, v[5:6]
	s_waitcnt vmcnt(0)
	v_cvt_i32_f64_e32 v6, v[7:8]
	v_mul_hi_i32 v5, v5, s3
	v_mul_hi_i32 v6, v6, s3
	s_mov_b32 s3, 0
	v_lshrrev_b32_e32 v7, 31, v5
	v_ashrrev_i32_e32 v5, 2, v5
	v_lshrrev_b32_e32 v8, 31, v6
	v_ashrrev_i32_e32 v6, 2, v6
	v_add_u32_e32 v5, v5, v7
	v_add_u32_e32 v6, v6, v8
	v_cmp_ne_u32_e32 vcc, v5, v6
	v_cndmask_b32_e64 v5, 0, 1, vcc
	v_mov_b32_e32 v6, s3
.LBB774_27:
	s_or_b64 exec, exec, s[0:1]
	v_or_b32_e32 v7, 0x200, v0
	v_cmp_gt_u32_e32 vcc, s2, v7
	s_and_saveexec_b64 s[0:1], vcc
	s_cbranch_execz .LBB774_29
; %bb.28:
	v_lshlrev_b32_e32 v9, 3, v7
	global_load_dwordx2 v[3:4], v9, s[18:19]
	global_load_dwordx2 v[7:8], v9, s[28:29]
	s_mov_b32 s3, 0x66666667
	s_waitcnt vmcnt(1)
	v_cvt_i32_f64_e32 v3, v[3:4]
	s_waitcnt vmcnt(0)
	v_cvt_i32_f64_e32 v4, v[7:8]
	v_mul_hi_i32 v3, v3, s3
	v_mul_hi_i32 v4, v4, s3
	s_mov_b32 s3, 0
	v_lshrrev_b32_e32 v7, 31, v3
	v_ashrrev_i32_e32 v3, 2, v3
	v_lshrrev_b32_e32 v8, 31, v4
	v_ashrrev_i32_e32 v4, 2, v4
	v_add_u32_e32 v3, v3, v7
	v_add_u32_e32 v4, v4, v8
	v_cmp_ne_u32_e32 vcc, v3, v4
	v_cndmask_b32_e64 v3, 0, 1, vcc
	v_mov_b32_e32 v4, s3
.LBB774_29:
	s_or_b64 exec, exec, s[0:1]
	v_or_b32_e32 v11, 0x300, v0
	v_mov_b32_e32 v7, 0
	v_mov_b32_e32 v9, 0
	v_mov_b32_e32 v8, 0
	v_mov_b32_e32 v10, 0
	v_cmp_gt_u32_e32 vcc, s2, v11
	s_and_saveexec_b64 s[0:1], vcc
	s_cbranch_execz .LBB774_31
; %bb.30:
	v_lshlrev_b32_e32 v13, 3, v11
	global_load_dwordx2 v[9:10], v13, s[18:19]
	global_load_dwordx2 v[11:12], v13, s[28:29]
	s_mov_b32 s3, 0x66666667
	s_waitcnt vmcnt(1)
	v_cvt_i32_f64_e32 v9, v[9:10]
	s_waitcnt vmcnt(0)
	v_cvt_i32_f64_e32 v10, v[11:12]
	v_mul_hi_i32 v9, v9, s3
	v_mul_hi_i32 v10, v10, s3
	s_mov_b32 s3, 0
	v_lshrrev_b32_e32 v11, 31, v9
	v_ashrrev_i32_e32 v9, 2, v9
	v_lshrrev_b32_e32 v12, 31, v10
	v_ashrrev_i32_e32 v10, 2, v10
	v_add_u32_e32 v9, v9, v11
	v_add_u32_e32 v10, v10, v12
	v_cmp_ne_u32_e32 vcc, v9, v10
	v_cndmask_b32_e64 v9, 0, 1, vcc
	v_mov_b32_e32 v10, s3
.LBB774_31:
	s_or_b64 exec, exec, s[0:1]
	v_or_b32_e32 v11, 0x400, v0
	v_cmp_gt_u32_e32 vcc, s2, v11
	s_and_saveexec_b64 s[0:1], vcc
	s_cbranch_execz .LBB774_33
; %bb.32:
	v_lshlrev_b32_e32 v13, 3, v11
	global_load_dwordx2 v[7:8], v13, s[18:19]
	global_load_dwordx2 v[11:12], v13, s[28:29]
	s_mov_b32 s3, 0x66666667
	s_waitcnt vmcnt(1)
	v_cvt_i32_f64_e32 v7, v[7:8]
	s_waitcnt vmcnt(0)
	v_cvt_i32_f64_e32 v8, v[11:12]
	v_mul_hi_i32 v7, v7, s3
	v_mul_hi_i32 v8, v8, s3
	s_mov_b32 s3, 0
	v_lshrrev_b32_e32 v11, 31, v7
	v_ashrrev_i32_e32 v7, 2, v7
	v_lshrrev_b32_e32 v12, 31, v8
	v_ashrrev_i32_e32 v8, 2, v8
	v_add_u32_e32 v7, v7, v11
	v_add_u32_e32 v8, v8, v12
	v_cmp_ne_u32_e32 vcc, v7, v8
	v_cndmask_b32_e64 v7, 0, 1, vcc
	v_mov_b32_e32 v8, s3
.LBB774_33:
	s_or_b64 exec, exec, s[0:1]
	v_or_b32_e32 v15, 0x500, v0
	v_mov_b32_e32 v11, 0
	v_mov_b32_e32 v13, 0
	v_mov_b32_e32 v12, 0
	v_mov_b32_e32 v14, 0
	v_cmp_gt_u32_e32 vcc, s2, v15
	s_and_saveexec_b64 s[0:1], vcc
	s_cbranch_execz .LBB774_35
; %bb.34:
	v_lshlrev_b32_e32 v17, 3, v15
	global_load_dwordx2 v[13:14], v17, s[18:19]
	global_load_dwordx2 v[15:16], v17, s[28:29]
	s_mov_b32 s3, 0x66666667
	s_waitcnt vmcnt(1)
	v_cvt_i32_f64_e32 v13, v[13:14]
	s_waitcnt vmcnt(0)
	v_cvt_i32_f64_e32 v14, v[15:16]
	v_mul_hi_i32 v13, v13, s3
	v_mul_hi_i32 v14, v14, s3
	s_mov_b32 s3, 0
	v_lshrrev_b32_e32 v15, 31, v13
	v_ashrrev_i32_e32 v13, 2, v13
	v_lshrrev_b32_e32 v16, 31, v14
	v_ashrrev_i32_e32 v14, 2, v14
	v_add_u32_e32 v13, v13, v15
	v_add_u32_e32 v14, v14, v16
	v_cmp_ne_u32_e32 vcc, v13, v14
	v_cndmask_b32_e64 v13, 0, 1, vcc
	v_mov_b32_e32 v14, s3
.LBB774_35:
	;; [unrolled: 58-line block ×6, first 2 shown]
	s_or_b64 exec, exec, s[0:1]
	v_or_b32_e32 v31, 0xe00, v0
	v_cmp_gt_u32_e32 vcc, s2, v31
	s_and_saveexec_b64 s[0:1], vcc
	s_cbranch_execz .LBB774_53
; %bb.52:
	v_lshlrev_b32_e32 v33, 3, v31
	global_load_dwordx2 v[27:28], v33, s[18:19]
	global_load_dwordx2 v[31:32], v33, s[28:29]
	s_mov_b32 s3, 0x66666667
	s_waitcnt vmcnt(1)
	v_cvt_i32_f64_e32 v27, v[27:28]
	s_waitcnt vmcnt(0)
	v_cvt_i32_f64_e32 v28, v[31:32]
	v_mul_hi_i32 v27, v27, s3
	v_mul_hi_i32 v28, v28, s3
	s_mov_b32 s3, 0
	v_lshrrev_b32_e32 v31, 31, v27
	v_ashrrev_i32_e32 v27, 2, v27
	v_lshrrev_b32_e32 v32, 31, v28
	v_ashrrev_i32_e32 v28, 2, v28
	v_add_u32_e32 v27, v27, v31
	v_add_u32_e32 v28, v28, v32
	v_cmp_ne_u32_e32 vcc, v27, v28
	v_cndmask_b32_e64 v27, 0, 1, vcc
	v_mov_b32_e32 v28, s3
.LBB774_53:
	s_or_b64 exec, exec, s[0:1]
	v_or_b32_e32 v33, 0xf00, v0
	v_mov_b32_e32 v31, 0
	v_mov_b32_e32 v32, 0
	v_cmp_gt_u32_e32 vcc, s2, v33
	s_and_saveexec_b64 s[0:1], vcc
	s_cbranch_execz .LBB774_55
; %bb.54:
	v_lshlrev_b32_e32 v35, 3, v33
	global_load_dwordx2 v[31:32], v35, s[18:19]
	global_load_dwordx2 v[33:34], v35, s[28:29]
	s_mov_b32 s3, 0x66666667
	s_waitcnt vmcnt(1)
	v_cvt_i32_f64_e32 v31, v[31:32]
	s_waitcnt vmcnt(0)
	v_cvt_i32_f64_e32 v32, v[33:34]
	v_mul_hi_i32 v31, v31, s3
	v_mul_hi_i32 v32, v32, s3
	s_mov_b32 s3, 0
	v_lshrrev_b32_e32 v33, 31, v31
	v_ashrrev_i32_e32 v31, 2, v31
	v_lshrrev_b32_e32 v34, 31, v32
	v_ashrrev_i32_e32 v32, 2, v32
	v_add_u32_e32 v31, v31, v33
	v_add_u32_e32 v32, v32, v34
	v_cmp_ne_u32_e32 vcc, v31, v32
	v_cndmask_b32_e64 v31, 0, 1, vcc
	v_mov_b32_e32 v32, s3
.LBB774_55:
	s_or_b64 exec, exec, s[0:1]
	v_add_co_u32_e32 v1, vcc, v5, v1
	v_addc_co_u32_e32 v2, vcc, v6, v2, vcc
	v_add_co_u32_e32 v1, vcc, v1, v3
	v_addc_co_u32_e32 v2, vcc, v2, v4, vcc
	;; [unrolled: 2-line block ×14, first 2 shown]
	v_mbcnt_lo_u32_b32 v3, -1, 0
	v_add_co_u32_e32 v1, vcc, v1, v31
	v_mbcnt_hi_u32_b32 v3, -1, v3
	v_addc_co_u32_e32 v2, vcc, v2, v32, vcc
	v_and_b32_e32 v4, 63, v3
	v_cmp_ne_u32_e32 vcc, 63, v4
	v_addc_co_u32_e32 v6, vcc, 0, v3, vcc
	v_lshlrev_b32_e32 v6, 2, v6
	ds_bpermute_b32 v8, v6, v1
	ds_bpermute_b32 v7, v6, v2
	s_min_u32 s2, s2, 0x100
	v_and_b32_e32 v5, 0xc0, v0
	v_sub_u32_e64 v5, s2, v5 clamp
	v_add_u32_e32 v6, 1, v4
	v_cmp_lt_u32_e32 vcc, v6, v5
	v_mov_b32_e32 v6, v1
	s_and_saveexec_b64 s[0:1], vcc
	s_cbranch_execz .LBB774_57
; %bb.56:
	s_waitcnt lgkmcnt(1)
	v_add_co_u32_e32 v6, vcc, v1, v8
	v_addc_co_u32_e32 v2, vcc, 0, v2, vcc
	v_add_co_u32_e32 v1, vcc, 0, v6
	s_waitcnt lgkmcnt(0)
	v_addc_co_u32_e32 v2, vcc, v7, v2, vcc
.LBB774_57:
	s_or_b64 exec, exec, s[0:1]
	v_cmp_gt_u32_e32 vcc, 62, v4
	s_waitcnt lgkmcnt(0)
	v_cndmask_b32_e64 v7, 0, 2, vcc
	v_add_lshl_u32 v7, v7, v3, 2
	ds_bpermute_b32 v8, v7, v6
	ds_bpermute_b32 v7, v7, v2
	v_add_u32_e32 v9, 2, v4
	v_cmp_lt_u32_e32 vcc, v9, v5
	s_and_saveexec_b64 s[0:1], vcc
	s_cbranch_execz .LBB774_59
; %bb.58:
	s_waitcnt lgkmcnt(1)
	v_add_co_u32_e32 v6, vcc, v1, v8
	v_addc_co_u32_e32 v2, vcc, 0, v2, vcc
	v_add_co_u32_e32 v1, vcc, 0, v6
	s_waitcnt lgkmcnt(0)
	v_addc_co_u32_e32 v2, vcc, v7, v2, vcc
.LBB774_59:
	s_or_b64 exec, exec, s[0:1]
	v_cmp_gt_u32_e32 vcc, 60, v4
	s_waitcnt lgkmcnt(0)
	v_cndmask_b32_e64 v7, 0, 4, vcc
	v_add_lshl_u32 v7, v7, v3, 2
	ds_bpermute_b32 v8, v7, v6
	ds_bpermute_b32 v7, v7, v2
	v_add_u32_e32 v9, 4, v4
	v_cmp_lt_u32_e32 vcc, v9, v5
	;; [unrolled: 19-line block ×4, first 2 shown]
	s_and_saveexec_b64 s[0:1], vcc
	s_cbranch_execz .LBB774_65
; %bb.64:
	s_waitcnt lgkmcnt(1)
	v_add_co_u32_e32 v6, vcc, v1, v8
	v_addc_co_u32_e32 v2, vcc, 0, v2, vcc
	v_add_co_u32_e32 v1, vcc, 0, v6
	s_waitcnt lgkmcnt(0)
	v_addc_co_u32_e32 v2, vcc, v7, v2, vcc
.LBB774_65:
	s_or_b64 exec, exec, s[0:1]
	s_waitcnt lgkmcnt(0)
	v_lshlrev_b32_e32 v7, 2, v3
	v_or_b32_e32 v8, 0x80, v7
	ds_bpermute_b32 v6, v8, v6
	ds_bpermute_b32 v8, v8, v2
	v_add_u32_e32 v4, 32, v4
	s_waitcnt lgkmcnt(1)
	v_add_co_u32_e32 v6, vcc, v1, v6
	v_addc_co_u32_e32 v9, vcc, 0, v2, vcc
	v_add_co_u32_e32 v6, vcc, 0, v6
	s_waitcnt lgkmcnt(0)
	v_addc_co_u32_e32 v8, vcc, v9, v8, vcc
	v_cmp_lt_u32_e32 vcc, v4, v5
	v_cndmask_b32_e32 v2, v2, v8, vcc
	v_cndmask_b32_e32 v1, v1, v6, vcc
	v_cmp_eq_u32_e32 vcc, 0, v3
	s_and_saveexec_b64 s[0:1], vcc
; %bb.66:
	v_lshrrev_b32_e32 v4, 3, v0
	v_and_b32_e32 v4, 24, v4
	ds_write_b64 v4, v[1:2] offset:160
; %bb.67:
	s_or_b64 exec, exec, s[0:1]
	v_cmp_gt_u32_e32 vcc, 4, v0
	s_waitcnt lgkmcnt(0)
	s_barrier
	s_and_saveexec_b64 s[0:1], vcc
	s_cbranch_execz .LBB774_71
; %bb.68:
	v_lshlrev_b32_e32 v1, 3, v3
	ds_read_b64 v[1:2], v1 offset:160
	v_and_b32_e32 v4, 3, v3
	v_cmp_ne_u32_e32 vcc, 3, v4
	v_addc_co_u32_e32 v3, vcc, 0, v3, vcc
	v_lshlrev_b32_e32 v3, 2, v3
	s_waitcnt lgkmcnt(0)
	ds_bpermute_b32 v6, v3, v1
	ds_bpermute_b32 v5, v3, v2
	s_add_i32 s2, s2, 63
	s_lshr_b32 s8, s2, 6
	v_add_u32_e32 v3, 1, v4
	v_cmp_gt_u32_e32 vcc, s8, v3
	v_mov_b32_e32 v3, v1
	s_and_saveexec_b64 s[2:3], vcc
	s_cbranch_execz .LBB774_70
; %bb.69:
	s_waitcnt lgkmcnt(1)
	v_add_co_u32_e32 v3, vcc, v1, v6
	v_addc_co_u32_e32 v2, vcc, 0, v2, vcc
	v_add_co_u32_e32 v1, vcc, 0, v3
	s_waitcnt lgkmcnt(0)
	v_addc_co_u32_e32 v2, vcc, v5, v2, vcc
.LBB774_70:
	s_or_b64 exec, exec, s[2:3]
	s_waitcnt lgkmcnt(0)
	v_or_b32_e32 v5, 8, v7
	ds_bpermute_b32 v3, v5, v3
	ds_bpermute_b32 v5, v5, v2
	v_add_u32_e32 v4, 2, v4
	s_waitcnt lgkmcnt(1)
	v_add_co_u32_e32 v3, vcc, v1, v3
	v_addc_co_u32_e32 v6, vcc, 0, v2, vcc
	v_add_co_u32_e32 v3, vcc, 0, v3
	s_waitcnt lgkmcnt(0)
	v_addc_co_u32_e32 v5, vcc, v6, v5, vcc
	v_cmp_gt_u32_e32 vcc, s8, v4
	v_cndmask_b32_e32 v2, v2, v5, vcc
	v_cndmask_b32_e32 v1, v1, v3, vcc
.LBB774_71:
	s_or_b64 exec, exec, s[0:1]
.LBB774_72:
	v_mov_b32_e32 v3, s6
	v_cmp_eq_u32_e64 s[0:1], 0, v0
	v_mov_b32_e32 v4, s7
	s_and_b64 vcc, exec, s[16:17]
	s_cbranch_vccnz .LBB774_14
	s_branch .LBB774_109
.LBB774_73:
	s_mov_b64 s[2:3], -1
                                        ; implicit-def: $vgpr1_vgpr2
.LBB774_74:
	s_and_b64 vcc, exec, s[2:3]
	s_cbranch_vccz .LBB774_108
; %bb.75:
	s_sub_i32 s30, s20, s0
	v_mov_b32_e32 v1, 0
	v_cmp_gt_u32_e32 vcc, s30, v0
	v_mov_b32_e32 v2, v1
	v_mov_b32_e32 v3, v1
	;; [unrolled: 1-line block ×15, first 2 shown]
	s_and_saveexec_b64 s[0:1], vcc
	s_cbranch_execz .LBB774_77
; %bb.76:
	v_mov_b32_e32 v2, v1
	v_mov_b32_e32 v3, v1
	;; [unrolled: 1-line block ×15, first 2 shown]
	v_lshlrev_b32_e32 v1, 3, v0
	global_load_dwordx2 v[17:18], v1, s[16:17]
	global_load_dwordx2 v[19:20], v1, s[18:19]
	s_mov_b32 s2, 0x66666667
	s_waitcnt vmcnt(1)
	v_cvt_i32_f64_e32 v1, v[17:18]
	s_waitcnt vmcnt(0)
	v_cvt_i32_f64_e32 v17, v[19:20]
	v_mul_hi_i32 v1, v1, s2
	v_mul_hi_i32 v17, v17, s2
	v_lshrrev_b32_e32 v18, 31, v1
	v_ashrrev_i32_e32 v1, 2, v1
	v_lshrrev_b32_e32 v19, 31, v17
	v_ashrrev_i32_e32 v17, 2, v17
	v_add_u32_e32 v1, v1, v18
	v_add_u32_e32 v17, v17, v19
	v_cmp_ne_u32_e32 vcc, v1, v17
	v_cndmask_b32_e64 v1, 0, 1, vcc
	v_and_b32_e32 v1, 0xffff, v1
.LBB774_77:
	s_or_b64 exec, exec, s[0:1]
	v_or_b32_e32 v17, 0x100, v0
	v_cmp_gt_u32_e32 vcc, s30, v17
	s_and_saveexec_b64 s[2:3], vcc
	s_cbranch_execz .LBB774_79
; %bb.78:
	v_lshlrev_b32_e32 v19, 3, v0
	global_load_dwordx2 v[3:4], v19, s[16:17] offset:2048
	global_load_dwordx2 v[17:18], v19, s[18:19] offset:2048
	s_mov_b32 s0, 0x66666667
	s_mov_b32 s8, 0
	s_waitcnt vmcnt(1)
	v_cvt_i32_f64_e32 v3, v[3:4]
	s_waitcnt vmcnt(0)
	v_cvt_i32_f64_e32 v4, v[17:18]
	v_mul_hi_i32 v3, v3, s0
	v_mul_hi_i32 v4, v4, s0
	v_lshrrev_b32_e32 v17, 31, v3
	v_ashrrev_i32_e32 v3, 2, v3
	v_lshrrev_b32_e32 v18, 31, v4
	v_ashrrev_i32_e32 v4, 2, v4
	v_add_u32_e32 v3, v3, v17
	v_add_u32_e32 v4, v4, v18
	v_cmp_ne_u32_e64 s[0:1], v3, v4
	v_cndmask_b32_e64 v3, 0, 1, s[0:1]
	v_mov_b32_e32 v4, s8
.LBB774_79:
	s_or_b64 exec, exec, s[2:3]
	v_or_b32_e32 v17, 0x200, v0
	v_cmp_gt_u32_e64 s[0:1], s30, v17
	s_and_saveexec_b64 s[8:9], s[0:1]
	s_cbranch_execz .LBB774_81
; %bb.80:
	v_lshlrev_b32_e32 v19, 3, v17
	global_load_dwordx2 v[5:6], v19, s[16:17]
	global_load_dwordx2 v[17:18], v19, s[18:19]
	s_mov_b32 s2, 0x66666667
	s_mov_b32 s10, 0
	s_waitcnt vmcnt(1)
	v_cvt_i32_f64_e32 v5, v[5:6]
	s_waitcnt vmcnt(0)
	v_cvt_i32_f64_e32 v6, v[17:18]
	v_mul_hi_i32 v5, v5, s2
	v_mul_hi_i32 v6, v6, s2
	v_lshrrev_b32_e32 v17, 31, v5
	v_ashrrev_i32_e32 v5, 2, v5
	v_lshrrev_b32_e32 v18, 31, v6
	v_ashrrev_i32_e32 v6, 2, v6
	v_add_u32_e32 v5, v5, v17
	v_add_u32_e32 v6, v6, v18
	v_cmp_ne_u32_e64 s[2:3], v5, v6
	v_cndmask_b32_e64 v5, 0, 1, s[2:3]
	v_mov_b32_e32 v6, s10
.LBB774_81:
	s_or_b64 exec, exec, s[8:9]
	v_or_b32_e32 v17, 0x300, v0
	v_cmp_gt_u32_e64 s[2:3], s30, v17
	s_and_saveexec_b64 s[10:11], s[2:3]
	s_cbranch_execz .LBB774_83
; %bb.82:
	v_lshlrev_b32_e32 v19, 3, v17
	global_load_dwordx2 v[7:8], v19, s[16:17]
	global_load_dwordx2 v[17:18], v19, s[18:19]
	s_mov_b32 s8, 0x66666667
	s_mov_b32 s12, 0
	s_waitcnt vmcnt(1)
	v_cvt_i32_f64_e32 v7, v[7:8]
	s_waitcnt vmcnt(0)
	v_cvt_i32_f64_e32 v8, v[17:18]
	v_mul_hi_i32 v7, v7, s8
	v_mul_hi_i32 v8, v8, s8
	v_lshrrev_b32_e32 v17, 31, v7
	v_ashrrev_i32_e32 v7, 2, v7
	v_lshrrev_b32_e32 v18, 31, v8
	v_ashrrev_i32_e32 v8, 2, v8
	v_add_u32_e32 v7, v7, v17
	v_add_u32_e32 v8, v8, v18
	v_cmp_ne_u32_e64 s[8:9], v7, v8
	v_cndmask_b32_e64 v7, 0, 1, s[8:9]
	v_mov_b32_e32 v8, s12
.LBB774_83:
	;; [unrolled: 27-line block ×6, first 2 shown]
	s_or_b64 exec, exec, s[28:29]
	v_cndmask_b32_e32 v3, 0, v3, vcc
	v_cndmask_b32_e32 v4, 0, v4, vcc
	v_add_co_u32_e32 v1, vcc, v3, v1
	v_addc_co_u32_e32 v2, vcc, v4, v2, vcc
	v_cndmask_b32_e64 v4, 0, v5, s[0:1]
	v_cndmask_b32_e64 v3, 0, v6, s[0:1]
	v_add_co_u32_e32 v1, vcc, v1, v4
	v_addc_co_u32_e32 v2, vcc, v2, v3, vcc
	v_cndmask_b32_e64 v4, 0, v7, s[2:3]
	v_cndmask_b32_e64 v3, 0, v8, s[2:3]
	;; [unrolled: 4-line block ×6, first 2 shown]
	v_add_co_u32_e32 v1, vcc, v1, v4
	v_addc_co_u32_e32 v2, vcc, v2, v3, vcc
	v_mbcnt_lo_u32_b32 v3, -1, 0
	v_mbcnt_hi_u32_b32 v3, -1, v3
	v_and_b32_e32 v4, 63, v3
	v_cmp_ne_u32_e32 vcc, 63, v4
	v_addc_co_u32_e32 v6, vcc, 0, v3, vcc
	v_lshlrev_b32_e32 v6, 2, v6
	ds_bpermute_b32 v8, v6, v1
	ds_bpermute_b32 v7, v6, v2
	s_min_u32 s2, s30, 0x100
	v_and_b32_e32 v5, 0xc0, v0
	v_sub_u32_e64 v5, s2, v5 clamp
	v_add_u32_e32 v6, 1, v4
	v_cmp_lt_u32_e32 vcc, v6, v5
	v_mov_b32_e32 v6, v1
	s_and_saveexec_b64 s[0:1], vcc
	s_cbranch_execz .LBB774_93
; %bb.92:
	s_waitcnt lgkmcnt(1)
	v_add_co_u32_e32 v6, vcc, v1, v8
	v_addc_co_u32_e32 v2, vcc, 0, v2, vcc
	v_add_co_u32_e32 v1, vcc, 0, v6
	s_waitcnt lgkmcnt(0)
	v_addc_co_u32_e32 v2, vcc, v2, v7, vcc
.LBB774_93:
	s_or_b64 exec, exec, s[0:1]
	v_cmp_gt_u32_e32 vcc, 62, v4
	s_waitcnt lgkmcnt(0)
	v_cndmask_b32_e64 v7, 0, 2, vcc
	v_add_lshl_u32 v7, v7, v3, 2
	ds_bpermute_b32 v8, v7, v6
	ds_bpermute_b32 v7, v7, v2
	v_add_u32_e32 v9, 2, v4
	v_cmp_lt_u32_e32 vcc, v9, v5
	s_and_saveexec_b64 s[0:1], vcc
	s_cbranch_execz .LBB774_95
; %bb.94:
	s_waitcnt lgkmcnt(1)
	v_add_co_u32_e32 v6, vcc, v1, v8
	v_addc_co_u32_e32 v2, vcc, 0, v2, vcc
	v_add_co_u32_e32 v1, vcc, 0, v6
	s_waitcnt lgkmcnt(0)
	v_addc_co_u32_e32 v2, vcc, v7, v2, vcc
.LBB774_95:
	s_or_b64 exec, exec, s[0:1]
	v_cmp_gt_u32_e32 vcc, 60, v4
	s_waitcnt lgkmcnt(0)
	v_cndmask_b32_e64 v7, 0, 4, vcc
	v_add_lshl_u32 v7, v7, v3, 2
	ds_bpermute_b32 v8, v7, v6
	ds_bpermute_b32 v7, v7, v2
	v_add_u32_e32 v9, 4, v4
	v_cmp_lt_u32_e32 vcc, v9, v5
	;; [unrolled: 19-line block ×4, first 2 shown]
	s_and_saveexec_b64 s[0:1], vcc
	s_cbranch_execz .LBB774_101
; %bb.100:
	s_waitcnt lgkmcnt(1)
	v_add_co_u32_e32 v6, vcc, v1, v8
	v_addc_co_u32_e32 v2, vcc, 0, v2, vcc
	v_add_co_u32_e32 v1, vcc, 0, v6
	s_waitcnt lgkmcnt(0)
	v_addc_co_u32_e32 v2, vcc, v7, v2, vcc
.LBB774_101:
	s_or_b64 exec, exec, s[0:1]
	s_waitcnt lgkmcnt(0)
	v_lshlrev_b32_e32 v7, 2, v3
	v_or_b32_e32 v8, 0x80, v7
	ds_bpermute_b32 v6, v8, v6
	ds_bpermute_b32 v8, v8, v2
	v_add_u32_e32 v4, 32, v4
	s_waitcnt lgkmcnt(1)
	v_add_co_u32_e32 v6, vcc, v1, v6
	v_addc_co_u32_e32 v9, vcc, 0, v2, vcc
	v_add_co_u32_e32 v6, vcc, 0, v6
	s_waitcnt lgkmcnt(0)
	v_addc_co_u32_e32 v8, vcc, v9, v8, vcc
	v_cmp_lt_u32_e32 vcc, v4, v5
	v_cndmask_b32_e32 v2, v2, v8, vcc
	v_cndmask_b32_e32 v1, v1, v6, vcc
	v_cmp_eq_u32_e32 vcc, 0, v3
	s_and_saveexec_b64 s[0:1], vcc
; %bb.102:
	v_lshrrev_b32_e32 v4, 3, v0
	v_and_b32_e32 v4, 24, v4
	ds_write_b64 v4, v[1:2] offset:160
; %bb.103:
	s_or_b64 exec, exec, s[0:1]
	v_cmp_gt_u32_e32 vcc, 4, v0
	s_waitcnt lgkmcnt(0)
	s_barrier
	s_and_saveexec_b64 s[0:1], vcc
	s_cbranch_execz .LBB774_107
; %bb.104:
	v_lshlrev_b32_e32 v1, 3, v3
	ds_read_b64 v[1:2], v1 offset:160
	v_and_b32_e32 v4, 3, v3
	v_cmp_ne_u32_e32 vcc, 3, v4
	v_addc_co_u32_e32 v3, vcc, 0, v3, vcc
	v_lshlrev_b32_e32 v3, 2, v3
	s_waitcnt lgkmcnt(0)
	ds_bpermute_b32 v6, v3, v1
	ds_bpermute_b32 v5, v3, v2
	s_add_i32 s2, s2, 63
	s_lshr_b32 s8, s2, 6
	v_add_u32_e32 v3, 1, v4
	v_cmp_gt_u32_e32 vcc, s8, v3
	v_mov_b32_e32 v3, v1
	s_and_saveexec_b64 s[2:3], vcc
	s_cbranch_execz .LBB774_106
; %bb.105:
	s_waitcnt lgkmcnt(1)
	v_add_co_u32_e32 v3, vcc, v1, v6
	v_addc_co_u32_e32 v2, vcc, 0, v2, vcc
	v_add_co_u32_e32 v1, vcc, 0, v3
	s_waitcnt lgkmcnt(0)
	v_addc_co_u32_e32 v2, vcc, v5, v2, vcc
.LBB774_106:
	s_or_b64 exec, exec, s[2:3]
	s_waitcnt lgkmcnt(0)
	v_or_b32_e32 v5, 8, v7
	ds_bpermute_b32 v3, v5, v3
	ds_bpermute_b32 v5, v5, v2
	v_add_u32_e32 v4, 2, v4
	s_waitcnt lgkmcnt(1)
	v_add_co_u32_e32 v3, vcc, v1, v3
	v_addc_co_u32_e32 v6, vcc, 0, v2, vcc
	v_add_co_u32_e32 v3, vcc, 0, v3
	s_waitcnt lgkmcnt(0)
	v_addc_co_u32_e32 v5, vcc, v6, v5, vcc
	v_cmp_gt_u32_e32 vcc, s8, v4
	v_cndmask_b32_e32 v2, v2, v5, vcc
	v_cndmask_b32_e32 v1, v1, v3, vcc
.LBB774_107:
	s_or_b64 exec, exec, s[0:1]
.LBB774_108:
	v_mov_b32_e32 v3, s6
	v_cmp_eq_u32_e64 s[0:1], 0, v0
	v_mov_b32_e32 v4, s7
.LBB774_109:
	s_branch .LBB774_144
.LBB774_110:
	s_cmp_eq_u32 s33, 4
                                        ; implicit-def: $vgpr1_vgpr2
                                        ; implicit-def: $vgpr3_vgpr4
	s_cbranch_scc0 .LBB774_144
; %bb.111:
	s_mov_b32 s7, 0
	s_lshl_b32 s0, s6, 10
	s_mov_b32 s1, s7
	s_lshr_b64 s[2:3], s[20:21], 10
	s_lshl_b64 s[10:11], s[0:1], 3
	s_add_u32 s8, s24, s10
	s_addc_u32 s9, s25, s11
	s_add_u32 s10, s26, s10
	s_addc_u32 s11, s27, s11
	s_cmp_lg_u64 s[2:3], s[6:7]
	s_cbranch_scc0 .LBB774_117
; %bb.112:
	v_lshlrev_b32_e32 v3, 3, v0
	v_mov_b32_e32 v1, s9
	v_add_co_u32_e32 v10, vcc, s8, v3
	v_addc_co_u32_e32 v11, vcc, 0, v1, vcc
	v_mov_b32_e32 v1, s11
	v_add_co_u32_e32 v14, vcc, s10, v3
	v_addc_co_u32_e32 v15, vcc, 0, v1, vcc
	s_movk_i32 s1, 0x1000
	v_add_co_u32_e32 v10, vcc, s1, v10
	v_addc_co_u32_e32 v11, vcc, 0, v11, vcc
	global_load_dwordx2 v[1:2], v3, s[8:9]
	global_load_dwordx2 v[4:5], v3, s[10:11]
	global_load_dwordx2 v[6:7], v3, s[10:11] offset:2048
	global_load_dwordx2 v[8:9], v3, s[8:9] offset:2048
	v_add_co_u32_e32 v14, vcc, s1, v14
	v_addc_co_u32_e32 v15, vcc, 0, v15, vcc
	global_load_dwordx2 v[12:13], v[10:11], off
	global_load_dwordx2 v[16:17], v[14:15], off
	global_load_dwordx2 v[18:19], v[10:11], off offset:2048
	global_load_dwordx2 v[20:21], v[14:15], off offset:2048
	s_mov_b32 s1, 0x66666667
	v_mov_b32_e32 v10, 0
	v_mbcnt_lo_u32_b32 v3, -1, 0
	v_mbcnt_hi_u32_b32 v3, -1, v3
	v_mov_b32_dpp v10, v10 quad_perm:[1,0,3,2] row_mask:0xf bank_mask:0xf bound_ctrl:1
	s_waitcnt vmcnt(7)
	v_cvt_i32_f64_e32 v1, v[1:2]
	s_waitcnt vmcnt(6)
	v_cvt_i32_f64_e32 v2, v[4:5]
	s_waitcnt vmcnt(5)
	v_cvt_i32_f64_e32 v5, v[6:7]
	s_waitcnt vmcnt(4)
	v_cvt_i32_f64_e32 v4, v[8:9]
	v_mul_hi_i32 v1, v1, s1
	v_mul_hi_i32 v2, v2, s1
	;; [unrolled: 1-line block ×3, first 2 shown]
	s_waitcnt vmcnt(2)
	v_cvt_i32_f64_e32 v7, v[16:17]
	v_cvt_i32_f64_e32 v6, v[12:13]
	s_waitcnt vmcnt(1)
	v_cvt_i32_f64_e32 v8, v[18:19]
	s_waitcnt vmcnt(0)
	v_cvt_i32_f64_e32 v9, v[20:21]
	v_mul_hi_i32 v4, v4, s1
	v_mul_hi_i32 v6, v6, s1
	;; [unrolled: 1-line block ×5, first 2 shown]
	v_lshrrev_b32_e32 v13, 31, v4
	v_ashrrev_i32_e32 v4, 2, v4
	v_lshrrev_b32_e32 v14, 31, v5
	v_ashrrev_i32_e32 v5, 2, v5
	;; [unrolled: 2-line block ×4, first 2 shown]
	v_add_u32_e32 v4, v4, v13
	v_add_u32_e32 v5, v5, v14
	;; [unrolled: 1-line block ×4, first 2 shown]
	v_lshrrev_b32_e32 v11, 31, v6
	v_ashrrev_i32_e32 v6, 2, v6
	v_lshrrev_b32_e32 v12, 31, v7
	v_ashrrev_i32_e32 v7, 2, v7
	;; [unrolled: 2-line block ×4, first 2 shown]
	v_cmp_ne_u32_e32 vcc, v4, v5
	v_cndmask_b32_e64 v4, 0, 1, vcc
	v_cmp_ne_u32_e32 vcc, v1, v2
	v_add_u32_e32 v2, v6, v11
	v_add_u32_e32 v5, v7, v12
	v_add_u32_e32 v6, v8, v13
	v_add_u32_e32 v7, v9, v14
	v_cndmask_b32_e64 v1, 0, 1, vcc
	v_cmp_ne_u32_e32 vcc, v6, v7
	v_cndmask_b32_e64 v6, 0, 1, vcc
	v_cmp_ne_u32_e32 vcc, v2, v5
	v_addc_co_u32_e32 v1, vcc, v4, v1, vcc
	v_add_co_u32_e32 v1, vcc, v1, v6
	v_addc_co_u32_e64 v2, s[2:3], 0, 0, vcc
	s_nop 0
	v_mov_b32_dpp v4, v1 quad_perm:[1,0,3,2] row_mask:0xf bank_mask:0xf bound_ctrl:1
	v_add_co_u32_e32 v1, vcc, v1, v4
	v_addc_co_u32_e32 v2, vcc, 0, v2, vcc
	v_add_co_u32_e32 v4, vcc, 0, v1
	v_addc_co_u32_e32 v2, vcc, v10, v2, vcc
	v_mov_b32_dpp v1, v1 quad_perm:[2,3,0,1] row_mask:0xf bank_mask:0xf bound_ctrl:1
	v_add_co_u32_e32 v1, vcc, v4, v1
	v_mov_b32_dpp v5, v2 quad_perm:[2,3,0,1] row_mask:0xf bank_mask:0xf bound_ctrl:1
	v_addc_co_u32_e32 v2, vcc, 0, v2, vcc
	v_add_co_u32_e32 v4, vcc, 0, v1
	v_addc_co_u32_e32 v2, vcc, v2, v5, vcc
	v_mov_b32_dpp v1, v1 row_ror:4 row_mask:0xf bank_mask:0xf bound_ctrl:1
	v_add_co_u32_e32 v1, vcc, v4, v1
	v_mov_b32_dpp v5, v2 row_ror:4 row_mask:0xf bank_mask:0xf bound_ctrl:1
	v_addc_co_u32_e32 v2, vcc, 0, v2, vcc
	v_add_co_u32_e32 v4, vcc, 0, v1
	v_addc_co_u32_e32 v2, vcc, v2, v5, vcc
	v_mov_b32_dpp v1, v1 row_ror:8 row_mask:0xf bank_mask:0xf bound_ctrl:1
	v_add_co_u32_e32 v1, vcc, v4, v1
	v_mov_b32_dpp v5, v2 row_ror:8 row_mask:0xf bank_mask:0xf bound_ctrl:1
	v_addc_co_u32_e32 v2, vcc, 0, v2, vcc
	v_add_co_u32_e32 v4, vcc, 0, v1
	v_addc_co_u32_e32 v2, vcc, v2, v5, vcc
	v_mov_b32_dpp v1, v1 row_bcast:15 row_mask:0xf bank_mask:0xf bound_ctrl:1
	v_add_co_u32_e32 v1, vcc, v4, v1
	v_mov_b32_dpp v5, v2 row_bcast:15 row_mask:0xf bank_mask:0xf bound_ctrl:1
	v_addc_co_u32_e32 v2, vcc, 0, v2, vcc
	v_add_co_u32_e32 v4, vcc, 0, v1
	v_addc_co_u32_e32 v2, vcc, v2, v5, vcc
	v_mov_b32_dpp v1, v1 row_bcast:31 row_mask:0xf bank_mask:0xf bound_ctrl:1
	v_add_co_u32_e32 v1, vcc, v4, v1
	v_addc_co_u32_e32 v4, vcc, 0, v2, vcc
	v_cmp_eq_u32_e32 vcc, 0, v3
	s_nop 0
	v_add_u32_dpp v2, v2, v4 row_bcast:31 row_mask:0xf bank_mask:0xf bound_ctrl:1
	v_lshlrev_b32_e32 v4, 2, v3
	v_or_b32_e32 v5, 0xfc, v4
	ds_bpermute_b32 v1, v5, v1
	ds_bpermute_b32 v2, v5, v2
	s_and_saveexec_b64 s[2:3], vcc
	s_cbranch_execz .LBB774_114
; %bb.113:
	v_lshrrev_b32_e32 v5, 3, v0
	v_and_b32_e32 v5, 24, v5
	s_waitcnt lgkmcnt(0)
	ds_write_b64 v5, v[1:2] offset:96
.LBB774_114:
	s_or_b64 exec, exec, s[2:3]
	v_cmp_gt_u32_e32 vcc, 64, v0
	s_waitcnt lgkmcnt(0)
	s_barrier
	s_and_saveexec_b64 s[2:3], vcc
	s_cbranch_execz .LBB774_116
; %bb.115:
	v_and_b32_e32 v5, 3, v3
	v_lshlrev_b32_e32 v1, 3, v5
	ds_read_b64 v[1:2], v1 offset:96
	v_cmp_ne_u32_e32 vcc, 3, v5
	v_addc_co_u32_e32 v3, vcc, 0, v3, vcc
	v_lshlrev_b32_e32 v3, 2, v3
	s_waitcnt lgkmcnt(0)
	ds_bpermute_b32 v5, v3, v1
	ds_bpermute_b32 v3, v3, v2
	v_or_b32_e32 v4, 8, v4
	s_waitcnt lgkmcnt(1)
	v_add_co_u32_e32 v1, vcc, v1, v5
	v_addc_co_u32_e32 v2, vcc, 0, v2, vcc
	ds_bpermute_b32 v5, v4, v1
	v_add_co_u32_e32 v1, vcc, 0, v1
	s_waitcnt lgkmcnt(1)
	v_addc_co_u32_e32 v2, vcc, v3, v2, vcc
	ds_bpermute_b32 v3, v4, v2
	s_waitcnt lgkmcnt(1)
	v_add_co_u32_e32 v1, vcc, v1, v5
	v_addc_co_u32_e32 v2, vcc, 0, v2, vcc
	v_add_co_u32_e32 v1, vcc, 0, v1
	s_waitcnt lgkmcnt(0)
	v_addc_co_u32_e32 v2, vcc, v2, v3, vcc
.LBB774_116:
	s_or_b64 exec, exec, s[2:3]
	s_branch .LBB774_143
.LBB774_117:
                                        ; implicit-def: $vgpr1_vgpr2
	s_cbranch_execz .LBB774_143
; %bb.118:
	s_sub_i32 s14, s20, s0
	v_mov_b32_e32 v1, 0
	v_cmp_gt_u32_e32 vcc, s14, v0
	v_mov_b32_e32 v2, v1
	v_mov_b32_e32 v3, v1
	;; [unrolled: 1-line block ×7, first 2 shown]
	s_and_saveexec_b64 s[0:1], vcc
	s_cbranch_execz .LBB774_120
; %bb.119:
	v_lshlrev_b32_e32 v2, 3, v0
	global_load_dwordx2 v[5:6], v2, s[8:9]
	global_load_dwordx2 v[7:8], v2, s[10:11]
	s_mov_b32 s2, 0x66666667
	v_mov_b32_e32 v3, v1
	v_mov_b32_e32 v4, v1
	s_waitcnt vmcnt(1)
	v_cvt_i32_f64_e32 v2, v[5:6]
	s_waitcnt vmcnt(0)
	v_cvt_i32_f64_e32 v8, v[7:8]
	v_mov_b32_e32 v5, v1
	v_mov_b32_e32 v6, v1
	v_mul_hi_i32 v2, v2, s2
	v_mul_hi_i32 v9, v8, s2
	v_mov_b32_e32 v7, v1
	v_mov_b32_e32 v8, v1
	v_lshrrev_b32_e32 v10, 31, v2
	v_ashrrev_i32_e32 v2, 2, v2
	v_lshrrev_b32_e32 v11, 31, v9
	v_ashrrev_i32_e32 v9, 2, v9
	v_add_u32_e32 v2, v2, v10
	v_add_u32_e32 v9, v9, v11
	v_cmp_ne_u32_e32 vcc, v2, v9
	v_cndmask_b32_e64 v2, 0, 1, vcc
	v_and_b32_e32 v2, 0xffff, v2
	v_mov_b32_e32 v9, v1
	v_mov_b32_e32 v1, v2
	v_mov_b32_e32 v2, v3
	v_mov_b32_e32 v3, v4
	v_mov_b32_e32 v4, v5
	v_mov_b32_e32 v5, v6
	v_mov_b32_e32 v6, v7
	v_mov_b32_e32 v7, v8
	v_mov_b32_e32 v8, v9
.LBB774_120:
	s_or_b64 exec, exec, s[0:1]
	v_or_b32_e32 v9, 0x100, v0
	v_cmp_gt_u32_e32 vcc, s14, v9
	s_and_saveexec_b64 s[2:3], vcc
	s_cbranch_execz .LBB774_122
; %bb.121:
	v_lshlrev_b32_e32 v11, 3, v0
	global_load_dwordx2 v[3:4], v11, s[8:9] offset:2048
	global_load_dwordx2 v[9:10], v11, s[10:11] offset:2048
	s_mov_b32 s0, 0x66666667
	s_mov_b32 s12, 0
	s_waitcnt vmcnt(1)
	v_cvt_i32_f64_e32 v3, v[3:4]
	s_waitcnt vmcnt(0)
	v_cvt_i32_f64_e32 v4, v[9:10]
	v_mul_hi_i32 v3, v3, s0
	v_mul_hi_i32 v4, v4, s0
	v_lshrrev_b32_e32 v9, 31, v3
	v_ashrrev_i32_e32 v3, 2, v3
	v_lshrrev_b32_e32 v10, 31, v4
	v_ashrrev_i32_e32 v4, 2, v4
	v_add_u32_e32 v3, v3, v9
	v_add_u32_e32 v4, v4, v10
	v_cmp_ne_u32_e64 s[0:1], v3, v4
	v_cndmask_b32_e64 v3, 0, 1, s[0:1]
	v_mov_b32_e32 v4, s12
.LBB774_122:
	s_or_b64 exec, exec, s[2:3]
	v_or_b32_e32 v9, 0x200, v0
	v_cmp_gt_u32_e64 s[0:1], s14, v9
	s_and_saveexec_b64 s[12:13], s[0:1]
	s_cbranch_execz .LBB774_124
; %bb.123:
	v_lshlrev_b32_e32 v11, 3, v9
	global_load_dwordx2 v[5:6], v11, s[8:9]
	global_load_dwordx2 v[9:10], v11, s[10:11]
	s_mov_b32 s2, 0x66666667
	s_mov_b32 s15, 0
	s_waitcnt vmcnt(1)
	v_cvt_i32_f64_e32 v5, v[5:6]
	s_waitcnt vmcnt(0)
	v_cvt_i32_f64_e32 v6, v[9:10]
	v_mul_hi_i32 v5, v5, s2
	v_mul_hi_i32 v6, v6, s2
	v_lshrrev_b32_e32 v9, 31, v5
	v_ashrrev_i32_e32 v5, 2, v5
	v_lshrrev_b32_e32 v10, 31, v6
	v_ashrrev_i32_e32 v6, 2, v6
	v_add_u32_e32 v5, v5, v9
	v_add_u32_e32 v6, v6, v10
	v_cmp_ne_u32_e64 s[2:3], v5, v6
	v_cndmask_b32_e64 v5, 0, 1, s[2:3]
	v_mov_b32_e32 v6, s15
.LBB774_124:
	s_or_b64 exec, exec, s[12:13]
	v_or_b32_e32 v9, 0x300, v0
	v_cmp_gt_u32_e64 s[2:3], s14, v9
	s_and_saveexec_b64 s[12:13], s[2:3]
	s_cbranch_execz .LBB774_126
; %bb.125:
	v_lshlrev_b32_e32 v11, 3, v9
	global_load_dwordx2 v[7:8], v11, s[8:9]
	global_load_dwordx2 v[9:10], v11, s[10:11]
	s_mov_b32 s8, 0x66666667
	s_mov_b32 s10, 0
	s_waitcnt vmcnt(1)
	v_cvt_i32_f64_e32 v7, v[7:8]
	s_waitcnt vmcnt(0)
	v_cvt_i32_f64_e32 v8, v[9:10]
	v_mul_hi_i32 v7, v7, s8
	v_mul_hi_i32 v8, v8, s8
	v_lshrrev_b32_e32 v9, 31, v7
	v_ashrrev_i32_e32 v7, 2, v7
	v_lshrrev_b32_e32 v10, 31, v8
	v_ashrrev_i32_e32 v8, 2, v8
	v_add_u32_e32 v7, v7, v9
	v_add_u32_e32 v8, v8, v10
	v_cmp_ne_u32_e64 s[8:9], v7, v8
	v_cndmask_b32_e64 v7, 0, 1, s[8:9]
	v_mov_b32_e32 v8, s10
.LBB774_126:
	s_or_b64 exec, exec, s[12:13]
	v_cndmask_b32_e32 v3, 0, v3, vcc
	v_cndmask_b32_e32 v4, 0, v4, vcc
	v_add_co_u32_e32 v1, vcc, v3, v1
	v_addc_co_u32_e32 v2, vcc, v4, v2, vcc
	v_cndmask_b32_e64 v4, 0, v5, s[0:1]
	v_cndmask_b32_e64 v3, 0, v6, s[0:1]
	v_add_co_u32_e32 v1, vcc, v1, v4
	v_addc_co_u32_e32 v2, vcc, v2, v3, vcc
	v_cndmask_b32_e64 v4, 0, v7, s[2:3]
	v_cndmask_b32_e64 v3, 0, v8, s[2:3]
	v_add_co_u32_e32 v1, vcc, v1, v4
	v_addc_co_u32_e32 v2, vcc, v2, v3, vcc
	v_mbcnt_lo_u32_b32 v3, -1, 0
	v_mbcnt_hi_u32_b32 v3, -1, v3
	v_and_b32_e32 v4, 63, v3
	v_cmp_ne_u32_e32 vcc, 63, v4
	v_addc_co_u32_e32 v6, vcc, 0, v3, vcc
	v_lshlrev_b32_e32 v6, 2, v6
	ds_bpermute_b32 v8, v6, v1
	ds_bpermute_b32 v7, v6, v2
	s_min_u32 s2, s14, 0x100
	v_and_b32_e32 v5, 0xc0, v0
	v_sub_u32_e64 v5, s2, v5 clamp
	v_add_u32_e32 v6, 1, v4
	v_cmp_lt_u32_e32 vcc, v6, v5
	v_mov_b32_e32 v6, v1
	s_and_saveexec_b64 s[0:1], vcc
	s_cbranch_execz .LBB774_128
; %bb.127:
	s_waitcnt lgkmcnt(1)
	v_add_co_u32_e32 v6, vcc, v1, v8
	v_addc_co_u32_e32 v2, vcc, 0, v2, vcc
	v_add_co_u32_e32 v1, vcc, 0, v6
	s_waitcnt lgkmcnt(0)
	v_addc_co_u32_e32 v2, vcc, v7, v2, vcc
.LBB774_128:
	s_or_b64 exec, exec, s[0:1]
	v_cmp_gt_u32_e32 vcc, 62, v4
	s_waitcnt lgkmcnt(0)
	v_cndmask_b32_e64 v7, 0, 2, vcc
	v_add_lshl_u32 v7, v7, v3, 2
	ds_bpermute_b32 v8, v7, v6
	ds_bpermute_b32 v7, v7, v2
	v_add_u32_e32 v9, 2, v4
	v_cmp_lt_u32_e32 vcc, v9, v5
	s_and_saveexec_b64 s[0:1], vcc
	s_cbranch_execz .LBB774_130
; %bb.129:
	s_waitcnt lgkmcnt(1)
	v_add_co_u32_e32 v6, vcc, v1, v8
	v_addc_co_u32_e32 v2, vcc, 0, v2, vcc
	v_add_co_u32_e32 v1, vcc, 0, v6
	s_waitcnt lgkmcnt(0)
	v_addc_co_u32_e32 v2, vcc, v7, v2, vcc
.LBB774_130:
	s_or_b64 exec, exec, s[0:1]
	v_cmp_gt_u32_e32 vcc, 60, v4
	s_waitcnt lgkmcnt(0)
	v_cndmask_b32_e64 v7, 0, 4, vcc
	v_add_lshl_u32 v7, v7, v3, 2
	ds_bpermute_b32 v8, v7, v6
	ds_bpermute_b32 v7, v7, v2
	v_add_u32_e32 v9, 4, v4
	v_cmp_lt_u32_e32 vcc, v9, v5
	;; [unrolled: 19-line block ×4, first 2 shown]
	s_and_saveexec_b64 s[0:1], vcc
	s_cbranch_execz .LBB774_136
; %bb.135:
	s_waitcnt lgkmcnt(1)
	v_add_co_u32_e32 v6, vcc, v1, v8
	v_addc_co_u32_e32 v2, vcc, 0, v2, vcc
	v_add_co_u32_e32 v1, vcc, 0, v6
	s_waitcnt lgkmcnt(0)
	v_addc_co_u32_e32 v2, vcc, v7, v2, vcc
.LBB774_136:
	s_or_b64 exec, exec, s[0:1]
	s_waitcnt lgkmcnt(0)
	v_lshlrev_b32_e32 v7, 2, v3
	v_or_b32_e32 v8, 0x80, v7
	ds_bpermute_b32 v6, v8, v6
	ds_bpermute_b32 v8, v8, v2
	v_add_u32_e32 v4, 32, v4
	s_waitcnt lgkmcnt(1)
	v_add_co_u32_e32 v6, vcc, v1, v6
	v_addc_co_u32_e32 v9, vcc, 0, v2, vcc
	v_add_co_u32_e32 v6, vcc, 0, v6
	s_waitcnt lgkmcnt(0)
	v_addc_co_u32_e32 v8, vcc, v9, v8, vcc
	v_cmp_lt_u32_e32 vcc, v4, v5
	v_cndmask_b32_e32 v2, v2, v8, vcc
	v_cndmask_b32_e32 v1, v1, v6, vcc
	v_cmp_eq_u32_e32 vcc, 0, v3
	s_and_saveexec_b64 s[0:1], vcc
; %bb.137:
	v_lshrrev_b32_e32 v4, 3, v0
	v_and_b32_e32 v4, 24, v4
	ds_write_b64 v4, v[1:2] offset:160
; %bb.138:
	s_or_b64 exec, exec, s[0:1]
	v_cmp_gt_u32_e32 vcc, 4, v0
	s_waitcnt lgkmcnt(0)
	s_barrier
	s_and_saveexec_b64 s[0:1], vcc
	s_cbranch_execz .LBB774_142
; %bb.139:
	v_lshlrev_b32_e32 v1, 3, v3
	ds_read_b64 v[1:2], v1 offset:160
	v_and_b32_e32 v4, 3, v3
	v_cmp_ne_u32_e32 vcc, 3, v4
	v_addc_co_u32_e32 v3, vcc, 0, v3, vcc
	v_lshlrev_b32_e32 v3, 2, v3
	s_waitcnt lgkmcnt(0)
	ds_bpermute_b32 v6, v3, v1
	ds_bpermute_b32 v5, v3, v2
	s_add_i32 s2, s2, 63
	s_lshr_b32 s8, s2, 6
	v_add_u32_e32 v3, 1, v4
	v_cmp_gt_u32_e32 vcc, s8, v3
	v_mov_b32_e32 v3, v1
	s_and_saveexec_b64 s[2:3], vcc
	s_cbranch_execz .LBB774_141
; %bb.140:
	s_waitcnt lgkmcnt(1)
	v_add_co_u32_e32 v3, vcc, v1, v6
	v_addc_co_u32_e32 v2, vcc, 0, v2, vcc
	v_add_co_u32_e32 v1, vcc, 0, v3
	s_waitcnt lgkmcnt(0)
	v_addc_co_u32_e32 v2, vcc, v5, v2, vcc
.LBB774_141:
	s_or_b64 exec, exec, s[2:3]
	s_waitcnt lgkmcnt(0)
	v_or_b32_e32 v5, 8, v7
	ds_bpermute_b32 v3, v5, v3
	ds_bpermute_b32 v5, v5, v2
	v_add_u32_e32 v4, 2, v4
	s_waitcnt lgkmcnt(1)
	v_add_co_u32_e32 v3, vcc, v1, v3
	v_addc_co_u32_e32 v6, vcc, 0, v2, vcc
	v_add_co_u32_e32 v3, vcc, 0, v3
	s_waitcnt lgkmcnt(0)
	v_addc_co_u32_e32 v5, vcc, v6, v5, vcc
	v_cmp_gt_u32_e32 vcc, s8, v4
	v_cndmask_b32_e32 v2, v2, v5, vcc
	v_cndmask_b32_e32 v1, v1, v3, vcc
.LBB774_142:
	s_or_b64 exec, exec, s[0:1]
.LBB774_143:
	v_mov_b32_e32 v3, s6
	v_cmp_eq_u32_e64 s[0:1], 0, v0
	v_mov_b32_e32 v4, s7
.LBB774_144:
	s_branch .LBB774_206
.LBB774_145:
	s_cmp_gt_i32 s33, 1
	s_cbranch_scc0 .LBB774_153
; %bb.146:
	s_cmp_eq_u32 s33, 2
                                        ; implicit-def: $vgpr1_vgpr2
                                        ; implicit-def: $vgpr3_vgpr4
	s_cbranch_scc0 .LBB774_154
; %bb.147:
	s_mov_b32 s7, 0
	s_lshl_b32 s8, s6, 9
	s_mov_b32 s9, s7
	s_lshr_b64 s[10:11], s[20:21], 9
	s_lshl_b64 s[2:3], s[8:9], 3
	s_add_u32 s0, s24, s2
	s_addc_u32 s1, s25, s3
	s_add_u32 s2, s26, s2
	s_addc_u32 s3, s27, s3
	s_cmp_lg_u64 s[10:11], s[6:7]
	s_cbranch_scc0 .LBB774_155
; %bb.148:
	v_lshlrev_b32_e32 v3, 3, v0
	global_load_dwordx2 v[1:2], v3, s[0:1]
	global_load_dwordx2 v[5:6], v3, s[2:3]
	global_load_dwordx2 v[7:8], v3, s[2:3] offset:2048
	global_load_dwordx2 v[9:10], v3, s[0:1] offset:2048
	s_mov_b32 s9, 0x66666667
	v_mov_b32_e32 v4, 0
	v_mbcnt_lo_u32_b32 v3, -1, 0
	v_mbcnt_hi_u32_b32 v3, -1, v3
	v_mov_b32_dpp v11, v4 quad_perm:[1,0,3,2] row_mask:0xf bank_mask:0xf bound_ctrl:1
	v_lshlrev_b32_e32 v4, 2, v3
	v_or_b32_e32 v12, 0xfc, v4
	s_waitcnt vmcnt(3)
	v_cvt_i32_f64_e32 v1, v[1:2]
	s_waitcnt vmcnt(2)
	v_cvt_i32_f64_e32 v2, v[5:6]
	s_waitcnt vmcnt(1)
	v_cvt_i32_f64_e32 v6, v[7:8]
	s_waitcnt vmcnt(0)
	v_cvt_i32_f64_e32 v5, v[9:10]
	v_mul_hi_i32 v1, v1, s9
	v_mul_hi_i32 v2, v2, s9
	;; [unrolled: 1-line block ×4, first 2 shown]
	v_lshrrev_b32_e32 v7, 31, v1
	v_ashrrev_i32_e32 v1, 2, v1
	v_lshrrev_b32_e32 v8, 31, v2
	v_ashrrev_i32_e32 v2, 2, v2
	;; [unrolled: 2-line block ×4, first 2 shown]
	v_add_u32_e32 v1, v1, v7
	v_add_u32_e32 v2, v2, v8
	;; [unrolled: 1-line block ×4, first 2 shown]
	v_cmp_ne_u32_e32 vcc, v1, v2
	v_cndmask_b32_e64 v1, 0, 1, vcc
	v_cmp_ne_u32_e32 vcc, v5, v6
	v_addc_co_u32_e32 v1, vcc, 0, v1, vcc
	s_nop 1
	v_mov_b32_dpp v2, v1 quad_perm:[1,0,3,2] row_mask:0xf bank_mask:0xf bound_ctrl:1
	v_add_co_u32_e32 v1, vcc, v1, v2
	v_addc_co_u32_e64 v2, s[10:11], 0, 0, vcc
	v_add_co_u32_e32 v5, vcc, 0, v1
	v_addc_co_u32_e32 v2, vcc, v11, v2, vcc
	v_mov_b32_dpp v1, v1 quad_perm:[2,3,0,1] row_mask:0xf bank_mask:0xf bound_ctrl:1
	v_add_co_u32_e32 v1, vcc, v5, v1
	v_mov_b32_dpp v6, v2 quad_perm:[2,3,0,1] row_mask:0xf bank_mask:0xf bound_ctrl:1
	v_addc_co_u32_e32 v2, vcc, 0, v2, vcc
	v_add_co_u32_e32 v5, vcc, 0, v1
	v_addc_co_u32_e32 v2, vcc, v2, v6, vcc
	v_mov_b32_dpp v1, v1 row_ror:4 row_mask:0xf bank_mask:0xf bound_ctrl:1
	v_add_co_u32_e32 v1, vcc, v5, v1
	v_mov_b32_dpp v6, v2 row_ror:4 row_mask:0xf bank_mask:0xf bound_ctrl:1
	v_addc_co_u32_e32 v2, vcc, 0, v2, vcc
	v_add_co_u32_e32 v5, vcc, 0, v1
	v_addc_co_u32_e32 v2, vcc, v2, v6, vcc
	v_mov_b32_dpp v1, v1 row_ror:8 row_mask:0xf bank_mask:0xf bound_ctrl:1
	v_add_co_u32_e32 v1, vcc, v5, v1
	v_mov_b32_dpp v6, v2 row_ror:8 row_mask:0xf bank_mask:0xf bound_ctrl:1
	v_addc_co_u32_e32 v2, vcc, 0, v2, vcc
	v_add_co_u32_e32 v5, vcc, 0, v1
	v_addc_co_u32_e32 v2, vcc, v2, v6, vcc
	v_mov_b32_dpp v1, v1 row_bcast:15 row_mask:0xf bank_mask:0xf bound_ctrl:1
	v_add_co_u32_e32 v1, vcc, v5, v1
	v_mov_b32_dpp v6, v2 row_bcast:15 row_mask:0xf bank_mask:0xf bound_ctrl:1
	v_addc_co_u32_e32 v2, vcc, 0, v2, vcc
	v_add_co_u32_e32 v5, vcc, 0, v1
	v_addc_co_u32_e32 v2, vcc, v2, v6, vcc
	v_mov_b32_dpp v1, v1 row_bcast:31 row_mask:0xf bank_mask:0xf bound_ctrl:1
	v_add_co_u32_e32 v1, vcc, v5, v1
	v_addc_co_u32_e32 v5, vcc, 0, v2, vcc
	ds_bpermute_b32 v1, v12, v1
	s_nop 0
	v_add_u32_dpp v2, v2, v5 row_bcast:31 row_mask:0xf bank_mask:0xf bound_ctrl:1
	ds_bpermute_b32 v2, v12, v2
	v_cmp_eq_u32_e32 vcc, 0, v3
	s_and_saveexec_b64 s[10:11], vcc
	s_cbranch_execz .LBB774_150
; %bb.149:
	v_lshrrev_b32_e32 v5, 3, v0
	v_and_b32_e32 v5, 24, v5
	s_waitcnt lgkmcnt(0)
	ds_write_b64 v5, v[1:2] offset:64
.LBB774_150:
	s_or_b64 exec, exec, s[10:11]
	v_cmp_gt_u32_e32 vcc, 64, v0
	s_waitcnt lgkmcnt(0)
	s_barrier
	s_and_saveexec_b64 s[10:11], vcc
	s_cbranch_execz .LBB774_152
; %bb.151:
	v_and_b32_e32 v5, 3, v3
	v_lshlrev_b32_e32 v1, 3, v5
	ds_read_b64 v[1:2], v1 offset:64
	v_cmp_ne_u32_e32 vcc, 3, v5
	v_addc_co_u32_e32 v3, vcc, 0, v3, vcc
	v_lshlrev_b32_e32 v3, 2, v3
	s_waitcnt lgkmcnt(0)
	ds_bpermute_b32 v5, v3, v1
	ds_bpermute_b32 v3, v3, v2
	v_or_b32_e32 v4, 8, v4
	s_waitcnt lgkmcnt(1)
	v_add_co_u32_e32 v1, vcc, v1, v5
	v_addc_co_u32_e32 v2, vcc, 0, v2, vcc
	ds_bpermute_b32 v5, v4, v1
	v_add_co_u32_e32 v1, vcc, 0, v1
	s_waitcnt lgkmcnt(1)
	v_addc_co_u32_e32 v2, vcc, v3, v2, vcc
	ds_bpermute_b32 v3, v4, v2
	s_waitcnt lgkmcnt(1)
	v_add_co_u32_e32 v1, vcc, v1, v5
	v_addc_co_u32_e32 v2, vcc, 0, v2, vcc
	v_add_co_u32_e32 v1, vcc, 0, v1
	s_waitcnt lgkmcnt(0)
	v_addc_co_u32_e32 v2, vcc, v2, v3, vcc
.LBB774_152:
	s_or_b64 exec, exec, s[10:11]
	s_branch .LBB774_177
.LBB774_153:
                                        ; implicit-def: $vgpr1_vgpr2
                                        ; implicit-def: $vgpr3_vgpr4
	s_cbranch_execnz .LBB774_178
	s_branch .LBB774_206
.LBB774_154:
	s_branch .LBB774_206
.LBB774_155:
                                        ; implicit-def: $vgpr1_vgpr2
	s_cbranch_execz .LBB774_177
; %bb.156:
	s_sub_i32 s10, s20, s8
	v_mov_b32_e32 v1, 0
	v_cmp_gt_u32_e32 vcc, s10, v0
	v_mov_b32_e32 v2, v1
	v_mov_b32_e32 v3, v1
	;; [unrolled: 1-line block ×3, first 2 shown]
	s_and_saveexec_b64 s[8:9], vcc
	s_cbranch_execz .LBB774_158
; %bb.157:
	v_lshlrev_b32_e32 v6, 3, v0
	global_load_dwordx2 v[2:3], v6, s[0:1]
	global_load_dwordx2 v[4:5], v6, s[2:3]
	s_mov_b32 s11, 0x66666667
	s_waitcnt vmcnt(1)
	v_cvt_i32_f64_e32 v2, v[2:3]
	s_waitcnt vmcnt(0)
	v_cvt_i32_f64_e32 v4, v[4:5]
	v_mov_b32_e32 v3, v1
	v_mul_hi_i32 v2, v2, s11
	v_mul_hi_i32 v5, v4, s11
	v_mov_b32_e32 v4, v1
	v_lshrrev_b32_e32 v6, 31, v2
	v_ashrrev_i32_e32 v2, 2, v2
	v_lshrrev_b32_e32 v7, 31, v5
	v_ashrrev_i32_e32 v5, 2, v5
	v_add_u32_e32 v2, v2, v6
	v_add_u32_e32 v5, v5, v7
	v_cmp_ne_u32_e32 vcc, v2, v5
	v_cndmask_b32_e64 v2, 0, 1, vcc
	v_and_b32_e32 v2, 0xffff, v2
	v_mov_b32_e32 v5, v1
	v_mov_b32_e32 v1, v2
	;; [unrolled: 1-line block ×5, first 2 shown]
.LBB774_158:
	s_or_b64 exec, exec, s[8:9]
	v_or_b32_e32 v5, 0x100, v0
	v_cmp_gt_u32_e32 vcc, s10, v5
	s_and_saveexec_b64 s[8:9], vcc
	s_cbranch_execz .LBB774_160
; %bb.159:
	v_lshlrev_b32_e32 v7, 3, v0
	global_load_dwordx2 v[3:4], v7, s[0:1] offset:2048
	global_load_dwordx2 v[5:6], v7, s[2:3] offset:2048
	s_mov_b32 s0, 0x66666667
	s_mov_b32 s2, 0
	s_waitcnt vmcnt(1)
	v_cvt_i32_f64_e32 v3, v[3:4]
	s_waitcnt vmcnt(0)
	v_cvt_i32_f64_e32 v4, v[5:6]
	v_mul_hi_i32 v3, v3, s0
	v_mul_hi_i32 v4, v4, s0
	v_lshrrev_b32_e32 v5, 31, v3
	v_ashrrev_i32_e32 v3, 2, v3
	v_lshrrev_b32_e32 v6, 31, v4
	v_ashrrev_i32_e32 v4, 2, v4
	v_add_u32_e32 v3, v3, v5
	v_add_u32_e32 v4, v4, v6
	v_cmp_ne_u32_e64 s[0:1], v3, v4
	v_cndmask_b32_e64 v3, 0, 1, s[0:1]
	v_mov_b32_e32 v4, s2
.LBB774_160:
	s_or_b64 exec, exec, s[8:9]
	v_cndmask_b32_e32 v3, 0, v3, vcc
	v_cndmask_b32_e32 v4, 0, v4, vcc
	v_add_co_u32_e32 v1, vcc, v3, v1
	v_mbcnt_lo_u32_b32 v3, -1, 0
	v_mbcnt_hi_u32_b32 v3, -1, v3
	v_addc_co_u32_e32 v2, vcc, v4, v2, vcc
	v_and_b32_e32 v4, 63, v3
	v_cmp_ne_u32_e32 vcc, 63, v4
	v_addc_co_u32_e32 v6, vcc, 0, v3, vcc
	v_lshlrev_b32_e32 v6, 2, v6
	ds_bpermute_b32 v8, v6, v1
	ds_bpermute_b32 v7, v6, v2
	s_min_u32 s2, s10, 0x100
	v_and_b32_e32 v5, 0xc0, v0
	v_sub_u32_e64 v5, s2, v5 clamp
	v_add_u32_e32 v6, 1, v4
	v_cmp_lt_u32_e32 vcc, v6, v5
	v_mov_b32_e32 v6, v1
	s_and_saveexec_b64 s[0:1], vcc
	s_cbranch_execz .LBB774_162
; %bb.161:
	s_waitcnt lgkmcnt(1)
	v_add_co_u32_e32 v6, vcc, v1, v8
	v_addc_co_u32_e32 v2, vcc, 0, v2, vcc
	v_add_co_u32_e32 v1, vcc, 0, v6
	s_waitcnt lgkmcnt(0)
	v_addc_co_u32_e32 v2, vcc, v7, v2, vcc
.LBB774_162:
	s_or_b64 exec, exec, s[0:1]
	v_cmp_gt_u32_e32 vcc, 62, v4
	s_waitcnt lgkmcnt(0)
	v_cndmask_b32_e64 v7, 0, 2, vcc
	v_add_lshl_u32 v7, v7, v3, 2
	ds_bpermute_b32 v8, v7, v6
	ds_bpermute_b32 v7, v7, v2
	v_add_u32_e32 v9, 2, v4
	v_cmp_lt_u32_e32 vcc, v9, v5
	s_and_saveexec_b64 s[0:1], vcc
	s_cbranch_execz .LBB774_164
; %bb.163:
	s_waitcnt lgkmcnt(1)
	v_add_co_u32_e32 v6, vcc, v1, v8
	v_addc_co_u32_e32 v2, vcc, 0, v2, vcc
	v_add_co_u32_e32 v1, vcc, 0, v6
	s_waitcnt lgkmcnt(0)
	v_addc_co_u32_e32 v2, vcc, v7, v2, vcc
.LBB774_164:
	s_or_b64 exec, exec, s[0:1]
	v_cmp_gt_u32_e32 vcc, 60, v4
	s_waitcnt lgkmcnt(0)
	v_cndmask_b32_e64 v7, 0, 4, vcc
	v_add_lshl_u32 v7, v7, v3, 2
	ds_bpermute_b32 v8, v7, v6
	ds_bpermute_b32 v7, v7, v2
	v_add_u32_e32 v9, 4, v4
	v_cmp_lt_u32_e32 vcc, v9, v5
	;; [unrolled: 19-line block ×4, first 2 shown]
	s_and_saveexec_b64 s[0:1], vcc
	s_cbranch_execz .LBB774_170
; %bb.169:
	s_waitcnt lgkmcnt(1)
	v_add_co_u32_e32 v6, vcc, v1, v8
	v_addc_co_u32_e32 v2, vcc, 0, v2, vcc
	v_add_co_u32_e32 v1, vcc, 0, v6
	s_waitcnt lgkmcnt(0)
	v_addc_co_u32_e32 v2, vcc, v7, v2, vcc
.LBB774_170:
	s_or_b64 exec, exec, s[0:1]
	s_waitcnt lgkmcnt(0)
	v_lshlrev_b32_e32 v7, 2, v3
	v_or_b32_e32 v8, 0x80, v7
	ds_bpermute_b32 v6, v8, v6
	ds_bpermute_b32 v8, v8, v2
	v_add_u32_e32 v4, 32, v4
	s_waitcnt lgkmcnt(1)
	v_add_co_u32_e32 v6, vcc, v1, v6
	v_addc_co_u32_e32 v9, vcc, 0, v2, vcc
	v_add_co_u32_e32 v6, vcc, 0, v6
	s_waitcnt lgkmcnt(0)
	v_addc_co_u32_e32 v8, vcc, v9, v8, vcc
	v_cmp_lt_u32_e32 vcc, v4, v5
	v_cndmask_b32_e32 v2, v2, v8, vcc
	v_cndmask_b32_e32 v1, v1, v6, vcc
	v_cmp_eq_u32_e32 vcc, 0, v3
	s_and_saveexec_b64 s[0:1], vcc
; %bb.171:
	v_lshrrev_b32_e32 v4, 3, v0
	v_and_b32_e32 v4, 24, v4
	ds_write_b64 v4, v[1:2] offset:160
; %bb.172:
	s_or_b64 exec, exec, s[0:1]
	v_cmp_gt_u32_e32 vcc, 4, v0
	s_waitcnt lgkmcnt(0)
	s_barrier
	s_and_saveexec_b64 s[0:1], vcc
	s_cbranch_execz .LBB774_176
; %bb.173:
	v_lshlrev_b32_e32 v1, 3, v3
	ds_read_b64 v[1:2], v1 offset:160
	v_and_b32_e32 v4, 3, v3
	v_cmp_ne_u32_e32 vcc, 3, v4
	v_addc_co_u32_e32 v3, vcc, 0, v3, vcc
	v_lshlrev_b32_e32 v3, 2, v3
	s_waitcnt lgkmcnt(0)
	ds_bpermute_b32 v6, v3, v1
	ds_bpermute_b32 v5, v3, v2
	s_add_i32 s2, s2, 63
	s_lshr_b32 s8, s2, 6
	v_add_u32_e32 v3, 1, v4
	v_cmp_gt_u32_e32 vcc, s8, v3
	v_mov_b32_e32 v3, v1
	s_and_saveexec_b64 s[2:3], vcc
	s_cbranch_execz .LBB774_175
; %bb.174:
	s_waitcnt lgkmcnt(1)
	v_add_co_u32_e32 v3, vcc, v1, v6
	v_addc_co_u32_e32 v2, vcc, 0, v2, vcc
	v_add_co_u32_e32 v1, vcc, 0, v3
	s_waitcnt lgkmcnt(0)
	v_addc_co_u32_e32 v2, vcc, v5, v2, vcc
.LBB774_175:
	s_or_b64 exec, exec, s[2:3]
	s_waitcnt lgkmcnt(0)
	v_or_b32_e32 v5, 8, v7
	ds_bpermute_b32 v3, v5, v3
	ds_bpermute_b32 v5, v5, v2
	v_add_u32_e32 v4, 2, v4
	s_waitcnt lgkmcnt(1)
	v_add_co_u32_e32 v3, vcc, v1, v3
	v_addc_co_u32_e32 v6, vcc, 0, v2, vcc
	v_add_co_u32_e32 v3, vcc, 0, v3
	s_waitcnt lgkmcnt(0)
	v_addc_co_u32_e32 v5, vcc, v6, v5, vcc
	v_cmp_gt_u32_e32 vcc, s8, v4
	v_cndmask_b32_e32 v2, v2, v5, vcc
	v_cndmask_b32_e32 v1, v1, v3, vcc
.LBB774_176:
	s_or_b64 exec, exec, s[0:1]
.LBB774_177:
	v_mov_b32_e32 v3, s6
	v_cmp_eq_u32_e64 s[0:1], 0, v0
	v_mov_b32_e32 v4, s7
	s_branch .LBB774_206
.LBB774_178:
	s_cmp_eq_u32 s33, 1
                                        ; implicit-def: $vgpr1_vgpr2
                                        ; implicit-def: $vgpr3_vgpr4
	s_cbranch_scc0 .LBB774_206
; %bb.179:
	s_mov_b32 s1, 0
	s_lshl_b32 s0, s6, 8
	s_mov_b32 s7, s1
	s_lshr_b64 s[2:3], s[20:21], 8
	s_cmp_lg_u64 s[2:3], s[6:7]
	v_mbcnt_lo_u32_b32 v3, -1, 0
	s_cbranch_scc0 .LBB774_185
; %bb.180:
	s_lshl_b64 s[2:3], s[0:1], 3
	s_add_u32 s8, s24, s2
	s_addc_u32 s9, s25, s3
	v_lshlrev_b32_e32 v4, 3, v0
	s_add_u32 s2, s26, s2
	global_load_dwordx2 v[1:2], v4, s[8:9]
	s_addc_u32 s3, s27, s3
	global_load_dwordx2 v[5:6], v4, s[2:3]
	s_mov_b32 s2, 0x66666667
	v_mov_b32_e32 v7, 0
	v_mbcnt_hi_u32_b32 v4, -1, v3
	s_waitcnt vmcnt(1)
	v_cvt_i32_f64_e32 v1, v[1:2]
	v_mov_b32_dpp v2, v7 quad_perm:[1,0,3,2] row_mask:0xf bank_mask:0xf bound_ctrl:1
	s_waitcnt vmcnt(0)
	v_cvt_i32_f64_e32 v6, v[5:6]
	v_lshlrev_b32_e32 v5, 2, v4
	v_mul_hi_i32 v1, v1, s2
	v_or_b32_e32 v7, 0xfc, v5
	v_mul_hi_i32 v6, v6, s2
	v_lshrrev_b32_e32 v8, 31, v1
	v_ashrrev_i32_e32 v1, 2, v1
	v_add_u32_e32 v1, v1, v8
	v_lshrrev_b32_e32 v8, 31, v6
	v_ashrrev_i32_e32 v6, 2, v6
	v_add_u32_e32 v6, v6, v8
	v_cmp_ne_u32_e32 vcc, v1, v6
	v_cndmask_b32_e64 v1, 0, 1, vcc
	s_nop 1
	v_mov_b32_dpp v6, v1 quad_perm:[1,0,3,2] row_mask:0xf bank_mask:0xf bound_ctrl:1
	v_add_co_u32_e32 v1, vcc, v1, v6
	v_addc_co_u32_e64 v6, s[2:3], 0, 0, vcc
	v_add_co_u32_e32 v8, vcc, 0, v1
	v_addc_co_u32_e32 v2, vcc, v2, v6, vcc
	v_mov_b32_dpp v1, v1 quad_perm:[2,3,0,1] row_mask:0xf bank_mask:0xf bound_ctrl:1
	v_add_co_u32_e32 v1, vcc, v8, v1
	v_mov_b32_dpp v6, v2 quad_perm:[2,3,0,1] row_mask:0xf bank_mask:0xf bound_ctrl:1
	v_addc_co_u32_e32 v2, vcc, 0, v2, vcc
	v_add_co_u32_e32 v8, vcc, 0, v1
	v_addc_co_u32_e32 v2, vcc, v2, v6, vcc
	v_mov_b32_dpp v1, v1 row_ror:4 row_mask:0xf bank_mask:0xf bound_ctrl:1
	v_add_co_u32_e32 v1, vcc, v8, v1
	v_mov_b32_dpp v6, v2 row_ror:4 row_mask:0xf bank_mask:0xf bound_ctrl:1
	v_addc_co_u32_e32 v2, vcc, 0, v2, vcc
	v_add_co_u32_e32 v8, vcc, 0, v1
	v_addc_co_u32_e32 v2, vcc, v2, v6, vcc
	v_mov_b32_dpp v1, v1 row_ror:8 row_mask:0xf bank_mask:0xf bound_ctrl:1
	v_add_co_u32_e32 v1, vcc, v8, v1
	v_mov_b32_dpp v6, v2 row_ror:8 row_mask:0xf bank_mask:0xf bound_ctrl:1
	v_addc_co_u32_e32 v2, vcc, 0, v2, vcc
	v_add_co_u32_e32 v8, vcc, 0, v1
	v_addc_co_u32_e32 v2, vcc, v2, v6, vcc
	v_mov_b32_dpp v1, v1 row_bcast:15 row_mask:0xf bank_mask:0xf bound_ctrl:1
	v_add_co_u32_e32 v1, vcc, v8, v1
	v_mov_b32_dpp v6, v2 row_bcast:15 row_mask:0xf bank_mask:0xf bound_ctrl:1
	v_addc_co_u32_e32 v2, vcc, 0, v2, vcc
	v_add_co_u32_e32 v8, vcc, 0, v1
	v_addc_co_u32_e32 v2, vcc, v2, v6, vcc
	v_mov_b32_dpp v1, v1 row_bcast:31 row_mask:0xf bank_mask:0xf bound_ctrl:1
	v_add_co_u32_e32 v1, vcc, v8, v1
	v_addc_co_u32_e32 v6, vcc, 0, v2, vcc
	ds_bpermute_b32 v1, v7, v1
	s_nop 0
	v_add_u32_dpp v2, v2, v6 row_bcast:31 row_mask:0xf bank_mask:0xf bound_ctrl:1
	ds_bpermute_b32 v2, v7, v2
	v_cmp_eq_u32_e32 vcc, 0, v4
	s_and_saveexec_b64 s[2:3], vcc
	s_cbranch_execz .LBB774_182
; %bb.181:
	v_lshrrev_b32_e32 v6, 3, v0
	v_and_b32_e32 v6, 24, v6
	s_waitcnt lgkmcnt(0)
	ds_write_b64 v6, v[1:2] offset:32
.LBB774_182:
	s_or_b64 exec, exec, s[2:3]
	v_cmp_gt_u32_e32 vcc, 64, v0
	s_waitcnt lgkmcnt(0)
	s_barrier
	s_and_saveexec_b64 s[2:3], vcc
	s_cbranch_execz .LBB774_184
; %bb.183:
	v_and_b32_e32 v6, 3, v4
	v_lshlrev_b32_e32 v1, 3, v6
	ds_read_b64 v[1:2], v1 offset:32
	v_cmp_ne_u32_e32 vcc, 3, v6
	v_addc_co_u32_e32 v4, vcc, 0, v4, vcc
	v_lshlrev_b32_e32 v4, 2, v4
	s_waitcnt lgkmcnt(0)
	ds_bpermute_b32 v6, v4, v1
	ds_bpermute_b32 v4, v4, v2
	v_or_b32_e32 v5, 8, v5
	s_waitcnt lgkmcnt(1)
	v_add_co_u32_e32 v1, vcc, v1, v6
	v_addc_co_u32_e32 v2, vcc, 0, v2, vcc
	ds_bpermute_b32 v6, v5, v1
	v_add_co_u32_e32 v1, vcc, 0, v1
	s_waitcnt lgkmcnt(1)
	v_addc_co_u32_e32 v2, vcc, v4, v2, vcc
	ds_bpermute_b32 v4, v5, v2
	s_waitcnt lgkmcnt(1)
	v_add_co_u32_e32 v1, vcc, v1, v6
	v_addc_co_u32_e32 v2, vcc, 0, v2, vcc
	v_add_co_u32_e32 v1, vcc, 0, v1
	s_waitcnt lgkmcnt(0)
	v_addc_co_u32_e32 v2, vcc, v2, v4, vcc
.LBB774_184:
	s_or_b64 exec, exec, s[2:3]
	s_branch .LBB774_205
.LBB774_185:
                                        ; implicit-def: $vgpr1_vgpr2
	s_cbranch_execz .LBB774_205
; %bb.186:
	s_sub_i32 s8, s20, s0
	v_cmp_gt_u32_e32 vcc, s8, v0
                                        ; implicit-def: $vgpr1_vgpr2
	s_and_saveexec_b64 s[2:3], vcc
	s_cbranch_execz .LBB774_188
; %bb.187:
	s_lshl_b64 s[0:1], s[0:1], 3
	s_add_u32 s10, s26, s0
	s_addc_u32 s11, s27, s1
	s_add_u32 s0, s24, s0
	s_addc_u32 s1, s25, s1
	v_lshlrev_b32_e32 v6, 3, v0
	global_load_dwordx2 v[1:2], v6, s[0:1]
	global_load_dwordx2 v[4:5], v6, s[10:11]
	s_mov_b32 s0, 0x66666667
	s_waitcnt vmcnt(1)
	v_cvt_i32_f64_e32 v1, v[1:2]
	s_waitcnt vmcnt(0)
	v_cvt_i32_f64_e32 v2, v[4:5]
	v_mul_hi_i32 v1, v1, s0
	v_mul_hi_i32 v2, v2, s0
	s_mov_b32 s0, 0
	v_lshrrev_b32_e32 v4, 31, v1
	v_ashrrev_i32_e32 v1, 2, v1
	v_lshrrev_b32_e32 v5, 31, v2
	v_ashrrev_i32_e32 v2, 2, v2
	v_add_u32_e32 v1, v1, v4
	v_add_u32_e32 v2, v2, v5
	v_cmp_ne_u32_e32 vcc, v1, v2
	v_cndmask_b32_e64 v1, 0, 1, vcc
	v_mov_b32_e32 v2, s0
.LBB774_188:
	s_or_b64 exec, exec, s[2:3]
	v_mbcnt_hi_u32_b32 v3, -1, v3
	v_and_b32_e32 v4, 63, v3
	v_cmp_ne_u32_e32 vcc, 63, v4
	v_addc_co_u32_e32 v6, vcc, 0, v3, vcc
	v_lshlrev_b32_e32 v6, 2, v6
	ds_bpermute_b32 v8, v6, v1
	ds_bpermute_b32 v7, v6, v2
	s_min_u32 s2, s8, 0x100
	v_and_b32_e32 v5, 0xc0, v0
	v_sub_u32_e64 v5, s2, v5 clamp
	v_add_u32_e32 v6, 1, v4
	v_cmp_lt_u32_e32 vcc, v6, v5
	v_mov_b32_e32 v6, v1
	s_and_saveexec_b64 s[0:1], vcc
	s_cbranch_execz .LBB774_190
; %bb.189:
	s_waitcnt lgkmcnt(1)
	v_add_co_u32_e32 v6, vcc, v1, v8
	v_addc_co_u32_e32 v2, vcc, 0, v2, vcc
	v_add_co_u32_e32 v1, vcc, 0, v6
	s_waitcnt lgkmcnt(0)
	v_addc_co_u32_e32 v2, vcc, v7, v2, vcc
.LBB774_190:
	s_or_b64 exec, exec, s[0:1]
	v_cmp_gt_u32_e32 vcc, 62, v4
	s_waitcnt lgkmcnt(0)
	v_cndmask_b32_e64 v7, 0, 2, vcc
	v_add_lshl_u32 v7, v7, v3, 2
	ds_bpermute_b32 v8, v7, v6
	ds_bpermute_b32 v7, v7, v2
	v_add_u32_e32 v9, 2, v4
	v_cmp_lt_u32_e32 vcc, v9, v5
	s_and_saveexec_b64 s[0:1], vcc
	s_cbranch_execz .LBB774_192
; %bb.191:
	s_waitcnt lgkmcnt(1)
	v_add_co_u32_e32 v6, vcc, v1, v8
	v_addc_co_u32_e32 v2, vcc, 0, v2, vcc
	v_add_co_u32_e32 v1, vcc, 0, v6
	s_waitcnt lgkmcnt(0)
	v_addc_co_u32_e32 v2, vcc, v7, v2, vcc
.LBB774_192:
	s_or_b64 exec, exec, s[0:1]
	v_cmp_gt_u32_e32 vcc, 60, v4
	s_waitcnt lgkmcnt(0)
	v_cndmask_b32_e64 v7, 0, 4, vcc
	v_add_lshl_u32 v7, v7, v3, 2
	ds_bpermute_b32 v8, v7, v6
	ds_bpermute_b32 v7, v7, v2
	v_add_u32_e32 v9, 4, v4
	v_cmp_lt_u32_e32 vcc, v9, v5
	;; [unrolled: 19-line block ×4, first 2 shown]
	s_and_saveexec_b64 s[0:1], vcc
	s_cbranch_execz .LBB774_198
; %bb.197:
	s_waitcnt lgkmcnt(1)
	v_add_co_u32_e32 v6, vcc, v1, v8
	v_addc_co_u32_e32 v2, vcc, 0, v2, vcc
	v_add_co_u32_e32 v1, vcc, 0, v6
	s_waitcnt lgkmcnt(0)
	v_addc_co_u32_e32 v2, vcc, v7, v2, vcc
.LBB774_198:
	s_or_b64 exec, exec, s[0:1]
	s_waitcnt lgkmcnt(0)
	v_lshlrev_b32_e32 v7, 2, v3
	v_or_b32_e32 v8, 0x80, v7
	ds_bpermute_b32 v6, v8, v6
	ds_bpermute_b32 v8, v8, v2
	v_add_u32_e32 v4, 32, v4
	s_waitcnt lgkmcnt(1)
	v_add_co_u32_e32 v6, vcc, v1, v6
	v_addc_co_u32_e32 v9, vcc, 0, v2, vcc
	v_add_co_u32_e32 v6, vcc, 0, v6
	s_waitcnt lgkmcnt(0)
	v_addc_co_u32_e32 v8, vcc, v9, v8, vcc
	v_cmp_lt_u32_e32 vcc, v4, v5
	v_cndmask_b32_e32 v2, v2, v8, vcc
	v_cndmask_b32_e32 v1, v1, v6, vcc
	v_cmp_eq_u32_e32 vcc, 0, v3
	s_and_saveexec_b64 s[0:1], vcc
; %bb.199:
	v_lshrrev_b32_e32 v4, 3, v0
	v_and_b32_e32 v4, 24, v4
	ds_write_b64 v4, v[1:2] offset:160
; %bb.200:
	s_or_b64 exec, exec, s[0:1]
	v_cmp_gt_u32_e32 vcc, 4, v0
	s_waitcnt lgkmcnt(0)
	s_barrier
	s_and_saveexec_b64 s[0:1], vcc
	s_cbranch_execz .LBB774_204
; %bb.201:
	v_lshlrev_b32_e32 v1, 3, v3
	ds_read_b64 v[1:2], v1 offset:160
	v_and_b32_e32 v4, 3, v3
	v_cmp_ne_u32_e32 vcc, 3, v4
	v_addc_co_u32_e32 v3, vcc, 0, v3, vcc
	v_lshlrev_b32_e32 v3, 2, v3
	s_waitcnt lgkmcnt(0)
	ds_bpermute_b32 v6, v3, v1
	ds_bpermute_b32 v5, v3, v2
	s_add_i32 s2, s2, 63
	s_lshr_b32 s8, s2, 6
	v_add_u32_e32 v3, 1, v4
	v_cmp_gt_u32_e32 vcc, s8, v3
	v_mov_b32_e32 v3, v1
	s_and_saveexec_b64 s[2:3], vcc
	s_cbranch_execz .LBB774_203
; %bb.202:
	s_waitcnt lgkmcnt(1)
	v_add_co_u32_e32 v3, vcc, v1, v6
	v_addc_co_u32_e32 v2, vcc, 0, v2, vcc
	v_add_co_u32_e32 v1, vcc, 0, v3
	s_waitcnt lgkmcnt(0)
	v_addc_co_u32_e32 v2, vcc, v5, v2, vcc
.LBB774_203:
	s_or_b64 exec, exec, s[2:3]
	s_waitcnt lgkmcnt(0)
	v_or_b32_e32 v5, 8, v7
	ds_bpermute_b32 v3, v5, v3
	ds_bpermute_b32 v5, v5, v2
	v_add_u32_e32 v4, 2, v4
	s_waitcnt lgkmcnt(1)
	v_add_co_u32_e32 v3, vcc, v1, v3
	v_addc_co_u32_e32 v6, vcc, 0, v2, vcc
	v_add_co_u32_e32 v3, vcc, 0, v3
	s_waitcnt lgkmcnt(0)
	v_addc_co_u32_e32 v5, vcc, v6, v5, vcc
	v_cmp_gt_u32_e32 vcc, s8, v4
	v_cndmask_b32_e32 v2, v2, v5, vcc
	v_cndmask_b32_e32 v1, v1, v3, vcc
.LBB774_204:
	s_or_b64 exec, exec, s[0:1]
.LBB774_205:
	v_mov_b32_e32 v3, s6
	v_cmp_eq_u32_e64 s[0:1], 0, v0
	v_mov_b32_e32 v4, s7
.LBB774_206:
	s_and_saveexec_b64 s[2:3], s[0:1]
	s_cbranch_execz .LBB774_208
; %bb.207:
	v_lshlrev_b64 v[3:4], 3, v[3:4]
	s_load_dwordx2 s[0:1], s[4:5], 0x30
	v_mov_b32_e32 v0, s23
	v_add_co_u32_e32 v3, vcc, s22, v3
	v_addc_co_u32_e32 v4, vcc, v0, v4, vcc
	s_cmp_lg_u64 s[20:21], 0
	s_cselect_b64 vcc, -1, 0
	v_cndmask_b32_e32 v0, 0, v1, vcc
	v_cndmask_b32_e32 v2, 0, v2, vcc
	s_waitcnt lgkmcnt(0)
	v_mov_b32_e32 v1, s1
	v_add_co_u32_e32 v0, vcc, s0, v0
	v_addc_co_u32_e32 v1, vcc, v2, v1, vcc
	global_store_dwordx2 v[3:4], v[0:1], off
.LBB774_208:
	s_endpgm
	.section	.rodata,"a",@progbits
	.p2align	6, 0x0
	.amdhsa_kernel _ZN7rocprim17ROCPRIM_400000_NS6detail17trampoline_kernelINS0_14default_configENS1_22reduce_config_selectorIlEEZNS1_11reduce_implILb1ES3_N6thrust23THRUST_200600_302600_NS11hip_rocprim26transform_input_iterator_tIlNS8_12zip_iteratorINS8_5tupleINS8_6detail15normal_iteratorINS8_10device_ptrIdEEEESH_NS8_9null_typeESI_SI_SI_SI_SI_SI_SI_EEEENS9_21zip_adj_not_predicateI22is_equal_div_10_uniqueIdEEEEEPllNS8_4plusIlEEEE10hipError_tPvRmT1_T2_T3_mT4_P12ihipStream_tbEUlT_E1_NS1_11comp_targetILNS1_3genE2ELNS1_11target_archE906ELNS1_3gpuE6ELNS1_3repE0EEENS1_30default_config_static_selectorELNS0_4arch9wavefront6targetE1EEEvSW_
		.amdhsa_group_segment_fixed_size 192
		.amdhsa_private_segment_fixed_size 0
		.amdhsa_kernarg_size 64
		.amdhsa_user_sgpr_count 6
		.amdhsa_user_sgpr_private_segment_buffer 1
		.amdhsa_user_sgpr_dispatch_ptr 0
		.amdhsa_user_sgpr_queue_ptr 0
		.amdhsa_user_sgpr_kernarg_segment_ptr 1
		.amdhsa_user_sgpr_dispatch_id 0
		.amdhsa_user_sgpr_flat_scratch_init 0
		.amdhsa_user_sgpr_private_segment_size 0
		.amdhsa_uses_dynamic_stack 0
		.amdhsa_system_sgpr_private_segment_wavefront_offset 0
		.amdhsa_system_sgpr_workgroup_id_x 1
		.amdhsa_system_sgpr_workgroup_id_y 0
		.amdhsa_system_sgpr_workgroup_id_z 0
		.amdhsa_system_sgpr_workgroup_info 0
		.amdhsa_system_vgpr_workitem_id 0
		.amdhsa_next_free_vgpr 40
		.amdhsa_next_free_sgpr 35
		.amdhsa_reserve_vcc 1
		.amdhsa_reserve_flat_scratch 0
		.amdhsa_float_round_mode_32 0
		.amdhsa_float_round_mode_16_64 0
		.amdhsa_float_denorm_mode_32 3
		.amdhsa_float_denorm_mode_16_64 3
		.amdhsa_dx10_clamp 1
		.amdhsa_ieee_mode 1
		.amdhsa_fp16_overflow 0
		.amdhsa_exception_fp_ieee_invalid_op 0
		.amdhsa_exception_fp_denorm_src 0
		.amdhsa_exception_fp_ieee_div_zero 0
		.amdhsa_exception_fp_ieee_overflow 0
		.amdhsa_exception_fp_ieee_underflow 0
		.amdhsa_exception_fp_ieee_inexact 0
		.amdhsa_exception_int_div_zero 0
	.end_amdhsa_kernel
	.section	.text._ZN7rocprim17ROCPRIM_400000_NS6detail17trampoline_kernelINS0_14default_configENS1_22reduce_config_selectorIlEEZNS1_11reduce_implILb1ES3_N6thrust23THRUST_200600_302600_NS11hip_rocprim26transform_input_iterator_tIlNS8_12zip_iteratorINS8_5tupleINS8_6detail15normal_iteratorINS8_10device_ptrIdEEEESH_NS8_9null_typeESI_SI_SI_SI_SI_SI_SI_EEEENS9_21zip_adj_not_predicateI22is_equal_div_10_uniqueIdEEEEEPllNS8_4plusIlEEEE10hipError_tPvRmT1_T2_T3_mT4_P12ihipStream_tbEUlT_E1_NS1_11comp_targetILNS1_3genE2ELNS1_11target_archE906ELNS1_3gpuE6ELNS1_3repE0EEENS1_30default_config_static_selectorELNS0_4arch9wavefront6targetE1EEEvSW_,"axG",@progbits,_ZN7rocprim17ROCPRIM_400000_NS6detail17trampoline_kernelINS0_14default_configENS1_22reduce_config_selectorIlEEZNS1_11reduce_implILb1ES3_N6thrust23THRUST_200600_302600_NS11hip_rocprim26transform_input_iterator_tIlNS8_12zip_iteratorINS8_5tupleINS8_6detail15normal_iteratorINS8_10device_ptrIdEEEESH_NS8_9null_typeESI_SI_SI_SI_SI_SI_SI_EEEENS9_21zip_adj_not_predicateI22is_equal_div_10_uniqueIdEEEEEPllNS8_4plusIlEEEE10hipError_tPvRmT1_T2_T3_mT4_P12ihipStream_tbEUlT_E1_NS1_11comp_targetILNS1_3genE2ELNS1_11target_archE906ELNS1_3gpuE6ELNS1_3repE0EEENS1_30default_config_static_selectorELNS0_4arch9wavefront6targetE1EEEvSW_,comdat
.Lfunc_end774:
	.size	_ZN7rocprim17ROCPRIM_400000_NS6detail17trampoline_kernelINS0_14default_configENS1_22reduce_config_selectorIlEEZNS1_11reduce_implILb1ES3_N6thrust23THRUST_200600_302600_NS11hip_rocprim26transform_input_iterator_tIlNS8_12zip_iteratorINS8_5tupleINS8_6detail15normal_iteratorINS8_10device_ptrIdEEEESH_NS8_9null_typeESI_SI_SI_SI_SI_SI_SI_EEEENS9_21zip_adj_not_predicateI22is_equal_div_10_uniqueIdEEEEEPllNS8_4plusIlEEEE10hipError_tPvRmT1_T2_T3_mT4_P12ihipStream_tbEUlT_E1_NS1_11comp_targetILNS1_3genE2ELNS1_11target_archE906ELNS1_3gpuE6ELNS1_3repE0EEENS1_30default_config_static_selectorELNS0_4arch9wavefront6targetE1EEEvSW_, .Lfunc_end774-_ZN7rocprim17ROCPRIM_400000_NS6detail17trampoline_kernelINS0_14default_configENS1_22reduce_config_selectorIlEEZNS1_11reduce_implILb1ES3_N6thrust23THRUST_200600_302600_NS11hip_rocprim26transform_input_iterator_tIlNS8_12zip_iteratorINS8_5tupleINS8_6detail15normal_iteratorINS8_10device_ptrIdEEEESH_NS8_9null_typeESI_SI_SI_SI_SI_SI_SI_EEEENS9_21zip_adj_not_predicateI22is_equal_div_10_uniqueIdEEEEEPllNS8_4plusIlEEEE10hipError_tPvRmT1_T2_T3_mT4_P12ihipStream_tbEUlT_E1_NS1_11comp_targetILNS1_3genE2ELNS1_11target_archE906ELNS1_3gpuE6ELNS1_3repE0EEENS1_30default_config_static_selectorELNS0_4arch9wavefront6targetE1EEEvSW_
                                        ; -- End function
	.set _ZN7rocprim17ROCPRIM_400000_NS6detail17trampoline_kernelINS0_14default_configENS1_22reduce_config_selectorIlEEZNS1_11reduce_implILb1ES3_N6thrust23THRUST_200600_302600_NS11hip_rocprim26transform_input_iterator_tIlNS8_12zip_iteratorINS8_5tupleINS8_6detail15normal_iteratorINS8_10device_ptrIdEEEESH_NS8_9null_typeESI_SI_SI_SI_SI_SI_SI_EEEENS9_21zip_adj_not_predicateI22is_equal_div_10_uniqueIdEEEEEPllNS8_4plusIlEEEE10hipError_tPvRmT1_T2_T3_mT4_P12ihipStream_tbEUlT_E1_NS1_11comp_targetILNS1_3genE2ELNS1_11target_archE906ELNS1_3gpuE6ELNS1_3repE0EEENS1_30default_config_static_selectorELNS0_4arch9wavefront6targetE1EEEvSW_.num_vgpr, 40
	.set _ZN7rocprim17ROCPRIM_400000_NS6detail17trampoline_kernelINS0_14default_configENS1_22reduce_config_selectorIlEEZNS1_11reduce_implILb1ES3_N6thrust23THRUST_200600_302600_NS11hip_rocprim26transform_input_iterator_tIlNS8_12zip_iteratorINS8_5tupleINS8_6detail15normal_iteratorINS8_10device_ptrIdEEEESH_NS8_9null_typeESI_SI_SI_SI_SI_SI_SI_EEEENS9_21zip_adj_not_predicateI22is_equal_div_10_uniqueIdEEEEEPllNS8_4plusIlEEEE10hipError_tPvRmT1_T2_T3_mT4_P12ihipStream_tbEUlT_E1_NS1_11comp_targetILNS1_3genE2ELNS1_11target_archE906ELNS1_3gpuE6ELNS1_3repE0EEENS1_30default_config_static_selectorELNS0_4arch9wavefront6targetE1EEEvSW_.num_agpr, 0
	.set _ZN7rocprim17ROCPRIM_400000_NS6detail17trampoline_kernelINS0_14default_configENS1_22reduce_config_selectorIlEEZNS1_11reduce_implILb1ES3_N6thrust23THRUST_200600_302600_NS11hip_rocprim26transform_input_iterator_tIlNS8_12zip_iteratorINS8_5tupleINS8_6detail15normal_iteratorINS8_10device_ptrIdEEEESH_NS8_9null_typeESI_SI_SI_SI_SI_SI_SI_EEEENS9_21zip_adj_not_predicateI22is_equal_div_10_uniqueIdEEEEEPllNS8_4plusIlEEEE10hipError_tPvRmT1_T2_T3_mT4_P12ihipStream_tbEUlT_E1_NS1_11comp_targetILNS1_3genE2ELNS1_11target_archE906ELNS1_3gpuE6ELNS1_3repE0EEENS1_30default_config_static_selectorELNS0_4arch9wavefront6targetE1EEEvSW_.numbered_sgpr, 35
	.set _ZN7rocprim17ROCPRIM_400000_NS6detail17trampoline_kernelINS0_14default_configENS1_22reduce_config_selectorIlEEZNS1_11reduce_implILb1ES3_N6thrust23THRUST_200600_302600_NS11hip_rocprim26transform_input_iterator_tIlNS8_12zip_iteratorINS8_5tupleINS8_6detail15normal_iteratorINS8_10device_ptrIdEEEESH_NS8_9null_typeESI_SI_SI_SI_SI_SI_SI_EEEENS9_21zip_adj_not_predicateI22is_equal_div_10_uniqueIdEEEEEPllNS8_4plusIlEEEE10hipError_tPvRmT1_T2_T3_mT4_P12ihipStream_tbEUlT_E1_NS1_11comp_targetILNS1_3genE2ELNS1_11target_archE906ELNS1_3gpuE6ELNS1_3repE0EEENS1_30default_config_static_selectorELNS0_4arch9wavefront6targetE1EEEvSW_.num_named_barrier, 0
	.set _ZN7rocprim17ROCPRIM_400000_NS6detail17trampoline_kernelINS0_14default_configENS1_22reduce_config_selectorIlEEZNS1_11reduce_implILb1ES3_N6thrust23THRUST_200600_302600_NS11hip_rocprim26transform_input_iterator_tIlNS8_12zip_iteratorINS8_5tupleINS8_6detail15normal_iteratorINS8_10device_ptrIdEEEESH_NS8_9null_typeESI_SI_SI_SI_SI_SI_SI_EEEENS9_21zip_adj_not_predicateI22is_equal_div_10_uniqueIdEEEEEPllNS8_4plusIlEEEE10hipError_tPvRmT1_T2_T3_mT4_P12ihipStream_tbEUlT_E1_NS1_11comp_targetILNS1_3genE2ELNS1_11target_archE906ELNS1_3gpuE6ELNS1_3repE0EEENS1_30default_config_static_selectorELNS0_4arch9wavefront6targetE1EEEvSW_.private_seg_size, 0
	.set _ZN7rocprim17ROCPRIM_400000_NS6detail17trampoline_kernelINS0_14default_configENS1_22reduce_config_selectorIlEEZNS1_11reduce_implILb1ES3_N6thrust23THRUST_200600_302600_NS11hip_rocprim26transform_input_iterator_tIlNS8_12zip_iteratorINS8_5tupleINS8_6detail15normal_iteratorINS8_10device_ptrIdEEEESH_NS8_9null_typeESI_SI_SI_SI_SI_SI_SI_EEEENS9_21zip_adj_not_predicateI22is_equal_div_10_uniqueIdEEEEEPllNS8_4plusIlEEEE10hipError_tPvRmT1_T2_T3_mT4_P12ihipStream_tbEUlT_E1_NS1_11comp_targetILNS1_3genE2ELNS1_11target_archE906ELNS1_3gpuE6ELNS1_3repE0EEENS1_30default_config_static_selectorELNS0_4arch9wavefront6targetE1EEEvSW_.uses_vcc, 1
	.set _ZN7rocprim17ROCPRIM_400000_NS6detail17trampoline_kernelINS0_14default_configENS1_22reduce_config_selectorIlEEZNS1_11reduce_implILb1ES3_N6thrust23THRUST_200600_302600_NS11hip_rocprim26transform_input_iterator_tIlNS8_12zip_iteratorINS8_5tupleINS8_6detail15normal_iteratorINS8_10device_ptrIdEEEESH_NS8_9null_typeESI_SI_SI_SI_SI_SI_SI_EEEENS9_21zip_adj_not_predicateI22is_equal_div_10_uniqueIdEEEEEPllNS8_4plusIlEEEE10hipError_tPvRmT1_T2_T3_mT4_P12ihipStream_tbEUlT_E1_NS1_11comp_targetILNS1_3genE2ELNS1_11target_archE906ELNS1_3gpuE6ELNS1_3repE0EEENS1_30default_config_static_selectorELNS0_4arch9wavefront6targetE1EEEvSW_.uses_flat_scratch, 0
	.set _ZN7rocprim17ROCPRIM_400000_NS6detail17trampoline_kernelINS0_14default_configENS1_22reduce_config_selectorIlEEZNS1_11reduce_implILb1ES3_N6thrust23THRUST_200600_302600_NS11hip_rocprim26transform_input_iterator_tIlNS8_12zip_iteratorINS8_5tupleINS8_6detail15normal_iteratorINS8_10device_ptrIdEEEESH_NS8_9null_typeESI_SI_SI_SI_SI_SI_SI_EEEENS9_21zip_adj_not_predicateI22is_equal_div_10_uniqueIdEEEEEPllNS8_4plusIlEEEE10hipError_tPvRmT1_T2_T3_mT4_P12ihipStream_tbEUlT_E1_NS1_11comp_targetILNS1_3genE2ELNS1_11target_archE906ELNS1_3gpuE6ELNS1_3repE0EEENS1_30default_config_static_selectorELNS0_4arch9wavefront6targetE1EEEvSW_.has_dyn_sized_stack, 0
	.set _ZN7rocprim17ROCPRIM_400000_NS6detail17trampoline_kernelINS0_14default_configENS1_22reduce_config_selectorIlEEZNS1_11reduce_implILb1ES3_N6thrust23THRUST_200600_302600_NS11hip_rocprim26transform_input_iterator_tIlNS8_12zip_iteratorINS8_5tupleINS8_6detail15normal_iteratorINS8_10device_ptrIdEEEESH_NS8_9null_typeESI_SI_SI_SI_SI_SI_SI_EEEENS9_21zip_adj_not_predicateI22is_equal_div_10_uniqueIdEEEEEPllNS8_4plusIlEEEE10hipError_tPvRmT1_T2_T3_mT4_P12ihipStream_tbEUlT_E1_NS1_11comp_targetILNS1_3genE2ELNS1_11target_archE906ELNS1_3gpuE6ELNS1_3repE0EEENS1_30default_config_static_selectorELNS0_4arch9wavefront6targetE1EEEvSW_.has_recursion, 0
	.set _ZN7rocprim17ROCPRIM_400000_NS6detail17trampoline_kernelINS0_14default_configENS1_22reduce_config_selectorIlEEZNS1_11reduce_implILb1ES3_N6thrust23THRUST_200600_302600_NS11hip_rocprim26transform_input_iterator_tIlNS8_12zip_iteratorINS8_5tupleINS8_6detail15normal_iteratorINS8_10device_ptrIdEEEESH_NS8_9null_typeESI_SI_SI_SI_SI_SI_SI_EEEENS9_21zip_adj_not_predicateI22is_equal_div_10_uniqueIdEEEEEPllNS8_4plusIlEEEE10hipError_tPvRmT1_T2_T3_mT4_P12ihipStream_tbEUlT_E1_NS1_11comp_targetILNS1_3genE2ELNS1_11target_archE906ELNS1_3gpuE6ELNS1_3repE0EEENS1_30default_config_static_selectorELNS0_4arch9wavefront6targetE1EEEvSW_.has_indirect_call, 0
	.section	.AMDGPU.csdata,"",@progbits
; Kernel info:
; codeLenInByte = 14408
; TotalNumSgprs: 39
; NumVgprs: 40
; ScratchSize: 0
; MemoryBound: 0
; FloatMode: 240
; IeeeMode: 1
; LDSByteSize: 192 bytes/workgroup (compile time only)
; SGPRBlocks: 4
; VGPRBlocks: 9
; NumSGPRsForWavesPerEU: 39
; NumVGPRsForWavesPerEU: 40
; Occupancy: 6
; WaveLimiterHint : 0
; COMPUTE_PGM_RSRC2:SCRATCH_EN: 0
; COMPUTE_PGM_RSRC2:USER_SGPR: 6
; COMPUTE_PGM_RSRC2:TRAP_HANDLER: 0
; COMPUTE_PGM_RSRC2:TGID_X_EN: 1
; COMPUTE_PGM_RSRC2:TGID_Y_EN: 0
; COMPUTE_PGM_RSRC2:TGID_Z_EN: 0
; COMPUTE_PGM_RSRC2:TIDIG_COMP_CNT: 0
	.section	.text._ZN7rocprim17ROCPRIM_400000_NS6detail17trampoline_kernelINS0_14default_configENS1_22reduce_config_selectorIlEEZNS1_11reduce_implILb1ES3_N6thrust23THRUST_200600_302600_NS11hip_rocprim26transform_input_iterator_tIlNS8_12zip_iteratorINS8_5tupleINS8_6detail15normal_iteratorINS8_10device_ptrIdEEEESH_NS8_9null_typeESI_SI_SI_SI_SI_SI_SI_EEEENS9_21zip_adj_not_predicateI22is_equal_div_10_uniqueIdEEEEEPllNS8_4plusIlEEEE10hipError_tPvRmT1_T2_T3_mT4_P12ihipStream_tbEUlT_E1_NS1_11comp_targetILNS1_3genE10ELNS1_11target_archE1201ELNS1_3gpuE5ELNS1_3repE0EEENS1_30default_config_static_selectorELNS0_4arch9wavefront6targetE1EEEvSW_,"axG",@progbits,_ZN7rocprim17ROCPRIM_400000_NS6detail17trampoline_kernelINS0_14default_configENS1_22reduce_config_selectorIlEEZNS1_11reduce_implILb1ES3_N6thrust23THRUST_200600_302600_NS11hip_rocprim26transform_input_iterator_tIlNS8_12zip_iteratorINS8_5tupleINS8_6detail15normal_iteratorINS8_10device_ptrIdEEEESH_NS8_9null_typeESI_SI_SI_SI_SI_SI_SI_EEEENS9_21zip_adj_not_predicateI22is_equal_div_10_uniqueIdEEEEEPllNS8_4plusIlEEEE10hipError_tPvRmT1_T2_T3_mT4_P12ihipStream_tbEUlT_E1_NS1_11comp_targetILNS1_3genE10ELNS1_11target_archE1201ELNS1_3gpuE5ELNS1_3repE0EEENS1_30default_config_static_selectorELNS0_4arch9wavefront6targetE1EEEvSW_,comdat
	.protected	_ZN7rocprim17ROCPRIM_400000_NS6detail17trampoline_kernelINS0_14default_configENS1_22reduce_config_selectorIlEEZNS1_11reduce_implILb1ES3_N6thrust23THRUST_200600_302600_NS11hip_rocprim26transform_input_iterator_tIlNS8_12zip_iteratorINS8_5tupleINS8_6detail15normal_iteratorINS8_10device_ptrIdEEEESH_NS8_9null_typeESI_SI_SI_SI_SI_SI_SI_EEEENS9_21zip_adj_not_predicateI22is_equal_div_10_uniqueIdEEEEEPllNS8_4plusIlEEEE10hipError_tPvRmT1_T2_T3_mT4_P12ihipStream_tbEUlT_E1_NS1_11comp_targetILNS1_3genE10ELNS1_11target_archE1201ELNS1_3gpuE5ELNS1_3repE0EEENS1_30default_config_static_selectorELNS0_4arch9wavefront6targetE1EEEvSW_ ; -- Begin function _ZN7rocprim17ROCPRIM_400000_NS6detail17trampoline_kernelINS0_14default_configENS1_22reduce_config_selectorIlEEZNS1_11reduce_implILb1ES3_N6thrust23THRUST_200600_302600_NS11hip_rocprim26transform_input_iterator_tIlNS8_12zip_iteratorINS8_5tupleINS8_6detail15normal_iteratorINS8_10device_ptrIdEEEESH_NS8_9null_typeESI_SI_SI_SI_SI_SI_SI_EEEENS9_21zip_adj_not_predicateI22is_equal_div_10_uniqueIdEEEEEPllNS8_4plusIlEEEE10hipError_tPvRmT1_T2_T3_mT4_P12ihipStream_tbEUlT_E1_NS1_11comp_targetILNS1_3genE10ELNS1_11target_archE1201ELNS1_3gpuE5ELNS1_3repE0EEENS1_30default_config_static_selectorELNS0_4arch9wavefront6targetE1EEEvSW_
	.globl	_ZN7rocprim17ROCPRIM_400000_NS6detail17trampoline_kernelINS0_14default_configENS1_22reduce_config_selectorIlEEZNS1_11reduce_implILb1ES3_N6thrust23THRUST_200600_302600_NS11hip_rocprim26transform_input_iterator_tIlNS8_12zip_iteratorINS8_5tupleINS8_6detail15normal_iteratorINS8_10device_ptrIdEEEESH_NS8_9null_typeESI_SI_SI_SI_SI_SI_SI_EEEENS9_21zip_adj_not_predicateI22is_equal_div_10_uniqueIdEEEEEPllNS8_4plusIlEEEE10hipError_tPvRmT1_T2_T3_mT4_P12ihipStream_tbEUlT_E1_NS1_11comp_targetILNS1_3genE10ELNS1_11target_archE1201ELNS1_3gpuE5ELNS1_3repE0EEENS1_30default_config_static_selectorELNS0_4arch9wavefront6targetE1EEEvSW_
	.p2align	8
	.type	_ZN7rocprim17ROCPRIM_400000_NS6detail17trampoline_kernelINS0_14default_configENS1_22reduce_config_selectorIlEEZNS1_11reduce_implILb1ES3_N6thrust23THRUST_200600_302600_NS11hip_rocprim26transform_input_iterator_tIlNS8_12zip_iteratorINS8_5tupleINS8_6detail15normal_iteratorINS8_10device_ptrIdEEEESH_NS8_9null_typeESI_SI_SI_SI_SI_SI_SI_EEEENS9_21zip_adj_not_predicateI22is_equal_div_10_uniqueIdEEEEEPllNS8_4plusIlEEEE10hipError_tPvRmT1_T2_T3_mT4_P12ihipStream_tbEUlT_E1_NS1_11comp_targetILNS1_3genE10ELNS1_11target_archE1201ELNS1_3gpuE5ELNS1_3repE0EEENS1_30default_config_static_selectorELNS0_4arch9wavefront6targetE1EEEvSW_,@function
_ZN7rocprim17ROCPRIM_400000_NS6detail17trampoline_kernelINS0_14default_configENS1_22reduce_config_selectorIlEEZNS1_11reduce_implILb1ES3_N6thrust23THRUST_200600_302600_NS11hip_rocprim26transform_input_iterator_tIlNS8_12zip_iteratorINS8_5tupleINS8_6detail15normal_iteratorINS8_10device_ptrIdEEEESH_NS8_9null_typeESI_SI_SI_SI_SI_SI_SI_EEEENS9_21zip_adj_not_predicateI22is_equal_div_10_uniqueIdEEEEEPllNS8_4plusIlEEEE10hipError_tPvRmT1_T2_T3_mT4_P12ihipStream_tbEUlT_E1_NS1_11comp_targetILNS1_3genE10ELNS1_11target_archE1201ELNS1_3gpuE5ELNS1_3repE0EEENS1_30default_config_static_selectorELNS0_4arch9wavefront6targetE1EEEvSW_: ; @_ZN7rocprim17ROCPRIM_400000_NS6detail17trampoline_kernelINS0_14default_configENS1_22reduce_config_selectorIlEEZNS1_11reduce_implILb1ES3_N6thrust23THRUST_200600_302600_NS11hip_rocprim26transform_input_iterator_tIlNS8_12zip_iteratorINS8_5tupleINS8_6detail15normal_iteratorINS8_10device_ptrIdEEEESH_NS8_9null_typeESI_SI_SI_SI_SI_SI_SI_EEEENS9_21zip_adj_not_predicateI22is_equal_div_10_uniqueIdEEEEEPllNS8_4plusIlEEEE10hipError_tPvRmT1_T2_T3_mT4_P12ihipStream_tbEUlT_E1_NS1_11comp_targetILNS1_3genE10ELNS1_11target_archE1201ELNS1_3gpuE5ELNS1_3repE0EEENS1_30default_config_static_selectorELNS0_4arch9wavefront6targetE1EEEvSW_
; %bb.0:
	.section	.rodata,"a",@progbits
	.p2align	6, 0x0
	.amdhsa_kernel _ZN7rocprim17ROCPRIM_400000_NS6detail17trampoline_kernelINS0_14default_configENS1_22reduce_config_selectorIlEEZNS1_11reduce_implILb1ES3_N6thrust23THRUST_200600_302600_NS11hip_rocprim26transform_input_iterator_tIlNS8_12zip_iteratorINS8_5tupleINS8_6detail15normal_iteratorINS8_10device_ptrIdEEEESH_NS8_9null_typeESI_SI_SI_SI_SI_SI_SI_EEEENS9_21zip_adj_not_predicateI22is_equal_div_10_uniqueIdEEEEEPllNS8_4plusIlEEEE10hipError_tPvRmT1_T2_T3_mT4_P12ihipStream_tbEUlT_E1_NS1_11comp_targetILNS1_3genE10ELNS1_11target_archE1201ELNS1_3gpuE5ELNS1_3repE0EEENS1_30default_config_static_selectorELNS0_4arch9wavefront6targetE1EEEvSW_
		.amdhsa_group_segment_fixed_size 0
		.amdhsa_private_segment_fixed_size 0
		.amdhsa_kernarg_size 64
		.amdhsa_user_sgpr_count 6
		.amdhsa_user_sgpr_private_segment_buffer 1
		.amdhsa_user_sgpr_dispatch_ptr 0
		.amdhsa_user_sgpr_queue_ptr 0
		.amdhsa_user_sgpr_kernarg_segment_ptr 1
		.amdhsa_user_sgpr_dispatch_id 0
		.amdhsa_user_sgpr_flat_scratch_init 0
		.amdhsa_user_sgpr_private_segment_size 0
		.amdhsa_uses_dynamic_stack 0
		.amdhsa_system_sgpr_private_segment_wavefront_offset 0
		.amdhsa_system_sgpr_workgroup_id_x 1
		.amdhsa_system_sgpr_workgroup_id_y 0
		.amdhsa_system_sgpr_workgroup_id_z 0
		.amdhsa_system_sgpr_workgroup_info 0
		.amdhsa_system_vgpr_workitem_id 0
		.amdhsa_next_free_vgpr 1
		.amdhsa_next_free_sgpr 0
		.amdhsa_reserve_vcc 0
		.amdhsa_reserve_flat_scratch 0
		.amdhsa_float_round_mode_32 0
		.amdhsa_float_round_mode_16_64 0
		.amdhsa_float_denorm_mode_32 3
		.amdhsa_float_denorm_mode_16_64 3
		.amdhsa_dx10_clamp 1
		.amdhsa_ieee_mode 1
		.amdhsa_fp16_overflow 0
		.amdhsa_exception_fp_ieee_invalid_op 0
		.amdhsa_exception_fp_denorm_src 0
		.amdhsa_exception_fp_ieee_div_zero 0
		.amdhsa_exception_fp_ieee_overflow 0
		.amdhsa_exception_fp_ieee_underflow 0
		.amdhsa_exception_fp_ieee_inexact 0
		.amdhsa_exception_int_div_zero 0
	.end_amdhsa_kernel
	.section	.text._ZN7rocprim17ROCPRIM_400000_NS6detail17trampoline_kernelINS0_14default_configENS1_22reduce_config_selectorIlEEZNS1_11reduce_implILb1ES3_N6thrust23THRUST_200600_302600_NS11hip_rocprim26transform_input_iterator_tIlNS8_12zip_iteratorINS8_5tupleINS8_6detail15normal_iteratorINS8_10device_ptrIdEEEESH_NS8_9null_typeESI_SI_SI_SI_SI_SI_SI_EEEENS9_21zip_adj_not_predicateI22is_equal_div_10_uniqueIdEEEEEPllNS8_4plusIlEEEE10hipError_tPvRmT1_T2_T3_mT4_P12ihipStream_tbEUlT_E1_NS1_11comp_targetILNS1_3genE10ELNS1_11target_archE1201ELNS1_3gpuE5ELNS1_3repE0EEENS1_30default_config_static_selectorELNS0_4arch9wavefront6targetE1EEEvSW_,"axG",@progbits,_ZN7rocprim17ROCPRIM_400000_NS6detail17trampoline_kernelINS0_14default_configENS1_22reduce_config_selectorIlEEZNS1_11reduce_implILb1ES3_N6thrust23THRUST_200600_302600_NS11hip_rocprim26transform_input_iterator_tIlNS8_12zip_iteratorINS8_5tupleINS8_6detail15normal_iteratorINS8_10device_ptrIdEEEESH_NS8_9null_typeESI_SI_SI_SI_SI_SI_SI_EEEENS9_21zip_adj_not_predicateI22is_equal_div_10_uniqueIdEEEEEPllNS8_4plusIlEEEE10hipError_tPvRmT1_T2_T3_mT4_P12ihipStream_tbEUlT_E1_NS1_11comp_targetILNS1_3genE10ELNS1_11target_archE1201ELNS1_3gpuE5ELNS1_3repE0EEENS1_30default_config_static_selectorELNS0_4arch9wavefront6targetE1EEEvSW_,comdat
.Lfunc_end775:
	.size	_ZN7rocprim17ROCPRIM_400000_NS6detail17trampoline_kernelINS0_14default_configENS1_22reduce_config_selectorIlEEZNS1_11reduce_implILb1ES3_N6thrust23THRUST_200600_302600_NS11hip_rocprim26transform_input_iterator_tIlNS8_12zip_iteratorINS8_5tupleINS8_6detail15normal_iteratorINS8_10device_ptrIdEEEESH_NS8_9null_typeESI_SI_SI_SI_SI_SI_SI_EEEENS9_21zip_adj_not_predicateI22is_equal_div_10_uniqueIdEEEEEPllNS8_4plusIlEEEE10hipError_tPvRmT1_T2_T3_mT4_P12ihipStream_tbEUlT_E1_NS1_11comp_targetILNS1_3genE10ELNS1_11target_archE1201ELNS1_3gpuE5ELNS1_3repE0EEENS1_30default_config_static_selectorELNS0_4arch9wavefront6targetE1EEEvSW_, .Lfunc_end775-_ZN7rocprim17ROCPRIM_400000_NS6detail17trampoline_kernelINS0_14default_configENS1_22reduce_config_selectorIlEEZNS1_11reduce_implILb1ES3_N6thrust23THRUST_200600_302600_NS11hip_rocprim26transform_input_iterator_tIlNS8_12zip_iteratorINS8_5tupleINS8_6detail15normal_iteratorINS8_10device_ptrIdEEEESH_NS8_9null_typeESI_SI_SI_SI_SI_SI_SI_EEEENS9_21zip_adj_not_predicateI22is_equal_div_10_uniqueIdEEEEEPllNS8_4plusIlEEEE10hipError_tPvRmT1_T2_T3_mT4_P12ihipStream_tbEUlT_E1_NS1_11comp_targetILNS1_3genE10ELNS1_11target_archE1201ELNS1_3gpuE5ELNS1_3repE0EEENS1_30default_config_static_selectorELNS0_4arch9wavefront6targetE1EEEvSW_
                                        ; -- End function
	.set _ZN7rocprim17ROCPRIM_400000_NS6detail17trampoline_kernelINS0_14default_configENS1_22reduce_config_selectorIlEEZNS1_11reduce_implILb1ES3_N6thrust23THRUST_200600_302600_NS11hip_rocprim26transform_input_iterator_tIlNS8_12zip_iteratorINS8_5tupleINS8_6detail15normal_iteratorINS8_10device_ptrIdEEEESH_NS8_9null_typeESI_SI_SI_SI_SI_SI_SI_EEEENS9_21zip_adj_not_predicateI22is_equal_div_10_uniqueIdEEEEEPllNS8_4plusIlEEEE10hipError_tPvRmT1_T2_T3_mT4_P12ihipStream_tbEUlT_E1_NS1_11comp_targetILNS1_3genE10ELNS1_11target_archE1201ELNS1_3gpuE5ELNS1_3repE0EEENS1_30default_config_static_selectorELNS0_4arch9wavefront6targetE1EEEvSW_.num_vgpr, 0
	.set _ZN7rocprim17ROCPRIM_400000_NS6detail17trampoline_kernelINS0_14default_configENS1_22reduce_config_selectorIlEEZNS1_11reduce_implILb1ES3_N6thrust23THRUST_200600_302600_NS11hip_rocprim26transform_input_iterator_tIlNS8_12zip_iteratorINS8_5tupleINS8_6detail15normal_iteratorINS8_10device_ptrIdEEEESH_NS8_9null_typeESI_SI_SI_SI_SI_SI_SI_EEEENS9_21zip_adj_not_predicateI22is_equal_div_10_uniqueIdEEEEEPllNS8_4plusIlEEEE10hipError_tPvRmT1_T2_T3_mT4_P12ihipStream_tbEUlT_E1_NS1_11comp_targetILNS1_3genE10ELNS1_11target_archE1201ELNS1_3gpuE5ELNS1_3repE0EEENS1_30default_config_static_selectorELNS0_4arch9wavefront6targetE1EEEvSW_.num_agpr, 0
	.set _ZN7rocprim17ROCPRIM_400000_NS6detail17trampoline_kernelINS0_14default_configENS1_22reduce_config_selectorIlEEZNS1_11reduce_implILb1ES3_N6thrust23THRUST_200600_302600_NS11hip_rocprim26transform_input_iterator_tIlNS8_12zip_iteratorINS8_5tupleINS8_6detail15normal_iteratorINS8_10device_ptrIdEEEESH_NS8_9null_typeESI_SI_SI_SI_SI_SI_SI_EEEENS9_21zip_adj_not_predicateI22is_equal_div_10_uniqueIdEEEEEPllNS8_4plusIlEEEE10hipError_tPvRmT1_T2_T3_mT4_P12ihipStream_tbEUlT_E1_NS1_11comp_targetILNS1_3genE10ELNS1_11target_archE1201ELNS1_3gpuE5ELNS1_3repE0EEENS1_30default_config_static_selectorELNS0_4arch9wavefront6targetE1EEEvSW_.numbered_sgpr, 0
	.set _ZN7rocprim17ROCPRIM_400000_NS6detail17trampoline_kernelINS0_14default_configENS1_22reduce_config_selectorIlEEZNS1_11reduce_implILb1ES3_N6thrust23THRUST_200600_302600_NS11hip_rocprim26transform_input_iterator_tIlNS8_12zip_iteratorINS8_5tupleINS8_6detail15normal_iteratorINS8_10device_ptrIdEEEESH_NS8_9null_typeESI_SI_SI_SI_SI_SI_SI_EEEENS9_21zip_adj_not_predicateI22is_equal_div_10_uniqueIdEEEEEPllNS8_4plusIlEEEE10hipError_tPvRmT1_T2_T3_mT4_P12ihipStream_tbEUlT_E1_NS1_11comp_targetILNS1_3genE10ELNS1_11target_archE1201ELNS1_3gpuE5ELNS1_3repE0EEENS1_30default_config_static_selectorELNS0_4arch9wavefront6targetE1EEEvSW_.num_named_barrier, 0
	.set _ZN7rocprim17ROCPRIM_400000_NS6detail17trampoline_kernelINS0_14default_configENS1_22reduce_config_selectorIlEEZNS1_11reduce_implILb1ES3_N6thrust23THRUST_200600_302600_NS11hip_rocprim26transform_input_iterator_tIlNS8_12zip_iteratorINS8_5tupleINS8_6detail15normal_iteratorINS8_10device_ptrIdEEEESH_NS8_9null_typeESI_SI_SI_SI_SI_SI_SI_EEEENS9_21zip_adj_not_predicateI22is_equal_div_10_uniqueIdEEEEEPllNS8_4plusIlEEEE10hipError_tPvRmT1_T2_T3_mT4_P12ihipStream_tbEUlT_E1_NS1_11comp_targetILNS1_3genE10ELNS1_11target_archE1201ELNS1_3gpuE5ELNS1_3repE0EEENS1_30default_config_static_selectorELNS0_4arch9wavefront6targetE1EEEvSW_.private_seg_size, 0
	.set _ZN7rocprim17ROCPRIM_400000_NS6detail17trampoline_kernelINS0_14default_configENS1_22reduce_config_selectorIlEEZNS1_11reduce_implILb1ES3_N6thrust23THRUST_200600_302600_NS11hip_rocprim26transform_input_iterator_tIlNS8_12zip_iteratorINS8_5tupleINS8_6detail15normal_iteratorINS8_10device_ptrIdEEEESH_NS8_9null_typeESI_SI_SI_SI_SI_SI_SI_EEEENS9_21zip_adj_not_predicateI22is_equal_div_10_uniqueIdEEEEEPllNS8_4plusIlEEEE10hipError_tPvRmT1_T2_T3_mT4_P12ihipStream_tbEUlT_E1_NS1_11comp_targetILNS1_3genE10ELNS1_11target_archE1201ELNS1_3gpuE5ELNS1_3repE0EEENS1_30default_config_static_selectorELNS0_4arch9wavefront6targetE1EEEvSW_.uses_vcc, 0
	.set _ZN7rocprim17ROCPRIM_400000_NS6detail17trampoline_kernelINS0_14default_configENS1_22reduce_config_selectorIlEEZNS1_11reduce_implILb1ES3_N6thrust23THRUST_200600_302600_NS11hip_rocprim26transform_input_iterator_tIlNS8_12zip_iteratorINS8_5tupleINS8_6detail15normal_iteratorINS8_10device_ptrIdEEEESH_NS8_9null_typeESI_SI_SI_SI_SI_SI_SI_EEEENS9_21zip_adj_not_predicateI22is_equal_div_10_uniqueIdEEEEEPllNS8_4plusIlEEEE10hipError_tPvRmT1_T2_T3_mT4_P12ihipStream_tbEUlT_E1_NS1_11comp_targetILNS1_3genE10ELNS1_11target_archE1201ELNS1_3gpuE5ELNS1_3repE0EEENS1_30default_config_static_selectorELNS0_4arch9wavefront6targetE1EEEvSW_.uses_flat_scratch, 0
	.set _ZN7rocprim17ROCPRIM_400000_NS6detail17trampoline_kernelINS0_14default_configENS1_22reduce_config_selectorIlEEZNS1_11reduce_implILb1ES3_N6thrust23THRUST_200600_302600_NS11hip_rocprim26transform_input_iterator_tIlNS8_12zip_iteratorINS8_5tupleINS8_6detail15normal_iteratorINS8_10device_ptrIdEEEESH_NS8_9null_typeESI_SI_SI_SI_SI_SI_SI_EEEENS9_21zip_adj_not_predicateI22is_equal_div_10_uniqueIdEEEEEPllNS8_4plusIlEEEE10hipError_tPvRmT1_T2_T3_mT4_P12ihipStream_tbEUlT_E1_NS1_11comp_targetILNS1_3genE10ELNS1_11target_archE1201ELNS1_3gpuE5ELNS1_3repE0EEENS1_30default_config_static_selectorELNS0_4arch9wavefront6targetE1EEEvSW_.has_dyn_sized_stack, 0
	.set _ZN7rocprim17ROCPRIM_400000_NS6detail17trampoline_kernelINS0_14default_configENS1_22reduce_config_selectorIlEEZNS1_11reduce_implILb1ES3_N6thrust23THRUST_200600_302600_NS11hip_rocprim26transform_input_iterator_tIlNS8_12zip_iteratorINS8_5tupleINS8_6detail15normal_iteratorINS8_10device_ptrIdEEEESH_NS8_9null_typeESI_SI_SI_SI_SI_SI_SI_EEEENS9_21zip_adj_not_predicateI22is_equal_div_10_uniqueIdEEEEEPllNS8_4plusIlEEEE10hipError_tPvRmT1_T2_T3_mT4_P12ihipStream_tbEUlT_E1_NS1_11comp_targetILNS1_3genE10ELNS1_11target_archE1201ELNS1_3gpuE5ELNS1_3repE0EEENS1_30default_config_static_selectorELNS0_4arch9wavefront6targetE1EEEvSW_.has_recursion, 0
	.set _ZN7rocprim17ROCPRIM_400000_NS6detail17trampoline_kernelINS0_14default_configENS1_22reduce_config_selectorIlEEZNS1_11reduce_implILb1ES3_N6thrust23THRUST_200600_302600_NS11hip_rocprim26transform_input_iterator_tIlNS8_12zip_iteratorINS8_5tupleINS8_6detail15normal_iteratorINS8_10device_ptrIdEEEESH_NS8_9null_typeESI_SI_SI_SI_SI_SI_SI_EEEENS9_21zip_adj_not_predicateI22is_equal_div_10_uniqueIdEEEEEPllNS8_4plusIlEEEE10hipError_tPvRmT1_T2_T3_mT4_P12ihipStream_tbEUlT_E1_NS1_11comp_targetILNS1_3genE10ELNS1_11target_archE1201ELNS1_3gpuE5ELNS1_3repE0EEENS1_30default_config_static_selectorELNS0_4arch9wavefront6targetE1EEEvSW_.has_indirect_call, 0
	.section	.AMDGPU.csdata,"",@progbits
; Kernel info:
; codeLenInByte = 0
; TotalNumSgprs: 4
; NumVgprs: 0
; ScratchSize: 0
; MemoryBound: 0
; FloatMode: 240
; IeeeMode: 1
; LDSByteSize: 0 bytes/workgroup (compile time only)
; SGPRBlocks: 0
; VGPRBlocks: 0
; NumSGPRsForWavesPerEU: 4
; NumVGPRsForWavesPerEU: 1
; Occupancy: 10
; WaveLimiterHint : 0
; COMPUTE_PGM_RSRC2:SCRATCH_EN: 0
; COMPUTE_PGM_RSRC2:USER_SGPR: 6
; COMPUTE_PGM_RSRC2:TRAP_HANDLER: 0
; COMPUTE_PGM_RSRC2:TGID_X_EN: 1
; COMPUTE_PGM_RSRC2:TGID_Y_EN: 0
; COMPUTE_PGM_RSRC2:TGID_Z_EN: 0
; COMPUTE_PGM_RSRC2:TIDIG_COMP_CNT: 0
	.section	.text._ZN7rocprim17ROCPRIM_400000_NS6detail17trampoline_kernelINS0_14default_configENS1_22reduce_config_selectorIlEEZNS1_11reduce_implILb1ES3_N6thrust23THRUST_200600_302600_NS11hip_rocprim26transform_input_iterator_tIlNS8_12zip_iteratorINS8_5tupleINS8_6detail15normal_iteratorINS8_10device_ptrIdEEEESH_NS8_9null_typeESI_SI_SI_SI_SI_SI_SI_EEEENS9_21zip_adj_not_predicateI22is_equal_div_10_uniqueIdEEEEEPllNS8_4plusIlEEEE10hipError_tPvRmT1_T2_T3_mT4_P12ihipStream_tbEUlT_E1_NS1_11comp_targetILNS1_3genE10ELNS1_11target_archE1200ELNS1_3gpuE4ELNS1_3repE0EEENS1_30default_config_static_selectorELNS0_4arch9wavefront6targetE1EEEvSW_,"axG",@progbits,_ZN7rocprim17ROCPRIM_400000_NS6detail17trampoline_kernelINS0_14default_configENS1_22reduce_config_selectorIlEEZNS1_11reduce_implILb1ES3_N6thrust23THRUST_200600_302600_NS11hip_rocprim26transform_input_iterator_tIlNS8_12zip_iteratorINS8_5tupleINS8_6detail15normal_iteratorINS8_10device_ptrIdEEEESH_NS8_9null_typeESI_SI_SI_SI_SI_SI_SI_EEEENS9_21zip_adj_not_predicateI22is_equal_div_10_uniqueIdEEEEEPllNS8_4plusIlEEEE10hipError_tPvRmT1_T2_T3_mT4_P12ihipStream_tbEUlT_E1_NS1_11comp_targetILNS1_3genE10ELNS1_11target_archE1200ELNS1_3gpuE4ELNS1_3repE0EEENS1_30default_config_static_selectorELNS0_4arch9wavefront6targetE1EEEvSW_,comdat
	.protected	_ZN7rocprim17ROCPRIM_400000_NS6detail17trampoline_kernelINS0_14default_configENS1_22reduce_config_selectorIlEEZNS1_11reduce_implILb1ES3_N6thrust23THRUST_200600_302600_NS11hip_rocprim26transform_input_iterator_tIlNS8_12zip_iteratorINS8_5tupleINS8_6detail15normal_iteratorINS8_10device_ptrIdEEEESH_NS8_9null_typeESI_SI_SI_SI_SI_SI_SI_EEEENS9_21zip_adj_not_predicateI22is_equal_div_10_uniqueIdEEEEEPllNS8_4plusIlEEEE10hipError_tPvRmT1_T2_T3_mT4_P12ihipStream_tbEUlT_E1_NS1_11comp_targetILNS1_3genE10ELNS1_11target_archE1200ELNS1_3gpuE4ELNS1_3repE0EEENS1_30default_config_static_selectorELNS0_4arch9wavefront6targetE1EEEvSW_ ; -- Begin function _ZN7rocprim17ROCPRIM_400000_NS6detail17trampoline_kernelINS0_14default_configENS1_22reduce_config_selectorIlEEZNS1_11reduce_implILb1ES3_N6thrust23THRUST_200600_302600_NS11hip_rocprim26transform_input_iterator_tIlNS8_12zip_iteratorINS8_5tupleINS8_6detail15normal_iteratorINS8_10device_ptrIdEEEESH_NS8_9null_typeESI_SI_SI_SI_SI_SI_SI_EEEENS9_21zip_adj_not_predicateI22is_equal_div_10_uniqueIdEEEEEPllNS8_4plusIlEEEE10hipError_tPvRmT1_T2_T3_mT4_P12ihipStream_tbEUlT_E1_NS1_11comp_targetILNS1_3genE10ELNS1_11target_archE1200ELNS1_3gpuE4ELNS1_3repE0EEENS1_30default_config_static_selectorELNS0_4arch9wavefront6targetE1EEEvSW_
	.globl	_ZN7rocprim17ROCPRIM_400000_NS6detail17trampoline_kernelINS0_14default_configENS1_22reduce_config_selectorIlEEZNS1_11reduce_implILb1ES3_N6thrust23THRUST_200600_302600_NS11hip_rocprim26transform_input_iterator_tIlNS8_12zip_iteratorINS8_5tupleINS8_6detail15normal_iteratorINS8_10device_ptrIdEEEESH_NS8_9null_typeESI_SI_SI_SI_SI_SI_SI_EEEENS9_21zip_adj_not_predicateI22is_equal_div_10_uniqueIdEEEEEPllNS8_4plusIlEEEE10hipError_tPvRmT1_T2_T3_mT4_P12ihipStream_tbEUlT_E1_NS1_11comp_targetILNS1_3genE10ELNS1_11target_archE1200ELNS1_3gpuE4ELNS1_3repE0EEENS1_30default_config_static_selectorELNS0_4arch9wavefront6targetE1EEEvSW_
	.p2align	8
	.type	_ZN7rocprim17ROCPRIM_400000_NS6detail17trampoline_kernelINS0_14default_configENS1_22reduce_config_selectorIlEEZNS1_11reduce_implILb1ES3_N6thrust23THRUST_200600_302600_NS11hip_rocprim26transform_input_iterator_tIlNS8_12zip_iteratorINS8_5tupleINS8_6detail15normal_iteratorINS8_10device_ptrIdEEEESH_NS8_9null_typeESI_SI_SI_SI_SI_SI_SI_EEEENS9_21zip_adj_not_predicateI22is_equal_div_10_uniqueIdEEEEEPllNS8_4plusIlEEEE10hipError_tPvRmT1_T2_T3_mT4_P12ihipStream_tbEUlT_E1_NS1_11comp_targetILNS1_3genE10ELNS1_11target_archE1200ELNS1_3gpuE4ELNS1_3repE0EEENS1_30default_config_static_selectorELNS0_4arch9wavefront6targetE1EEEvSW_,@function
_ZN7rocprim17ROCPRIM_400000_NS6detail17trampoline_kernelINS0_14default_configENS1_22reduce_config_selectorIlEEZNS1_11reduce_implILb1ES3_N6thrust23THRUST_200600_302600_NS11hip_rocprim26transform_input_iterator_tIlNS8_12zip_iteratorINS8_5tupleINS8_6detail15normal_iteratorINS8_10device_ptrIdEEEESH_NS8_9null_typeESI_SI_SI_SI_SI_SI_SI_EEEENS9_21zip_adj_not_predicateI22is_equal_div_10_uniqueIdEEEEEPllNS8_4plusIlEEEE10hipError_tPvRmT1_T2_T3_mT4_P12ihipStream_tbEUlT_E1_NS1_11comp_targetILNS1_3genE10ELNS1_11target_archE1200ELNS1_3gpuE4ELNS1_3repE0EEENS1_30default_config_static_selectorELNS0_4arch9wavefront6targetE1EEEvSW_: ; @_ZN7rocprim17ROCPRIM_400000_NS6detail17trampoline_kernelINS0_14default_configENS1_22reduce_config_selectorIlEEZNS1_11reduce_implILb1ES3_N6thrust23THRUST_200600_302600_NS11hip_rocprim26transform_input_iterator_tIlNS8_12zip_iteratorINS8_5tupleINS8_6detail15normal_iteratorINS8_10device_ptrIdEEEESH_NS8_9null_typeESI_SI_SI_SI_SI_SI_SI_EEEENS9_21zip_adj_not_predicateI22is_equal_div_10_uniqueIdEEEEEPllNS8_4plusIlEEEE10hipError_tPvRmT1_T2_T3_mT4_P12ihipStream_tbEUlT_E1_NS1_11comp_targetILNS1_3genE10ELNS1_11target_archE1200ELNS1_3gpuE4ELNS1_3repE0EEENS1_30default_config_static_selectorELNS0_4arch9wavefront6targetE1EEEvSW_
; %bb.0:
	.section	.rodata,"a",@progbits
	.p2align	6, 0x0
	.amdhsa_kernel _ZN7rocprim17ROCPRIM_400000_NS6detail17trampoline_kernelINS0_14default_configENS1_22reduce_config_selectorIlEEZNS1_11reduce_implILb1ES3_N6thrust23THRUST_200600_302600_NS11hip_rocprim26transform_input_iterator_tIlNS8_12zip_iteratorINS8_5tupleINS8_6detail15normal_iteratorINS8_10device_ptrIdEEEESH_NS8_9null_typeESI_SI_SI_SI_SI_SI_SI_EEEENS9_21zip_adj_not_predicateI22is_equal_div_10_uniqueIdEEEEEPllNS8_4plusIlEEEE10hipError_tPvRmT1_T2_T3_mT4_P12ihipStream_tbEUlT_E1_NS1_11comp_targetILNS1_3genE10ELNS1_11target_archE1200ELNS1_3gpuE4ELNS1_3repE0EEENS1_30default_config_static_selectorELNS0_4arch9wavefront6targetE1EEEvSW_
		.amdhsa_group_segment_fixed_size 0
		.amdhsa_private_segment_fixed_size 0
		.amdhsa_kernarg_size 64
		.amdhsa_user_sgpr_count 6
		.amdhsa_user_sgpr_private_segment_buffer 1
		.amdhsa_user_sgpr_dispatch_ptr 0
		.amdhsa_user_sgpr_queue_ptr 0
		.amdhsa_user_sgpr_kernarg_segment_ptr 1
		.amdhsa_user_sgpr_dispatch_id 0
		.amdhsa_user_sgpr_flat_scratch_init 0
		.amdhsa_user_sgpr_private_segment_size 0
		.amdhsa_uses_dynamic_stack 0
		.amdhsa_system_sgpr_private_segment_wavefront_offset 0
		.amdhsa_system_sgpr_workgroup_id_x 1
		.amdhsa_system_sgpr_workgroup_id_y 0
		.amdhsa_system_sgpr_workgroup_id_z 0
		.amdhsa_system_sgpr_workgroup_info 0
		.amdhsa_system_vgpr_workitem_id 0
		.amdhsa_next_free_vgpr 1
		.amdhsa_next_free_sgpr 0
		.amdhsa_reserve_vcc 0
		.amdhsa_reserve_flat_scratch 0
		.amdhsa_float_round_mode_32 0
		.amdhsa_float_round_mode_16_64 0
		.amdhsa_float_denorm_mode_32 3
		.amdhsa_float_denorm_mode_16_64 3
		.amdhsa_dx10_clamp 1
		.amdhsa_ieee_mode 1
		.amdhsa_fp16_overflow 0
		.amdhsa_exception_fp_ieee_invalid_op 0
		.amdhsa_exception_fp_denorm_src 0
		.amdhsa_exception_fp_ieee_div_zero 0
		.amdhsa_exception_fp_ieee_overflow 0
		.amdhsa_exception_fp_ieee_underflow 0
		.amdhsa_exception_fp_ieee_inexact 0
		.amdhsa_exception_int_div_zero 0
	.end_amdhsa_kernel
	.section	.text._ZN7rocprim17ROCPRIM_400000_NS6detail17trampoline_kernelINS0_14default_configENS1_22reduce_config_selectorIlEEZNS1_11reduce_implILb1ES3_N6thrust23THRUST_200600_302600_NS11hip_rocprim26transform_input_iterator_tIlNS8_12zip_iteratorINS8_5tupleINS8_6detail15normal_iteratorINS8_10device_ptrIdEEEESH_NS8_9null_typeESI_SI_SI_SI_SI_SI_SI_EEEENS9_21zip_adj_not_predicateI22is_equal_div_10_uniqueIdEEEEEPllNS8_4plusIlEEEE10hipError_tPvRmT1_T2_T3_mT4_P12ihipStream_tbEUlT_E1_NS1_11comp_targetILNS1_3genE10ELNS1_11target_archE1200ELNS1_3gpuE4ELNS1_3repE0EEENS1_30default_config_static_selectorELNS0_4arch9wavefront6targetE1EEEvSW_,"axG",@progbits,_ZN7rocprim17ROCPRIM_400000_NS6detail17trampoline_kernelINS0_14default_configENS1_22reduce_config_selectorIlEEZNS1_11reduce_implILb1ES3_N6thrust23THRUST_200600_302600_NS11hip_rocprim26transform_input_iterator_tIlNS8_12zip_iteratorINS8_5tupleINS8_6detail15normal_iteratorINS8_10device_ptrIdEEEESH_NS8_9null_typeESI_SI_SI_SI_SI_SI_SI_EEEENS9_21zip_adj_not_predicateI22is_equal_div_10_uniqueIdEEEEEPllNS8_4plusIlEEEE10hipError_tPvRmT1_T2_T3_mT4_P12ihipStream_tbEUlT_E1_NS1_11comp_targetILNS1_3genE10ELNS1_11target_archE1200ELNS1_3gpuE4ELNS1_3repE0EEENS1_30default_config_static_selectorELNS0_4arch9wavefront6targetE1EEEvSW_,comdat
.Lfunc_end776:
	.size	_ZN7rocprim17ROCPRIM_400000_NS6detail17trampoline_kernelINS0_14default_configENS1_22reduce_config_selectorIlEEZNS1_11reduce_implILb1ES3_N6thrust23THRUST_200600_302600_NS11hip_rocprim26transform_input_iterator_tIlNS8_12zip_iteratorINS8_5tupleINS8_6detail15normal_iteratorINS8_10device_ptrIdEEEESH_NS8_9null_typeESI_SI_SI_SI_SI_SI_SI_EEEENS9_21zip_adj_not_predicateI22is_equal_div_10_uniqueIdEEEEEPllNS8_4plusIlEEEE10hipError_tPvRmT1_T2_T3_mT4_P12ihipStream_tbEUlT_E1_NS1_11comp_targetILNS1_3genE10ELNS1_11target_archE1200ELNS1_3gpuE4ELNS1_3repE0EEENS1_30default_config_static_selectorELNS0_4arch9wavefront6targetE1EEEvSW_, .Lfunc_end776-_ZN7rocprim17ROCPRIM_400000_NS6detail17trampoline_kernelINS0_14default_configENS1_22reduce_config_selectorIlEEZNS1_11reduce_implILb1ES3_N6thrust23THRUST_200600_302600_NS11hip_rocprim26transform_input_iterator_tIlNS8_12zip_iteratorINS8_5tupleINS8_6detail15normal_iteratorINS8_10device_ptrIdEEEESH_NS8_9null_typeESI_SI_SI_SI_SI_SI_SI_EEEENS9_21zip_adj_not_predicateI22is_equal_div_10_uniqueIdEEEEEPllNS8_4plusIlEEEE10hipError_tPvRmT1_T2_T3_mT4_P12ihipStream_tbEUlT_E1_NS1_11comp_targetILNS1_3genE10ELNS1_11target_archE1200ELNS1_3gpuE4ELNS1_3repE0EEENS1_30default_config_static_selectorELNS0_4arch9wavefront6targetE1EEEvSW_
                                        ; -- End function
	.set _ZN7rocprim17ROCPRIM_400000_NS6detail17trampoline_kernelINS0_14default_configENS1_22reduce_config_selectorIlEEZNS1_11reduce_implILb1ES3_N6thrust23THRUST_200600_302600_NS11hip_rocprim26transform_input_iterator_tIlNS8_12zip_iteratorINS8_5tupleINS8_6detail15normal_iteratorINS8_10device_ptrIdEEEESH_NS8_9null_typeESI_SI_SI_SI_SI_SI_SI_EEEENS9_21zip_adj_not_predicateI22is_equal_div_10_uniqueIdEEEEEPllNS8_4plusIlEEEE10hipError_tPvRmT1_T2_T3_mT4_P12ihipStream_tbEUlT_E1_NS1_11comp_targetILNS1_3genE10ELNS1_11target_archE1200ELNS1_3gpuE4ELNS1_3repE0EEENS1_30default_config_static_selectorELNS0_4arch9wavefront6targetE1EEEvSW_.num_vgpr, 0
	.set _ZN7rocprim17ROCPRIM_400000_NS6detail17trampoline_kernelINS0_14default_configENS1_22reduce_config_selectorIlEEZNS1_11reduce_implILb1ES3_N6thrust23THRUST_200600_302600_NS11hip_rocprim26transform_input_iterator_tIlNS8_12zip_iteratorINS8_5tupleINS8_6detail15normal_iteratorINS8_10device_ptrIdEEEESH_NS8_9null_typeESI_SI_SI_SI_SI_SI_SI_EEEENS9_21zip_adj_not_predicateI22is_equal_div_10_uniqueIdEEEEEPllNS8_4plusIlEEEE10hipError_tPvRmT1_T2_T3_mT4_P12ihipStream_tbEUlT_E1_NS1_11comp_targetILNS1_3genE10ELNS1_11target_archE1200ELNS1_3gpuE4ELNS1_3repE0EEENS1_30default_config_static_selectorELNS0_4arch9wavefront6targetE1EEEvSW_.num_agpr, 0
	.set _ZN7rocprim17ROCPRIM_400000_NS6detail17trampoline_kernelINS0_14default_configENS1_22reduce_config_selectorIlEEZNS1_11reduce_implILb1ES3_N6thrust23THRUST_200600_302600_NS11hip_rocprim26transform_input_iterator_tIlNS8_12zip_iteratorINS8_5tupleINS8_6detail15normal_iteratorINS8_10device_ptrIdEEEESH_NS8_9null_typeESI_SI_SI_SI_SI_SI_SI_EEEENS9_21zip_adj_not_predicateI22is_equal_div_10_uniqueIdEEEEEPllNS8_4plusIlEEEE10hipError_tPvRmT1_T2_T3_mT4_P12ihipStream_tbEUlT_E1_NS1_11comp_targetILNS1_3genE10ELNS1_11target_archE1200ELNS1_3gpuE4ELNS1_3repE0EEENS1_30default_config_static_selectorELNS0_4arch9wavefront6targetE1EEEvSW_.numbered_sgpr, 0
	.set _ZN7rocprim17ROCPRIM_400000_NS6detail17trampoline_kernelINS0_14default_configENS1_22reduce_config_selectorIlEEZNS1_11reduce_implILb1ES3_N6thrust23THRUST_200600_302600_NS11hip_rocprim26transform_input_iterator_tIlNS8_12zip_iteratorINS8_5tupleINS8_6detail15normal_iteratorINS8_10device_ptrIdEEEESH_NS8_9null_typeESI_SI_SI_SI_SI_SI_SI_EEEENS9_21zip_adj_not_predicateI22is_equal_div_10_uniqueIdEEEEEPllNS8_4plusIlEEEE10hipError_tPvRmT1_T2_T3_mT4_P12ihipStream_tbEUlT_E1_NS1_11comp_targetILNS1_3genE10ELNS1_11target_archE1200ELNS1_3gpuE4ELNS1_3repE0EEENS1_30default_config_static_selectorELNS0_4arch9wavefront6targetE1EEEvSW_.num_named_barrier, 0
	.set _ZN7rocprim17ROCPRIM_400000_NS6detail17trampoline_kernelINS0_14default_configENS1_22reduce_config_selectorIlEEZNS1_11reduce_implILb1ES3_N6thrust23THRUST_200600_302600_NS11hip_rocprim26transform_input_iterator_tIlNS8_12zip_iteratorINS8_5tupleINS8_6detail15normal_iteratorINS8_10device_ptrIdEEEESH_NS8_9null_typeESI_SI_SI_SI_SI_SI_SI_EEEENS9_21zip_adj_not_predicateI22is_equal_div_10_uniqueIdEEEEEPllNS8_4plusIlEEEE10hipError_tPvRmT1_T2_T3_mT4_P12ihipStream_tbEUlT_E1_NS1_11comp_targetILNS1_3genE10ELNS1_11target_archE1200ELNS1_3gpuE4ELNS1_3repE0EEENS1_30default_config_static_selectorELNS0_4arch9wavefront6targetE1EEEvSW_.private_seg_size, 0
	.set _ZN7rocprim17ROCPRIM_400000_NS6detail17trampoline_kernelINS0_14default_configENS1_22reduce_config_selectorIlEEZNS1_11reduce_implILb1ES3_N6thrust23THRUST_200600_302600_NS11hip_rocprim26transform_input_iterator_tIlNS8_12zip_iteratorINS8_5tupleINS8_6detail15normal_iteratorINS8_10device_ptrIdEEEESH_NS8_9null_typeESI_SI_SI_SI_SI_SI_SI_EEEENS9_21zip_adj_not_predicateI22is_equal_div_10_uniqueIdEEEEEPllNS8_4plusIlEEEE10hipError_tPvRmT1_T2_T3_mT4_P12ihipStream_tbEUlT_E1_NS1_11comp_targetILNS1_3genE10ELNS1_11target_archE1200ELNS1_3gpuE4ELNS1_3repE0EEENS1_30default_config_static_selectorELNS0_4arch9wavefront6targetE1EEEvSW_.uses_vcc, 0
	.set _ZN7rocprim17ROCPRIM_400000_NS6detail17trampoline_kernelINS0_14default_configENS1_22reduce_config_selectorIlEEZNS1_11reduce_implILb1ES3_N6thrust23THRUST_200600_302600_NS11hip_rocprim26transform_input_iterator_tIlNS8_12zip_iteratorINS8_5tupleINS8_6detail15normal_iteratorINS8_10device_ptrIdEEEESH_NS8_9null_typeESI_SI_SI_SI_SI_SI_SI_EEEENS9_21zip_adj_not_predicateI22is_equal_div_10_uniqueIdEEEEEPllNS8_4plusIlEEEE10hipError_tPvRmT1_T2_T3_mT4_P12ihipStream_tbEUlT_E1_NS1_11comp_targetILNS1_3genE10ELNS1_11target_archE1200ELNS1_3gpuE4ELNS1_3repE0EEENS1_30default_config_static_selectorELNS0_4arch9wavefront6targetE1EEEvSW_.uses_flat_scratch, 0
	.set _ZN7rocprim17ROCPRIM_400000_NS6detail17trampoline_kernelINS0_14default_configENS1_22reduce_config_selectorIlEEZNS1_11reduce_implILb1ES3_N6thrust23THRUST_200600_302600_NS11hip_rocprim26transform_input_iterator_tIlNS8_12zip_iteratorINS8_5tupleINS8_6detail15normal_iteratorINS8_10device_ptrIdEEEESH_NS8_9null_typeESI_SI_SI_SI_SI_SI_SI_EEEENS9_21zip_adj_not_predicateI22is_equal_div_10_uniqueIdEEEEEPllNS8_4plusIlEEEE10hipError_tPvRmT1_T2_T3_mT4_P12ihipStream_tbEUlT_E1_NS1_11comp_targetILNS1_3genE10ELNS1_11target_archE1200ELNS1_3gpuE4ELNS1_3repE0EEENS1_30default_config_static_selectorELNS0_4arch9wavefront6targetE1EEEvSW_.has_dyn_sized_stack, 0
	.set _ZN7rocprim17ROCPRIM_400000_NS6detail17trampoline_kernelINS0_14default_configENS1_22reduce_config_selectorIlEEZNS1_11reduce_implILb1ES3_N6thrust23THRUST_200600_302600_NS11hip_rocprim26transform_input_iterator_tIlNS8_12zip_iteratorINS8_5tupleINS8_6detail15normal_iteratorINS8_10device_ptrIdEEEESH_NS8_9null_typeESI_SI_SI_SI_SI_SI_SI_EEEENS9_21zip_adj_not_predicateI22is_equal_div_10_uniqueIdEEEEEPllNS8_4plusIlEEEE10hipError_tPvRmT1_T2_T3_mT4_P12ihipStream_tbEUlT_E1_NS1_11comp_targetILNS1_3genE10ELNS1_11target_archE1200ELNS1_3gpuE4ELNS1_3repE0EEENS1_30default_config_static_selectorELNS0_4arch9wavefront6targetE1EEEvSW_.has_recursion, 0
	.set _ZN7rocprim17ROCPRIM_400000_NS6detail17trampoline_kernelINS0_14default_configENS1_22reduce_config_selectorIlEEZNS1_11reduce_implILb1ES3_N6thrust23THRUST_200600_302600_NS11hip_rocprim26transform_input_iterator_tIlNS8_12zip_iteratorINS8_5tupleINS8_6detail15normal_iteratorINS8_10device_ptrIdEEEESH_NS8_9null_typeESI_SI_SI_SI_SI_SI_SI_EEEENS9_21zip_adj_not_predicateI22is_equal_div_10_uniqueIdEEEEEPllNS8_4plusIlEEEE10hipError_tPvRmT1_T2_T3_mT4_P12ihipStream_tbEUlT_E1_NS1_11comp_targetILNS1_3genE10ELNS1_11target_archE1200ELNS1_3gpuE4ELNS1_3repE0EEENS1_30default_config_static_selectorELNS0_4arch9wavefront6targetE1EEEvSW_.has_indirect_call, 0
	.section	.AMDGPU.csdata,"",@progbits
; Kernel info:
; codeLenInByte = 0
; TotalNumSgprs: 4
; NumVgprs: 0
; ScratchSize: 0
; MemoryBound: 0
; FloatMode: 240
; IeeeMode: 1
; LDSByteSize: 0 bytes/workgroup (compile time only)
; SGPRBlocks: 0
; VGPRBlocks: 0
; NumSGPRsForWavesPerEU: 4
; NumVGPRsForWavesPerEU: 1
; Occupancy: 10
; WaveLimiterHint : 0
; COMPUTE_PGM_RSRC2:SCRATCH_EN: 0
; COMPUTE_PGM_RSRC2:USER_SGPR: 6
; COMPUTE_PGM_RSRC2:TRAP_HANDLER: 0
; COMPUTE_PGM_RSRC2:TGID_X_EN: 1
; COMPUTE_PGM_RSRC2:TGID_Y_EN: 0
; COMPUTE_PGM_RSRC2:TGID_Z_EN: 0
; COMPUTE_PGM_RSRC2:TIDIG_COMP_CNT: 0
	.section	.text._ZN7rocprim17ROCPRIM_400000_NS6detail17trampoline_kernelINS0_14default_configENS1_22reduce_config_selectorIlEEZNS1_11reduce_implILb1ES3_N6thrust23THRUST_200600_302600_NS11hip_rocprim26transform_input_iterator_tIlNS8_12zip_iteratorINS8_5tupleINS8_6detail15normal_iteratorINS8_10device_ptrIdEEEESH_NS8_9null_typeESI_SI_SI_SI_SI_SI_SI_EEEENS9_21zip_adj_not_predicateI22is_equal_div_10_uniqueIdEEEEEPllNS8_4plusIlEEEE10hipError_tPvRmT1_T2_T3_mT4_P12ihipStream_tbEUlT_E1_NS1_11comp_targetILNS1_3genE9ELNS1_11target_archE1100ELNS1_3gpuE3ELNS1_3repE0EEENS1_30default_config_static_selectorELNS0_4arch9wavefront6targetE1EEEvSW_,"axG",@progbits,_ZN7rocprim17ROCPRIM_400000_NS6detail17trampoline_kernelINS0_14default_configENS1_22reduce_config_selectorIlEEZNS1_11reduce_implILb1ES3_N6thrust23THRUST_200600_302600_NS11hip_rocprim26transform_input_iterator_tIlNS8_12zip_iteratorINS8_5tupleINS8_6detail15normal_iteratorINS8_10device_ptrIdEEEESH_NS8_9null_typeESI_SI_SI_SI_SI_SI_SI_EEEENS9_21zip_adj_not_predicateI22is_equal_div_10_uniqueIdEEEEEPllNS8_4plusIlEEEE10hipError_tPvRmT1_T2_T3_mT4_P12ihipStream_tbEUlT_E1_NS1_11comp_targetILNS1_3genE9ELNS1_11target_archE1100ELNS1_3gpuE3ELNS1_3repE0EEENS1_30default_config_static_selectorELNS0_4arch9wavefront6targetE1EEEvSW_,comdat
	.protected	_ZN7rocprim17ROCPRIM_400000_NS6detail17trampoline_kernelINS0_14default_configENS1_22reduce_config_selectorIlEEZNS1_11reduce_implILb1ES3_N6thrust23THRUST_200600_302600_NS11hip_rocprim26transform_input_iterator_tIlNS8_12zip_iteratorINS8_5tupleINS8_6detail15normal_iteratorINS8_10device_ptrIdEEEESH_NS8_9null_typeESI_SI_SI_SI_SI_SI_SI_EEEENS9_21zip_adj_not_predicateI22is_equal_div_10_uniqueIdEEEEEPllNS8_4plusIlEEEE10hipError_tPvRmT1_T2_T3_mT4_P12ihipStream_tbEUlT_E1_NS1_11comp_targetILNS1_3genE9ELNS1_11target_archE1100ELNS1_3gpuE3ELNS1_3repE0EEENS1_30default_config_static_selectorELNS0_4arch9wavefront6targetE1EEEvSW_ ; -- Begin function _ZN7rocprim17ROCPRIM_400000_NS6detail17trampoline_kernelINS0_14default_configENS1_22reduce_config_selectorIlEEZNS1_11reduce_implILb1ES3_N6thrust23THRUST_200600_302600_NS11hip_rocprim26transform_input_iterator_tIlNS8_12zip_iteratorINS8_5tupleINS8_6detail15normal_iteratorINS8_10device_ptrIdEEEESH_NS8_9null_typeESI_SI_SI_SI_SI_SI_SI_EEEENS9_21zip_adj_not_predicateI22is_equal_div_10_uniqueIdEEEEEPllNS8_4plusIlEEEE10hipError_tPvRmT1_T2_T3_mT4_P12ihipStream_tbEUlT_E1_NS1_11comp_targetILNS1_3genE9ELNS1_11target_archE1100ELNS1_3gpuE3ELNS1_3repE0EEENS1_30default_config_static_selectorELNS0_4arch9wavefront6targetE1EEEvSW_
	.globl	_ZN7rocprim17ROCPRIM_400000_NS6detail17trampoline_kernelINS0_14default_configENS1_22reduce_config_selectorIlEEZNS1_11reduce_implILb1ES3_N6thrust23THRUST_200600_302600_NS11hip_rocprim26transform_input_iterator_tIlNS8_12zip_iteratorINS8_5tupleINS8_6detail15normal_iteratorINS8_10device_ptrIdEEEESH_NS8_9null_typeESI_SI_SI_SI_SI_SI_SI_EEEENS9_21zip_adj_not_predicateI22is_equal_div_10_uniqueIdEEEEEPllNS8_4plusIlEEEE10hipError_tPvRmT1_T2_T3_mT4_P12ihipStream_tbEUlT_E1_NS1_11comp_targetILNS1_3genE9ELNS1_11target_archE1100ELNS1_3gpuE3ELNS1_3repE0EEENS1_30default_config_static_selectorELNS0_4arch9wavefront6targetE1EEEvSW_
	.p2align	8
	.type	_ZN7rocprim17ROCPRIM_400000_NS6detail17trampoline_kernelINS0_14default_configENS1_22reduce_config_selectorIlEEZNS1_11reduce_implILb1ES3_N6thrust23THRUST_200600_302600_NS11hip_rocprim26transform_input_iterator_tIlNS8_12zip_iteratorINS8_5tupleINS8_6detail15normal_iteratorINS8_10device_ptrIdEEEESH_NS8_9null_typeESI_SI_SI_SI_SI_SI_SI_EEEENS9_21zip_adj_not_predicateI22is_equal_div_10_uniqueIdEEEEEPllNS8_4plusIlEEEE10hipError_tPvRmT1_T2_T3_mT4_P12ihipStream_tbEUlT_E1_NS1_11comp_targetILNS1_3genE9ELNS1_11target_archE1100ELNS1_3gpuE3ELNS1_3repE0EEENS1_30default_config_static_selectorELNS0_4arch9wavefront6targetE1EEEvSW_,@function
_ZN7rocprim17ROCPRIM_400000_NS6detail17trampoline_kernelINS0_14default_configENS1_22reduce_config_selectorIlEEZNS1_11reduce_implILb1ES3_N6thrust23THRUST_200600_302600_NS11hip_rocprim26transform_input_iterator_tIlNS8_12zip_iteratorINS8_5tupleINS8_6detail15normal_iteratorINS8_10device_ptrIdEEEESH_NS8_9null_typeESI_SI_SI_SI_SI_SI_SI_EEEENS9_21zip_adj_not_predicateI22is_equal_div_10_uniqueIdEEEEEPllNS8_4plusIlEEEE10hipError_tPvRmT1_T2_T3_mT4_P12ihipStream_tbEUlT_E1_NS1_11comp_targetILNS1_3genE9ELNS1_11target_archE1100ELNS1_3gpuE3ELNS1_3repE0EEENS1_30default_config_static_selectorELNS0_4arch9wavefront6targetE1EEEvSW_: ; @_ZN7rocprim17ROCPRIM_400000_NS6detail17trampoline_kernelINS0_14default_configENS1_22reduce_config_selectorIlEEZNS1_11reduce_implILb1ES3_N6thrust23THRUST_200600_302600_NS11hip_rocprim26transform_input_iterator_tIlNS8_12zip_iteratorINS8_5tupleINS8_6detail15normal_iteratorINS8_10device_ptrIdEEEESH_NS8_9null_typeESI_SI_SI_SI_SI_SI_SI_EEEENS9_21zip_adj_not_predicateI22is_equal_div_10_uniqueIdEEEEEPllNS8_4plusIlEEEE10hipError_tPvRmT1_T2_T3_mT4_P12ihipStream_tbEUlT_E1_NS1_11comp_targetILNS1_3genE9ELNS1_11target_archE1100ELNS1_3gpuE3ELNS1_3repE0EEENS1_30default_config_static_selectorELNS0_4arch9wavefront6targetE1EEEvSW_
; %bb.0:
	.section	.rodata,"a",@progbits
	.p2align	6, 0x0
	.amdhsa_kernel _ZN7rocprim17ROCPRIM_400000_NS6detail17trampoline_kernelINS0_14default_configENS1_22reduce_config_selectorIlEEZNS1_11reduce_implILb1ES3_N6thrust23THRUST_200600_302600_NS11hip_rocprim26transform_input_iterator_tIlNS8_12zip_iteratorINS8_5tupleINS8_6detail15normal_iteratorINS8_10device_ptrIdEEEESH_NS8_9null_typeESI_SI_SI_SI_SI_SI_SI_EEEENS9_21zip_adj_not_predicateI22is_equal_div_10_uniqueIdEEEEEPllNS8_4plusIlEEEE10hipError_tPvRmT1_T2_T3_mT4_P12ihipStream_tbEUlT_E1_NS1_11comp_targetILNS1_3genE9ELNS1_11target_archE1100ELNS1_3gpuE3ELNS1_3repE0EEENS1_30default_config_static_selectorELNS0_4arch9wavefront6targetE1EEEvSW_
		.amdhsa_group_segment_fixed_size 0
		.amdhsa_private_segment_fixed_size 0
		.amdhsa_kernarg_size 64
		.amdhsa_user_sgpr_count 6
		.amdhsa_user_sgpr_private_segment_buffer 1
		.amdhsa_user_sgpr_dispatch_ptr 0
		.amdhsa_user_sgpr_queue_ptr 0
		.amdhsa_user_sgpr_kernarg_segment_ptr 1
		.amdhsa_user_sgpr_dispatch_id 0
		.amdhsa_user_sgpr_flat_scratch_init 0
		.amdhsa_user_sgpr_private_segment_size 0
		.amdhsa_uses_dynamic_stack 0
		.amdhsa_system_sgpr_private_segment_wavefront_offset 0
		.amdhsa_system_sgpr_workgroup_id_x 1
		.amdhsa_system_sgpr_workgroup_id_y 0
		.amdhsa_system_sgpr_workgroup_id_z 0
		.amdhsa_system_sgpr_workgroup_info 0
		.amdhsa_system_vgpr_workitem_id 0
		.amdhsa_next_free_vgpr 1
		.amdhsa_next_free_sgpr 0
		.amdhsa_reserve_vcc 0
		.amdhsa_reserve_flat_scratch 0
		.amdhsa_float_round_mode_32 0
		.amdhsa_float_round_mode_16_64 0
		.amdhsa_float_denorm_mode_32 3
		.amdhsa_float_denorm_mode_16_64 3
		.amdhsa_dx10_clamp 1
		.amdhsa_ieee_mode 1
		.amdhsa_fp16_overflow 0
		.amdhsa_exception_fp_ieee_invalid_op 0
		.amdhsa_exception_fp_denorm_src 0
		.amdhsa_exception_fp_ieee_div_zero 0
		.amdhsa_exception_fp_ieee_overflow 0
		.amdhsa_exception_fp_ieee_underflow 0
		.amdhsa_exception_fp_ieee_inexact 0
		.amdhsa_exception_int_div_zero 0
	.end_amdhsa_kernel
	.section	.text._ZN7rocprim17ROCPRIM_400000_NS6detail17trampoline_kernelINS0_14default_configENS1_22reduce_config_selectorIlEEZNS1_11reduce_implILb1ES3_N6thrust23THRUST_200600_302600_NS11hip_rocprim26transform_input_iterator_tIlNS8_12zip_iteratorINS8_5tupleINS8_6detail15normal_iteratorINS8_10device_ptrIdEEEESH_NS8_9null_typeESI_SI_SI_SI_SI_SI_SI_EEEENS9_21zip_adj_not_predicateI22is_equal_div_10_uniqueIdEEEEEPllNS8_4plusIlEEEE10hipError_tPvRmT1_T2_T3_mT4_P12ihipStream_tbEUlT_E1_NS1_11comp_targetILNS1_3genE9ELNS1_11target_archE1100ELNS1_3gpuE3ELNS1_3repE0EEENS1_30default_config_static_selectorELNS0_4arch9wavefront6targetE1EEEvSW_,"axG",@progbits,_ZN7rocprim17ROCPRIM_400000_NS6detail17trampoline_kernelINS0_14default_configENS1_22reduce_config_selectorIlEEZNS1_11reduce_implILb1ES3_N6thrust23THRUST_200600_302600_NS11hip_rocprim26transform_input_iterator_tIlNS8_12zip_iteratorINS8_5tupleINS8_6detail15normal_iteratorINS8_10device_ptrIdEEEESH_NS8_9null_typeESI_SI_SI_SI_SI_SI_SI_EEEENS9_21zip_adj_not_predicateI22is_equal_div_10_uniqueIdEEEEEPllNS8_4plusIlEEEE10hipError_tPvRmT1_T2_T3_mT4_P12ihipStream_tbEUlT_E1_NS1_11comp_targetILNS1_3genE9ELNS1_11target_archE1100ELNS1_3gpuE3ELNS1_3repE0EEENS1_30default_config_static_selectorELNS0_4arch9wavefront6targetE1EEEvSW_,comdat
.Lfunc_end777:
	.size	_ZN7rocprim17ROCPRIM_400000_NS6detail17trampoline_kernelINS0_14default_configENS1_22reduce_config_selectorIlEEZNS1_11reduce_implILb1ES3_N6thrust23THRUST_200600_302600_NS11hip_rocprim26transform_input_iterator_tIlNS8_12zip_iteratorINS8_5tupleINS8_6detail15normal_iteratorINS8_10device_ptrIdEEEESH_NS8_9null_typeESI_SI_SI_SI_SI_SI_SI_EEEENS9_21zip_adj_not_predicateI22is_equal_div_10_uniqueIdEEEEEPllNS8_4plusIlEEEE10hipError_tPvRmT1_T2_T3_mT4_P12ihipStream_tbEUlT_E1_NS1_11comp_targetILNS1_3genE9ELNS1_11target_archE1100ELNS1_3gpuE3ELNS1_3repE0EEENS1_30default_config_static_selectorELNS0_4arch9wavefront6targetE1EEEvSW_, .Lfunc_end777-_ZN7rocprim17ROCPRIM_400000_NS6detail17trampoline_kernelINS0_14default_configENS1_22reduce_config_selectorIlEEZNS1_11reduce_implILb1ES3_N6thrust23THRUST_200600_302600_NS11hip_rocprim26transform_input_iterator_tIlNS8_12zip_iteratorINS8_5tupleINS8_6detail15normal_iteratorINS8_10device_ptrIdEEEESH_NS8_9null_typeESI_SI_SI_SI_SI_SI_SI_EEEENS9_21zip_adj_not_predicateI22is_equal_div_10_uniqueIdEEEEEPllNS8_4plusIlEEEE10hipError_tPvRmT1_T2_T3_mT4_P12ihipStream_tbEUlT_E1_NS1_11comp_targetILNS1_3genE9ELNS1_11target_archE1100ELNS1_3gpuE3ELNS1_3repE0EEENS1_30default_config_static_selectorELNS0_4arch9wavefront6targetE1EEEvSW_
                                        ; -- End function
	.set _ZN7rocprim17ROCPRIM_400000_NS6detail17trampoline_kernelINS0_14default_configENS1_22reduce_config_selectorIlEEZNS1_11reduce_implILb1ES3_N6thrust23THRUST_200600_302600_NS11hip_rocprim26transform_input_iterator_tIlNS8_12zip_iteratorINS8_5tupleINS8_6detail15normal_iteratorINS8_10device_ptrIdEEEESH_NS8_9null_typeESI_SI_SI_SI_SI_SI_SI_EEEENS9_21zip_adj_not_predicateI22is_equal_div_10_uniqueIdEEEEEPllNS8_4plusIlEEEE10hipError_tPvRmT1_T2_T3_mT4_P12ihipStream_tbEUlT_E1_NS1_11comp_targetILNS1_3genE9ELNS1_11target_archE1100ELNS1_3gpuE3ELNS1_3repE0EEENS1_30default_config_static_selectorELNS0_4arch9wavefront6targetE1EEEvSW_.num_vgpr, 0
	.set _ZN7rocprim17ROCPRIM_400000_NS6detail17trampoline_kernelINS0_14default_configENS1_22reduce_config_selectorIlEEZNS1_11reduce_implILb1ES3_N6thrust23THRUST_200600_302600_NS11hip_rocprim26transform_input_iterator_tIlNS8_12zip_iteratorINS8_5tupleINS8_6detail15normal_iteratorINS8_10device_ptrIdEEEESH_NS8_9null_typeESI_SI_SI_SI_SI_SI_SI_EEEENS9_21zip_adj_not_predicateI22is_equal_div_10_uniqueIdEEEEEPllNS8_4plusIlEEEE10hipError_tPvRmT1_T2_T3_mT4_P12ihipStream_tbEUlT_E1_NS1_11comp_targetILNS1_3genE9ELNS1_11target_archE1100ELNS1_3gpuE3ELNS1_3repE0EEENS1_30default_config_static_selectorELNS0_4arch9wavefront6targetE1EEEvSW_.num_agpr, 0
	.set _ZN7rocprim17ROCPRIM_400000_NS6detail17trampoline_kernelINS0_14default_configENS1_22reduce_config_selectorIlEEZNS1_11reduce_implILb1ES3_N6thrust23THRUST_200600_302600_NS11hip_rocprim26transform_input_iterator_tIlNS8_12zip_iteratorINS8_5tupleINS8_6detail15normal_iteratorINS8_10device_ptrIdEEEESH_NS8_9null_typeESI_SI_SI_SI_SI_SI_SI_EEEENS9_21zip_adj_not_predicateI22is_equal_div_10_uniqueIdEEEEEPllNS8_4plusIlEEEE10hipError_tPvRmT1_T2_T3_mT4_P12ihipStream_tbEUlT_E1_NS1_11comp_targetILNS1_3genE9ELNS1_11target_archE1100ELNS1_3gpuE3ELNS1_3repE0EEENS1_30default_config_static_selectorELNS0_4arch9wavefront6targetE1EEEvSW_.numbered_sgpr, 0
	.set _ZN7rocprim17ROCPRIM_400000_NS6detail17trampoline_kernelINS0_14default_configENS1_22reduce_config_selectorIlEEZNS1_11reduce_implILb1ES3_N6thrust23THRUST_200600_302600_NS11hip_rocprim26transform_input_iterator_tIlNS8_12zip_iteratorINS8_5tupleINS8_6detail15normal_iteratorINS8_10device_ptrIdEEEESH_NS8_9null_typeESI_SI_SI_SI_SI_SI_SI_EEEENS9_21zip_adj_not_predicateI22is_equal_div_10_uniqueIdEEEEEPllNS8_4plusIlEEEE10hipError_tPvRmT1_T2_T3_mT4_P12ihipStream_tbEUlT_E1_NS1_11comp_targetILNS1_3genE9ELNS1_11target_archE1100ELNS1_3gpuE3ELNS1_3repE0EEENS1_30default_config_static_selectorELNS0_4arch9wavefront6targetE1EEEvSW_.num_named_barrier, 0
	.set _ZN7rocprim17ROCPRIM_400000_NS6detail17trampoline_kernelINS0_14default_configENS1_22reduce_config_selectorIlEEZNS1_11reduce_implILb1ES3_N6thrust23THRUST_200600_302600_NS11hip_rocprim26transform_input_iterator_tIlNS8_12zip_iteratorINS8_5tupleINS8_6detail15normal_iteratorINS8_10device_ptrIdEEEESH_NS8_9null_typeESI_SI_SI_SI_SI_SI_SI_EEEENS9_21zip_adj_not_predicateI22is_equal_div_10_uniqueIdEEEEEPllNS8_4plusIlEEEE10hipError_tPvRmT1_T2_T3_mT4_P12ihipStream_tbEUlT_E1_NS1_11comp_targetILNS1_3genE9ELNS1_11target_archE1100ELNS1_3gpuE3ELNS1_3repE0EEENS1_30default_config_static_selectorELNS0_4arch9wavefront6targetE1EEEvSW_.private_seg_size, 0
	.set _ZN7rocprim17ROCPRIM_400000_NS6detail17trampoline_kernelINS0_14default_configENS1_22reduce_config_selectorIlEEZNS1_11reduce_implILb1ES3_N6thrust23THRUST_200600_302600_NS11hip_rocprim26transform_input_iterator_tIlNS8_12zip_iteratorINS8_5tupleINS8_6detail15normal_iteratorINS8_10device_ptrIdEEEESH_NS8_9null_typeESI_SI_SI_SI_SI_SI_SI_EEEENS9_21zip_adj_not_predicateI22is_equal_div_10_uniqueIdEEEEEPllNS8_4plusIlEEEE10hipError_tPvRmT1_T2_T3_mT4_P12ihipStream_tbEUlT_E1_NS1_11comp_targetILNS1_3genE9ELNS1_11target_archE1100ELNS1_3gpuE3ELNS1_3repE0EEENS1_30default_config_static_selectorELNS0_4arch9wavefront6targetE1EEEvSW_.uses_vcc, 0
	.set _ZN7rocprim17ROCPRIM_400000_NS6detail17trampoline_kernelINS0_14default_configENS1_22reduce_config_selectorIlEEZNS1_11reduce_implILb1ES3_N6thrust23THRUST_200600_302600_NS11hip_rocprim26transform_input_iterator_tIlNS8_12zip_iteratorINS8_5tupleINS8_6detail15normal_iteratorINS8_10device_ptrIdEEEESH_NS8_9null_typeESI_SI_SI_SI_SI_SI_SI_EEEENS9_21zip_adj_not_predicateI22is_equal_div_10_uniqueIdEEEEEPllNS8_4plusIlEEEE10hipError_tPvRmT1_T2_T3_mT4_P12ihipStream_tbEUlT_E1_NS1_11comp_targetILNS1_3genE9ELNS1_11target_archE1100ELNS1_3gpuE3ELNS1_3repE0EEENS1_30default_config_static_selectorELNS0_4arch9wavefront6targetE1EEEvSW_.uses_flat_scratch, 0
	.set _ZN7rocprim17ROCPRIM_400000_NS6detail17trampoline_kernelINS0_14default_configENS1_22reduce_config_selectorIlEEZNS1_11reduce_implILb1ES3_N6thrust23THRUST_200600_302600_NS11hip_rocprim26transform_input_iterator_tIlNS8_12zip_iteratorINS8_5tupleINS8_6detail15normal_iteratorINS8_10device_ptrIdEEEESH_NS8_9null_typeESI_SI_SI_SI_SI_SI_SI_EEEENS9_21zip_adj_not_predicateI22is_equal_div_10_uniqueIdEEEEEPllNS8_4plusIlEEEE10hipError_tPvRmT1_T2_T3_mT4_P12ihipStream_tbEUlT_E1_NS1_11comp_targetILNS1_3genE9ELNS1_11target_archE1100ELNS1_3gpuE3ELNS1_3repE0EEENS1_30default_config_static_selectorELNS0_4arch9wavefront6targetE1EEEvSW_.has_dyn_sized_stack, 0
	.set _ZN7rocprim17ROCPRIM_400000_NS6detail17trampoline_kernelINS0_14default_configENS1_22reduce_config_selectorIlEEZNS1_11reduce_implILb1ES3_N6thrust23THRUST_200600_302600_NS11hip_rocprim26transform_input_iterator_tIlNS8_12zip_iteratorINS8_5tupleINS8_6detail15normal_iteratorINS8_10device_ptrIdEEEESH_NS8_9null_typeESI_SI_SI_SI_SI_SI_SI_EEEENS9_21zip_adj_not_predicateI22is_equal_div_10_uniqueIdEEEEEPllNS8_4plusIlEEEE10hipError_tPvRmT1_T2_T3_mT4_P12ihipStream_tbEUlT_E1_NS1_11comp_targetILNS1_3genE9ELNS1_11target_archE1100ELNS1_3gpuE3ELNS1_3repE0EEENS1_30default_config_static_selectorELNS0_4arch9wavefront6targetE1EEEvSW_.has_recursion, 0
	.set _ZN7rocprim17ROCPRIM_400000_NS6detail17trampoline_kernelINS0_14default_configENS1_22reduce_config_selectorIlEEZNS1_11reduce_implILb1ES3_N6thrust23THRUST_200600_302600_NS11hip_rocprim26transform_input_iterator_tIlNS8_12zip_iteratorINS8_5tupleINS8_6detail15normal_iteratorINS8_10device_ptrIdEEEESH_NS8_9null_typeESI_SI_SI_SI_SI_SI_SI_EEEENS9_21zip_adj_not_predicateI22is_equal_div_10_uniqueIdEEEEEPllNS8_4plusIlEEEE10hipError_tPvRmT1_T2_T3_mT4_P12ihipStream_tbEUlT_E1_NS1_11comp_targetILNS1_3genE9ELNS1_11target_archE1100ELNS1_3gpuE3ELNS1_3repE0EEENS1_30default_config_static_selectorELNS0_4arch9wavefront6targetE1EEEvSW_.has_indirect_call, 0
	.section	.AMDGPU.csdata,"",@progbits
; Kernel info:
; codeLenInByte = 0
; TotalNumSgprs: 4
; NumVgprs: 0
; ScratchSize: 0
; MemoryBound: 0
; FloatMode: 240
; IeeeMode: 1
; LDSByteSize: 0 bytes/workgroup (compile time only)
; SGPRBlocks: 0
; VGPRBlocks: 0
; NumSGPRsForWavesPerEU: 4
; NumVGPRsForWavesPerEU: 1
; Occupancy: 10
; WaveLimiterHint : 0
; COMPUTE_PGM_RSRC2:SCRATCH_EN: 0
; COMPUTE_PGM_RSRC2:USER_SGPR: 6
; COMPUTE_PGM_RSRC2:TRAP_HANDLER: 0
; COMPUTE_PGM_RSRC2:TGID_X_EN: 1
; COMPUTE_PGM_RSRC2:TGID_Y_EN: 0
; COMPUTE_PGM_RSRC2:TGID_Z_EN: 0
; COMPUTE_PGM_RSRC2:TIDIG_COMP_CNT: 0
	.section	.text._ZN7rocprim17ROCPRIM_400000_NS6detail17trampoline_kernelINS0_14default_configENS1_22reduce_config_selectorIlEEZNS1_11reduce_implILb1ES3_N6thrust23THRUST_200600_302600_NS11hip_rocprim26transform_input_iterator_tIlNS8_12zip_iteratorINS8_5tupleINS8_6detail15normal_iteratorINS8_10device_ptrIdEEEESH_NS8_9null_typeESI_SI_SI_SI_SI_SI_SI_EEEENS9_21zip_adj_not_predicateI22is_equal_div_10_uniqueIdEEEEEPllNS8_4plusIlEEEE10hipError_tPvRmT1_T2_T3_mT4_P12ihipStream_tbEUlT_E1_NS1_11comp_targetILNS1_3genE8ELNS1_11target_archE1030ELNS1_3gpuE2ELNS1_3repE0EEENS1_30default_config_static_selectorELNS0_4arch9wavefront6targetE1EEEvSW_,"axG",@progbits,_ZN7rocprim17ROCPRIM_400000_NS6detail17trampoline_kernelINS0_14default_configENS1_22reduce_config_selectorIlEEZNS1_11reduce_implILb1ES3_N6thrust23THRUST_200600_302600_NS11hip_rocprim26transform_input_iterator_tIlNS8_12zip_iteratorINS8_5tupleINS8_6detail15normal_iteratorINS8_10device_ptrIdEEEESH_NS8_9null_typeESI_SI_SI_SI_SI_SI_SI_EEEENS9_21zip_adj_not_predicateI22is_equal_div_10_uniqueIdEEEEEPllNS8_4plusIlEEEE10hipError_tPvRmT1_T2_T3_mT4_P12ihipStream_tbEUlT_E1_NS1_11comp_targetILNS1_3genE8ELNS1_11target_archE1030ELNS1_3gpuE2ELNS1_3repE0EEENS1_30default_config_static_selectorELNS0_4arch9wavefront6targetE1EEEvSW_,comdat
	.protected	_ZN7rocprim17ROCPRIM_400000_NS6detail17trampoline_kernelINS0_14default_configENS1_22reduce_config_selectorIlEEZNS1_11reduce_implILb1ES3_N6thrust23THRUST_200600_302600_NS11hip_rocprim26transform_input_iterator_tIlNS8_12zip_iteratorINS8_5tupleINS8_6detail15normal_iteratorINS8_10device_ptrIdEEEESH_NS8_9null_typeESI_SI_SI_SI_SI_SI_SI_EEEENS9_21zip_adj_not_predicateI22is_equal_div_10_uniqueIdEEEEEPllNS8_4plusIlEEEE10hipError_tPvRmT1_T2_T3_mT4_P12ihipStream_tbEUlT_E1_NS1_11comp_targetILNS1_3genE8ELNS1_11target_archE1030ELNS1_3gpuE2ELNS1_3repE0EEENS1_30default_config_static_selectorELNS0_4arch9wavefront6targetE1EEEvSW_ ; -- Begin function _ZN7rocprim17ROCPRIM_400000_NS6detail17trampoline_kernelINS0_14default_configENS1_22reduce_config_selectorIlEEZNS1_11reduce_implILb1ES3_N6thrust23THRUST_200600_302600_NS11hip_rocprim26transform_input_iterator_tIlNS8_12zip_iteratorINS8_5tupleINS8_6detail15normal_iteratorINS8_10device_ptrIdEEEESH_NS8_9null_typeESI_SI_SI_SI_SI_SI_SI_EEEENS9_21zip_adj_not_predicateI22is_equal_div_10_uniqueIdEEEEEPllNS8_4plusIlEEEE10hipError_tPvRmT1_T2_T3_mT4_P12ihipStream_tbEUlT_E1_NS1_11comp_targetILNS1_3genE8ELNS1_11target_archE1030ELNS1_3gpuE2ELNS1_3repE0EEENS1_30default_config_static_selectorELNS0_4arch9wavefront6targetE1EEEvSW_
	.globl	_ZN7rocprim17ROCPRIM_400000_NS6detail17trampoline_kernelINS0_14default_configENS1_22reduce_config_selectorIlEEZNS1_11reduce_implILb1ES3_N6thrust23THRUST_200600_302600_NS11hip_rocprim26transform_input_iterator_tIlNS8_12zip_iteratorINS8_5tupleINS8_6detail15normal_iteratorINS8_10device_ptrIdEEEESH_NS8_9null_typeESI_SI_SI_SI_SI_SI_SI_EEEENS9_21zip_adj_not_predicateI22is_equal_div_10_uniqueIdEEEEEPllNS8_4plusIlEEEE10hipError_tPvRmT1_T2_T3_mT4_P12ihipStream_tbEUlT_E1_NS1_11comp_targetILNS1_3genE8ELNS1_11target_archE1030ELNS1_3gpuE2ELNS1_3repE0EEENS1_30default_config_static_selectorELNS0_4arch9wavefront6targetE1EEEvSW_
	.p2align	8
	.type	_ZN7rocprim17ROCPRIM_400000_NS6detail17trampoline_kernelINS0_14default_configENS1_22reduce_config_selectorIlEEZNS1_11reduce_implILb1ES3_N6thrust23THRUST_200600_302600_NS11hip_rocprim26transform_input_iterator_tIlNS8_12zip_iteratorINS8_5tupleINS8_6detail15normal_iteratorINS8_10device_ptrIdEEEESH_NS8_9null_typeESI_SI_SI_SI_SI_SI_SI_EEEENS9_21zip_adj_not_predicateI22is_equal_div_10_uniqueIdEEEEEPllNS8_4plusIlEEEE10hipError_tPvRmT1_T2_T3_mT4_P12ihipStream_tbEUlT_E1_NS1_11comp_targetILNS1_3genE8ELNS1_11target_archE1030ELNS1_3gpuE2ELNS1_3repE0EEENS1_30default_config_static_selectorELNS0_4arch9wavefront6targetE1EEEvSW_,@function
_ZN7rocprim17ROCPRIM_400000_NS6detail17trampoline_kernelINS0_14default_configENS1_22reduce_config_selectorIlEEZNS1_11reduce_implILb1ES3_N6thrust23THRUST_200600_302600_NS11hip_rocprim26transform_input_iterator_tIlNS8_12zip_iteratorINS8_5tupleINS8_6detail15normal_iteratorINS8_10device_ptrIdEEEESH_NS8_9null_typeESI_SI_SI_SI_SI_SI_SI_EEEENS9_21zip_adj_not_predicateI22is_equal_div_10_uniqueIdEEEEEPllNS8_4plusIlEEEE10hipError_tPvRmT1_T2_T3_mT4_P12ihipStream_tbEUlT_E1_NS1_11comp_targetILNS1_3genE8ELNS1_11target_archE1030ELNS1_3gpuE2ELNS1_3repE0EEENS1_30default_config_static_selectorELNS0_4arch9wavefront6targetE1EEEvSW_: ; @_ZN7rocprim17ROCPRIM_400000_NS6detail17trampoline_kernelINS0_14default_configENS1_22reduce_config_selectorIlEEZNS1_11reduce_implILb1ES3_N6thrust23THRUST_200600_302600_NS11hip_rocprim26transform_input_iterator_tIlNS8_12zip_iteratorINS8_5tupleINS8_6detail15normal_iteratorINS8_10device_ptrIdEEEESH_NS8_9null_typeESI_SI_SI_SI_SI_SI_SI_EEEENS9_21zip_adj_not_predicateI22is_equal_div_10_uniqueIdEEEEEPllNS8_4plusIlEEEE10hipError_tPvRmT1_T2_T3_mT4_P12ihipStream_tbEUlT_E1_NS1_11comp_targetILNS1_3genE8ELNS1_11target_archE1030ELNS1_3gpuE2ELNS1_3repE0EEENS1_30default_config_static_selectorELNS0_4arch9wavefront6targetE1EEEvSW_
; %bb.0:
	.section	.rodata,"a",@progbits
	.p2align	6, 0x0
	.amdhsa_kernel _ZN7rocprim17ROCPRIM_400000_NS6detail17trampoline_kernelINS0_14default_configENS1_22reduce_config_selectorIlEEZNS1_11reduce_implILb1ES3_N6thrust23THRUST_200600_302600_NS11hip_rocprim26transform_input_iterator_tIlNS8_12zip_iteratorINS8_5tupleINS8_6detail15normal_iteratorINS8_10device_ptrIdEEEESH_NS8_9null_typeESI_SI_SI_SI_SI_SI_SI_EEEENS9_21zip_adj_not_predicateI22is_equal_div_10_uniqueIdEEEEEPllNS8_4plusIlEEEE10hipError_tPvRmT1_T2_T3_mT4_P12ihipStream_tbEUlT_E1_NS1_11comp_targetILNS1_3genE8ELNS1_11target_archE1030ELNS1_3gpuE2ELNS1_3repE0EEENS1_30default_config_static_selectorELNS0_4arch9wavefront6targetE1EEEvSW_
		.amdhsa_group_segment_fixed_size 0
		.amdhsa_private_segment_fixed_size 0
		.amdhsa_kernarg_size 64
		.amdhsa_user_sgpr_count 6
		.amdhsa_user_sgpr_private_segment_buffer 1
		.amdhsa_user_sgpr_dispatch_ptr 0
		.amdhsa_user_sgpr_queue_ptr 0
		.amdhsa_user_sgpr_kernarg_segment_ptr 1
		.amdhsa_user_sgpr_dispatch_id 0
		.amdhsa_user_sgpr_flat_scratch_init 0
		.amdhsa_user_sgpr_private_segment_size 0
		.amdhsa_uses_dynamic_stack 0
		.amdhsa_system_sgpr_private_segment_wavefront_offset 0
		.amdhsa_system_sgpr_workgroup_id_x 1
		.amdhsa_system_sgpr_workgroup_id_y 0
		.amdhsa_system_sgpr_workgroup_id_z 0
		.amdhsa_system_sgpr_workgroup_info 0
		.amdhsa_system_vgpr_workitem_id 0
		.amdhsa_next_free_vgpr 1
		.amdhsa_next_free_sgpr 0
		.amdhsa_reserve_vcc 0
		.amdhsa_reserve_flat_scratch 0
		.amdhsa_float_round_mode_32 0
		.amdhsa_float_round_mode_16_64 0
		.amdhsa_float_denorm_mode_32 3
		.amdhsa_float_denorm_mode_16_64 3
		.amdhsa_dx10_clamp 1
		.amdhsa_ieee_mode 1
		.amdhsa_fp16_overflow 0
		.amdhsa_exception_fp_ieee_invalid_op 0
		.amdhsa_exception_fp_denorm_src 0
		.amdhsa_exception_fp_ieee_div_zero 0
		.amdhsa_exception_fp_ieee_overflow 0
		.amdhsa_exception_fp_ieee_underflow 0
		.amdhsa_exception_fp_ieee_inexact 0
		.amdhsa_exception_int_div_zero 0
	.end_amdhsa_kernel
	.section	.text._ZN7rocprim17ROCPRIM_400000_NS6detail17trampoline_kernelINS0_14default_configENS1_22reduce_config_selectorIlEEZNS1_11reduce_implILb1ES3_N6thrust23THRUST_200600_302600_NS11hip_rocprim26transform_input_iterator_tIlNS8_12zip_iteratorINS8_5tupleINS8_6detail15normal_iteratorINS8_10device_ptrIdEEEESH_NS8_9null_typeESI_SI_SI_SI_SI_SI_SI_EEEENS9_21zip_adj_not_predicateI22is_equal_div_10_uniqueIdEEEEEPllNS8_4plusIlEEEE10hipError_tPvRmT1_T2_T3_mT4_P12ihipStream_tbEUlT_E1_NS1_11comp_targetILNS1_3genE8ELNS1_11target_archE1030ELNS1_3gpuE2ELNS1_3repE0EEENS1_30default_config_static_selectorELNS0_4arch9wavefront6targetE1EEEvSW_,"axG",@progbits,_ZN7rocprim17ROCPRIM_400000_NS6detail17trampoline_kernelINS0_14default_configENS1_22reduce_config_selectorIlEEZNS1_11reduce_implILb1ES3_N6thrust23THRUST_200600_302600_NS11hip_rocprim26transform_input_iterator_tIlNS8_12zip_iteratorINS8_5tupleINS8_6detail15normal_iteratorINS8_10device_ptrIdEEEESH_NS8_9null_typeESI_SI_SI_SI_SI_SI_SI_EEEENS9_21zip_adj_not_predicateI22is_equal_div_10_uniqueIdEEEEEPllNS8_4plusIlEEEE10hipError_tPvRmT1_T2_T3_mT4_P12ihipStream_tbEUlT_E1_NS1_11comp_targetILNS1_3genE8ELNS1_11target_archE1030ELNS1_3gpuE2ELNS1_3repE0EEENS1_30default_config_static_selectorELNS0_4arch9wavefront6targetE1EEEvSW_,comdat
.Lfunc_end778:
	.size	_ZN7rocprim17ROCPRIM_400000_NS6detail17trampoline_kernelINS0_14default_configENS1_22reduce_config_selectorIlEEZNS1_11reduce_implILb1ES3_N6thrust23THRUST_200600_302600_NS11hip_rocprim26transform_input_iterator_tIlNS8_12zip_iteratorINS8_5tupleINS8_6detail15normal_iteratorINS8_10device_ptrIdEEEESH_NS8_9null_typeESI_SI_SI_SI_SI_SI_SI_EEEENS9_21zip_adj_not_predicateI22is_equal_div_10_uniqueIdEEEEEPllNS8_4plusIlEEEE10hipError_tPvRmT1_T2_T3_mT4_P12ihipStream_tbEUlT_E1_NS1_11comp_targetILNS1_3genE8ELNS1_11target_archE1030ELNS1_3gpuE2ELNS1_3repE0EEENS1_30default_config_static_selectorELNS0_4arch9wavefront6targetE1EEEvSW_, .Lfunc_end778-_ZN7rocprim17ROCPRIM_400000_NS6detail17trampoline_kernelINS0_14default_configENS1_22reduce_config_selectorIlEEZNS1_11reduce_implILb1ES3_N6thrust23THRUST_200600_302600_NS11hip_rocprim26transform_input_iterator_tIlNS8_12zip_iteratorINS8_5tupleINS8_6detail15normal_iteratorINS8_10device_ptrIdEEEESH_NS8_9null_typeESI_SI_SI_SI_SI_SI_SI_EEEENS9_21zip_adj_not_predicateI22is_equal_div_10_uniqueIdEEEEEPllNS8_4plusIlEEEE10hipError_tPvRmT1_T2_T3_mT4_P12ihipStream_tbEUlT_E1_NS1_11comp_targetILNS1_3genE8ELNS1_11target_archE1030ELNS1_3gpuE2ELNS1_3repE0EEENS1_30default_config_static_selectorELNS0_4arch9wavefront6targetE1EEEvSW_
                                        ; -- End function
	.set _ZN7rocprim17ROCPRIM_400000_NS6detail17trampoline_kernelINS0_14default_configENS1_22reduce_config_selectorIlEEZNS1_11reduce_implILb1ES3_N6thrust23THRUST_200600_302600_NS11hip_rocprim26transform_input_iterator_tIlNS8_12zip_iteratorINS8_5tupleINS8_6detail15normal_iteratorINS8_10device_ptrIdEEEESH_NS8_9null_typeESI_SI_SI_SI_SI_SI_SI_EEEENS9_21zip_adj_not_predicateI22is_equal_div_10_uniqueIdEEEEEPllNS8_4plusIlEEEE10hipError_tPvRmT1_T2_T3_mT4_P12ihipStream_tbEUlT_E1_NS1_11comp_targetILNS1_3genE8ELNS1_11target_archE1030ELNS1_3gpuE2ELNS1_3repE0EEENS1_30default_config_static_selectorELNS0_4arch9wavefront6targetE1EEEvSW_.num_vgpr, 0
	.set _ZN7rocprim17ROCPRIM_400000_NS6detail17trampoline_kernelINS0_14default_configENS1_22reduce_config_selectorIlEEZNS1_11reduce_implILb1ES3_N6thrust23THRUST_200600_302600_NS11hip_rocprim26transform_input_iterator_tIlNS8_12zip_iteratorINS8_5tupleINS8_6detail15normal_iteratorINS8_10device_ptrIdEEEESH_NS8_9null_typeESI_SI_SI_SI_SI_SI_SI_EEEENS9_21zip_adj_not_predicateI22is_equal_div_10_uniqueIdEEEEEPllNS8_4plusIlEEEE10hipError_tPvRmT1_T2_T3_mT4_P12ihipStream_tbEUlT_E1_NS1_11comp_targetILNS1_3genE8ELNS1_11target_archE1030ELNS1_3gpuE2ELNS1_3repE0EEENS1_30default_config_static_selectorELNS0_4arch9wavefront6targetE1EEEvSW_.num_agpr, 0
	.set _ZN7rocprim17ROCPRIM_400000_NS6detail17trampoline_kernelINS0_14default_configENS1_22reduce_config_selectorIlEEZNS1_11reduce_implILb1ES3_N6thrust23THRUST_200600_302600_NS11hip_rocprim26transform_input_iterator_tIlNS8_12zip_iteratorINS8_5tupleINS8_6detail15normal_iteratorINS8_10device_ptrIdEEEESH_NS8_9null_typeESI_SI_SI_SI_SI_SI_SI_EEEENS9_21zip_adj_not_predicateI22is_equal_div_10_uniqueIdEEEEEPllNS8_4plusIlEEEE10hipError_tPvRmT1_T2_T3_mT4_P12ihipStream_tbEUlT_E1_NS1_11comp_targetILNS1_3genE8ELNS1_11target_archE1030ELNS1_3gpuE2ELNS1_3repE0EEENS1_30default_config_static_selectorELNS0_4arch9wavefront6targetE1EEEvSW_.numbered_sgpr, 0
	.set _ZN7rocprim17ROCPRIM_400000_NS6detail17trampoline_kernelINS0_14default_configENS1_22reduce_config_selectorIlEEZNS1_11reduce_implILb1ES3_N6thrust23THRUST_200600_302600_NS11hip_rocprim26transform_input_iterator_tIlNS8_12zip_iteratorINS8_5tupleINS8_6detail15normal_iteratorINS8_10device_ptrIdEEEESH_NS8_9null_typeESI_SI_SI_SI_SI_SI_SI_EEEENS9_21zip_adj_not_predicateI22is_equal_div_10_uniqueIdEEEEEPllNS8_4plusIlEEEE10hipError_tPvRmT1_T2_T3_mT4_P12ihipStream_tbEUlT_E1_NS1_11comp_targetILNS1_3genE8ELNS1_11target_archE1030ELNS1_3gpuE2ELNS1_3repE0EEENS1_30default_config_static_selectorELNS0_4arch9wavefront6targetE1EEEvSW_.num_named_barrier, 0
	.set _ZN7rocprim17ROCPRIM_400000_NS6detail17trampoline_kernelINS0_14default_configENS1_22reduce_config_selectorIlEEZNS1_11reduce_implILb1ES3_N6thrust23THRUST_200600_302600_NS11hip_rocprim26transform_input_iterator_tIlNS8_12zip_iteratorINS8_5tupleINS8_6detail15normal_iteratorINS8_10device_ptrIdEEEESH_NS8_9null_typeESI_SI_SI_SI_SI_SI_SI_EEEENS9_21zip_adj_not_predicateI22is_equal_div_10_uniqueIdEEEEEPllNS8_4plusIlEEEE10hipError_tPvRmT1_T2_T3_mT4_P12ihipStream_tbEUlT_E1_NS1_11comp_targetILNS1_3genE8ELNS1_11target_archE1030ELNS1_3gpuE2ELNS1_3repE0EEENS1_30default_config_static_selectorELNS0_4arch9wavefront6targetE1EEEvSW_.private_seg_size, 0
	.set _ZN7rocprim17ROCPRIM_400000_NS6detail17trampoline_kernelINS0_14default_configENS1_22reduce_config_selectorIlEEZNS1_11reduce_implILb1ES3_N6thrust23THRUST_200600_302600_NS11hip_rocprim26transform_input_iterator_tIlNS8_12zip_iteratorINS8_5tupleINS8_6detail15normal_iteratorINS8_10device_ptrIdEEEESH_NS8_9null_typeESI_SI_SI_SI_SI_SI_SI_EEEENS9_21zip_adj_not_predicateI22is_equal_div_10_uniqueIdEEEEEPllNS8_4plusIlEEEE10hipError_tPvRmT1_T2_T3_mT4_P12ihipStream_tbEUlT_E1_NS1_11comp_targetILNS1_3genE8ELNS1_11target_archE1030ELNS1_3gpuE2ELNS1_3repE0EEENS1_30default_config_static_selectorELNS0_4arch9wavefront6targetE1EEEvSW_.uses_vcc, 0
	.set _ZN7rocprim17ROCPRIM_400000_NS6detail17trampoline_kernelINS0_14default_configENS1_22reduce_config_selectorIlEEZNS1_11reduce_implILb1ES3_N6thrust23THRUST_200600_302600_NS11hip_rocprim26transform_input_iterator_tIlNS8_12zip_iteratorINS8_5tupleINS8_6detail15normal_iteratorINS8_10device_ptrIdEEEESH_NS8_9null_typeESI_SI_SI_SI_SI_SI_SI_EEEENS9_21zip_adj_not_predicateI22is_equal_div_10_uniqueIdEEEEEPllNS8_4plusIlEEEE10hipError_tPvRmT1_T2_T3_mT4_P12ihipStream_tbEUlT_E1_NS1_11comp_targetILNS1_3genE8ELNS1_11target_archE1030ELNS1_3gpuE2ELNS1_3repE0EEENS1_30default_config_static_selectorELNS0_4arch9wavefront6targetE1EEEvSW_.uses_flat_scratch, 0
	.set _ZN7rocprim17ROCPRIM_400000_NS6detail17trampoline_kernelINS0_14default_configENS1_22reduce_config_selectorIlEEZNS1_11reduce_implILb1ES3_N6thrust23THRUST_200600_302600_NS11hip_rocprim26transform_input_iterator_tIlNS8_12zip_iteratorINS8_5tupleINS8_6detail15normal_iteratorINS8_10device_ptrIdEEEESH_NS8_9null_typeESI_SI_SI_SI_SI_SI_SI_EEEENS9_21zip_adj_not_predicateI22is_equal_div_10_uniqueIdEEEEEPllNS8_4plusIlEEEE10hipError_tPvRmT1_T2_T3_mT4_P12ihipStream_tbEUlT_E1_NS1_11comp_targetILNS1_3genE8ELNS1_11target_archE1030ELNS1_3gpuE2ELNS1_3repE0EEENS1_30default_config_static_selectorELNS0_4arch9wavefront6targetE1EEEvSW_.has_dyn_sized_stack, 0
	.set _ZN7rocprim17ROCPRIM_400000_NS6detail17trampoline_kernelINS0_14default_configENS1_22reduce_config_selectorIlEEZNS1_11reduce_implILb1ES3_N6thrust23THRUST_200600_302600_NS11hip_rocprim26transform_input_iterator_tIlNS8_12zip_iteratorINS8_5tupleINS8_6detail15normal_iteratorINS8_10device_ptrIdEEEESH_NS8_9null_typeESI_SI_SI_SI_SI_SI_SI_EEEENS9_21zip_adj_not_predicateI22is_equal_div_10_uniqueIdEEEEEPllNS8_4plusIlEEEE10hipError_tPvRmT1_T2_T3_mT4_P12ihipStream_tbEUlT_E1_NS1_11comp_targetILNS1_3genE8ELNS1_11target_archE1030ELNS1_3gpuE2ELNS1_3repE0EEENS1_30default_config_static_selectorELNS0_4arch9wavefront6targetE1EEEvSW_.has_recursion, 0
	.set _ZN7rocprim17ROCPRIM_400000_NS6detail17trampoline_kernelINS0_14default_configENS1_22reduce_config_selectorIlEEZNS1_11reduce_implILb1ES3_N6thrust23THRUST_200600_302600_NS11hip_rocprim26transform_input_iterator_tIlNS8_12zip_iteratorINS8_5tupleINS8_6detail15normal_iteratorINS8_10device_ptrIdEEEESH_NS8_9null_typeESI_SI_SI_SI_SI_SI_SI_EEEENS9_21zip_adj_not_predicateI22is_equal_div_10_uniqueIdEEEEEPllNS8_4plusIlEEEE10hipError_tPvRmT1_T2_T3_mT4_P12ihipStream_tbEUlT_E1_NS1_11comp_targetILNS1_3genE8ELNS1_11target_archE1030ELNS1_3gpuE2ELNS1_3repE0EEENS1_30default_config_static_selectorELNS0_4arch9wavefront6targetE1EEEvSW_.has_indirect_call, 0
	.section	.AMDGPU.csdata,"",@progbits
; Kernel info:
; codeLenInByte = 0
; TotalNumSgprs: 4
; NumVgprs: 0
; ScratchSize: 0
; MemoryBound: 0
; FloatMode: 240
; IeeeMode: 1
; LDSByteSize: 0 bytes/workgroup (compile time only)
; SGPRBlocks: 0
; VGPRBlocks: 0
; NumSGPRsForWavesPerEU: 4
; NumVGPRsForWavesPerEU: 1
; Occupancy: 10
; WaveLimiterHint : 0
; COMPUTE_PGM_RSRC2:SCRATCH_EN: 0
; COMPUTE_PGM_RSRC2:USER_SGPR: 6
; COMPUTE_PGM_RSRC2:TRAP_HANDLER: 0
; COMPUTE_PGM_RSRC2:TGID_X_EN: 1
; COMPUTE_PGM_RSRC2:TGID_Y_EN: 0
; COMPUTE_PGM_RSRC2:TGID_Z_EN: 0
; COMPUTE_PGM_RSRC2:TIDIG_COMP_CNT: 0
	.section	.text._ZN7rocprim17ROCPRIM_400000_NS6detail17trampoline_kernelINS0_14default_configENS1_22reduce_config_selectorIlEEZNS1_11reduce_implILb1ES3_N6thrust23THRUST_200600_302600_NS11hip_rocprim26transform_input_iterator_tIlNS8_12zip_iteratorINS8_5tupleINS8_6detail15normal_iteratorINS8_10device_ptrIfEEEESH_NS8_9null_typeESI_SI_SI_SI_SI_SI_SI_EEEENS9_21zip_adj_not_predicateINS8_8equal_toIfEEEEEEPllNS8_4plusIlEEEE10hipError_tPvRmT1_T2_T3_mT4_P12ihipStream_tbEUlT_E0_NS1_11comp_targetILNS1_3genE0ELNS1_11target_archE4294967295ELNS1_3gpuE0ELNS1_3repE0EEENS1_30default_config_static_selectorELNS0_4arch9wavefront6targetE1EEEvSW_,"axG",@progbits,_ZN7rocprim17ROCPRIM_400000_NS6detail17trampoline_kernelINS0_14default_configENS1_22reduce_config_selectorIlEEZNS1_11reduce_implILb1ES3_N6thrust23THRUST_200600_302600_NS11hip_rocprim26transform_input_iterator_tIlNS8_12zip_iteratorINS8_5tupleINS8_6detail15normal_iteratorINS8_10device_ptrIfEEEESH_NS8_9null_typeESI_SI_SI_SI_SI_SI_SI_EEEENS9_21zip_adj_not_predicateINS8_8equal_toIfEEEEEEPllNS8_4plusIlEEEE10hipError_tPvRmT1_T2_T3_mT4_P12ihipStream_tbEUlT_E0_NS1_11comp_targetILNS1_3genE0ELNS1_11target_archE4294967295ELNS1_3gpuE0ELNS1_3repE0EEENS1_30default_config_static_selectorELNS0_4arch9wavefront6targetE1EEEvSW_,comdat
	.protected	_ZN7rocprim17ROCPRIM_400000_NS6detail17trampoline_kernelINS0_14default_configENS1_22reduce_config_selectorIlEEZNS1_11reduce_implILb1ES3_N6thrust23THRUST_200600_302600_NS11hip_rocprim26transform_input_iterator_tIlNS8_12zip_iteratorINS8_5tupleINS8_6detail15normal_iteratorINS8_10device_ptrIfEEEESH_NS8_9null_typeESI_SI_SI_SI_SI_SI_SI_EEEENS9_21zip_adj_not_predicateINS8_8equal_toIfEEEEEEPllNS8_4plusIlEEEE10hipError_tPvRmT1_T2_T3_mT4_P12ihipStream_tbEUlT_E0_NS1_11comp_targetILNS1_3genE0ELNS1_11target_archE4294967295ELNS1_3gpuE0ELNS1_3repE0EEENS1_30default_config_static_selectorELNS0_4arch9wavefront6targetE1EEEvSW_ ; -- Begin function _ZN7rocprim17ROCPRIM_400000_NS6detail17trampoline_kernelINS0_14default_configENS1_22reduce_config_selectorIlEEZNS1_11reduce_implILb1ES3_N6thrust23THRUST_200600_302600_NS11hip_rocprim26transform_input_iterator_tIlNS8_12zip_iteratorINS8_5tupleINS8_6detail15normal_iteratorINS8_10device_ptrIfEEEESH_NS8_9null_typeESI_SI_SI_SI_SI_SI_SI_EEEENS9_21zip_adj_not_predicateINS8_8equal_toIfEEEEEEPllNS8_4plusIlEEEE10hipError_tPvRmT1_T2_T3_mT4_P12ihipStream_tbEUlT_E0_NS1_11comp_targetILNS1_3genE0ELNS1_11target_archE4294967295ELNS1_3gpuE0ELNS1_3repE0EEENS1_30default_config_static_selectorELNS0_4arch9wavefront6targetE1EEEvSW_
	.globl	_ZN7rocprim17ROCPRIM_400000_NS6detail17trampoline_kernelINS0_14default_configENS1_22reduce_config_selectorIlEEZNS1_11reduce_implILb1ES3_N6thrust23THRUST_200600_302600_NS11hip_rocprim26transform_input_iterator_tIlNS8_12zip_iteratorINS8_5tupleINS8_6detail15normal_iteratorINS8_10device_ptrIfEEEESH_NS8_9null_typeESI_SI_SI_SI_SI_SI_SI_EEEENS9_21zip_adj_not_predicateINS8_8equal_toIfEEEEEEPllNS8_4plusIlEEEE10hipError_tPvRmT1_T2_T3_mT4_P12ihipStream_tbEUlT_E0_NS1_11comp_targetILNS1_3genE0ELNS1_11target_archE4294967295ELNS1_3gpuE0ELNS1_3repE0EEENS1_30default_config_static_selectorELNS0_4arch9wavefront6targetE1EEEvSW_
	.p2align	8
	.type	_ZN7rocprim17ROCPRIM_400000_NS6detail17trampoline_kernelINS0_14default_configENS1_22reduce_config_selectorIlEEZNS1_11reduce_implILb1ES3_N6thrust23THRUST_200600_302600_NS11hip_rocprim26transform_input_iterator_tIlNS8_12zip_iteratorINS8_5tupleINS8_6detail15normal_iteratorINS8_10device_ptrIfEEEESH_NS8_9null_typeESI_SI_SI_SI_SI_SI_SI_EEEENS9_21zip_adj_not_predicateINS8_8equal_toIfEEEEEEPllNS8_4plusIlEEEE10hipError_tPvRmT1_T2_T3_mT4_P12ihipStream_tbEUlT_E0_NS1_11comp_targetILNS1_3genE0ELNS1_11target_archE4294967295ELNS1_3gpuE0ELNS1_3repE0EEENS1_30default_config_static_selectorELNS0_4arch9wavefront6targetE1EEEvSW_,@function
_ZN7rocprim17ROCPRIM_400000_NS6detail17trampoline_kernelINS0_14default_configENS1_22reduce_config_selectorIlEEZNS1_11reduce_implILb1ES3_N6thrust23THRUST_200600_302600_NS11hip_rocprim26transform_input_iterator_tIlNS8_12zip_iteratorINS8_5tupleINS8_6detail15normal_iteratorINS8_10device_ptrIfEEEESH_NS8_9null_typeESI_SI_SI_SI_SI_SI_SI_EEEENS9_21zip_adj_not_predicateINS8_8equal_toIfEEEEEEPllNS8_4plusIlEEEE10hipError_tPvRmT1_T2_T3_mT4_P12ihipStream_tbEUlT_E0_NS1_11comp_targetILNS1_3genE0ELNS1_11target_archE4294967295ELNS1_3gpuE0ELNS1_3repE0EEENS1_30default_config_static_selectorELNS0_4arch9wavefront6targetE1EEEvSW_: ; @_ZN7rocprim17ROCPRIM_400000_NS6detail17trampoline_kernelINS0_14default_configENS1_22reduce_config_selectorIlEEZNS1_11reduce_implILb1ES3_N6thrust23THRUST_200600_302600_NS11hip_rocprim26transform_input_iterator_tIlNS8_12zip_iteratorINS8_5tupleINS8_6detail15normal_iteratorINS8_10device_ptrIfEEEESH_NS8_9null_typeESI_SI_SI_SI_SI_SI_SI_EEEENS9_21zip_adj_not_predicateINS8_8equal_toIfEEEEEEPllNS8_4plusIlEEEE10hipError_tPvRmT1_T2_T3_mT4_P12ihipStream_tbEUlT_E0_NS1_11comp_targetILNS1_3genE0ELNS1_11target_archE4294967295ELNS1_3gpuE0ELNS1_3repE0EEENS1_30default_config_static_selectorELNS0_4arch9wavefront6targetE1EEEvSW_
; %bb.0:
	.section	.rodata,"a",@progbits
	.p2align	6, 0x0
	.amdhsa_kernel _ZN7rocprim17ROCPRIM_400000_NS6detail17trampoline_kernelINS0_14default_configENS1_22reduce_config_selectorIlEEZNS1_11reduce_implILb1ES3_N6thrust23THRUST_200600_302600_NS11hip_rocprim26transform_input_iterator_tIlNS8_12zip_iteratorINS8_5tupleINS8_6detail15normal_iteratorINS8_10device_ptrIfEEEESH_NS8_9null_typeESI_SI_SI_SI_SI_SI_SI_EEEENS9_21zip_adj_not_predicateINS8_8equal_toIfEEEEEEPllNS8_4plusIlEEEE10hipError_tPvRmT1_T2_T3_mT4_P12ihipStream_tbEUlT_E0_NS1_11comp_targetILNS1_3genE0ELNS1_11target_archE4294967295ELNS1_3gpuE0ELNS1_3repE0EEENS1_30default_config_static_selectorELNS0_4arch9wavefront6targetE1EEEvSW_
		.amdhsa_group_segment_fixed_size 0
		.amdhsa_private_segment_fixed_size 0
		.amdhsa_kernarg_size 80
		.amdhsa_user_sgpr_count 6
		.amdhsa_user_sgpr_private_segment_buffer 1
		.amdhsa_user_sgpr_dispatch_ptr 0
		.amdhsa_user_sgpr_queue_ptr 0
		.amdhsa_user_sgpr_kernarg_segment_ptr 1
		.amdhsa_user_sgpr_dispatch_id 0
		.amdhsa_user_sgpr_flat_scratch_init 0
		.amdhsa_user_sgpr_private_segment_size 0
		.amdhsa_uses_dynamic_stack 0
		.amdhsa_system_sgpr_private_segment_wavefront_offset 0
		.amdhsa_system_sgpr_workgroup_id_x 1
		.amdhsa_system_sgpr_workgroup_id_y 0
		.amdhsa_system_sgpr_workgroup_id_z 0
		.amdhsa_system_sgpr_workgroup_info 0
		.amdhsa_system_vgpr_workitem_id 0
		.amdhsa_next_free_vgpr 1
		.amdhsa_next_free_sgpr 0
		.amdhsa_reserve_vcc 0
		.amdhsa_reserve_flat_scratch 0
		.amdhsa_float_round_mode_32 0
		.amdhsa_float_round_mode_16_64 0
		.amdhsa_float_denorm_mode_32 3
		.amdhsa_float_denorm_mode_16_64 3
		.amdhsa_dx10_clamp 1
		.amdhsa_ieee_mode 1
		.amdhsa_fp16_overflow 0
		.amdhsa_exception_fp_ieee_invalid_op 0
		.amdhsa_exception_fp_denorm_src 0
		.amdhsa_exception_fp_ieee_div_zero 0
		.amdhsa_exception_fp_ieee_overflow 0
		.amdhsa_exception_fp_ieee_underflow 0
		.amdhsa_exception_fp_ieee_inexact 0
		.amdhsa_exception_int_div_zero 0
	.end_amdhsa_kernel
	.section	.text._ZN7rocprim17ROCPRIM_400000_NS6detail17trampoline_kernelINS0_14default_configENS1_22reduce_config_selectorIlEEZNS1_11reduce_implILb1ES3_N6thrust23THRUST_200600_302600_NS11hip_rocprim26transform_input_iterator_tIlNS8_12zip_iteratorINS8_5tupleINS8_6detail15normal_iteratorINS8_10device_ptrIfEEEESH_NS8_9null_typeESI_SI_SI_SI_SI_SI_SI_EEEENS9_21zip_adj_not_predicateINS8_8equal_toIfEEEEEEPllNS8_4plusIlEEEE10hipError_tPvRmT1_T2_T3_mT4_P12ihipStream_tbEUlT_E0_NS1_11comp_targetILNS1_3genE0ELNS1_11target_archE4294967295ELNS1_3gpuE0ELNS1_3repE0EEENS1_30default_config_static_selectorELNS0_4arch9wavefront6targetE1EEEvSW_,"axG",@progbits,_ZN7rocprim17ROCPRIM_400000_NS6detail17trampoline_kernelINS0_14default_configENS1_22reduce_config_selectorIlEEZNS1_11reduce_implILb1ES3_N6thrust23THRUST_200600_302600_NS11hip_rocprim26transform_input_iterator_tIlNS8_12zip_iteratorINS8_5tupleINS8_6detail15normal_iteratorINS8_10device_ptrIfEEEESH_NS8_9null_typeESI_SI_SI_SI_SI_SI_SI_EEEENS9_21zip_adj_not_predicateINS8_8equal_toIfEEEEEEPllNS8_4plusIlEEEE10hipError_tPvRmT1_T2_T3_mT4_P12ihipStream_tbEUlT_E0_NS1_11comp_targetILNS1_3genE0ELNS1_11target_archE4294967295ELNS1_3gpuE0ELNS1_3repE0EEENS1_30default_config_static_selectorELNS0_4arch9wavefront6targetE1EEEvSW_,comdat
.Lfunc_end779:
	.size	_ZN7rocprim17ROCPRIM_400000_NS6detail17trampoline_kernelINS0_14default_configENS1_22reduce_config_selectorIlEEZNS1_11reduce_implILb1ES3_N6thrust23THRUST_200600_302600_NS11hip_rocprim26transform_input_iterator_tIlNS8_12zip_iteratorINS8_5tupleINS8_6detail15normal_iteratorINS8_10device_ptrIfEEEESH_NS8_9null_typeESI_SI_SI_SI_SI_SI_SI_EEEENS9_21zip_adj_not_predicateINS8_8equal_toIfEEEEEEPllNS8_4plusIlEEEE10hipError_tPvRmT1_T2_T3_mT4_P12ihipStream_tbEUlT_E0_NS1_11comp_targetILNS1_3genE0ELNS1_11target_archE4294967295ELNS1_3gpuE0ELNS1_3repE0EEENS1_30default_config_static_selectorELNS0_4arch9wavefront6targetE1EEEvSW_, .Lfunc_end779-_ZN7rocprim17ROCPRIM_400000_NS6detail17trampoline_kernelINS0_14default_configENS1_22reduce_config_selectorIlEEZNS1_11reduce_implILb1ES3_N6thrust23THRUST_200600_302600_NS11hip_rocprim26transform_input_iterator_tIlNS8_12zip_iteratorINS8_5tupleINS8_6detail15normal_iteratorINS8_10device_ptrIfEEEESH_NS8_9null_typeESI_SI_SI_SI_SI_SI_SI_EEEENS9_21zip_adj_not_predicateINS8_8equal_toIfEEEEEEPllNS8_4plusIlEEEE10hipError_tPvRmT1_T2_T3_mT4_P12ihipStream_tbEUlT_E0_NS1_11comp_targetILNS1_3genE0ELNS1_11target_archE4294967295ELNS1_3gpuE0ELNS1_3repE0EEENS1_30default_config_static_selectorELNS0_4arch9wavefront6targetE1EEEvSW_
                                        ; -- End function
	.set _ZN7rocprim17ROCPRIM_400000_NS6detail17trampoline_kernelINS0_14default_configENS1_22reduce_config_selectorIlEEZNS1_11reduce_implILb1ES3_N6thrust23THRUST_200600_302600_NS11hip_rocprim26transform_input_iterator_tIlNS8_12zip_iteratorINS8_5tupleINS8_6detail15normal_iteratorINS8_10device_ptrIfEEEESH_NS8_9null_typeESI_SI_SI_SI_SI_SI_SI_EEEENS9_21zip_adj_not_predicateINS8_8equal_toIfEEEEEEPllNS8_4plusIlEEEE10hipError_tPvRmT1_T2_T3_mT4_P12ihipStream_tbEUlT_E0_NS1_11comp_targetILNS1_3genE0ELNS1_11target_archE4294967295ELNS1_3gpuE0ELNS1_3repE0EEENS1_30default_config_static_selectorELNS0_4arch9wavefront6targetE1EEEvSW_.num_vgpr, 0
	.set _ZN7rocprim17ROCPRIM_400000_NS6detail17trampoline_kernelINS0_14default_configENS1_22reduce_config_selectorIlEEZNS1_11reduce_implILb1ES3_N6thrust23THRUST_200600_302600_NS11hip_rocprim26transform_input_iterator_tIlNS8_12zip_iteratorINS8_5tupleINS8_6detail15normal_iteratorINS8_10device_ptrIfEEEESH_NS8_9null_typeESI_SI_SI_SI_SI_SI_SI_EEEENS9_21zip_adj_not_predicateINS8_8equal_toIfEEEEEEPllNS8_4plusIlEEEE10hipError_tPvRmT1_T2_T3_mT4_P12ihipStream_tbEUlT_E0_NS1_11comp_targetILNS1_3genE0ELNS1_11target_archE4294967295ELNS1_3gpuE0ELNS1_3repE0EEENS1_30default_config_static_selectorELNS0_4arch9wavefront6targetE1EEEvSW_.num_agpr, 0
	.set _ZN7rocprim17ROCPRIM_400000_NS6detail17trampoline_kernelINS0_14default_configENS1_22reduce_config_selectorIlEEZNS1_11reduce_implILb1ES3_N6thrust23THRUST_200600_302600_NS11hip_rocprim26transform_input_iterator_tIlNS8_12zip_iteratorINS8_5tupleINS8_6detail15normal_iteratorINS8_10device_ptrIfEEEESH_NS8_9null_typeESI_SI_SI_SI_SI_SI_SI_EEEENS9_21zip_adj_not_predicateINS8_8equal_toIfEEEEEEPllNS8_4plusIlEEEE10hipError_tPvRmT1_T2_T3_mT4_P12ihipStream_tbEUlT_E0_NS1_11comp_targetILNS1_3genE0ELNS1_11target_archE4294967295ELNS1_3gpuE0ELNS1_3repE0EEENS1_30default_config_static_selectorELNS0_4arch9wavefront6targetE1EEEvSW_.numbered_sgpr, 0
	.set _ZN7rocprim17ROCPRIM_400000_NS6detail17trampoline_kernelINS0_14default_configENS1_22reduce_config_selectorIlEEZNS1_11reduce_implILb1ES3_N6thrust23THRUST_200600_302600_NS11hip_rocprim26transform_input_iterator_tIlNS8_12zip_iteratorINS8_5tupleINS8_6detail15normal_iteratorINS8_10device_ptrIfEEEESH_NS8_9null_typeESI_SI_SI_SI_SI_SI_SI_EEEENS9_21zip_adj_not_predicateINS8_8equal_toIfEEEEEEPllNS8_4plusIlEEEE10hipError_tPvRmT1_T2_T3_mT4_P12ihipStream_tbEUlT_E0_NS1_11comp_targetILNS1_3genE0ELNS1_11target_archE4294967295ELNS1_3gpuE0ELNS1_3repE0EEENS1_30default_config_static_selectorELNS0_4arch9wavefront6targetE1EEEvSW_.num_named_barrier, 0
	.set _ZN7rocprim17ROCPRIM_400000_NS6detail17trampoline_kernelINS0_14default_configENS1_22reduce_config_selectorIlEEZNS1_11reduce_implILb1ES3_N6thrust23THRUST_200600_302600_NS11hip_rocprim26transform_input_iterator_tIlNS8_12zip_iteratorINS8_5tupleINS8_6detail15normal_iteratorINS8_10device_ptrIfEEEESH_NS8_9null_typeESI_SI_SI_SI_SI_SI_SI_EEEENS9_21zip_adj_not_predicateINS8_8equal_toIfEEEEEEPllNS8_4plusIlEEEE10hipError_tPvRmT1_T2_T3_mT4_P12ihipStream_tbEUlT_E0_NS1_11comp_targetILNS1_3genE0ELNS1_11target_archE4294967295ELNS1_3gpuE0ELNS1_3repE0EEENS1_30default_config_static_selectorELNS0_4arch9wavefront6targetE1EEEvSW_.private_seg_size, 0
	.set _ZN7rocprim17ROCPRIM_400000_NS6detail17trampoline_kernelINS0_14default_configENS1_22reduce_config_selectorIlEEZNS1_11reduce_implILb1ES3_N6thrust23THRUST_200600_302600_NS11hip_rocprim26transform_input_iterator_tIlNS8_12zip_iteratorINS8_5tupleINS8_6detail15normal_iteratorINS8_10device_ptrIfEEEESH_NS8_9null_typeESI_SI_SI_SI_SI_SI_SI_EEEENS9_21zip_adj_not_predicateINS8_8equal_toIfEEEEEEPllNS8_4plusIlEEEE10hipError_tPvRmT1_T2_T3_mT4_P12ihipStream_tbEUlT_E0_NS1_11comp_targetILNS1_3genE0ELNS1_11target_archE4294967295ELNS1_3gpuE0ELNS1_3repE0EEENS1_30default_config_static_selectorELNS0_4arch9wavefront6targetE1EEEvSW_.uses_vcc, 0
	.set _ZN7rocprim17ROCPRIM_400000_NS6detail17trampoline_kernelINS0_14default_configENS1_22reduce_config_selectorIlEEZNS1_11reduce_implILb1ES3_N6thrust23THRUST_200600_302600_NS11hip_rocprim26transform_input_iterator_tIlNS8_12zip_iteratorINS8_5tupleINS8_6detail15normal_iteratorINS8_10device_ptrIfEEEESH_NS8_9null_typeESI_SI_SI_SI_SI_SI_SI_EEEENS9_21zip_adj_not_predicateINS8_8equal_toIfEEEEEEPllNS8_4plusIlEEEE10hipError_tPvRmT1_T2_T3_mT4_P12ihipStream_tbEUlT_E0_NS1_11comp_targetILNS1_3genE0ELNS1_11target_archE4294967295ELNS1_3gpuE0ELNS1_3repE0EEENS1_30default_config_static_selectorELNS0_4arch9wavefront6targetE1EEEvSW_.uses_flat_scratch, 0
	.set _ZN7rocprim17ROCPRIM_400000_NS6detail17trampoline_kernelINS0_14default_configENS1_22reduce_config_selectorIlEEZNS1_11reduce_implILb1ES3_N6thrust23THRUST_200600_302600_NS11hip_rocprim26transform_input_iterator_tIlNS8_12zip_iteratorINS8_5tupleINS8_6detail15normal_iteratorINS8_10device_ptrIfEEEESH_NS8_9null_typeESI_SI_SI_SI_SI_SI_SI_EEEENS9_21zip_adj_not_predicateINS8_8equal_toIfEEEEEEPllNS8_4plusIlEEEE10hipError_tPvRmT1_T2_T3_mT4_P12ihipStream_tbEUlT_E0_NS1_11comp_targetILNS1_3genE0ELNS1_11target_archE4294967295ELNS1_3gpuE0ELNS1_3repE0EEENS1_30default_config_static_selectorELNS0_4arch9wavefront6targetE1EEEvSW_.has_dyn_sized_stack, 0
	.set _ZN7rocprim17ROCPRIM_400000_NS6detail17trampoline_kernelINS0_14default_configENS1_22reduce_config_selectorIlEEZNS1_11reduce_implILb1ES3_N6thrust23THRUST_200600_302600_NS11hip_rocprim26transform_input_iterator_tIlNS8_12zip_iteratorINS8_5tupleINS8_6detail15normal_iteratorINS8_10device_ptrIfEEEESH_NS8_9null_typeESI_SI_SI_SI_SI_SI_SI_EEEENS9_21zip_adj_not_predicateINS8_8equal_toIfEEEEEEPllNS8_4plusIlEEEE10hipError_tPvRmT1_T2_T3_mT4_P12ihipStream_tbEUlT_E0_NS1_11comp_targetILNS1_3genE0ELNS1_11target_archE4294967295ELNS1_3gpuE0ELNS1_3repE0EEENS1_30default_config_static_selectorELNS0_4arch9wavefront6targetE1EEEvSW_.has_recursion, 0
	.set _ZN7rocprim17ROCPRIM_400000_NS6detail17trampoline_kernelINS0_14default_configENS1_22reduce_config_selectorIlEEZNS1_11reduce_implILb1ES3_N6thrust23THRUST_200600_302600_NS11hip_rocprim26transform_input_iterator_tIlNS8_12zip_iteratorINS8_5tupleINS8_6detail15normal_iteratorINS8_10device_ptrIfEEEESH_NS8_9null_typeESI_SI_SI_SI_SI_SI_SI_EEEENS9_21zip_adj_not_predicateINS8_8equal_toIfEEEEEEPllNS8_4plusIlEEEE10hipError_tPvRmT1_T2_T3_mT4_P12ihipStream_tbEUlT_E0_NS1_11comp_targetILNS1_3genE0ELNS1_11target_archE4294967295ELNS1_3gpuE0ELNS1_3repE0EEENS1_30default_config_static_selectorELNS0_4arch9wavefront6targetE1EEEvSW_.has_indirect_call, 0
	.section	.AMDGPU.csdata,"",@progbits
; Kernel info:
; codeLenInByte = 0
; TotalNumSgprs: 4
; NumVgprs: 0
; ScratchSize: 0
; MemoryBound: 0
; FloatMode: 240
; IeeeMode: 1
; LDSByteSize: 0 bytes/workgroup (compile time only)
; SGPRBlocks: 0
; VGPRBlocks: 0
; NumSGPRsForWavesPerEU: 4
; NumVGPRsForWavesPerEU: 1
; Occupancy: 10
; WaveLimiterHint : 0
; COMPUTE_PGM_RSRC2:SCRATCH_EN: 0
; COMPUTE_PGM_RSRC2:USER_SGPR: 6
; COMPUTE_PGM_RSRC2:TRAP_HANDLER: 0
; COMPUTE_PGM_RSRC2:TGID_X_EN: 1
; COMPUTE_PGM_RSRC2:TGID_Y_EN: 0
; COMPUTE_PGM_RSRC2:TGID_Z_EN: 0
; COMPUTE_PGM_RSRC2:TIDIG_COMP_CNT: 0
	.section	.text._ZN7rocprim17ROCPRIM_400000_NS6detail17trampoline_kernelINS0_14default_configENS1_22reduce_config_selectorIlEEZNS1_11reduce_implILb1ES3_N6thrust23THRUST_200600_302600_NS11hip_rocprim26transform_input_iterator_tIlNS8_12zip_iteratorINS8_5tupleINS8_6detail15normal_iteratorINS8_10device_ptrIfEEEESH_NS8_9null_typeESI_SI_SI_SI_SI_SI_SI_EEEENS9_21zip_adj_not_predicateINS8_8equal_toIfEEEEEEPllNS8_4plusIlEEEE10hipError_tPvRmT1_T2_T3_mT4_P12ihipStream_tbEUlT_E0_NS1_11comp_targetILNS1_3genE5ELNS1_11target_archE942ELNS1_3gpuE9ELNS1_3repE0EEENS1_30default_config_static_selectorELNS0_4arch9wavefront6targetE1EEEvSW_,"axG",@progbits,_ZN7rocprim17ROCPRIM_400000_NS6detail17trampoline_kernelINS0_14default_configENS1_22reduce_config_selectorIlEEZNS1_11reduce_implILb1ES3_N6thrust23THRUST_200600_302600_NS11hip_rocprim26transform_input_iterator_tIlNS8_12zip_iteratorINS8_5tupleINS8_6detail15normal_iteratorINS8_10device_ptrIfEEEESH_NS8_9null_typeESI_SI_SI_SI_SI_SI_SI_EEEENS9_21zip_adj_not_predicateINS8_8equal_toIfEEEEEEPllNS8_4plusIlEEEE10hipError_tPvRmT1_T2_T3_mT4_P12ihipStream_tbEUlT_E0_NS1_11comp_targetILNS1_3genE5ELNS1_11target_archE942ELNS1_3gpuE9ELNS1_3repE0EEENS1_30default_config_static_selectorELNS0_4arch9wavefront6targetE1EEEvSW_,comdat
	.protected	_ZN7rocprim17ROCPRIM_400000_NS6detail17trampoline_kernelINS0_14default_configENS1_22reduce_config_selectorIlEEZNS1_11reduce_implILb1ES3_N6thrust23THRUST_200600_302600_NS11hip_rocprim26transform_input_iterator_tIlNS8_12zip_iteratorINS8_5tupleINS8_6detail15normal_iteratorINS8_10device_ptrIfEEEESH_NS8_9null_typeESI_SI_SI_SI_SI_SI_SI_EEEENS9_21zip_adj_not_predicateINS8_8equal_toIfEEEEEEPllNS8_4plusIlEEEE10hipError_tPvRmT1_T2_T3_mT4_P12ihipStream_tbEUlT_E0_NS1_11comp_targetILNS1_3genE5ELNS1_11target_archE942ELNS1_3gpuE9ELNS1_3repE0EEENS1_30default_config_static_selectorELNS0_4arch9wavefront6targetE1EEEvSW_ ; -- Begin function _ZN7rocprim17ROCPRIM_400000_NS6detail17trampoline_kernelINS0_14default_configENS1_22reduce_config_selectorIlEEZNS1_11reduce_implILb1ES3_N6thrust23THRUST_200600_302600_NS11hip_rocprim26transform_input_iterator_tIlNS8_12zip_iteratorINS8_5tupleINS8_6detail15normal_iteratorINS8_10device_ptrIfEEEESH_NS8_9null_typeESI_SI_SI_SI_SI_SI_SI_EEEENS9_21zip_adj_not_predicateINS8_8equal_toIfEEEEEEPllNS8_4plusIlEEEE10hipError_tPvRmT1_T2_T3_mT4_P12ihipStream_tbEUlT_E0_NS1_11comp_targetILNS1_3genE5ELNS1_11target_archE942ELNS1_3gpuE9ELNS1_3repE0EEENS1_30default_config_static_selectorELNS0_4arch9wavefront6targetE1EEEvSW_
	.globl	_ZN7rocprim17ROCPRIM_400000_NS6detail17trampoline_kernelINS0_14default_configENS1_22reduce_config_selectorIlEEZNS1_11reduce_implILb1ES3_N6thrust23THRUST_200600_302600_NS11hip_rocprim26transform_input_iterator_tIlNS8_12zip_iteratorINS8_5tupleINS8_6detail15normal_iteratorINS8_10device_ptrIfEEEESH_NS8_9null_typeESI_SI_SI_SI_SI_SI_SI_EEEENS9_21zip_adj_not_predicateINS8_8equal_toIfEEEEEEPllNS8_4plusIlEEEE10hipError_tPvRmT1_T2_T3_mT4_P12ihipStream_tbEUlT_E0_NS1_11comp_targetILNS1_3genE5ELNS1_11target_archE942ELNS1_3gpuE9ELNS1_3repE0EEENS1_30default_config_static_selectorELNS0_4arch9wavefront6targetE1EEEvSW_
	.p2align	8
	.type	_ZN7rocprim17ROCPRIM_400000_NS6detail17trampoline_kernelINS0_14default_configENS1_22reduce_config_selectorIlEEZNS1_11reduce_implILb1ES3_N6thrust23THRUST_200600_302600_NS11hip_rocprim26transform_input_iterator_tIlNS8_12zip_iteratorINS8_5tupleINS8_6detail15normal_iteratorINS8_10device_ptrIfEEEESH_NS8_9null_typeESI_SI_SI_SI_SI_SI_SI_EEEENS9_21zip_adj_not_predicateINS8_8equal_toIfEEEEEEPllNS8_4plusIlEEEE10hipError_tPvRmT1_T2_T3_mT4_P12ihipStream_tbEUlT_E0_NS1_11comp_targetILNS1_3genE5ELNS1_11target_archE942ELNS1_3gpuE9ELNS1_3repE0EEENS1_30default_config_static_selectorELNS0_4arch9wavefront6targetE1EEEvSW_,@function
_ZN7rocprim17ROCPRIM_400000_NS6detail17trampoline_kernelINS0_14default_configENS1_22reduce_config_selectorIlEEZNS1_11reduce_implILb1ES3_N6thrust23THRUST_200600_302600_NS11hip_rocprim26transform_input_iterator_tIlNS8_12zip_iteratorINS8_5tupleINS8_6detail15normal_iteratorINS8_10device_ptrIfEEEESH_NS8_9null_typeESI_SI_SI_SI_SI_SI_SI_EEEENS9_21zip_adj_not_predicateINS8_8equal_toIfEEEEEEPllNS8_4plusIlEEEE10hipError_tPvRmT1_T2_T3_mT4_P12ihipStream_tbEUlT_E0_NS1_11comp_targetILNS1_3genE5ELNS1_11target_archE942ELNS1_3gpuE9ELNS1_3repE0EEENS1_30default_config_static_selectorELNS0_4arch9wavefront6targetE1EEEvSW_: ; @_ZN7rocprim17ROCPRIM_400000_NS6detail17trampoline_kernelINS0_14default_configENS1_22reduce_config_selectorIlEEZNS1_11reduce_implILb1ES3_N6thrust23THRUST_200600_302600_NS11hip_rocprim26transform_input_iterator_tIlNS8_12zip_iteratorINS8_5tupleINS8_6detail15normal_iteratorINS8_10device_ptrIfEEEESH_NS8_9null_typeESI_SI_SI_SI_SI_SI_SI_EEEENS9_21zip_adj_not_predicateINS8_8equal_toIfEEEEEEPllNS8_4plusIlEEEE10hipError_tPvRmT1_T2_T3_mT4_P12ihipStream_tbEUlT_E0_NS1_11comp_targetILNS1_3genE5ELNS1_11target_archE942ELNS1_3gpuE9ELNS1_3repE0EEENS1_30default_config_static_selectorELNS0_4arch9wavefront6targetE1EEEvSW_
; %bb.0:
	.section	.rodata,"a",@progbits
	.p2align	6, 0x0
	.amdhsa_kernel _ZN7rocprim17ROCPRIM_400000_NS6detail17trampoline_kernelINS0_14default_configENS1_22reduce_config_selectorIlEEZNS1_11reduce_implILb1ES3_N6thrust23THRUST_200600_302600_NS11hip_rocprim26transform_input_iterator_tIlNS8_12zip_iteratorINS8_5tupleINS8_6detail15normal_iteratorINS8_10device_ptrIfEEEESH_NS8_9null_typeESI_SI_SI_SI_SI_SI_SI_EEEENS9_21zip_adj_not_predicateINS8_8equal_toIfEEEEEEPllNS8_4plusIlEEEE10hipError_tPvRmT1_T2_T3_mT4_P12ihipStream_tbEUlT_E0_NS1_11comp_targetILNS1_3genE5ELNS1_11target_archE942ELNS1_3gpuE9ELNS1_3repE0EEENS1_30default_config_static_selectorELNS0_4arch9wavefront6targetE1EEEvSW_
		.amdhsa_group_segment_fixed_size 0
		.amdhsa_private_segment_fixed_size 0
		.amdhsa_kernarg_size 80
		.amdhsa_user_sgpr_count 6
		.amdhsa_user_sgpr_private_segment_buffer 1
		.amdhsa_user_sgpr_dispatch_ptr 0
		.amdhsa_user_sgpr_queue_ptr 0
		.amdhsa_user_sgpr_kernarg_segment_ptr 1
		.amdhsa_user_sgpr_dispatch_id 0
		.amdhsa_user_sgpr_flat_scratch_init 0
		.amdhsa_user_sgpr_private_segment_size 0
		.amdhsa_uses_dynamic_stack 0
		.amdhsa_system_sgpr_private_segment_wavefront_offset 0
		.amdhsa_system_sgpr_workgroup_id_x 1
		.amdhsa_system_sgpr_workgroup_id_y 0
		.amdhsa_system_sgpr_workgroup_id_z 0
		.amdhsa_system_sgpr_workgroup_info 0
		.amdhsa_system_vgpr_workitem_id 0
		.amdhsa_next_free_vgpr 1
		.amdhsa_next_free_sgpr 0
		.amdhsa_reserve_vcc 0
		.amdhsa_reserve_flat_scratch 0
		.amdhsa_float_round_mode_32 0
		.amdhsa_float_round_mode_16_64 0
		.amdhsa_float_denorm_mode_32 3
		.amdhsa_float_denorm_mode_16_64 3
		.amdhsa_dx10_clamp 1
		.amdhsa_ieee_mode 1
		.amdhsa_fp16_overflow 0
		.amdhsa_exception_fp_ieee_invalid_op 0
		.amdhsa_exception_fp_denorm_src 0
		.amdhsa_exception_fp_ieee_div_zero 0
		.amdhsa_exception_fp_ieee_overflow 0
		.amdhsa_exception_fp_ieee_underflow 0
		.amdhsa_exception_fp_ieee_inexact 0
		.amdhsa_exception_int_div_zero 0
	.end_amdhsa_kernel
	.section	.text._ZN7rocprim17ROCPRIM_400000_NS6detail17trampoline_kernelINS0_14default_configENS1_22reduce_config_selectorIlEEZNS1_11reduce_implILb1ES3_N6thrust23THRUST_200600_302600_NS11hip_rocprim26transform_input_iterator_tIlNS8_12zip_iteratorINS8_5tupleINS8_6detail15normal_iteratorINS8_10device_ptrIfEEEESH_NS8_9null_typeESI_SI_SI_SI_SI_SI_SI_EEEENS9_21zip_adj_not_predicateINS8_8equal_toIfEEEEEEPllNS8_4plusIlEEEE10hipError_tPvRmT1_T2_T3_mT4_P12ihipStream_tbEUlT_E0_NS1_11comp_targetILNS1_3genE5ELNS1_11target_archE942ELNS1_3gpuE9ELNS1_3repE0EEENS1_30default_config_static_selectorELNS0_4arch9wavefront6targetE1EEEvSW_,"axG",@progbits,_ZN7rocprim17ROCPRIM_400000_NS6detail17trampoline_kernelINS0_14default_configENS1_22reduce_config_selectorIlEEZNS1_11reduce_implILb1ES3_N6thrust23THRUST_200600_302600_NS11hip_rocprim26transform_input_iterator_tIlNS8_12zip_iteratorINS8_5tupleINS8_6detail15normal_iteratorINS8_10device_ptrIfEEEESH_NS8_9null_typeESI_SI_SI_SI_SI_SI_SI_EEEENS9_21zip_adj_not_predicateINS8_8equal_toIfEEEEEEPllNS8_4plusIlEEEE10hipError_tPvRmT1_T2_T3_mT4_P12ihipStream_tbEUlT_E0_NS1_11comp_targetILNS1_3genE5ELNS1_11target_archE942ELNS1_3gpuE9ELNS1_3repE0EEENS1_30default_config_static_selectorELNS0_4arch9wavefront6targetE1EEEvSW_,comdat
.Lfunc_end780:
	.size	_ZN7rocprim17ROCPRIM_400000_NS6detail17trampoline_kernelINS0_14default_configENS1_22reduce_config_selectorIlEEZNS1_11reduce_implILb1ES3_N6thrust23THRUST_200600_302600_NS11hip_rocprim26transform_input_iterator_tIlNS8_12zip_iteratorINS8_5tupleINS8_6detail15normal_iteratorINS8_10device_ptrIfEEEESH_NS8_9null_typeESI_SI_SI_SI_SI_SI_SI_EEEENS9_21zip_adj_not_predicateINS8_8equal_toIfEEEEEEPllNS8_4plusIlEEEE10hipError_tPvRmT1_T2_T3_mT4_P12ihipStream_tbEUlT_E0_NS1_11comp_targetILNS1_3genE5ELNS1_11target_archE942ELNS1_3gpuE9ELNS1_3repE0EEENS1_30default_config_static_selectorELNS0_4arch9wavefront6targetE1EEEvSW_, .Lfunc_end780-_ZN7rocprim17ROCPRIM_400000_NS6detail17trampoline_kernelINS0_14default_configENS1_22reduce_config_selectorIlEEZNS1_11reduce_implILb1ES3_N6thrust23THRUST_200600_302600_NS11hip_rocprim26transform_input_iterator_tIlNS8_12zip_iteratorINS8_5tupleINS8_6detail15normal_iteratorINS8_10device_ptrIfEEEESH_NS8_9null_typeESI_SI_SI_SI_SI_SI_SI_EEEENS9_21zip_adj_not_predicateINS8_8equal_toIfEEEEEEPllNS8_4plusIlEEEE10hipError_tPvRmT1_T2_T3_mT4_P12ihipStream_tbEUlT_E0_NS1_11comp_targetILNS1_3genE5ELNS1_11target_archE942ELNS1_3gpuE9ELNS1_3repE0EEENS1_30default_config_static_selectorELNS0_4arch9wavefront6targetE1EEEvSW_
                                        ; -- End function
	.set _ZN7rocprim17ROCPRIM_400000_NS6detail17trampoline_kernelINS0_14default_configENS1_22reduce_config_selectorIlEEZNS1_11reduce_implILb1ES3_N6thrust23THRUST_200600_302600_NS11hip_rocprim26transform_input_iterator_tIlNS8_12zip_iteratorINS8_5tupleINS8_6detail15normal_iteratorINS8_10device_ptrIfEEEESH_NS8_9null_typeESI_SI_SI_SI_SI_SI_SI_EEEENS9_21zip_adj_not_predicateINS8_8equal_toIfEEEEEEPllNS8_4plusIlEEEE10hipError_tPvRmT1_T2_T3_mT4_P12ihipStream_tbEUlT_E0_NS1_11comp_targetILNS1_3genE5ELNS1_11target_archE942ELNS1_3gpuE9ELNS1_3repE0EEENS1_30default_config_static_selectorELNS0_4arch9wavefront6targetE1EEEvSW_.num_vgpr, 0
	.set _ZN7rocprim17ROCPRIM_400000_NS6detail17trampoline_kernelINS0_14default_configENS1_22reduce_config_selectorIlEEZNS1_11reduce_implILb1ES3_N6thrust23THRUST_200600_302600_NS11hip_rocprim26transform_input_iterator_tIlNS8_12zip_iteratorINS8_5tupleINS8_6detail15normal_iteratorINS8_10device_ptrIfEEEESH_NS8_9null_typeESI_SI_SI_SI_SI_SI_SI_EEEENS9_21zip_adj_not_predicateINS8_8equal_toIfEEEEEEPllNS8_4plusIlEEEE10hipError_tPvRmT1_T2_T3_mT4_P12ihipStream_tbEUlT_E0_NS1_11comp_targetILNS1_3genE5ELNS1_11target_archE942ELNS1_3gpuE9ELNS1_3repE0EEENS1_30default_config_static_selectorELNS0_4arch9wavefront6targetE1EEEvSW_.num_agpr, 0
	.set _ZN7rocprim17ROCPRIM_400000_NS6detail17trampoline_kernelINS0_14default_configENS1_22reduce_config_selectorIlEEZNS1_11reduce_implILb1ES3_N6thrust23THRUST_200600_302600_NS11hip_rocprim26transform_input_iterator_tIlNS8_12zip_iteratorINS8_5tupleINS8_6detail15normal_iteratorINS8_10device_ptrIfEEEESH_NS8_9null_typeESI_SI_SI_SI_SI_SI_SI_EEEENS9_21zip_adj_not_predicateINS8_8equal_toIfEEEEEEPllNS8_4plusIlEEEE10hipError_tPvRmT1_T2_T3_mT4_P12ihipStream_tbEUlT_E0_NS1_11comp_targetILNS1_3genE5ELNS1_11target_archE942ELNS1_3gpuE9ELNS1_3repE0EEENS1_30default_config_static_selectorELNS0_4arch9wavefront6targetE1EEEvSW_.numbered_sgpr, 0
	.set _ZN7rocprim17ROCPRIM_400000_NS6detail17trampoline_kernelINS0_14default_configENS1_22reduce_config_selectorIlEEZNS1_11reduce_implILb1ES3_N6thrust23THRUST_200600_302600_NS11hip_rocprim26transform_input_iterator_tIlNS8_12zip_iteratorINS8_5tupleINS8_6detail15normal_iteratorINS8_10device_ptrIfEEEESH_NS8_9null_typeESI_SI_SI_SI_SI_SI_SI_EEEENS9_21zip_adj_not_predicateINS8_8equal_toIfEEEEEEPllNS8_4plusIlEEEE10hipError_tPvRmT1_T2_T3_mT4_P12ihipStream_tbEUlT_E0_NS1_11comp_targetILNS1_3genE5ELNS1_11target_archE942ELNS1_3gpuE9ELNS1_3repE0EEENS1_30default_config_static_selectorELNS0_4arch9wavefront6targetE1EEEvSW_.num_named_barrier, 0
	.set _ZN7rocprim17ROCPRIM_400000_NS6detail17trampoline_kernelINS0_14default_configENS1_22reduce_config_selectorIlEEZNS1_11reduce_implILb1ES3_N6thrust23THRUST_200600_302600_NS11hip_rocprim26transform_input_iterator_tIlNS8_12zip_iteratorINS8_5tupleINS8_6detail15normal_iteratorINS8_10device_ptrIfEEEESH_NS8_9null_typeESI_SI_SI_SI_SI_SI_SI_EEEENS9_21zip_adj_not_predicateINS8_8equal_toIfEEEEEEPllNS8_4plusIlEEEE10hipError_tPvRmT1_T2_T3_mT4_P12ihipStream_tbEUlT_E0_NS1_11comp_targetILNS1_3genE5ELNS1_11target_archE942ELNS1_3gpuE9ELNS1_3repE0EEENS1_30default_config_static_selectorELNS0_4arch9wavefront6targetE1EEEvSW_.private_seg_size, 0
	.set _ZN7rocprim17ROCPRIM_400000_NS6detail17trampoline_kernelINS0_14default_configENS1_22reduce_config_selectorIlEEZNS1_11reduce_implILb1ES3_N6thrust23THRUST_200600_302600_NS11hip_rocprim26transform_input_iterator_tIlNS8_12zip_iteratorINS8_5tupleINS8_6detail15normal_iteratorINS8_10device_ptrIfEEEESH_NS8_9null_typeESI_SI_SI_SI_SI_SI_SI_EEEENS9_21zip_adj_not_predicateINS8_8equal_toIfEEEEEEPllNS8_4plusIlEEEE10hipError_tPvRmT1_T2_T3_mT4_P12ihipStream_tbEUlT_E0_NS1_11comp_targetILNS1_3genE5ELNS1_11target_archE942ELNS1_3gpuE9ELNS1_3repE0EEENS1_30default_config_static_selectorELNS0_4arch9wavefront6targetE1EEEvSW_.uses_vcc, 0
	.set _ZN7rocprim17ROCPRIM_400000_NS6detail17trampoline_kernelINS0_14default_configENS1_22reduce_config_selectorIlEEZNS1_11reduce_implILb1ES3_N6thrust23THRUST_200600_302600_NS11hip_rocprim26transform_input_iterator_tIlNS8_12zip_iteratorINS8_5tupleINS8_6detail15normal_iteratorINS8_10device_ptrIfEEEESH_NS8_9null_typeESI_SI_SI_SI_SI_SI_SI_EEEENS9_21zip_adj_not_predicateINS8_8equal_toIfEEEEEEPllNS8_4plusIlEEEE10hipError_tPvRmT1_T2_T3_mT4_P12ihipStream_tbEUlT_E0_NS1_11comp_targetILNS1_3genE5ELNS1_11target_archE942ELNS1_3gpuE9ELNS1_3repE0EEENS1_30default_config_static_selectorELNS0_4arch9wavefront6targetE1EEEvSW_.uses_flat_scratch, 0
	.set _ZN7rocprim17ROCPRIM_400000_NS6detail17trampoline_kernelINS0_14default_configENS1_22reduce_config_selectorIlEEZNS1_11reduce_implILb1ES3_N6thrust23THRUST_200600_302600_NS11hip_rocprim26transform_input_iterator_tIlNS8_12zip_iteratorINS8_5tupleINS8_6detail15normal_iteratorINS8_10device_ptrIfEEEESH_NS8_9null_typeESI_SI_SI_SI_SI_SI_SI_EEEENS9_21zip_adj_not_predicateINS8_8equal_toIfEEEEEEPllNS8_4plusIlEEEE10hipError_tPvRmT1_T2_T3_mT4_P12ihipStream_tbEUlT_E0_NS1_11comp_targetILNS1_3genE5ELNS1_11target_archE942ELNS1_3gpuE9ELNS1_3repE0EEENS1_30default_config_static_selectorELNS0_4arch9wavefront6targetE1EEEvSW_.has_dyn_sized_stack, 0
	.set _ZN7rocprim17ROCPRIM_400000_NS6detail17trampoline_kernelINS0_14default_configENS1_22reduce_config_selectorIlEEZNS1_11reduce_implILb1ES3_N6thrust23THRUST_200600_302600_NS11hip_rocprim26transform_input_iterator_tIlNS8_12zip_iteratorINS8_5tupleINS8_6detail15normal_iteratorINS8_10device_ptrIfEEEESH_NS8_9null_typeESI_SI_SI_SI_SI_SI_SI_EEEENS9_21zip_adj_not_predicateINS8_8equal_toIfEEEEEEPllNS8_4plusIlEEEE10hipError_tPvRmT1_T2_T3_mT4_P12ihipStream_tbEUlT_E0_NS1_11comp_targetILNS1_3genE5ELNS1_11target_archE942ELNS1_3gpuE9ELNS1_3repE0EEENS1_30default_config_static_selectorELNS0_4arch9wavefront6targetE1EEEvSW_.has_recursion, 0
	.set _ZN7rocprim17ROCPRIM_400000_NS6detail17trampoline_kernelINS0_14default_configENS1_22reduce_config_selectorIlEEZNS1_11reduce_implILb1ES3_N6thrust23THRUST_200600_302600_NS11hip_rocprim26transform_input_iterator_tIlNS8_12zip_iteratorINS8_5tupleINS8_6detail15normal_iteratorINS8_10device_ptrIfEEEESH_NS8_9null_typeESI_SI_SI_SI_SI_SI_SI_EEEENS9_21zip_adj_not_predicateINS8_8equal_toIfEEEEEEPllNS8_4plusIlEEEE10hipError_tPvRmT1_T2_T3_mT4_P12ihipStream_tbEUlT_E0_NS1_11comp_targetILNS1_3genE5ELNS1_11target_archE942ELNS1_3gpuE9ELNS1_3repE0EEENS1_30default_config_static_selectorELNS0_4arch9wavefront6targetE1EEEvSW_.has_indirect_call, 0
	.section	.AMDGPU.csdata,"",@progbits
; Kernel info:
; codeLenInByte = 0
; TotalNumSgprs: 4
; NumVgprs: 0
; ScratchSize: 0
; MemoryBound: 0
; FloatMode: 240
; IeeeMode: 1
; LDSByteSize: 0 bytes/workgroup (compile time only)
; SGPRBlocks: 0
; VGPRBlocks: 0
; NumSGPRsForWavesPerEU: 4
; NumVGPRsForWavesPerEU: 1
; Occupancy: 10
; WaveLimiterHint : 0
; COMPUTE_PGM_RSRC2:SCRATCH_EN: 0
; COMPUTE_PGM_RSRC2:USER_SGPR: 6
; COMPUTE_PGM_RSRC2:TRAP_HANDLER: 0
; COMPUTE_PGM_RSRC2:TGID_X_EN: 1
; COMPUTE_PGM_RSRC2:TGID_Y_EN: 0
; COMPUTE_PGM_RSRC2:TGID_Z_EN: 0
; COMPUTE_PGM_RSRC2:TIDIG_COMP_CNT: 0
	.section	.text._ZN7rocprim17ROCPRIM_400000_NS6detail17trampoline_kernelINS0_14default_configENS1_22reduce_config_selectorIlEEZNS1_11reduce_implILb1ES3_N6thrust23THRUST_200600_302600_NS11hip_rocprim26transform_input_iterator_tIlNS8_12zip_iteratorINS8_5tupleINS8_6detail15normal_iteratorINS8_10device_ptrIfEEEESH_NS8_9null_typeESI_SI_SI_SI_SI_SI_SI_EEEENS9_21zip_adj_not_predicateINS8_8equal_toIfEEEEEEPllNS8_4plusIlEEEE10hipError_tPvRmT1_T2_T3_mT4_P12ihipStream_tbEUlT_E0_NS1_11comp_targetILNS1_3genE4ELNS1_11target_archE910ELNS1_3gpuE8ELNS1_3repE0EEENS1_30default_config_static_selectorELNS0_4arch9wavefront6targetE1EEEvSW_,"axG",@progbits,_ZN7rocprim17ROCPRIM_400000_NS6detail17trampoline_kernelINS0_14default_configENS1_22reduce_config_selectorIlEEZNS1_11reduce_implILb1ES3_N6thrust23THRUST_200600_302600_NS11hip_rocprim26transform_input_iterator_tIlNS8_12zip_iteratorINS8_5tupleINS8_6detail15normal_iteratorINS8_10device_ptrIfEEEESH_NS8_9null_typeESI_SI_SI_SI_SI_SI_SI_EEEENS9_21zip_adj_not_predicateINS8_8equal_toIfEEEEEEPllNS8_4plusIlEEEE10hipError_tPvRmT1_T2_T3_mT4_P12ihipStream_tbEUlT_E0_NS1_11comp_targetILNS1_3genE4ELNS1_11target_archE910ELNS1_3gpuE8ELNS1_3repE0EEENS1_30default_config_static_selectorELNS0_4arch9wavefront6targetE1EEEvSW_,comdat
	.protected	_ZN7rocprim17ROCPRIM_400000_NS6detail17trampoline_kernelINS0_14default_configENS1_22reduce_config_selectorIlEEZNS1_11reduce_implILb1ES3_N6thrust23THRUST_200600_302600_NS11hip_rocprim26transform_input_iterator_tIlNS8_12zip_iteratorINS8_5tupleINS8_6detail15normal_iteratorINS8_10device_ptrIfEEEESH_NS8_9null_typeESI_SI_SI_SI_SI_SI_SI_EEEENS9_21zip_adj_not_predicateINS8_8equal_toIfEEEEEEPllNS8_4plusIlEEEE10hipError_tPvRmT1_T2_T3_mT4_P12ihipStream_tbEUlT_E0_NS1_11comp_targetILNS1_3genE4ELNS1_11target_archE910ELNS1_3gpuE8ELNS1_3repE0EEENS1_30default_config_static_selectorELNS0_4arch9wavefront6targetE1EEEvSW_ ; -- Begin function _ZN7rocprim17ROCPRIM_400000_NS6detail17trampoline_kernelINS0_14default_configENS1_22reduce_config_selectorIlEEZNS1_11reduce_implILb1ES3_N6thrust23THRUST_200600_302600_NS11hip_rocprim26transform_input_iterator_tIlNS8_12zip_iteratorINS8_5tupleINS8_6detail15normal_iteratorINS8_10device_ptrIfEEEESH_NS8_9null_typeESI_SI_SI_SI_SI_SI_SI_EEEENS9_21zip_adj_not_predicateINS8_8equal_toIfEEEEEEPllNS8_4plusIlEEEE10hipError_tPvRmT1_T2_T3_mT4_P12ihipStream_tbEUlT_E0_NS1_11comp_targetILNS1_3genE4ELNS1_11target_archE910ELNS1_3gpuE8ELNS1_3repE0EEENS1_30default_config_static_selectorELNS0_4arch9wavefront6targetE1EEEvSW_
	.globl	_ZN7rocprim17ROCPRIM_400000_NS6detail17trampoline_kernelINS0_14default_configENS1_22reduce_config_selectorIlEEZNS1_11reduce_implILb1ES3_N6thrust23THRUST_200600_302600_NS11hip_rocprim26transform_input_iterator_tIlNS8_12zip_iteratorINS8_5tupleINS8_6detail15normal_iteratorINS8_10device_ptrIfEEEESH_NS8_9null_typeESI_SI_SI_SI_SI_SI_SI_EEEENS9_21zip_adj_not_predicateINS8_8equal_toIfEEEEEEPllNS8_4plusIlEEEE10hipError_tPvRmT1_T2_T3_mT4_P12ihipStream_tbEUlT_E0_NS1_11comp_targetILNS1_3genE4ELNS1_11target_archE910ELNS1_3gpuE8ELNS1_3repE0EEENS1_30default_config_static_selectorELNS0_4arch9wavefront6targetE1EEEvSW_
	.p2align	8
	.type	_ZN7rocprim17ROCPRIM_400000_NS6detail17trampoline_kernelINS0_14default_configENS1_22reduce_config_selectorIlEEZNS1_11reduce_implILb1ES3_N6thrust23THRUST_200600_302600_NS11hip_rocprim26transform_input_iterator_tIlNS8_12zip_iteratorINS8_5tupleINS8_6detail15normal_iteratorINS8_10device_ptrIfEEEESH_NS8_9null_typeESI_SI_SI_SI_SI_SI_SI_EEEENS9_21zip_adj_not_predicateINS8_8equal_toIfEEEEEEPllNS8_4plusIlEEEE10hipError_tPvRmT1_T2_T3_mT4_P12ihipStream_tbEUlT_E0_NS1_11comp_targetILNS1_3genE4ELNS1_11target_archE910ELNS1_3gpuE8ELNS1_3repE0EEENS1_30default_config_static_selectorELNS0_4arch9wavefront6targetE1EEEvSW_,@function
_ZN7rocprim17ROCPRIM_400000_NS6detail17trampoline_kernelINS0_14default_configENS1_22reduce_config_selectorIlEEZNS1_11reduce_implILb1ES3_N6thrust23THRUST_200600_302600_NS11hip_rocprim26transform_input_iterator_tIlNS8_12zip_iteratorINS8_5tupleINS8_6detail15normal_iteratorINS8_10device_ptrIfEEEESH_NS8_9null_typeESI_SI_SI_SI_SI_SI_SI_EEEENS9_21zip_adj_not_predicateINS8_8equal_toIfEEEEEEPllNS8_4plusIlEEEE10hipError_tPvRmT1_T2_T3_mT4_P12ihipStream_tbEUlT_E0_NS1_11comp_targetILNS1_3genE4ELNS1_11target_archE910ELNS1_3gpuE8ELNS1_3repE0EEENS1_30default_config_static_selectorELNS0_4arch9wavefront6targetE1EEEvSW_: ; @_ZN7rocprim17ROCPRIM_400000_NS6detail17trampoline_kernelINS0_14default_configENS1_22reduce_config_selectorIlEEZNS1_11reduce_implILb1ES3_N6thrust23THRUST_200600_302600_NS11hip_rocprim26transform_input_iterator_tIlNS8_12zip_iteratorINS8_5tupleINS8_6detail15normal_iteratorINS8_10device_ptrIfEEEESH_NS8_9null_typeESI_SI_SI_SI_SI_SI_SI_EEEENS9_21zip_adj_not_predicateINS8_8equal_toIfEEEEEEPllNS8_4plusIlEEEE10hipError_tPvRmT1_T2_T3_mT4_P12ihipStream_tbEUlT_E0_NS1_11comp_targetILNS1_3genE4ELNS1_11target_archE910ELNS1_3gpuE8ELNS1_3repE0EEENS1_30default_config_static_selectorELNS0_4arch9wavefront6targetE1EEEvSW_
; %bb.0:
	.section	.rodata,"a",@progbits
	.p2align	6, 0x0
	.amdhsa_kernel _ZN7rocprim17ROCPRIM_400000_NS6detail17trampoline_kernelINS0_14default_configENS1_22reduce_config_selectorIlEEZNS1_11reduce_implILb1ES3_N6thrust23THRUST_200600_302600_NS11hip_rocprim26transform_input_iterator_tIlNS8_12zip_iteratorINS8_5tupleINS8_6detail15normal_iteratorINS8_10device_ptrIfEEEESH_NS8_9null_typeESI_SI_SI_SI_SI_SI_SI_EEEENS9_21zip_adj_not_predicateINS8_8equal_toIfEEEEEEPllNS8_4plusIlEEEE10hipError_tPvRmT1_T2_T3_mT4_P12ihipStream_tbEUlT_E0_NS1_11comp_targetILNS1_3genE4ELNS1_11target_archE910ELNS1_3gpuE8ELNS1_3repE0EEENS1_30default_config_static_selectorELNS0_4arch9wavefront6targetE1EEEvSW_
		.amdhsa_group_segment_fixed_size 0
		.amdhsa_private_segment_fixed_size 0
		.amdhsa_kernarg_size 80
		.amdhsa_user_sgpr_count 6
		.amdhsa_user_sgpr_private_segment_buffer 1
		.amdhsa_user_sgpr_dispatch_ptr 0
		.amdhsa_user_sgpr_queue_ptr 0
		.amdhsa_user_sgpr_kernarg_segment_ptr 1
		.amdhsa_user_sgpr_dispatch_id 0
		.amdhsa_user_sgpr_flat_scratch_init 0
		.amdhsa_user_sgpr_private_segment_size 0
		.amdhsa_uses_dynamic_stack 0
		.amdhsa_system_sgpr_private_segment_wavefront_offset 0
		.amdhsa_system_sgpr_workgroup_id_x 1
		.amdhsa_system_sgpr_workgroup_id_y 0
		.amdhsa_system_sgpr_workgroup_id_z 0
		.amdhsa_system_sgpr_workgroup_info 0
		.amdhsa_system_vgpr_workitem_id 0
		.amdhsa_next_free_vgpr 1
		.amdhsa_next_free_sgpr 0
		.amdhsa_reserve_vcc 0
		.amdhsa_reserve_flat_scratch 0
		.amdhsa_float_round_mode_32 0
		.amdhsa_float_round_mode_16_64 0
		.amdhsa_float_denorm_mode_32 3
		.amdhsa_float_denorm_mode_16_64 3
		.amdhsa_dx10_clamp 1
		.amdhsa_ieee_mode 1
		.amdhsa_fp16_overflow 0
		.amdhsa_exception_fp_ieee_invalid_op 0
		.amdhsa_exception_fp_denorm_src 0
		.amdhsa_exception_fp_ieee_div_zero 0
		.amdhsa_exception_fp_ieee_overflow 0
		.amdhsa_exception_fp_ieee_underflow 0
		.amdhsa_exception_fp_ieee_inexact 0
		.amdhsa_exception_int_div_zero 0
	.end_amdhsa_kernel
	.section	.text._ZN7rocprim17ROCPRIM_400000_NS6detail17trampoline_kernelINS0_14default_configENS1_22reduce_config_selectorIlEEZNS1_11reduce_implILb1ES3_N6thrust23THRUST_200600_302600_NS11hip_rocprim26transform_input_iterator_tIlNS8_12zip_iteratorINS8_5tupleINS8_6detail15normal_iteratorINS8_10device_ptrIfEEEESH_NS8_9null_typeESI_SI_SI_SI_SI_SI_SI_EEEENS9_21zip_adj_not_predicateINS8_8equal_toIfEEEEEEPllNS8_4plusIlEEEE10hipError_tPvRmT1_T2_T3_mT4_P12ihipStream_tbEUlT_E0_NS1_11comp_targetILNS1_3genE4ELNS1_11target_archE910ELNS1_3gpuE8ELNS1_3repE0EEENS1_30default_config_static_selectorELNS0_4arch9wavefront6targetE1EEEvSW_,"axG",@progbits,_ZN7rocprim17ROCPRIM_400000_NS6detail17trampoline_kernelINS0_14default_configENS1_22reduce_config_selectorIlEEZNS1_11reduce_implILb1ES3_N6thrust23THRUST_200600_302600_NS11hip_rocprim26transform_input_iterator_tIlNS8_12zip_iteratorINS8_5tupleINS8_6detail15normal_iteratorINS8_10device_ptrIfEEEESH_NS8_9null_typeESI_SI_SI_SI_SI_SI_SI_EEEENS9_21zip_adj_not_predicateINS8_8equal_toIfEEEEEEPllNS8_4plusIlEEEE10hipError_tPvRmT1_T2_T3_mT4_P12ihipStream_tbEUlT_E0_NS1_11comp_targetILNS1_3genE4ELNS1_11target_archE910ELNS1_3gpuE8ELNS1_3repE0EEENS1_30default_config_static_selectorELNS0_4arch9wavefront6targetE1EEEvSW_,comdat
.Lfunc_end781:
	.size	_ZN7rocprim17ROCPRIM_400000_NS6detail17trampoline_kernelINS0_14default_configENS1_22reduce_config_selectorIlEEZNS1_11reduce_implILb1ES3_N6thrust23THRUST_200600_302600_NS11hip_rocprim26transform_input_iterator_tIlNS8_12zip_iteratorINS8_5tupleINS8_6detail15normal_iteratorINS8_10device_ptrIfEEEESH_NS8_9null_typeESI_SI_SI_SI_SI_SI_SI_EEEENS9_21zip_adj_not_predicateINS8_8equal_toIfEEEEEEPllNS8_4plusIlEEEE10hipError_tPvRmT1_T2_T3_mT4_P12ihipStream_tbEUlT_E0_NS1_11comp_targetILNS1_3genE4ELNS1_11target_archE910ELNS1_3gpuE8ELNS1_3repE0EEENS1_30default_config_static_selectorELNS0_4arch9wavefront6targetE1EEEvSW_, .Lfunc_end781-_ZN7rocprim17ROCPRIM_400000_NS6detail17trampoline_kernelINS0_14default_configENS1_22reduce_config_selectorIlEEZNS1_11reduce_implILb1ES3_N6thrust23THRUST_200600_302600_NS11hip_rocprim26transform_input_iterator_tIlNS8_12zip_iteratorINS8_5tupleINS8_6detail15normal_iteratorINS8_10device_ptrIfEEEESH_NS8_9null_typeESI_SI_SI_SI_SI_SI_SI_EEEENS9_21zip_adj_not_predicateINS8_8equal_toIfEEEEEEPllNS8_4plusIlEEEE10hipError_tPvRmT1_T2_T3_mT4_P12ihipStream_tbEUlT_E0_NS1_11comp_targetILNS1_3genE4ELNS1_11target_archE910ELNS1_3gpuE8ELNS1_3repE0EEENS1_30default_config_static_selectorELNS0_4arch9wavefront6targetE1EEEvSW_
                                        ; -- End function
	.set _ZN7rocprim17ROCPRIM_400000_NS6detail17trampoline_kernelINS0_14default_configENS1_22reduce_config_selectorIlEEZNS1_11reduce_implILb1ES3_N6thrust23THRUST_200600_302600_NS11hip_rocprim26transform_input_iterator_tIlNS8_12zip_iteratorINS8_5tupleINS8_6detail15normal_iteratorINS8_10device_ptrIfEEEESH_NS8_9null_typeESI_SI_SI_SI_SI_SI_SI_EEEENS9_21zip_adj_not_predicateINS8_8equal_toIfEEEEEEPllNS8_4plusIlEEEE10hipError_tPvRmT1_T2_T3_mT4_P12ihipStream_tbEUlT_E0_NS1_11comp_targetILNS1_3genE4ELNS1_11target_archE910ELNS1_3gpuE8ELNS1_3repE0EEENS1_30default_config_static_selectorELNS0_4arch9wavefront6targetE1EEEvSW_.num_vgpr, 0
	.set _ZN7rocprim17ROCPRIM_400000_NS6detail17trampoline_kernelINS0_14default_configENS1_22reduce_config_selectorIlEEZNS1_11reduce_implILb1ES3_N6thrust23THRUST_200600_302600_NS11hip_rocprim26transform_input_iterator_tIlNS8_12zip_iteratorINS8_5tupleINS8_6detail15normal_iteratorINS8_10device_ptrIfEEEESH_NS8_9null_typeESI_SI_SI_SI_SI_SI_SI_EEEENS9_21zip_adj_not_predicateINS8_8equal_toIfEEEEEEPllNS8_4plusIlEEEE10hipError_tPvRmT1_T2_T3_mT4_P12ihipStream_tbEUlT_E0_NS1_11comp_targetILNS1_3genE4ELNS1_11target_archE910ELNS1_3gpuE8ELNS1_3repE0EEENS1_30default_config_static_selectorELNS0_4arch9wavefront6targetE1EEEvSW_.num_agpr, 0
	.set _ZN7rocprim17ROCPRIM_400000_NS6detail17trampoline_kernelINS0_14default_configENS1_22reduce_config_selectorIlEEZNS1_11reduce_implILb1ES3_N6thrust23THRUST_200600_302600_NS11hip_rocprim26transform_input_iterator_tIlNS8_12zip_iteratorINS8_5tupleINS8_6detail15normal_iteratorINS8_10device_ptrIfEEEESH_NS8_9null_typeESI_SI_SI_SI_SI_SI_SI_EEEENS9_21zip_adj_not_predicateINS8_8equal_toIfEEEEEEPllNS8_4plusIlEEEE10hipError_tPvRmT1_T2_T3_mT4_P12ihipStream_tbEUlT_E0_NS1_11comp_targetILNS1_3genE4ELNS1_11target_archE910ELNS1_3gpuE8ELNS1_3repE0EEENS1_30default_config_static_selectorELNS0_4arch9wavefront6targetE1EEEvSW_.numbered_sgpr, 0
	.set _ZN7rocprim17ROCPRIM_400000_NS6detail17trampoline_kernelINS0_14default_configENS1_22reduce_config_selectorIlEEZNS1_11reduce_implILb1ES3_N6thrust23THRUST_200600_302600_NS11hip_rocprim26transform_input_iterator_tIlNS8_12zip_iteratorINS8_5tupleINS8_6detail15normal_iteratorINS8_10device_ptrIfEEEESH_NS8_9null_typeESI_SI_SI_SI_SI_SI_SI_EEEENS9_21zip_adj_not_predicateINS8_8equal_toIfEEEEEEPllNS8_4plusIlEEEE10hipError_tPvRmT1_T2_T3_mT4_P12ihipStream_tbEUlT_E0_NS1_11comp_targetILNS1_3genE4ELNS1_11target_archE910ELNS1_3gpuE8ELNS1_3repE0EEENS1_30default_config_static_selectorELNS0_4arch9wavefront6targetE1EEEvSW_.num_named_barrier, 0
	.set _ZN7rocprim17ROCPRIM_400000_NS6detail17trampoline_kernelINS0_14default_configENS1_22reduce_config_selectorIlEEZNS1_11reduce_implILb1ES3_N6thrust23THRUST_200600_302600_NS11hip_rocprim26transform_input_iterator_tIlNS8_12zip_iteratorINS8_5tupleINS8_6detail15normal_iteratorINS8_10device_ptrIfEEEESH_NS8_9null_typeESI_SI_SI_SI_SI_SI_SI_EEEENS9_21zip_adj_not_predicateINS8_8equal_toIfEEEEEEPllNS8_4plusIlEEEE10hipError_tPvRmT1_T2_T3_mT4_P12ihipStream_tbEUlT_E0_NS1_11comp_targetILNS1_3genE4ELNS1_11target_archE910ELNS1_3gpuE8ELNS1_3repE0EEENS1_30default_config_static_selectorELNS0_4arch9wavefront6targetE1EEEvSW_.private_seg_size, 0
	.set _ZN7rocprim17ROCPRIM_400000_NS6detail17trampoline_kernelINS0_14default_configENS1_22reduce_config_selectorIlEEZNS1_11reduce_implILb1ES3_N6thrust23THRUST_200600_302600_NS11hip_rocprim26transform_input_iterator_tIlNS8_12zip_iteratorINS8_5tupleINS8_6detail15normal_iteratorINS8_10device_ptrIfEEEESH_NS8_9null_typeESI_SI_SI_SI_SI_SI_SI_EEEENS9_21zip_adj_not_predicateINS8_8equal_toIfEEEEEEPllNS8_4plusIlEEEE10hipError_tPvRmT1_T2_T3_mT4_P12ihipStream_tbEUlT_E0_NS1_11comp_targetILNS1_3genE4ELNS1_11target_archE910ELNS1_3gpuE8ELNS1_3repE0EEENS1_30default_config_static_selectorELNS0_4arch9wavefront6targetE1EEEvSW_.uses_vcc, 0
	.set _ZN7rocprim17ROCPRIM_400000_NS6detail17trampoline_kernelINS0_14default_configENS1_22reduce_config_selectorIlEEZNS1_11reduce_implILb1ES3_N6thrust23THRUST_200600_302600_NS11hip_rocprim26transform_input_iterator_tIlNS8_12zip_iteratorINS8_5tupleINS8_6detail15normal_iteratorINS8_10device_ptrIfEEEESH_NS8_9null_typeESI_SI_SI_SI_SI_SI_SI_EEEENS9_21zip_adj_not_predicateINS8_8equal_toIfEEEEEEPllNS8_4plusIlEEEE10hipError_tPvRmT1_T2_T3_mT4_P12ihipStream_tbEUlT_E0_NS1_11comp_targetILNS1_3genE4ELNS1_11target_archE910ELNS1_3gpuE8ELNS1_3repE0EEENS1_30default_config_static_selectorELNS0_4arch9wavefront6targetE1EEEvSW_.uses_flat_scratch, 0
	.set _ZN7rocprim17ROCPRIM_400000_NS6detail17trampoline_kernelINS0_14default_configENS1_22reduce_config_selectorIlEEZNS1_11reduce_implILb1ES3_N6thrust23THRUST_200600_302600_NS11hip_rocprim26transform_input_iterator_tIlNS8_12zip_iteratorINS8_5tupleINS8_6detail15normal_iteratorINS8_10device_ptrIfEEEESH_NS8_9null_typeESI_SI_SI_SI_SI_SI_SI_EEEENS9_21zip_adj_not_predicateINS8_8equal_toIfEEEEEEPllNS8_4plusIlEEEE10hipError_tPvRmT1_T2_T3_mT4_P12ihipStream_tbEUlT_E0_NS1_11comp_targetILNS1_3genE4ELNS1_11target_archE910ELNS1_3gpuE8ELNS1_3repE0EEENS1_30default_config_static_selectorELNS0_4arch9wavefront6targetE1EEEvSW_.has_dyn_sized_stack, 0
	.set _ZN7rocprim17ROCPRIM_400000_NS6detail17trampoline_kernelINS0_14default_configENS1_22reduce_config_selectorIlEEZNS1_11reduce_implILb1ES3_N6thrust23THRUST_200600_302600_NS11hip_rocprim26transform_input_iterator_tIlNS8_12zip_iteratorINS8_5tupleINS8_6detail15normal_iteratorINS8_10device_ptrIfEEEESH_NS8_9null_typeESI_SI_SI_SI_SI_SI_SI_EEEENS9_21zip_adj_not_predicateINS8_8equal_toIfEEEEEEPllNS8_4plusIlEEEE10hipError_tPvRmT1_T2_T3_mT4_P12ihipStream_tbEUlT_E0_NS1_11comp_targetILNS1_3genE4ELNS1_11target_archE910ELNS1_3gpuE8ELNS1_3repE0EEENS1_30default_config_static_selectorELNS0_4arch9wavefront6targetE1EEEvSW_.has_recursion, 0
	.set _ZN7rocprim17ROCPRIM_400000_NS6detail17trampoline_kernelINS0_14default_configENS1_22reduce_config_selectorIlEEZNS1_11reduce_implILb1ES3_N6thrust23THRUST_200600_302600_NS11hip_rocprim26transform_input_iterator_tIlNS8_12zip_iteratorINS8_5tupleINS8_6detail15normal_iteratorINS8_10device_ptrIfEEEESH_NS8_9null_typeESI_SI_SI_SI_SI_SI_SI_EEEENS9_21zip_adj_not_predicateINS8_8equal_toIfEEEEEEPllNS8_4plusIlEEEE10hipError_tPvRmT1_T2_T3_mT4_P12ihipStream_tbEUlT_E0_NS1_11comp_targetILNS1_3genE4ELNS1_11target_archE910ELNS1_3gpuE8ELNS1_3repE0EEENS1_30default_config_static_selectorELNS0_4arch9wavefront6targetE1EEEvSW_.has_indirect_call, 0
	.section	.AMDGPU.csdata,"",@progbits
; Kernel info:
; codeLenInByte = 0
; TotalNumSgprs: 4
; NumVgprs: 0
; ScratchSize: 0
; MemoryBound: 0
; FloatMode: 240
; IeeeMode: 1
; LDSByteSize: 0 bytes/workgroup (compile time only)
; SGPRBlocks: 0
; VGPRBlocks: 0
; NumSGPRsForWavesPerEU: 4
; NumVGPRsForWavesPerEU: 1
; Occupancy: 10
; WaveLimiterHint : 0
; COMPUTE_PGM_RSRC2:SCRATCH_EN: 0
; COMPUTE_PGM_RSRC2:USER_SGPR: 6
; COMPUTE_PGM_RSRC2:TRAP_HANDLER: 0
; COMPUTE_PGM_RSRC2:TGID_X_EN: 1
; COMPUTE_PGM_RSRC2:TGID_Y_EN: 0
; COMPUTE_PGM_RSRC2:TGID_Z_EN: 0
; COMPUTE_PGM_RSRC2:TIDIG_COMP_CNT: 0
	.section	.text._ZN7rocprim17ROCPRIM_400000_NS6detail17trampoline_kernelINS0_14default_configENS1_22reduce_config_selectorIlEEZNS1_11reduce_implILb1ES3_N6thrust23THRUST_200600_302600_NS11hip_rocprim26transform_input_iterator_tIlNS8_12zip_iteratorINS8_5tupleINS8_6detail15normal_iteratorINS8_10device_ptrIfEEEESH_NS8_9null_typeESI_SI_SI_SI_SI_SI_SI_EEEENS9_21zip_adj_not_predicateINS8_8equal_toIfEEEEEEPllNS8_4plusIlEEEE10hipError_tPvRmT1_T2_T3_mT4_P12ihipStream_tbEUlT_E0_NS1_11comp_targetILNS1_3genE3ELNS1_11target_archE908ELNS1_3gpuE7ELNS1_3repE0EEENS1_30default_config_static_selectorELNS0_4arch9wavefront6targetE1EEEvSW_,"axG",@progbits,_ZN7rocprim17ROCPRIM_400000_NS6detail17trampoline_kernelINS0_14default_configENS1_22reduce_config_selectorIlEEZNS1_11reduce_implILb1ES3_N6thrust23THRUST_200600_302600_NS11hip_rocprim26transform_input_iterator_tIlNS8_12zip_iteratorINS8_5tupleINS8_6detail15normal_iteratorINS8_10device_ptrIfEEEESH_NS8_9null_typeESI_SI_SI_SI_SI_SI_SI_EEEENS9_21zip_adj_not_predicateINS8_8equal_toIfEEEEEEPllNS8_4plusIlEEEE10hipError_tPvRmT1_T2_T3_mT4_P12ihipStream_tbEUlT_E0_NS1_11comp_targetILNS1_3genE3ELNS1_11target_archE908ELNS1_3gpuE7ELNS1_3repE0EEENS1_30default_config_static_selectorELNS0_4arch9wavefront6targetE1EEEvSW_,comdat
	.protected	_ZN7rocprim17ROCPRIM_400000_NS6detail17trampoline_kernelINS0_14default_configENS1_22reduce_config_selectorIlEEZNS1_11reduce_implILb1ES3_N6thrust23THRUST_200600_302600_NS11hip_rocprim26transform_input_iterator_tIlNS8_12zip_iteratorINS8_5tupleINS8_6detail15normal_iteratorINS8_10device_ptrIfEEEESH_NS8_9null_typeESI_SI_SI_SI_SI_SI_SI_EEEENS9_21zip_adj_not_predicateINS8_8equal_toIfEEEEEEPllNS8_4plusIlEEEE10hipError_tPvRmT1_T2_T3_mT4_P12ihipStream_tbEUlT_E0_NS1_11comp_targetILNS1_3genE3ELNS1_11target_archE908ELNS1_3gpuE7ELNS1_3repE0EEENS1_30default_config_static_selectorELNS0_4arch9wavefront6targetE1EEEvSW_ ; -- Begin function _ZN7rocprim17ROCPRIM_400000_NS6detail17trampoline_kernelINS0_14default_configENS1_22reduce_config_selectorIlEEZNS1_11reduce_implILb1ES3_N6thrust23THRUST_200600_302600_NS11hip_rocprim26transform_input_iterator_tIlNS8_12zip_iteratorINS8_5tupleINS8_6detail15normal_iteratorINS8_10device_ptrIfEEEESH_NS8_9null_typeESI_SI_SI_SI_SI_SI_SI_EEEENS9_21zip_adj_not_predicateINS8_8equal_toIfEEEEEEPllNS8_4plusIlEEEE10hipError_tPvRmT1_T2_T3_mT4_P12ihipStream_tbEUlT_E0_NS1_11comp_targetILNS1_3genE3ELNS1_11target_archE908ELNS1_3gpuE7ELNS1_3repE0EEENS1_30default_config_static_selectorELNS0_4arch9wavefront6targetE1EEEvSW_
	.globl	_ZN7rocprim17ROCPRIM_400000_NS6detail17trampoline_kernelINS0_14default_configENS1_22reduce_config_selectorIlEEZNS1_11reduce_implILb1ES3_N6thrust23THRUST_200600_302600_NS11hip_rocprim26transform_input_iterator_tIlNS8_12zip_iteratorINS8_5tupleINS8_6detail15normal_iteratorINS8_10device_ptrIfEEEESH_NS8_9null_typeESI_SI_SI_SI_SI_SI_SI_EEEENS9_21zip_adj_not_predicateINS8_8equal_toIfEEEEEEPllNS8_4plusIlEEEE10hipError_tPvRmT1_T2_T3_mT4_P12ihipStream_tbEUlT_E0_NS1_11comp_targetILNS1_3genE3ELNS1_11target_archE908ELNS1_3gpuE7ELNS1_3repE0EEENS1_30default_config_static_selectorELNS0_4arch9wavefront6targetE1EEEvSW_
	.p2align	8
	.type	_ZN7rocprim17ROCPRIM_400000_NS6detail17trampoline_kernelINS0_14default_configENS1_22reduce_config_selectorIlEEZNS1_11reduce_implILb1ES3_N6thrust23THRUST_200600_302600_NS11hip_rocprim26transform_input_iterator_tIlNS8_12zip_iteratorINS8_5tupleINS8_6detail15normal_iteratorINS8_10device_ptrIfEEEESH_NS8_9null_typeESI_SI_SI_SI_SI_SI_SI_EEEENS9_21zip_adj_not_predicateINS8_8equal_toIfEEEEEEPllNS8_4plusIlEEEE10hipError_tPvRmT1_T2_T3_mT4_P12ihipStream_tbEUlT_E0_NS1_11comp_targetILNS1_3genE3ELNS1_11target_archE908ELNS1_3gpuE7ELNS1_3repE0EEENS1_30default_config_static_selectorELNS0_4arch9wavefront6targetE1EEEvSW_,@function
_ZN7rocprim17ROCPRIM_400000_NS6detail17trampoline_kernelINS0_14default_configENS1_22reduce_config_selectorIlEEZNS1_11reduce_implILb1ES3_N6thrust23THRUST_200600_302600_NS11hip_rocprim26transform_input_iterator_tIlNS8_12zip_iteratorINS8_5tupleINS8_6detail15normal_iteratorINS8_10device_ptrIfEEEESH_NS8_9null_typeESI_SI_SI_SI_SI_SI_SI_EEEENS9_21zip_adj_not_predicateINS8_8equal_toIfEEEEEEPllNS8_4plusIlEEEE10hipError_tPvRmT1_T2_T3_mT4_P12ihipStream_tbEUlT_E0_NS1_11comp_targetILNS1_3genE3ELNS1_11target_archE908ELNS1_3gpuE7ELNS1_3repE0EEENS1_30default_config_static_selectorELNS0_4arch9wavefront6targetE1EEEvSW_: ; @_ZN7rocprim17ROCPRIM_400000_NS6detail17trampoline_kernelINS0_14default_configENS1_22reduce_config_selectorIlEEZNS1_11reduce_implILb1ES3_N6thrust23THRUST_200600_302600_NS11hip_rocprim26transform_input_iterator_tIlNS8_12zip_iteratorINS8_5tupleINS8_6detail15normal_iteratorINS8_10device_ptrIfEEEESH_NS8_9null_typeESI_SI_SI_SI_SI_SI_SI_EEEENS9_21zip_adj_not_predicateINS8_8equal_toIfEEEEEEPllNS8_4plusIlEEEE10hipError_tPvRmT1_T2_T3_mT4_P12ihipStream_tbEUlT_E0_NS1_11comp_targetILNS1_3genE3ELNS1_11target_archE908ELNS1_3gpuE7ELNS1_3repE0EEENS1_30default_config_static_selectorELNS0_4arch9wavefront6targetE1EEEvSW_
; %bb.0:
	.section	.rodata,"a",@progbits
	.p2align	6, 0x0
	.amdhsa_kernel _ZN7rocprim17ROCPRIM_400000_NS6detail17trampoline_kernelINS0_14default_configENS1_22reduce_config_selectorIlEEZNS1_11reduce_implILb1ES3_N6thrust23THRUST_200600_302600_NS11hip_rocprim26transform_input_iterator_tIlNS8_12zip_iteratorINS8_5tupleINS8_6detail15normal_iteratorINS8_10device_ptrIfEEEESH_NS8_9null_typeESI_SI_SI_SI_SI_SI_SI_EEEENS9_21zip_adj_not_predicateINS8_8equal_toIfEEEEEEPllNS8_4plusIlEEEE10hipError_tPvRmT1_T2_T3_mT4_P12ihipStream_tbEUlT_E0_NS1_11comp_targetILNS1_3genE3ELNS1_11target_archE908ELNS1_3gpuE7ELNS1_3repE0EEENS1_30default_config_static_selectorELNS0_4arch9wavefront6targetE1EEEvSW_
		.amdhsa_group_segment_fixed_size 0
		.amdhsa_private_segment_fixed_size 0
		.amdhsa_kernarg_size 80
		.amdhsa_user_sgpr_count 6
		.amdhsa_user_sgpr_private_segment_buffer 1
		.amdhsa_user_sgpr_dispatch_ptr 0
		.amdhsa_user_sgpr_queue_ptr 0
		.amdhsa_user_sgpr_kernarg_segment_ptr 1
		.amdhsa_user_sgpr_dispatch_id 0
		.amdhsa_user_sgpr_flat_scratch_init 0
		.amdhsa_user_sgpr_private_segment_size 0
		.amdhsa_uses_dynamic_stack 0
		.amdhsa_system_sgpr_private_segment_wavefront_offset 0
		.amdhsa_system_sgpr_workgroup_id_x 1
		.amdhsa_system_sgpr_workgroup_id_y 0
		.amdhsa_system_sgpr_workgroup_id_z 0
		.amdhsa_system_sgpr_workgroup_info 0
		.amdhsa_system_vgpr_workitem_id 0
		.amdhsa_next_free_vgpr 1
		.amdhsa_next_free_sgpr 0
		.amdhsa_reserve_vcc 0
		.amdhsa_reserve_flat_scratch 0
		.amdhsa_float_round_mode_32 0
		.amdhsa_float_round_mode_16_64 0
		.amdhsa_float_denorm_mode_32 3
		.amdhsa_float_denorm_mode_16_64 3
		.amdhsa_dx10_clamp 1
		.amdhsa_ieee_mode 1
		.amdhsa_fp16_overflow 0
		.amdhsa_exception_fp_ieee_invalid_op 0
		.amdhsa_exception_fp_denorm_src 0
		.amdhsa_exception_fp_ieee_div_zero 0
		.amdhsa_exception_fp_ieee_overflow 0
		.amdhsa_exception_fp_ieee_underflow 0
		.amdhsa_exception_fp_ieee_inexact 0
		.amdhsa_exception_int_div_zero 0
	.end_amdhsa_kernel
	.section	.text._ZN7rocprim17ROCPRIM_400000_NS6detail17trampoline_kernelINS0_14default_configENS1_22reduce_config_selectorIlEEZNS1_11reduce_implILb1ES3_N6thrust23THRUST_200600_302600_NS11hip_rocprim26transform_input_iterator_tIlNS8_12zip_iteratorINS8_5tupleINS8_6detail15normal_iteratorINS8_10device_ptrIfEEEESH_NS8_9null_typeESI_SI_SI_SI_SI_SI_SI_EEEENS9_21zip_adj_not_predicateINS8_8equal_toIfEEEEEEPllNS8_4plusIlEEEE10hipError_tPvRmT1_T2_T3_mT4_P12ihipStream_tbEUlT_E0_NS1_11comp_targetILNS1_3genE3ELNS1_11target_archE908ELNS1_3gpuE7ELNS1_3repE0EEENS1_30default_config_static_selectorELNS0_4arch9wavefront6targetE1EEEvSW_,"axG",@progbits,_ZN7rocprim17ROCPRIM_400000_NS6detail17trampoline_kernelINS0_14default_configENS1_22reduce_config_selectorIlEEZNS1_11reduce_implILb1ES3_N6thrust23THRUST_200600_302600_NS11hip_rocprim26transform_input_iterator_tIlNS8_12zip_iteratorINS8_5tupleINS8_6detail15normal_iteratorINS8_10device_ptrIfEEEESH_NS8_9null_typeESI_SI_SI_SI_SI_SI_SI_EEEENS9_21zip_adj_not_predicateINS8_8equal_toIfEEEEEEPllNS8_4plusIlEEEE10hipError_tPvRmT1_T2_T3_mT4_P12ihipStream_tbEUlT_E0_NS1_11comp_targetILNS1_3genE3ELNS1_11target_archE908ELNS1_3gpuE7ELNS1_3repE0EEENS1_30default_config_static_selectorELNS0_4arch9wavefront6targetE1EEEvSW_,comdat
.Lfunc_end782:
	.size	_ZN7rocprim17ROCPRIM_400000_NS6detail17trampoline_kernelINS0_14default_configENS1_22reduce_config_selectorIlEEZNS1_11reduce_implILb1ES3_N6thrust23THRUST_200600_302600_NS11hip_rocprim26transform_input_iterator_tIlNS8_12zip_iteratorINS8_5tupleINS8_6detail15normal_iteratorINS8_10device_ptrIfEEEESH_NS8_9null_typeESI_SI_SI_SI_SI_SI_SI_EEEENS9_21zip_adj_not_predicateINS8_8equal_toIfEEEEEEPllNS8_4plusIlEEEE10hipError_tPvRmT1_T2_T3_mT4_P12ihipStream_tbEUlT_E0_NS1_11comp_targetILNS1_3genE3ELNS1_11target_archE908ELNS1_3gpuE7ELNS1_3repE0EEENS1_30default_config_static_selectorELNS0_4arch9wavefront6targetE1EEEvSW_, .Lfunc_end782-_ZN7rocprim17ROCPRIM_400000_NS6detail17trampoline_kernelINS0_14default_configENS1_22reduce_config_selectorIlEEZNS1_11reduce_implILb1ES3_N6thrust23THRUST_200600_302600_NS11hip_rocprim26transform_input_iterator_tIlNS8_12zip_iteratorINS8_5tupleINS8_6detail15normal_iteratorINS8_10device_ptrIfEEEESH_NS8_9null_typeESI_SI_SI_SI_SI_SI_SI_EEEENS9_21zip_adj_not_predicateINS8_8equal_toIfEEEEEEPllNS8_4plusIlEEEE10hipError_tPvRmT1_T2_T3_mT4_P12ihipStream_tbEUlT_E0_NS1_11comp_targetILNS1_3genE3ELNS1_11target_archE908ELNS1_3gpuE7ELNS1_3repE0EEENS1_30default_config_static_selectorELNS0_4arch9wavefront6targetE1EEEvSW_
                                        ; -- End function
	.set _ZN7rocprim17ROCPRIM_400000_NS6detail17trampoline_kernelINS0_14default_configENS1_22reduce_config_selectorIlEEZNS1_11reduce_implILb1ES3_N6thrust23THRUST_200600_302600_NS11hip_rocprim26transform_input_iterator_tIlNS8_12zip_iteratorINS8_5tupleINS8_6detail15normal_iteratorINS8_10device_ptrIfEEEESH_NS8_9null_typeESI_SI_SI_SI_SI_SI_SI_EEEENS9_21zip_adj_not_predicateINS8_8equal_toIfEEEEEEPllNS8_4plusIlEEEE10hipError_tPvRmT1_T2_T3_mT4_P12ihipStream_tbEUlT_E0_NS1_11comp_targetILNS1_3genE3ELNS1_11target_archE908ELNS1_3gpuE7ELNS1_3repE0EEENS1_30default_config_static_selectorELNS0_4arch9wavefront6targetE1EEEvSW_.num_vgpr, 0
	.set _ZN7rocprim17ROCPRIM_400000_NS6detail17trampoline_kernelINS0_14default_configENS1_22reduce_config_selectorIlEEZNS1_11reduce_implILb1ES3_N6thrust23THRUST_200600_302600_NS11hip_rocprim26transform_input_iterator_tIlNS8_12zip_iteratorINS8_5tupleINS8_6detail15normal_iteratorINS8_10device_ptrIfEEEESH_NS8_9null_typeESI_SI_SI_SI_SI_SI_SI_EEEENS9_21zip_adj_not_predicateINS8_8equal_toIfEEEEEEPllNS8_4plusIlEEEE10hipError_tPvRmT1_T2_T3_mT4_P12ihipStream_tbEUlT_E0_NS1_11comp_targetILNS1_3genE3ELNS1_11target_archE908ELNS1_3gpuE7ELNS1_3repE0EEENS1_30default_config_static_selectorELNS0_4arch9wavefront6targetE1EEEvSW_.num_agpr, 0
	.set _ZN7rocprim17ROCPRIM_400000_NS6detail17trampoline_kernelINS0_14default_configENS1_22reduce_config_selectorIlEEZNS1_11reduce_implILb1ES3_N6thrust23THRUST_200600_302600_NS11hip_rocprim26transform_input_iterator_tIlNS8_12zip_iteratorINS8_5tupleINS8_6detail15normal_iteratorINS8_10device_ptrIfEEEESH_NS8_9null_typeESI_SI_SI_SI_SI_SI_SI_EEEENS9_21zip_adj_not_predicateINS8_8equal_toIfEEEEEEPllNS8_4plusIlEEEE10hipError_tPvRmT1_T2_T3_mT4_P12ihipStream_tbEUlT_E0_NS1_11comp_targetILNS1_3genE3ELNS1_11target_archE908ELNS1_3gpuE7ELNS1_3repE0EEENS1_30default_config_static_selectorELNS0_4arch9wavefront6targetE1EEEvSW_.numbered_sgpr, 0
	.set _ZN7rocprim17ROCPRIM_400000_NS6detail17trampoline_kernelINS0_14default_configENS1_22reduce_config_selectorIlEEZNS1_11reduce_implILb1ES3_N6thrust23THRUST_200600_302600_NS11hip_rocprim26transform_input_iterator_tIlNS8_12zip_iteratorINS8_5tupleINS8_6detail15normal_iteratorINS8_10device_ptrIfEEEESH_NS8_9null_typeESI_SI_SI_SI_SI_SI_SI_EEEENS9_21zip_adj_not_predicateINS8_8equal_toIfEEEEEEPllNS8_4plusIlEEEE10hipError_tPvRmT1_T2_T3_mT4_P12ihipStream_tbEUlT_E0_NS1_11comp_targetILNS1_3genE3ELNS1_11target_archE908ELNS1_3gpuE7ELNS1_3repE0EEENS1_30default_config_static_selectorELNS0_4arch9wavefront6targetE1EEEvSW_.num_named_barrier, 0
	.set _ZN7rocprim17ROCPRIM_400000_NS6detail17trampoline_kernelINS0_14default_configENS1_22reduce_config_selectorIlEEZNS1_11reduce_implILb1ES3_N6thrust23THRUST_200600_302600_NS11hip_rocprim26transform_input_iterator_tIlNS8_12zip_iteratorINS8_5tupleINS8_6detail15normal_iteratorINS8_10device_ptrIfEEEESH_NS8_9null_typeESI_SI_SI_SI_SI_SI_SI_EEEENS9_21zip_adj_not_predicateINS8_8equal_toIfEEEEEEPllNS8_4plusIlEEEE10hipError_tPvRmT1_T2_T3_mT4_P12ihipStream_tbEUlT_E0_NS1_11comp_targetILNS1_3genE3ELNS1_11target_archE908ELNS1_3gpuE7ELNS1_3repE0EEENS1_30default_config_static_selectorELNS0_4arch9wavefront6targetE1EEEvSW_.private_seg_size, 0
	.set _ZN7rocprim17ROCPRIM_400000_NS6detail17trampoline_kernelINS0_14default_configENS1_22reduce_config_selectorIlEEZNS1_11reduce_implILb1ES3_N6thrust23THRUST_200600_302600_NS11hip_rocprim26transform_input_iterator_tIlNS8_12zip_iteratorINS8_5tupleINS8_6detail15normal_iteratorINS8_10device_ptrIfEEEESH_NS8_9null_typeESI_SI_SI_SI_SI_SI_SI_EEEENS9_21zip_adj_not_predicateINS8_8equal_toIfEEEEEEPllNS8_4plusIlEEEE10hipError_tPvRmT1_T2_T3_mT4_P12ihipStream_tbEUlT_E0_NS1_11comp_targetILNS1_3genE3ELNS1_11target_archE908ELNS1_3gpuE7ELNS1_3repE0EEENS1_30default_config_static_selectorELNS0_4arch9wavefront6targetE1EEEvSW_.uses_vcc, 0
	.set _ZN7rocprim17ROCPRIM_400000_NS6detail17trampoline_kernelINS0_14default_configENS1_22reduce_config_selectorIlEEZNS1_11reduce_implILb1ES3_N6thrust23THRUST_200600_302600_NS11hip_rocprim26transform_input_iterator_tIlNS8_12zip_iteratorINS8_5tupleINS8_6detail15normal_iteratorINS8_10device_ptrIfEEEESH_NS8_9null_typeESI_SI_SI_SI_SI_SI_SI_EEEENS9_21zip_adj_not_predicateINS8_8equal_toIfEEEEEEPllNS8_4plusIlEEEE10hipError_tPvRmT1_T2_T3_mT4_P12ihipStream_tbEUlT_E0_NS1_11comp_targetILNS1_3genE3ELNS1_11target_archE908ELNS1_3gpuE7ELNS1_3repE0EEENS1_30default_config_static_selectorELNS0_4arch9wavefront6targetE1EEEvSW_.uses_flat_scratch, 0
	.set _ZN7rocprim17ROCPRIM_400000_NS6detail17trampoline_kernelINS0_14default_configENS1_22reduce_config_selectorIlEEZNS1_11reduce_implILb1ES3_N6thrust23THRUST_200600_302600_NS11hip_rocprim26transform_input_iterator_tIlNS8_12zip_iteratorINS8_5tupleINS8_6detail15normal_iteratorINS8_10device_ptrIfEEEESH_NS8_9null_typeESI_SI_SI_SI_SI_SI_SI_EEEENS9_21zip_adj_not_predicateINS8_8equal_toIfEEEEEEPllNS8_4plusIlEEEE10hipError_tPvRmT1_T2_T3_mT4_P12ihipStream_tbEUlT_E0_NS1_11comp_targetILNS1_3genE3ELNS1_11target_archE908ELNS1_3gpuE7ELNS1_3repE0EEENS1_30default_config_static_selectorELNS0_4arch9wavefront6targetE1EEEvSW_.has_dyn_sized_stack, 0
	.set _ZN7rocprim17ROCPRIM_400000_NS6detail17trampoline_kernelINS0_14default_configENS1_22reduce_config_selectorIlEEZNS1_11reduce_implILb1ES3_N6thrust23THRUST_200600_302600_NS11hip_rocprim26transform_input_iterator_tIlNS8_12zip_iteratorINS8_5tupleINS8_6detail15normal_iteratorINS8_10device_ptrIfEEEESH_NS8_9null_typeESI_SI_SI_SI_SI_SI_SI_EEEENS9_21zip_adj_not_predicateINS8_8equal_toIfEEEEEEPllNS8_4plusIlEEEE10hipError_tPvRmT1_T2_T3_mT4_P12ihipStream_tbEUlT_E0_NS1_11comp_targetILNS1_3genE3ELNS1_11target_archE908ELNS1_3gpuE7ELNS1_3repE0EEENS1_30default_config_static_selectorELNS0_4arch9wavefront6targetE1EEEvSW_.has_recursion, 0
	.set _ZN7rocprim17ROCPRIM_400000_NS6detail17trampoline_kernelINS0_14default_configENS1_22reduce_config_selectorIlEEZNS1_11reduce_implILb1ES3_N6thrust23THRUST_200600_302600_NS11hip_rocprim26transform_input_iterator_tIlNS8_12zip_iteratorINS8_5tupleINS8_6detail15normal_iteratorINS8_10device_ptrIfEEEESH_NS8_9null_typeESI_SI_SI_SI_SI_SI_SI_EEEENS9_21zip_adj_not_predicateINS8_8equal_toIfEEEEEEPllNS8_4plusIlEEEE10hipError_tPvRmT1_T2_T3_mT4_P12ihipStream_tbEUlT_E0_NS1_11comp_targetILNS1_3genE3ELNS1_11target_archE908ELNS1_3gpuE7ELNS1_3repE0EEENS1_30default_config_static_selectorELNS0_4arch9wavefront6targetE1EEEvSW_.has_indirect_call, 0
	.section	.AMDGPU.csdata,"",@progbits
; Kernel info:
; codeLenInByte = 0
; TotalNumSgprs: 4
; NumVgprs: 0
; ScratchSize: 0
; MemoryBound: 0
; FloatMode: 240
; IeeeMode: 1
; LDSByteSize: 0 bytes/workgroup (compile time only)
; SGPRBlocks: 0
; VGPRBlocks: 0
; NumSGPRsForWavesPerEU: 4
; NumVGPRsForWavesPerEU: 1
; Occupancy: 10
; WaveLimiterHint : 0
; COMPUTE_PGM_RSRC2:SCRATCH_EN: 0
; COMPUTE_PGM_RSRC2:USER_SGPR: 6
; COMPUTE_PGM_RSRC2:TRAP_HANDLER: 0
; COMPUTE_PGM_RSRC2:TGID_X_EN: 1
; COMPUTE_PGM_RSRC2:TGID_Y_EN: 0
; COMPUTE_PGM_RSRC2:TGID_Z_EN: 0
; COMPUTE_PGM_RSRC2:TIDIG_COMP_CNT: 0
	.section	.text._ZN7rocprim17ROCPRIM_400000_NS6detail17trampoline_kernelINS0_14default_configENS1_22reduce_config_selectorIlEEZNS1_11reduce_implILb1ES3_N6thrust23THRUST_200600_302600_NS11hip_rocprim26transform_input_iterator_tIlNS8_12zip_iteratorINS8_5tupleINS8_6detail15normal_iteratorINS8_10device_ptrIfEEEESH_NS8_9null_typeESI_SI_SI_SI_SI_SI_SI_EEEENS9_21zip_adj_not_predicateINS8_8equal_toIfEEEEEEPllNS8_4plusIlEEEE10hipError_tPvRmT1_T2_T3_mT4_P12ihipStream_tbEUlT_E0_NS1_11comp_targetILNS1_3genE2ELNS1_11target_archE906ELNS1_3gpuE6ELNS1_3repE0EEENS1_30default_config_static_selectorELNS0_4arch9wavefront6targetE1EEEvSW_,"axG",@progbits,_ZN7rocprim17ROCPRIM_400000_NS6detail17trampoline_kernelINS0_14default_configENS1_22reduce_config_selectorIlEEZNS1_11reduce_implILb1ES3_N6thrust23THRUST_200600_302600_NS11hip_rocprim26transform_input_iterator_tIlNS8_12zip_iteratorINS8_5tupleINS8_6detail15normal_iteratorINS8_10device_ptrIfEEEESH_NS8_9null_typeESI_SI_SI_SI_SI_SI_SI_EEEENS9_21zip_adj_not_predicateINS8_8equal_toIfEEEEEEPllNS8_4plusIlEEEE10hipError_tPvRmT1_T2_T3_mT4_P12ihipStream_tbEUlT_E0_NS1_11comp_targetILNS1_3genE2ELNS1_11target_archE906ELNS1_3gpuE6ELNS1_3repE0EEENS1_30default_config_static_selectorELNS0_4arch9wavefront6targetE1EEEvSW_,comdat
	.protected	_ZN7rocprim17ROCPRIM_400000_NS6detail17trampoline_kernelINS0_14default_configENS1_22reduce_config_selectorIlEEZNS1_11reduce_implILb1ES3_N6thrust23THRUST_200600_302600_NS11hip_rocprim26transform_input_iterator_tIlNS8_12zip_iteratorINS8_5tupleINS8_6detail15normal_iteratorINS8_10device_ptrIfEEEESH_NS8_9null_typeESI_SI_SI_SI_SI_SI_SI_EEEENS9_21zip_adj_not_predicateINS8_8equal_toIfEEEEEEPllNS8_4plusIlEEEE10hipError_tPvRmT1_T2_T3_mT4_P12ihipStream_tbEUlT_E0_NS1_11comp_targetILNS1_3genE2ELNS1_11target_archE906ELNS1_3gpuE6ELNS1_3repE0EEENS1_30default_config_static_selectorELNS0_4arch9wavefront6targetE1EEEvSW_ ; -- Begin function _ZN7rocprim17ROCPRIM_400000_NS6detail17trampoline_kernelINS0_14default_configENS1_22reduce_config_selectorIlEEZNS1_11reduce_implILb1ES3_N6thrust23THRUST_200600_302600_NS11hip_rocprim26transform_input_iterator_tIlNS8_12zip_iteratorINS8_5tupleINS8_6detail15normal_iteratorINS8_10device_ptrIfEEEESH_NS8_9null_typeESI_SI_SI_SI_SI_SI_SI_EEEENS9_21zip_adj_not_predicateINS8_8equal_toIfEEEEEEPllNS8_4plusIlEEEE10hipError_tPvRmT1_T2_T3_mT4_P12ihipStream_tbEUlT_E0_NS1_11comp_targetILNS1_3genE2ELNS1_11target_archE906ELNS1_3gpuE6ELNS1_3repE0EEENS1_30default_config_static_selectorELNS0_4arch9wavefront6targetE1EEEvSW_
	.globl	_ZN7rocprim17ROCPRIM_400000_NS6detail17trampoline_kernelINS0_14default_configENS1_22reduce_config_selectorIlEEZNS1_11reduce_implILb1ES3_N6thrust23THRUST_200600_302600_NS11hip_rocprim26transform_input_iterator_tIlNS8_12zip_iteratorINS8_5tupleINS8_6detail15normal_iteratorINS8_10device_ptrIfEEEESH_NS8_9null_typeESI_SI_SI_SI_SI_SI_SI_EEEENS9_21zip_adj_not_predicateINS8_8equal_toIfEEEEEEPllNS8_4plusIlEEEE10hipError_tPvRmT1_T2_T3_mT4_P12ihipStream_tbEUlT_E0_NS1_11comp_targetILNS1_3genE2ELNS1_11target_archE906ELNS1_3gpuE6ELNS1_3repE0EEENS1_30default_config_static_selectorELNS0_4arch9wavefront6targetE1EEEvSW_
	.p2align	8
	.type	_ZN7rocprim17ROCPRIM_400000_NS6detail17trampoline_kernelINS0_14default_configENS1_22reduce_config_selectorIlEEZNS1_11reduce_implILb1ES3_N6thrust23THRUST_200600_302600_NS11hip_rocprim26transform_input_iterator_tIlNS8_12zip_iteratorINS8_5tupleINS8_6detail15normal_iteratorINS8_10device_ptrIfEEEESH_NS8_9null_typeESI_SI_SI_SI_SI_SI_SI_EEEENS9_21zip_adj_not_predicateINS8_8equal_toIfEEEEEEPllNS8_4plusIlEEEE10hipError_tPvRmT1_T2_T3_mT4_P12ihipStream_tbEUlT_E0_NS1_11comp_targetILNS1_3genE2ELNS1_11target_archE906ELNS1_3gpuE6ELNS1_3repE0EEENS1_30default_config_static_selectorELNS0_4arch9wavefront6targetE1EEEvSW_,@function
_ZN7rocprim17ROCPRIM_400000_NS6detail17trampoline_kernelINS0_14default_configENS1_22reduce_config_selectorIlEEZNS1_11reduce_implILb1ES3_N6thrust23THRUST_200600_302600_NS11hip_rocprim26transform_input_iterator_tIlNS8_12zip_iteratorINS8_5tupleINS8_6detail15normal_iteratorINS8_10device_ptrIfEEEESH_NS8_9null_typeESI_SI_SI_SI_SI_SI_SI_EEEENS9_21zip_adj_not_predicateINS8_8equal_toIfEEEEEEPllNS8_4plusIlEEEE10hipError_tPvRmT1_T2_T3_mT4_P12ihipStream_tbEUlT_E0_NS1_11comp_targetILNS1_3genE2ELNS1_11target_archE906ELNS1_3gpuE6ELNS1_3repE0EEENS1_30default_config_static_selectorELNS0_4arch9wavefront6targetE1EEEvSW_: ; @_ZN7rocprim17ROCPRIM_400000_NS6detail17trampoline_kernelINS0_14default_configENS1_22reduce_config_selectorIlEEZNS1_11reduce_implILb1ES3_N6thrust23THRUST_200600_302600_NS11hip_rocprim26transform_input_iterator_tIlNS8_12zip_iteratorINS8_5tupleINS8_6detail15normal_iteratorINS8_10device_ptrIfEEEESH_NS8_9null_typeESI_SI_SI_SI_SI_SI_SI_EEEENS9_21zip_adj_not_predicateINS8_8equal_toIfEEEEEEPllNS8_4plusIlEEEE10hipError_tPvRmT1_T2_T3_mT4_P12ihipStream_tbEUlT_E0_NS1_11comp_targetILNS1_3genE2ELNS1_11target_archE906ELNS1_3gpuE6ELNS1_3repE0EEENS1_30default_config_static_selectorELNS0_4arch9wavefront6targetE1EEEvSW_
; %bb.0:
	s_load_dwordx8 s[8:15], s[4:5], 0x18
	s_load_dwordx4 s[0:3], s[4:5], 0x0
	s_load_dwordx4 s[16:19], s[4:5], 0x38
	v_lshlrev_b32_e32 v6, 2, v0
	v_mbcnt_lo_u32_b32 v5, -1, 0
	s_waitcnt lgkmcnt(0)
	s_lshl_b64 s[4:5], s[8:9], 2
	s_add_u32 s0, s0, s4
	s_addc_u32 s1, s1, s5
	s_add_u32 s20, s2, s4
	s_addc_u32 s21, s3, s5
	s_lshl_b32 s4, s6, 9
	s_mov_b32 s5, 0
	s_lshr_b64 s[8:9], s[10:11], 9
	s_lshl_b64 s[2:3], s[4:5], 2
	s_add_u32 s0, s0, s2
	s_addc_u32 s1, s1, s3
	s_add_u32 s2, s20, s2
	s_mov_b32 s7, s5
	s_addc_u32 s3, s21, s3
	s_cmp_lg_u64 s[8:9], s[6:7]
	s_cbranch_scc0 .LBB783_6
; %bb.1:
	global_load_dword v1, v6, s[0:1]
	global_load_dword v2, v6, s[2:3]
	global_load_dword v7, v6, s[2:3] offset:1024
	global_load_dword v8, v6, s[0:1] offset:1024
	v_mov_b32_e32 v4, 0
	v_mbcnt_hi_u32_b32 v3, -1, v5
	s_waitcnt vmcnt(2)
	v_cmp_neq_f32_e32 vcc, v1, v2
	v_cndmask_b32_e64 v1, 0, 1, vcc
	s_waitcnt vmcnt(0)
	v_cmp_neq_f32_e32 vcc, v8, v7
	v_addc_co_u32_e32 v1, vcc, 0, v1, vcc
	v_mov_b32_dpp v9, v4 quad_perm:[1,0,3,2] row_mask:0xf bank_mask:0xf bound_ctrl:1
	s_nop 0
	v_mov_b32_dpp v2, v1 quad_perm:[1,0,3,2] row_mask:0xf bank_mask:0xf bound_ctrl:1
	v_add_co_u32_e32 v1, vcc, v1, v2
	v_addc_co_u32_e64 v2, s[8:9], 0, 0, vcc
	v_add_co_u32_e32 v7, vcc, 0, v1
	v_addc_co_u32_e32 v2, vcc, v9, v2, vcc
	v_mov_b32_dpp v1, v1 quad_perm:[2,3,0,1] row_mask:0xf bank_mask:0xf bound_ctrl:1
	v_add_co_u32_e32 v1, vcc, v7, v1
	v_mov_b32_dpp v8, v2 quad_perm:[2,3,0,1] row_mask:0xf bank_mask:0xf bound_ctrl:1
	v_addc_co_u32_e32 v2, vcc, 0, v2, vcc
	v_add_co_u32_e32 v7, vcc, 0, v1
	v_addc_co_u32_e32 v2, vcc, v2, v8, vcc
	v_mov_b32_dpp v1, v1 row_ror:4 row_mask:0xf bank_mask:0xf bound_ctrl:1
	v_add_co_u32_e32 v1, vcc, v7, v1
	v_mov_b32_dpp v8, v2 row_ror:4 row_mask:0xf bank_mask:0xf bound_ctrl:1
	v_addc_co_u32_e32 v2, vcc, 0, v2, vcc
	v_add_co_u32_e32 v7, vcc, 0, v1
	v_addc_co_u32_e32 v2, vcc, v2, v8, vcc
	v_mov_b32_dpp v1, v1 row_ror:8 row_mask:0xf bank_mask:0xf bound_ctrl:1
	v_add_co_u32_e32 v1, vcc, v7, v1
	v_mov_b32_dpp v8, v2 row_ror:8 row_mask:0xf bank_mask:0xf bound_ctrl:1
	v_addc_co_u32_e32 v2, vcc, 0, v2, vcc
	v_add_co_u32_e32 v7, vcc, 0, v1
	v_addc_co_u32_e32 v2, vcc, v2, v8, vcc
	v_mov_b32_dpp v1, v1 row_bcast:15 row_mask:0xf bank_mask:0xf bound_ctrl:1
	v_add_co_u32_e32 v1, vcc, v7, v1
	v_mov_b32_dpp v8, v2 row_bcast:15 row_mask:0xf bank_mask:0xf bound_ctrl:1
	v_addc_co_u32_e32 v2, vcc, 0, v2, vcc
	v_add_co_u32_e32 v7, vcc, 0, v1
	v_addc_co_u32_e32 v2, vcc, v2, v8, vcc
	v_mov_b32_dpp v1, v1 row_bcast:31 row_mask:0xf bank_mask:0xf bound_ctrl:1
	v_add_co_u32_e32 v1, vcc, v7, v1
	v_lshlrev_b32_e32 v4, 2, v3
	v_addc_co_u32_e32 v7, vcc, 0, v2, vcc
	v_or_b32_e32 v10, 0xfc, v4
	s_nop 0
	v_add_u32_dpp v2, v2, v7 row_bcast:31 row_mask:0xf bank_mask:0xf bound_ctrl:1
	ds_bpermute_b32 v1, v10, v1
	ds_bpermute_b32 v2, v10, v2
	v_cmp_eq_u32_e32 vcc, 0, v3
	s_and_saveexec_b64 s[8:9], vcc
	s_cbranch_execz .LBB783_3
; %bb.2:
	v_lshrrev_b32_e32 v7, 3, v0
	v_and_b32_e32 v7, 24, v7
	s_waitcnt lgkmcnt(0)
	ds_write_b64 v7, v[1:2]
.LBB783_3:
	s_or_b64 exec, exec, s[8:9]
	v_cmp_gt_u32_e32 vcc, 64, v0
	s_waitcnt lgkmcnt(0)
	s_barrier
	s_and_saveexec_b64 s[8:9], vcc
	s_cbranch_execz .LBB783_5
; %bb.4:
	v_and_b32_e32 v7, 3, v3
	v_lshlrev_b32_e32 v1, 3, v7
	ds_read_b64 v[1:2], v1
	v_cmp_ne_u32_e32 vcc, 3, v7
	v_addc_co_u32_e32 v3, vcc, 0, v3, vcc
	v_lshlrev_b32_e32 v3, 2, v3
	s_waitcnt lgkmcnt(0)
	ds_bpermute_b32 v7, v3, v1
	ds_bpermute_b32 v3, v3, v2
	v_or_b32_e32 v4, 8, v4
	s_waitcnt lgkmcnt(1)
	v_add_co_u32_e32 v1, vcc, v1, v7
	v_addc_co_u32_e32 v2, vcc, 0, v2, vcc
	ds_bpermute_b32 v7, v4, v1
	v_add_co_u32_e32 v1, vcc, 0, v1
	s_waitcnt lgkmcnt(1)
	v_addc_co_u32_e32 v2, vcc, v3, v2, vcc
	ds_bpermute_b32 v3, v4, v2
	s_waitcnt lgkmcnt(1)
	v_add_co_u32_e32 v1, vcc, v1, v7
	v_addc_co_u32_e32 v2, vcc, 0, v2, vcc
	v_add_co_u32_e32 v1, vcc, 0, v1
	s_waitcnt lgkmcnt(0)
	v_addc_co_u32_e32 v2, vcc, v2, v3, vcc
.LBB783_5:
	s_or_b64 exec, exec, s[8:9]
	s_branch .LBB783_28
.LBB783_6:
                                        ; implicit-def: $vgpr1_vgpr2
	s_cbranch_execz .LBB783_28
; %bb.7:
	s_sub_i32 s8, s10, s4
	v_mov_b32_e32 v1, 0
	v_cmp_gt_u32_e32 vcc, s8, v0
	v_mov_b32_e32 v2, v1
	v_mov_b32_e32 v3, v1
	;; [unrolled: 1-line block ×3, first 2 shown]
	s_and_saveexec_b64 s[4:5], vcc
	s_cbranch_execz .LBB783_9
; %bb.8:
	global_load_dword v2, v6, s[0:1]
	global_load_dword v3, v6, s[2:3]
	v_mov_b32_e32 v8, v1
	v_mov_b32_e32 v9, v1
	;; [unrolled: 1-line block ×3, first 2 shown]
	s_waitcnt vmcnt(0)
	v_cmp_neq_f32_e32 vcc, v2, v3
	v_cndmask_b32_e64 v2, 0, 1, vcc
	v_and_b32_e32 v7, 0xffff, v2
	v_mov_b32_e32 v1, v7
	v_mov_b32_e32 v2, v8
	;; [unrolled: 1-line block ×4, first 2 shown]
.LBB783_9:
	s_or_b64 exec, exec, s[4:5]
	v_or_b32_e32 v7, 0x100, v0
	v_cmp_gt_u32_e32 vcc, s8, v7
	s_and_saveexec_b64 s[4:5], vcc
	s_cbranch_execz .LBB783_11
; %bb.10:
	global_load_dword v3, v6, s[0:1] offset:1024
	global_load_dword v4, v6, s[2:3] offset:1024
	s_mov_b32 s2, 0
	s_waitcnt vmcnt(0)
	v_cmp_neq_f32_e64 s[0:1], v3, v4
	v_cndmask_b32_e64 v3, 0, 1, s[0:1]
	v_mov_b32_e32 v4, s2
.LBB783_11:
	s_or_b64 exec, exec, s[4:5]
	v_cndmask_b32_e32 v3, 0, v3, vcc
	v_cndmask_b32_e32 v4, 0, v4, vcc
	v_add_co_u32_e32 v1, vcc, v3, v1
	v_mbcnt_hi_u32_b32 v3, -1, v5
	v_addc_co_u32_e32 v2, vcc, v4, v2, vcc
	v_and_b32_e32 v4, 63, v3
	v_cmp_ne_u32_e32 vcc, 63, v4
	v_addc_co_u32_e32 v6, vcc, 0, v3, vcc
	v_lshlrev_b32_e32 v6, 2, v6
	ds_bpermute_b32 v8, v6, v1
	ds_bpermute_b32 v7, v6, v2
	s_min_u32 s2, s8, 0x100
	v_and_b32_e32 v5, 0xc0, v0
	v_sub_u32_e64 v5, s2, v5 clamp
	v_add_u32_e32 v6, 1, v4
	v_cmp_lt_u32_e32 vcc, v6, v5
	v_mov_b32_e32 v6, v1
	s_and_saveexec_b64 s[0:1], vcc
	s_cbranch_execz .LBB783_13
; %bb.12:
	s_waitcnt lgkmcnt(1)
	v_add_co_u32_e32 v6, vcc, v1, v8
	v_addc_co_u32_e32 v2, vcc, 0, v2, vcc
	v_add_co_u32_e32 v1, vcc, 0, v6
	s_waitcnt lgkmcnt(0)
	v_addc_co_u32_e32 v2, vcc, v7, v2, vcc
.LBB783_13:
	s_or_b64 exec, exec, s[0:1]
	v_cmp_gt_u32_e32 vcc, 62, v4
	s_waitcnt lgkmcnt(0)
	v_cndmask_b32_e64 v7, 0, 2, vcc
	v_add_lshl_u32 v7, v7, v3, 2
	ds_bpermute_b32 v8, v7, v6
	ds_bpermute_b32 v7, v7, v2
	v_add_u32_e32 v9, 2, v4
	v_cmp_lt_u32_e32 vcc, v9, v5
	s_and_saveexec_b64 s[0:1], vcc
	s_cbranch_execz .LBB783_15
; %bb.14:
	s_waitcnt lgkmcnt(1)
	v_add_co_u32_e32 v6, vcc, v1, v8
	v_addc_co_u32_e32 v2, vcc, 0, v2, vcc
	v_add_co_u32_e32 v1, vcc, 0, v6
	s_waitcnt lgkmcnt(0)
	v_addc_co_u32_e32 v2, vcc, v7, v2, vcc
.LBB783_15:
	s_or_b64 exec, exec, s[0:1]
	v_cmp_gt_u32_e32 vcc, 60, v4
	s_waitcnt lgkmcnt(0)
	v_cndmask_b32_e64 v7, 0, 4, vcc
	v_add_lshl_u32 v7, v7, v3, 2
	ds_bpermute_b32 v8, v7, v6
	ds_bpermute_b32 v7, v7, v2
	v_add_u32_e32 v9, 4, v4
	v_cmp_lt_u32_e32 vcc, v9, v5
	;; [unrolled: 19-line block ×4, first 2 shown]
	s_and_saveexec_b64 s[0:1], vcc
	s_cbranch_execz .LBB783_21
; %bb.20:
	s_waitcnt lgkmcnt(1)
	v_add_co_u32_e32 v6, vcc, v1, v8
	v_addc_co_u32_e32 v2, vcc, 0, v2, vcc
	v_add_co_u32_e32 v1, vcc, 0, v6
	s_waitcnt lgkmcnt(0)
	v_addc_co_u32_e32 v2, vcc, v7, v2, vcc
.LBB783_21:
	s_or_b64 exec, exec, s[0:1]
	s_waitcnt lgkmcnt(0)
	v_lshlrev_b32_e32 v7, 2, v3
	v_or_b32_e32 v8, 0x80, v7
	ds_bpermute_b32 v6, v8, v6
	ds_bpermute_b32 v8, v8, v2
	v_add_u32_e32 v4, 32, v4
	s_waitcnt lgkmcnt(1)
	v_add_co_u32_e32 v6, vcc, v1, v6
	v_addc_co_u32_e32 v9, vcc, 0, v2, vcc
	v_add_co_u32_e32 v6, vcc, 0, v6
	s_waitcnt lgkmcnt(0)
	v_addc_co_u32_e32 v8, vcc, v9, v8, vcc
	v_cmp_lt_u32_e32 vcc, v4, v5
	v_cndmask_b32_e32 v2, v2, v8, vcc
	v_cndmask_b32_e32 v1, v1, v6, vcc
	v_cmp_eq_u32_e32 vcc, 0, v3
	s_and_saveexec_b64 s[0:1], vcc
; %bb.22:
	v_lshrrev_b32_e32 v4, 3, v0
	v_and_b32_e32 v4, 24, v4
	ds_write_b64 v4, v[1:2] offset:32
; %bb.23:
	s_or_b64 exec, exec, s[0:1]
	v_cmp_gt_u32_e32 vcc, 4, v0
	s_waitcnt lgkmcnt(0)
	s_barrier
	s_and_saveexec_b64 s[0:1], vcc
	s_cbranch_execz .LBB783_27
; %bb.24:
	v_lshlrev_b32_e32 v1, 3, v3
	ds_read_b64 v[1:2], v1 offset:32
	v_and_b32_e32 v4, 3, v3
	v_cmp_ne_u32_e32 vcc, 3, v4
	v_addc_co_u32_e32 v3, vcc, 0, v3, vcc
	v_lshlrev_b32_e32 v3, 2, v3
	s_waitcnt lgkmcnt(0)
	ds_bpermute_b32 v6, v3, v1
	ds_bpermute_b32 v5, v3, v2
	s_add_i32 s2, s2, 63
	s_lshr_b32 s4, s2, 6
	v_add_u32_e32 v3, 1, v4
	v_cmp_gt_u32_e32 vcc, s4, v3
	v_mov_b32_e32 v3, v1
	s_and_saveexec_b64 s[2:3], vcc
	s_cbranch_execz .LBB783_26
; %bb.25:
	s_waitcnt lgkmcnt(1)
	v_add_co_u32_e32 v3, vcc, v1, v6
	v_addc_co_u32_e32 v2, vcc, 0, v2, vcc
	v_add_co_u32_e32 v1, vcc, 0, v3
	s_waitcnt lgkmcnt(0)
	v_addc_co_u32_e32 v2, vcc, v5, v2, vcc
.LBB783_26:
	s_or_b64 exec, exec, s[2:3]
	s_waitcnt lgkmcnt(0)
	v_or_b32_e32 v5, 8, v7
	ds_bpermute_b32 v3, v5, v3
	ds_bpermute_b32 v5, v5, v2
	v_add_u32_e32 v4, 2, v4
	s_waitcnt lgkmcnt(1)
	v_add_co_u32_e32 v3, vcc, v1, v3
	v_addc_co_u32_e32 v6, vcc, 0, v2, vcc
	v_add_co_u32_e32 v3, vcc, 0, v3
	s_waitcnt lgkmcnt(0)
	v_addc_co_u32_e32 v5, vcc, v6, v5, vcc
	v_cmp_gt_u32_e32 vcc, s4, v4
	v_cndmask_b32_e32 v2, v2, v5, vcc
	v_cndmask_b32_e32 v1, v1, v3, vcc
.LBB783_27:
	s_or_b64 exec, exec, s[0:1]
.LBB783_28:
	v_cmp_eq_u32_e32 vcc, 0, v0
	s_and_saveexec_b64 s[0:1], vcc
	s_cbranch_execnz .LBB783_30
; %bb.29:
	s_endpgm
.LBB783_30:
	s_mul_i32 s0, s16, s15
	s_mul_hi_u32 s1, s16, s14
	s_add_i32 s0, s1, s0
	s_mul_i32 s1, s17, s14
	s_add_i32 s1, s0, s1
	s_mul_i32 s0, s16, s14
	s_lshl_b64 s[0:1], s[0:1], 3
	s_add_u32 s2, s12, s0
	s_addc_u32 s3, s13, s1
	s_cmp_eq_u64 s[10:11], 0
	v_mov_b32_e32 v0, s19
	s_cselect_b64 vcc, -1, 0
	s_lshl_b64 s[0:1], s[6:7], 3
	v_cndmask_b32_e32 v2, v2, v0, vcc
	v_mov_b32_e32 v0, s18
	s_add_u32 s0, s2, s0
	v_cndmask_b32_e32 v1, v1, v0, vcc
	s_addc_u32 s1, s3, s1
	v_mov_b32_e32 v0, 0
	global_store_dwordx2 v0, v[1:2], s[0:1]
	s_endpgm
	.section	.rodata,"a",@progbits
	.p2align	6, 0x0
	.amdhsa_kernel _ZN7rocprim17ROCPRIM_400000_NS6detail17trampoline_kernelINS0_14default_configENS1_22reduce_config_selectorIlEEZNS1_11reduce_implILb1ES3_N6thrust23THRUST_200600_302600_NS11hip_rocprim26transform_input_iterator_tIlNS8_12zip_iteratorINS8_5tupleINS8_6detail15normal_iteratorINS8_10device_ptrIfEEEESH_NS8_9null_typeESI_SI_SI_SI_SI_SI_SI_EEEENS9_21zip_adj_not_predicateINS8_8equal_toIfEEEEEEPllNS8_4plusIlEEEE10hipError_tPvRmT1_T2_T3_mT4_P12ihipStream_tbEUlT_E0_NS1_11comp_targetILNS1_3genE2ELNS1_11target_archE906ELNS1_3gpuE6ELNS1_3repE0EEENS1_30default_config_static_selectorELNS0_4arch9wavefront6targetE1EEEvSW_
		.amdhsa_group_segment_fixed_size 64
		.amdhsa_private_segment_fixed_size 0
		.amdhsa_kernarg_size 80
		.amdhsa_user_sgpr_count 6
		.amdhsa_user_sgpr_private_segment_buffer 1
		.amdhsa_user_sgpr_dispatch_ptr 0
		.amdhsa_user_sgpr_queue_ptr 0
		.amdhsa_user_sgpr_kernarg_segment_ptr 1
		.amdhsa_user_sgpr_dispatch_id 0
		.amdhsa_user_sgpr_flat_scratch_init 0
		.amdhsa_user_sgpr_private_segment_size 0
		.amdhsa_uses_dynamic_stack 0
		.amdhsa_system_sgpr_private_segment_wavefront_offset 0
		.amdhsa_system_sgpr_workgroup_id_x 1
		.amdhsa_system_sgpr_workgroup_id_y 0
		.amdhsa_system_sgpr_workgroup_id_z 0
		.amdhsa_system_sgpr_workgroup_info 0
		.amdhsa_system_vgpr_workitem_id 0
		.amdhsa_next_free_vgpr 11
		.amdhsa_next_free_sgpr 22
		.amdhsa_reserve_vcc 1
		.amdhsa_reserve_flat_scratch 0
		.amdhsa_float_round_mode_32 0
		.amdhsa_float_round_mode_16_64 0
		.amdhsa_float_denorm_mode_32 3
		.amdhsa_float_denorm_mode_16_64 3
		.amdhsa_dx10_clamp 1
		.amdhsa_ieee_mode 1
		.amdhsa_fp16_overflow 0
		.amdhsa_exception_fp_ieee_invalid_op 0
		.amdhsa_exception_fp_denorm_src 0
		.amdhsa_exception_fp_ieee_div_zero 0
		.amdhsa_exception_fp_ieee_overflow 0
		.amdhsa_exception_fp_ieee_underflow 0
		.amdhsa_exception_fp_ieee_inexact 0
		.amdhsa_exception_int_div_zero 0
	.end_amdhsa_kernel
	.section	.text._ZN7rocprim17ROCPRIM_400000_NS6detail17trampoline_kernelINS0_14default_configENS1_22reduce_config_selectorIlEEZNS1_11reduce_implILb1ES3_N6thrust23THRUST_200600_302600_NS11hip_rocprim26transform_input_iterator_tIlNS8_12zip_iteratorINS8_5tupleINS8_6detail15normal_iteratorINS8_10device_ptrIfEEEESH_NS8_9null_typeESI_SI_SI_SI_SI_SI_SI_EEEENS9_21zip_adj_not_predicateINS8_8equal_toIfEEEEEEPllNS8_4plusIlEEEE10hipError_tPvRmT1_T2_T3_mT4_P12ihipStream_tbEUlT_E0_NS1_11comp_targetILNS1_3genE2ELNS1_11target_archE906ELNS1_3gpuE6ELNS1_3repE0EEENS1_30default_config_static_selectorELNS0_4arch9wavefront6targetE1EEEvSW_,"axG",@progbits,_ZN7rocprim17ROCPRIM_400000_NS6detail17trampoline_kernelINS0_14default_configENS1_22reduce_config_selectorIlEEZNS1_11reduce_implILb1ES3_N6thrust23THRUST_200600_302600_NS11hip_rocprim26transform_input_iterator_tIlNS8_12zip_iteratorINS8_5tupleINS8_6detail15normal_iteratorINS8_10device_ptrIfEEEESH_NS8_9null_typeESI_SI_SI_SI_SI_SI_SI_EEEENS9_21zip_adj_not_predicateINS8_8equal_toIfEEEEEEPllNS8_4plusIlEEEE10hipError_tPvRmT1_T2_T3_mT4_P12ihipStream_tbEUlT_E0_NS1_11comp_targetILNS1_3genE2ELNS1_11target_archE906ELNS1_3gpuE6ELNS1_3repE0EEENS1_30default_config_static_selectorELNS0_4arch9wavefront6targetE1EEEvSW_,comdat
.Lfunc_end783:
	.size	_ZN7rocprim17ROCPRIM_400000_NS6detail17trampoline_kernelINS0_14default_configENS1_22reduce_config_selectorIlEEZNS1_11reduce_implILb1ES3_N6thrust23THRUST_200600_302600_NS11hip_rocprim26transform_input_iterator_tIlNS8_12zip_iteratorINS8_5tupleINS8_6detail15normal_iteratorINS8_10device_ptrIfEEEESH_NS8_9null_typeESI_SI_SI_SI_SI_SI_SI_EEEENS9_21zip_adj_not_predicateINS8_8equal_toIfEEEEEEPllNS8_4plusIlEEEE10hipError_tPvRmT1_T2_T3_mT4_P12ihipStream_tbEUlT_E0_NS1_11comp_targetILNS1_3genE2ELNS1_11target_archE906ELNS1_3gpuE6ELNS1_3repE0EEENS1_30default_config_static_selectorELNS0_4arch9wavefront6targetE1EEEvSW_, .Lfunc_end783-_ZN7rocprim17ROCPRIM_400000_NS6detail17trampoline_kernelINS0_14default_configENS1_22reduce_config_selectorIlEEZNS1_11reduce_implILb1ES3_N6thrust23THRUST_200600_302600_NS11hip_rocprim26transform_input_iterator_tIlNS8_12zip_iteratorINS8_5tupleINS8_6detail15normal_iteratorINS8_10device_ptrIfEEEESH_NS8_9null_typeESI_SI_SI_SI_SI_SI_SI_EEEENS9_21zip_adj_not_predicateINS8_8equal_toIfEEEEEEPllNS8_4plusIlEEEE10hipError_tPvRmT1_T2_T3_mT4_P12ihipStream_tbEUlT_E0_NS1_11comp_targetILNS1_3genE2ELNS1_11target_archE906ELNS1_3gpuE6ELNS1_3repE0EEENS1_30default_config_static_selectorELNS0_4arch9wavefront6targetE1EEEvSW_
                                        ; -- End function
	.set _ZN7rocprim17ROCPRIM_400000_NS6detail17trampoline_kernelINS0_14default_configENS1_22reduce_config_selectorIlEEZNS1_11reduce_implILb1ES3_N6thrust23THRUST_200600_302600_NS11hip_rocprim26transform_input_iterator_tIlNS8_12zip_iteratorINS8_5tupleINS8_6detail15normal_iteratorINS8_10device_ptrIfEEEESH_NS8_9null_typeESI_SI_SI_SI_SI_SI_SI_EEEENS9_21zip_adj_not_predicateINS8_8equal_toIfEEEEEEPllNS8_4plusIlEEEE10hipError_tPvRmT1_T2_T3_mT4_P12ihipStream_tbEUlT_E0_NS1_11comp_targetILNS1_3genE2ELNS1_11target_archE906ELNS1_3gpuE6ELNS1_3repE0EEENS1_30default_config_static_selectorELNS0_4arch9wavefront6targetE1EEEvSW_.num_vgpr, 11
	.set _ZN7rocprim17ROCPRIM_400000_NS6detail17trampoline_kernelINS0_14default_configENS1_22reduce_config_selectorIlEEZNS1_11reduce_implILb1ES3_N6thrust23THRUST_200600_302600_NS11hip_rocprim26transform_input_iterator_tIlNS8_12zip_iteratorINS8_5tupleINS8_6detail15normal_iteratorINS8_10device_ptrIfEEEESH_NS8_9null_typeESI_SI_SI_SI_SI_SI_SI_EEEENS9_21zip_adj_not_predicateINS8_8equal_toIfEEEEEEPllNS8_4plusIlEEEE10hipError_tPvRmT1_T2_T3_mT4_P12ihipStream_tbEUlT_E0_NS1_11comp_targetILNS1_3genE2ELNS1_11target_archE906ELNS1_3gpuE6ELNS1_3repE0EEENS1_30default_config_static_selectorELNS0_4arch9wavefront6targetE1EEEvSW_.num_agpr, 0
	.set _ZN7rocprim17ROCPRIM_400000_NS6detail17trampoline_kernelINS0_14default_configENS1_22reduce_config_selectorIlEEZNS1_11reduce_implILb1ES3_N6thrust23THRUST_200600_302600_NS11hip_rocprim26transform_input_iterator_tIlNS8_12zip_iteratorINS8_5tupleINS8_6detail15normal_iteratorINS8_10device_ptrIfEEEESH_NS8_9null_typeESI_SI_SI_SI_SI_SI_SI_EEEENS9_21zip_adj_not_predicateINS8_8equal_toIfEEEEEEPllNS8_4plusIlEEEE10hipError_tPvRmT1_T2_T3_mT4_P12ihipStream_tbEUlT_E0_NS1_11comp_targetILNS1_3genE2ELNS1_11target_archE906ELNS1_3gpuE6ELNS1_3repE0EEENS1_30default_config_static_selectorELNS0_4arch9wavefront6targetE1EEEvSW_.numbered_sgpr, 22
	.set _ZN7rocprim17ROCPRIM_400000_NS6detail17trampoline_kernelINS0_14default_configENS1_22reduce_config_selectorIlEEZNS1_11reduce_implILb1ES3_N6thrust23THRUST_200600_302600_NS11hip_rocprim26transform_input_iterator_tIlNS8_12zip_iteratorINS8_5tupleINS8_6detail15normal_iteratorINS8_10device_ptrIfEEEESH_NS8_9null_typeESI_SI_SI_SI_SI_SI_SI_EEEENS9_21zip_adj_not_predicateINS8_8equal_toIfEEEEEEPllNS8_4plusIlEEEE10hipError_tPvRmT1_T2_T3_mT4_P12ihipStream_tbEUlT_E0_NS1_11comp_targetILNS1_3genE2ELNS1_11target_archE906ELNS1_3gpuE6ELNS1_3repE0EEENS1_30default_config_static_selectorELNS0_4arch9wavefront6targetE1EEEvSW_.num_named_barrier, 0
	.set _ZN7rocprim17ROCPRIM_400000_NS6detail17trampoline_kernelINS0_14default_configENS1_22reduce_config_selectorIlEEZNS1_11reduce_implILb1ES3_N6thrust23THRUST_200600_302600_NS11hip_rocprim26transform_input_iterator_tIlNS8_12zip_iteratorINS8_5tupleINS8_6detail15normal_iteratorINS8_10device_ptrIfEEEESH_NS8_9null_typeESI_SI_SI_SI_SI_SI_SI_EEEENS9_21zip_adj_not_predicateINS8_8equal_toIfEEEEEEPllNS8_4plusIlEEEE10hipError_tPvRmT1_T2_T3_mT4_P12ihipStream_tbEUlT_E0_NS1_11comp_targetILNS1_3genE2ELNS1_11target_archE906ELNS1_3gpuE6ELNS1_3repE0EEENS1_30default_config_static_selectorELNS0_4arch9wavefront6targetE1EEEvSW_.private_seg_size, 0
	.set _ZN7rocprim17ROCPRIM_400000_NS6detail17trampoline_kernelINS0_14default_configENS1_22reduce_config_selectorIlEEZNS1_11reduce_implILb1ES3_N6thrust23THRUST_200600_302600_NS11hip_rocprim26transform_input_iterator_tIlNS8_12zip_iteratorINS8_5tupleINS8_6detail15normal_iteratorINS8_10device_ptrIfEEEESH_NS8_9null_typeESI_SI_SI_SI_SI_SI_SI_EEEENS9_21zip_adj_not_predicateINS8_8equal_toIfEEEEEEPllNS8_4plusIlEEEE10hipError_tPvRmT1_T2_T3_mT4_P12ihipStream_tbEUlT_E0_NS1_11comp_targetILNS1_3genE2ELNS1_11target_archE906ELNS1_3gpuE6ELNS1_3repE0EEENS1_30default_config_static_selectorELNS0_4arch9wavefront6targetE1EEEvSW_.uses_vcc, 1
	.set _ZN7rocprim17ROCPRIM_400000_NS6detail17trampoline_kernelINS0_14default_configENS1_22reduce_config_selectorIlEEZNS1_11reduce_implILb1ES3_N6thrust23THRUST_200600_302600_NS11hip_rocprim26transform_input_iterator_tIlNS8_12zip_iteratorINS8_5tupleINS8_6detail15normal_iteratorINS8_10device_ptrIfEEEESH_NS8_9null_typeESI_SI_SI_SI_SI_SI_SI_EEEENS9_21zip_adj_not_predicateINS8_8equal_toIfEEEEEEPllNS8_4plusIlEEEE10hipError_tPvRmT1_T2_T3_mT4_P12ihipStream_tbEUlT_E0_NS1_11comp_targetILNS1_3genE2ELNS1_11target_archE906ELNS1_3gpuE6ELNS1_3repE0EEENS1_30default_config_static_selectorELNS0_4arch9wavefront6targetE1EEEvSW_.uses_flat_scratch, 0
	.set _ZN7rocprim17ROCPRIM_400000_NS6detail17trampoline_kernelINS0_14default_configENS1_22reduce_config_selectorIlEEZNS1_11reduce_implILb1ES3_N6thrust23THRUST_200600_302600_NS11hip_rocprim26transform_input_iterator_tIlNS8_12zip_iteratorINS8_5tupleINS8_6detail15normal_iteratorINS8_10device_ptrIfEEEESH_NS8_9null_typeESI_SI_SI_SI_SI_SI_SI_EEEENS9_21zip_adj_not_predicateINS8_8equal_toIfEEEEEEPllNS8_4plusIlEEEE10hipError_tPvRmT1_T2_T3_mT4_P12ihipStream_tbEUlT_E0_NS1_11comp_targetILNS1_3genE2ELNS1_11target_archE906ELNS1_3gpuE6ELNS1_3repE0EEENS1_30default_config_static_selectorELNS0_4arch9wavefront6targetE1EEEvSW_.has_dyn_sized_stack, 0
	.set _ZN7rocprim17ROCPRIM_400000_NS6detail17trampoline_kernelINS0_14default_configENS1_22reduce_config_selectorIlEEZNS1_11reduce_implILb1ES3_N6thrust23THRUST_200600_302600_NS11hip_rocprim26transform_input_iterator_tIlNS8_12zip_iteratorINS8_5tupleINS8_6detail15normal_iteratorINS8_10device_ptrIfEEEESH_NS8_9null_typeESI_SI_SI_SI_SI_SI_SI_EEEENS9_21zip_adj_not_predicateINS8_8equal_toIfEEEEEEPllNS8_4plusIlEEEE10hipError_tPvRmT1_T2_T3_mT4_P12ihipStream_tbEUlT_E0_NS1_11comp_targetILNS1_3genE2ELNS1_11target_archE906ELNS1_3gpuE6ELNS1_3repE0EEENS1_30default_config_static_selectorELNS0_4arch9wavefront6targetE1EEEvSW_.has_recursion, 0
	.set _ZN7rocprim17ROCPRIM_400000_NS6detail17trampoline_kernelINS0_14default_configENS1_22reduce_config_selectorIlEEZNS1_11reduce_implILb1ES3_N6thrust23THRUST_200600_302600_NS11hip_rocprim26transform_input_iterator_tIlNS8_12zip_iteratorINS8_5tupleINS8_6detail15normal_iteratorINS8_10device_ptrIfEEEESH_NS8_9null_typeESI_SI_SI_SI_SI_SI_SI_EEEENS9_21zip_adj_not_predicateINS8_8equal_toIfEEEEEEPllNS8_4plusIlEEEE10hipError_tPvRmT1_T2_T3_mT4_P12ihipStream_tbEUlT_E0_NS1_11comp_targetILNS1_3genE2ELNS1_11target_archE906ELNS1_3gpuE6ELNS1_3repE0EEENS1_30default_config_static_selectorELNS0_4arch9wavefront6targetE1EEEvSW_.has_indirect_call, 0
	.section	.AMDGPU.csdata,"",@progbits
; Kernel info:
; codeLenInByte = 1616
; TotalNumSgprs: 26
; NumVgprs: 11
; ScratchSize: 0
; MemoryBound: 0
; FloatMode: 240
; IeeeMode: 1
; LDSByteSize: 64 bytes/workgroup (compile time only)
; SGPRBlocks: 3
; VGPRBlocks: 2
; NumSGPRsForWavesPerEU: 26
; NumVGPRsForWavesPerEU: 11
; Occupancy: 10
; WaveLimiterHint : 0
; COMPUTE_PGM_RSRC2:SCRATCH_EN: 0
; COMPUTE_PGM_RSRC2:USER_SGPR: 6
; COMPUTE_PGM_RSRC2:TRAP_HANDLER: 0
; COMPUTE_PGM_RSRC2:TGID_X_EN: 1
; COMPUTE_PGM_RSRC2:TGID_Y_EN: 0
; COMPUTE_PGM_RSRC2:TGID_Z_EN: 0
; COMPUTE_PGM_RSRC2:TIDIG_COMP_CNT: 0
	.section	.text._ZN7rocprim17ROCPRIM_400000_NS6detail17trampoline_kernelINS0_14default_configENS1_22reduce_config_selectorIlEEZNS1_11reduce_implILb1ES3_N6thrust23THRUST_200600_302600_NS11hip_rocprim26transform_input_iterator_tIlNS8_12zip_iteratorINS8_5tupleINS8_6detail15normal_iteratorINS8_10device_ptrIfEEEESH_NS8_9null_typeESI_SI_SI_SI_SI_SI_SI_EEEENS9_21zip_adj_not_predicateINS8_8equal_toIfEEEEEEPllNS8_4plusIlEEEE10hipError_tPvRmT1_T2_T3_mT4_P12ihipStream_tbEUlT_E0_NS1_11comp_targetILNS1_3genE10ELNS1_11target_archE1201ELNS1_3gpuE5ELNS1_3repE0EEENS1_30default_config_static_selectorELNS0_4arch9wavefront6targetE1EEEvSW_,"axG",@progbits,_ZN7rocprim17ROCPRIM_400000_NS6detail17trampoline_kernelINS0_14default_configENS1_22reduce_config_selectorIlEEZNS1_11reduce_implILb1ES3_N6thrust23THRUST_200600_302600_NS11hip_rocprim26transform_input_iterator_tIlNS8_12zip_iteratorINS8_5tupleINS8_6detail15normal_iteratorINS8_10device_ptrIfEEEESH_NS8_9null_typeESI_SI_SI_SI_SI_SI_SI_EEEENS9_21zip_adj_not_predicateINS8_8equal_toIfEEEEEEPllNS8_4plusIlEEEE10hipError_tPvRmT1_T2_T3_mT4_P12ihipStream_tbEUlT_E0_NS1_11comp_targetILNS1_3genE10ELNS1_11target_archE1201ELNS1_3gpuE5ELNS1_3repE0EEENS1_30default_config_static_selectorELNS0_4arch9wavefront6targetE1EEEvSW_,comdat
	.protected	_ZN7rocprim17ROCPRIM_400000_NS6detail17trampoline_kernelINS0_14default_configENS1_22reduce_config_selectorIlEEZNS1_11reduce_implILb1ES3_N6thrust23THRUST_200600_302600_NS11hip_rocprim26transform_input_iterator_tIlNS8_12zip_iteratorINS8_5tupleINS8_6detail15normal_iteratorINS8_10device_ptrIfEEEESH_NS8_9null_typeESI_SI_SI_SI_SI_SI_SI_EEEENS9_21zip_adj_not_predicateINS8_8equal_toIfEEEEEEPllNS8_4plusIlEEEE10hipError_tPvRmT1_T2_T3_mT4_P12ihipStream_tbEUlT_E0_NS1_11comp_targetILNS1_3genE10ELNS1_11target_archE1201ELNS1_3gpuE5ELNS1_3repE0EEENS1_30default_config_static_selectorELNS0_4arch9wavefront6targetE1EEEvSW_ ; -- Begin function _ZN7rocprim17ROCPRIM_400000_NS6detail17trampoline_kernelINS0_14default_configENS1_22reduce_config_selectorIlEEZNS1_11reduce_implILb1ES3_N6thrust23THRUST_200600_302600_NS11hip_rocprim26transform_input_iterator_tIlNS8_12zip_iteratorINS8_5tupleINS8_6detail15normal_iteratorINS8_10device_ptrIfEEEESH_NS8_9null_typeESI_SI_SI_SI_SI_SI_SI_EEEENS9_21zip_adj_not_predicateINS8_8equal_toIfEEEEEEPllNS8_4plusIlEEEE10hipError_tPvRmT1_T2_T3_mT4_P12ihipStream_tbEUlT_E0_NS1_11comp_targetILNS1_3genE10ELNS1_11target_archE1201ELNS1_3gpuE5ELNS1_3repE0EEENS1_30default_config_static_selectorELNS0_4arch9wavefront6targetE1EEEvSW_
	.globl	_ZN7rocprim17ROCPRIM_400000_NS6detail17trampoline_kernelINS0_14default_configENS1_22reduce_config_selectorIlEEZNS1_11reduce_implILb1ES3_N6thrust23THRUST_200600_302600_NS11hip_rocprim26transform_input_iterator_tIlNS8_12zip_iteratorINS8_5tupleINS8_6detail15normal_iteratorINS8_10device_ptrIfEEEESH_NS8_9null_typeESI_SI_SI_SI_SI_SI_SI_EEEENS9_21zip_adj_not_predicateINS8_8equal_toIfEEEEEEPllNS8_4plusIlEEEE10hipError_tPvRmT1_T2_T3_mT4_P12ihipStream_tbEUlT_E0_NS1_11comp_targetILNS1_3genE10ELNS1_11target_archE1201ELNS1_3gpuE5ELNS1_3repE0EEENS1_30default_config_static_selectorELNS0_4arch9wavefront6targetE1EEEvSW_
	.p2align	8
	.type	_ZN7rocprim17ROCPRIM_400000_NS6detail17trampoline_kernelINS0_14default_configENS1_22reduce_config_selectorIlEEZNS1_11reduce_implILb1ES3_N6thrust23THRUST_200600_302600_NS11hip_rocprim26transform_input_iterator_tIlNS8_12zip_iteratorINS8_5tupleINS8_6detail15normal_iteratorINS8_10device_ptrIfEEEESH_NS8_9null_typeESI_SI_SI_SI_SI_SI_SI_EEEENS9_21zip_adj_not_predicateINS8_8equal_toIfEEEEEEPllNS8_4plusIlEEEE10hipError_tPvRmT1_T2_T3_mT4_P12ihipStream_tbEUlT_E0_NS1_11comp_targetILNS1_3genE10ELNS1_11target_archE1201ELNS1_3gpuE5ELNS1_3repE0EEENS1_30default_config_static_selectorELNS0_4arch9wavefront6targetE1EEEvSW_,@function
_ZN7rocprim17ROCPRIM_400000_NS6detail17trampoline_kernelINS0_14default_configENS1_22reduce_config_selectorIlEEZNS1_11reduce_implILb1ES3_N6thrust23THRUST_200600_302600_NS11hip_rocprim26transform_input_iterator_tIlNS8_12zip_iteratorINS8_5tupleINS8_6detail15normal_iteratorINS8_10device_ptrIfEEEESH_NS8_9null_typeESI_SI_SI_SI_SI_SI_SI_EEEENS9_21zip_adj_not_predicateINS8_8equal_toIfEEEEEEPllNS8_4plusIlEEEE10hipError_tPvRmT1_T2_T3_mT4_P12ihipStream_tbEUlT_E0_NS1_11comp_targetILNS1_3genE10ELNS1_11target_archE1201ELNS1_3gpuE5ELNS1_3repE0EEENS1_30default_config_static_selectorELNS0_4arch9wavefront6targetE1EEEvSW_: ; @_ZN7rocprim17ROCPRIM_400000_NS6detail17trampoline_kernelINS0_14default_configENS1_22reduce_config_selectorIlEEZNS1_11reduce_implILb1ES3_N6thrust23THRUST_200600_302600_NS11hip_rocprim26transform_input_iterator_tIlNS8_12zip_iteratorINS8_5tupleINS8_6detail15normal_iteratorINS8_10device_ptrIfEEEESH_NS8_9null_typeESI_SI_SI_SI_SI_SI_SI_EEEENS9_21zip_adj_not_predicateINS8_8equal_toIfEEEEEEPllNS8_4plusIlEEEE10hipError_tPvRmT1_T2_T3_mT4_P12ihipStream_tbEUlT_E0_NS1_11comp_targetILNS1_3genE10ELNS1_11target_archE1201ELNS1_3gpuE5ELNS1_3repE0EEENS1_30default_config_static_selectorELNS0_4arch9wavefront6targetE1EEEvSW_
; %bb.0:
	.section	.rodata,"a",@progbits
	.p2align	6, 0x0
	.amdhsa_kernel _ZN7rocprim17ROCPRIM_400000_NS6detail17trampoline_kernelINS0_14default_configENS1_22reduce_config_selectorIlEEZNS1_11reduce_implILb1ES3_N6thrust23THRUST_200600_302600_NS11hip_rocprim26transform_input_iterator_tIlNS8_12zip_iteratorINS8_5tupleINS8_6detail15normal_iteratorINS8_10device_ptrIfEEEESH_NS8_9null_typeESI_SI_SI_SI_SI_SI_SI_EEEENS9_21zip_adj_not_predicateINS8_8equal_toIfEEEEEEPllNS8_4plusIlEEEE10hipError_tPvRmT1_T2_T3_mT4_P12ihipStream_tbEUlT_E0_NS1_11comp_targetILNS1_3genE10ELNS1_11target_archE1201ELNS1_3gpuE5ELNS1_3repE0EEENS1_30default_config_static_selectorELNS0_4arch9wavefront6targetE1EEEvSW_
		.amdhsa_group_segment_fixed_size 0
		.amdhsa_private_segment_fixed_size 0
		.amdhsa_kernarg_size 80
		.amdhsa_user_sgpr_count 6
		.amdhsa_user_sgpr_private_segment_buffer 1
		.amdhsa_user_sgpr_dispatch_ptr 0
		.amdhsa_user_sgpr_queue_ptr 0
		.amdhsa_user_sgpr_kernarg_segment_ptr 1
		.amdhsa_user_sgpr_dispatch_id 0
		.amdhsa_user_sgpr_flat_scratch_init 0
		.amdhsa_user_sgpr_private_segment_size 0
		.amdhsa_uses_dynamic_stack 0
		.amdhsa_system_sgpr_private_segment_wavefront_offset 0
		.amdhsa_system_sgpr_workgroup_id_x 1
		.amdhsa_system_sgpr_workgroup_id_y 0
		.amdhsa_system_sgpr_workgroup_id_z 0
		.amdhsa_system_sgpr_workgroup_info 0
		.amdhsa_system_vgpr_workitem_id 0
		.amdhsa_next_free_vgpr 1
		.amdhsa_next_free_sgpr 0
		.amdhsa_reserve_vcc 0
		.amdhsa_reserve_flat_scratch 0
		.amdhsa_float_round_mode_32 0
		.amdhsa_float_round_mode_16_64 0
		.amdhsa_float_denorm_mode_32 3
		.amdhsa_float_denorm_mode_16_64 3
		.amdhsa_dx10_clamp 1
		.amdhsa_ieee_mode 1
		.amdhsa_fp16_overflow 0
		.amdhsa_exception_fp_ieee_invalid_op 0
		.amdhsa_exception_fp_denorm_src 0
		.amdhsa_exception_fp_ieee_div_zero 0
		.amdhsa_exception_fp_ieee_overflow 0
		.amdhsa_exception_fp_ieee_underflow 0
		.amdhsa_exception_fp_ieee_inexact 0
		.amdhsa_exception_int_div_zero 0
	.end_amdhsa_kernel
	.section	.text._ZN7rocprim17ROCPRIM_400000_NS6detail17trampoline_kernelINS0_14default_configENS1_22reduce_config_selectorIlEEZNS1_11reduce_implILb1ES3_N6thrust23THRUST_200600_302600_NS11hip_rocprim26transform_input_iterator_tIlNS8_12zip_iteratorINS8_5tupleINS8_6detail15normal_iteratorINS8_10device_ptrIfEEEESH_NS8_9null_typeESI_SI_SI_SI_SI_SI_SI_EEEENS9_21zip_adj_not_predicateINS8_8equal_toIfEEEEEEPllNS8_4plusIlEEEE10hipError_tPvRmT1_T2_T3_mT4_P12ihipStream_tbEUlT_E0_NS1_11comp_targetILNS1_3genE10ELNS1_11target_archE1201ELNS1_3gpuE5ELNS1_3repE0EEENS1_30default_config_static_selectorELNS0_4arch9wavefront6targetE1EEEvSW_,"axG",@progbits,_ZN7rocprim17ROCPRIM_400000_NS6detail17trampoline_kernelINS0_14default_configENS1_22reduce_config_selectorIlEEZNS1_11reduce_implILb1ES3_N6thrust23THRUST_200600_302600_NS11hip_rocprim26transform_input_iterator_tIlNS8_12zip_iteratorINS8_5tupleINS8_6detail15normal_iteratorINS8_10device_ptrIfEEEESH_NS8_9null_typeESI_SI_SI_SI_SI_SI_SI_EEEENS9_21zip_adj_not_predicateINS8_8equal_toIfEEEEEEPllNS8_4plusIlEEEE10hipError_tPvRmT1_T2_T3_mT4_P12ihipStream_tbEUlT_E0_NS1_11comp_targetILNS1_3genE10ELNS1_11target_archE1201ELNS1_3gpuE5ELNS1_3repE0EEENS1_30default_config_static_selectorELNS0_4arch9wavefront6targetE1EEEvSW_,comdat
.Lfunc_end784:
	.size	_ZN7rocprim17ROCPRIM_400000_NS6detail17trampoline_kernelINS0_14default_configENS1_22reduce_config_selectorIlEEZNS1_11reduce_implILb1ES3_N6thrust23THRUST_200600_302600_NS11hip_rocprim26transform_input_iterator_tIlNS8_12zip_iteratorINS8_5tupleINS8_6detail15normal_iteratorINS8_10device_ptrIfEEEESH_NS8_9null_typeESI_SI_SI_SI_SI_SI_SI_EEEENS9_21zip_adj_not_predicateINS8_8equal_toIfEEEEEEPllNS8_4plusIlEEEE10hipError_tPvRmT1_T2_T3_mT4_P12ihipStream_tbEUlT_E0_NS1_11comp_targetILNS1_3genE10ELNS1_11target_archE1201ELNS1_3gpuE5ELNS1_3repE0EEENS1_30default_config_static_selectorELNS0_4arch9wavefront6targetE1EEEvSW_, .Lfunc_end784-_ZN7rocprim17ROCPRIM_400000_NS6detail17trampoline_kernelINS0_14default_configENS1_22reduce_config_selectorIlEEZNS1_11reduce_implILb1ES3_N6thrust23THRUST_200600_302600_NS11hip_rocprim26transform_input_iterator_tIlNS8_12zip_iteratorINS8_5tupleINS8_6detail15normal_iteratorINS8_10device_ptrIfEEEESH_NS8_9null_typeESI_SI_SI_SI_SI_SI_SI_EEEENS9_21zip_adj_not_predicateINS8_8equal_toIfEEEEEEPllNS8_4plusIlEEEE10hipError_tPvRmT1_T2_T3_mT4_P12ihipStream_tbEUlT_E0_NS1_11comp_targetILNS1_3genE10ELNS1_11target_archE1201ELNS1_3gpuE5ELNS1_3repE0EEENS1_30default_config_static_selectorELNS0_4arch9wavefront6targetE1EEEvSW_
                                        ; -- End function
	.set _ZN7rocprim17ROCPRIM_400000_NS6detail17trampoline_kernelINS0_14default_configENS1_22reduce_config_selectorIlEEZNS1_11reduce_implILb1ES3_N6thrust23THRUST_200600_302600_NS11hip_rocprim26transform_input_iterator_tIlNS8_12zip_iteratorINS8_5tupleINS8_6detail15normal_iteratorINS8_10device_ptrIfEEEESH_NS8_9null_typeESI_SI_SI_SI_SI_SI_SI_EEEENS9_21zip_adj_not_predicateINS8_8equal_toIfEEEEEEPllNS8_4plusIlEEEE10hipError_tPvRmT1_T2_T3_mT4_P12ihipStream_tbEUlT_E0_NS1_11comp_targetILNS1_3genE10ELNS1_11target_archE1201ELNS1_3gpuE5ELNS1_3repE0EEENS1_30default_config_static_selectorELNS0_4arch9wavefront6targetE1EEEvSW_.num_vgpr, 0
	.set _ZN7rocprim17ROCPRIM_400000_NS6detail17trampoline_kernelINS0_14default_configENS1_22reduce_config_selectorIlEEZNS1_11reduce_implILb1ES3_N6thrust23THRUST_200600_302600_NS11hip_rocprim26transform_input_iterator_tIlNS8_12zip_iteratorINS8_5tupleINS8_6detail15normal_iteratorINS8_10device_ptrIfEEEESH_NS8_9null_typeESI_SI_SI_SI_SI_SI_SI_EEEENS9_21zip_adj_not_predicateINS8_8equal_toIfEEEEEEPllNS8_4plusIlEEEE10hipError_tPvRmT1_T2_T3_mT4_P12ihipStream_tbEUlT_E0_NS1_11comp_targetILNS1_3genE10ELNS1_11target_archE1201ELNS1_3gpuE5ELNS1_3repE0EEENS1_30default_config_static_selectorELNS0_4arch9wavefront6targetE1EEEvSW_.num_agpr, 0
	.set _ZN7rocprim17ROCPRIM_400000_NS6detail17trampoline_kernelINS0_14default_configENS1_22reduce_config_selectorIlEEZNS1_11reduce_implILb1ES3_N6thrust23THRUST_200600_302600_NS11hip_rocprim26transform_input_iterator_tIlNS8_12zip_iteratorINS8_5tupleINS8_6detail15normal_iteratorINS8_10device_ptrIfEEEESH_NS8_9null_typeESI_SI_SI_SI_SI_SI_SI_EEEENS9_21zip_adj_not_predicateINS8_8equal_toIfEEEEEEPllNS8_4plusIlEEEE10hipError_tPvRmT1_T2_T3_mT4_P12ihipStream_tbEUlT_E0_NS1_11comp_targetILNS1_3genE10ELNS1_11target_archE1201ELNS1_3gpuE5ELNS1_3repE0EEENS1_30default_config_static_selectorELNS0_4arch9wavefront6targetE1EEEvSW_.numbered_sgpr, 0
	.set _ZN7rocprim17ROCPRIM_400000_NS6detail17trampoline_kernelINS0_14default_configENS1_22reduce_config_selectorIlEEZNS1_11reduce_implILb1ES3_N6thrust23THRUST_200600_302600_NS11hip_rocprim26transform_input_iterator_tIlNS8_12zip_iteratorINS8_5tupleINS8_6detail15normal_iteratorINS8_10device_ptrIfEEEESH_NS8_9null_typeESI_SI_SI_SI_SI_SI_SI_EEEENS9_21zip_adj_not_predicateINS8_8equal_toIfEEEEEEPllNS8_4plusIlEEEE10hipError_tPvRmT1_T2_T3_mT4_P12ihipStream_tbEUlT_E0_NS1_11comp_targetILNS1_3genE10ELNS1_11target_archE1201ELNS1_3gpuE5ELNS1_3repE0EEENS1_30default_config_static_selectorELNS0_4arch9wavefront6targetE1EEEvSW_.num_named_barrier, 0
	.set _ZN7rocprim17ROCPRIM_400000_NS6detail17trampoline_kernelINS0_14default_configENS1_22reduce_config_selectorIlEEZNS1_11reduce_implILb1ES3_N6thrust23THRUST_200600_302600_NS11hip_rocprim26transform_input_iterator_tIlNS8_12zip_iteratorINS8_5tupleINS8_6detail15normal_iteratorINS8_10device_ptrIfEEEESH_NS8_9null_typeESI_SI_SI_SI_SI_SI_SI_EEEENS9_21zip_adj_not_predicateINS8_8equal_toIfEEEEEEPllNS8_4plusIlEEEE10hipError_tPvRmT1_T2_T3_mT4_P12ihipStream_tbEUlT_E0_NS1_11comp_targetILNS1_3genE10ELNS1_11target_archE1201ELNS1_3gpuE5ELNS1_3repE0EEENS1_30default_config_static_selectorELNS0_4arch9wavefront6targetE1EEEvSW_.private_seg_size, 0
	.set _ZN7rocprim17ROCPRIM_400000_NS6detail17trampoline_kernelINS0_14default_configENS1_22reduce_config_selectorIlEEZNS1_11reduce_implILb1ES3_N6thrust23THRUST_200600_302600_NS11hip_rocprim26transform_input_iterator_tIlNS8_12zip_iteratorINS8_5tupleINS8_6detail15normal_iteratorINS8_10device_ptrIfEEEESH_NS8_9null_typeESI_SI_SI_SI_SI_SI_SI_EEEENS9_21zip_adj_not_predicateINS8_8equal_toIfEEEEEEPllNS8_4plusIlEEEE10hipError_tPvRmT1_T2_T3_mT4_P12ihipStream_tbEUlT_E0_NS1_11comp_targetILNS1_3genE10ELNS1_11target_archE1201ELNS1_3gpuE5ELNS1_3repE0EEENS1_30default_config_static_selectorELNS0_4arch9wavefront6targetE1EEEvSW_.uses_vcc, 0
	.set _ZN7rocprim17ROCPRIM_400000_NS6detail17trampoline_kernelINS0_14default_configENS1_22reduce_config_selectorIlEEZNS1_11reduce_implILb1ES3_N6thrust23THRUST_200600_302600_NS11hip_rocprim26transform_input_iterator_tIlNS8_12zip_iteratorINS8_5tupleINS8_6detail15normal_iteratorINS8_10device_ptrIfEEEESH_NS8_9null_typeESI_SI_SI_SI_SI_SI_SI_EEEENS9_21zip_adj_not_predicateINS8_8equal_toIfEEEEEEPllNS8_4plusIlEEEE10hipError_tPvRmT1_T2_T3_mT4_P12ihipStream_tbEUlT_E0_NS1_11comp_targetILNS1_3genE10ELNS1_11target_archE1201ELNS1_3gpuE5ELNS1_3repE0EEENS1_30default_config_static_selectorELNS0_4arch9wavefront6targetE1EEEvSW_.uses_flat_scratch, 0
	.set _ZN7rocprim17ROCPRIM_400000_NS6detail17trampoline_kernelINS0_14default_configENS1_22reduce_config_selectorIlEEZNS1_11reduce_implILb1ES3_N6thrust23THRUST_200600_302600_NS11hip_rocprim26transform_input_iterator_tIlNS8_12zip_iteratorINS8_5tupleINS8_6detail15normal_iteratorINS8_10device_ptrIfEEEESH_NS8_9null_typeESI_SI_SI_SI_SI_SI_SI_EEEENS9_21zip_adj_not_predicateINS8_8equal_toIfEEEEEEPllNS8_4plusIlEEEE10hipError_tPvRmT1_T2_T3_mT4_P12ihipStream_tbEUlT_E0_NS1_11comp_targetILNS1_3genE10ELNS1_11target_archE1201ELNS1_3gpuE5ELNS1_3repE0EEENS1_30default_config_static_selectorELNS0_4arch9wavefront6targetE1EEEvSW_.has_dyn_sized_stack, 0
	.set _ZN7rocprim17ROCPRIM_400000_NS6detail17trampoline_kernelINS0_14default_configENS1_22reduce_config_selectorIlEEZNS1_11reduce_implILb1ES3_N6thrust23THRUST_200600_302600_NS11hip_rocprim26transform_input_iterator_tIlNS8_12zip_iteratorINS8_5tupleINS8_6detail15normal_iteratorINS8_10device_ptrIfEEEESH_NS8_9null_typeESI_SI_SI_SI_SI_SI_SI_EEEENS9_21zip_adj_not_predicateINS8_8equal_toIfEEEEEEPllNS8_4plusIlEEEE10hipError_tPvRmT1_T2_T3_mT4_P12ihipStream_tbEUlT_E0_NS1_11comp_targetILNS1_3genE10ELNS1_11target_archE1201ELNS1_3gpuE5ELNS1_3repE0EEENS1_30default_config_static_selectorELNS0_4arch9wavefront6targetE1EEEvSW_.has_recursion, 0
	.set _ZN7rocprim17ROCPRIM_400000_NS6detail17trampoline_kernelINS0_14default_configENS1_22reduce_config_selectorIlEEZNS1_11reduce_implILb1ES3_N6thrust23THRUST_200600_302600_NS11hip_rocprim26transform_input_iterator_tIlNS8_12zip_iteratorINS8_5tupleINS8_6detail15normal_iteratorINS8_10device_ptrIfEEEESH_NS8_9null_typeESI_SI_SI_SI_SI_SI_SI_EEEENS9_21zip_adj_not_predicateINS8_8equal_toIfEEEEEEPllNS8_4plusIlEEEE10hipError_tPvRmT1_T2_T3_mT4_P12ihipStream_tbEUlT_E0_NS1_11comp_targetILNS1_3genE10ELNS1_11target_archE1201ELNS1_3gpuE5ELNS1_3repE0EEENS1_30default_config_static_selectorELNS0_4arch9wavefront6targetE1EEEvSW_.has_indirect_call, 0
	.section	.AMDGPU.csdata,"",@progbits
; Kernel info:
; codeLenInByte = 0
; TotalNumSgprs: 4
; NumVgprs: 0
; ScratchSize: 0
; MemoryBound: 0
; FloatMode: 240
; IeeeMode: 1
; LDSByteSize: 0 bytes/workgroup (compile time only)
; SGPRBlocks: 0
; VGPRBlocks: 0
; NumSGPRsForWavesPerEU: 4
; NumVGPRsForWavesPerEU: 1
; Occupancy: 10
; WaveLimiterHint : 0
; COMPUTE_PGM_RSRC2:SCRATCH_EN: 0
; COMPUTE_PGM_RSRC2:USER_SGPR: 6
; COMPUTE_PGM_RSRC2:TRAP_HANDLER: 0
; COMPUTE_PGM_RSRC2:TGID_X_EN: 1
; COMPUTE_PGM_RSRC2:TGID_Y_EN: 0
; COMPUTE_PGM_RSRC2:TGID_Z_EN: 0
; COMPUTE_PGM_RSRC2:TIDIG_COMP_CNT: 0
	.section	.text._ZN7rocprim17ROCPRIM_400000_NS6detail17trampoline_kernelINS0_14default_configENS1_22reduce_config_selectorIlEEZNS1_11reduce_implILb1ES3_N6thrust23THRUST_200600_302600_NS11hip_rocprim26transform_input_iterator_tIlNS8_12zip_iteratorINS8_5tupleINS8_6detail15normal_iteratorINS8_10device_ptrIfEEEESH_NS8_9null_typeESI_SI_SI_SI_SI_SI_SI_EEEENS9_21zip_adj_not_predicateINS8_8equal_toIfEEEEEEPllNS8_4plusIlEEEE10hipError_tPvRmT1_T2_T3_mT4_P12ihipStream_tbEUlT_E0_NS1_11comp_targetILNS1_3genE10ELNS1_11target_archE1200ELNS1_3gpuE4ELNS1_3repE0EEENS1_30default_config_static_selectorELNS0_4arch9wavefront6targetE1EEEvSW_,"axG",@progbits,_ZN7rocprim17ROCPRIM_400000_NS6detail17trampoline_kernelINS0_14default_configENS1_22reduce_config_selectorIlEEZNS1_11reduce_implILb1ES3_N6thrust23THRUST_200600_302600_NS11hip_rocprim26transform_input_iterator_tIlNS8_12zip_iteratorINS8_5tupleINS8_6detail15normal_iteratorINS8_10device_ptrIfEEEESH_NS8_9null_typeESI_SI_SI_SI_SI_SI_SI_EEEENS9_21zip_adj_not_predicateINS8_8equal_toIfEEEEEEPllNS8_4plusIlEEEE10hipError_tPvRmT1_T2_T3_mT4_P12ihipStream_tbEUlT_E0_NS1_11comp_targetILNS1_3genE10ELNS1_11target_archE1200ELNS1_3gpuE4ELNS1_3repE0EEENS1_30default_config_static_selectorELNS0_4arch9wavefront6targetE1EEEvSW_,comdat
	.protected	_ZN7rocprim17ROCPRIM_400000_NS6detail17trampoline_kernelINS0_14default_configENS1_22reduce_config_selectorIlEEZNS1_11reduce_implILb1ES3_N6thrust23THRUST_200600_302600_NS11hip_rocprim26transform_input_iterator_tIlNS8_12zip_iteratorINS8_5tupleINS8_6detail15normal_iteratorINS8_10device_ptrIfEEEESH_NS8_9null_typeESI_SI_SI_SI_SI_SI_SI_EEEENS9_21zip_adj_not_predicateINS8_8equal_toIfEEEEEEPllNS8_4plusIlEEEE10hipError_tPvRmT1_T2_T3_mT4_P12ihipStream_tbEUlT_E0_NS1_11comp_targetILNS1_3genE10ELNS1_11target_archE1200ELNS1_3gpuE4ELNS1_3repE0EEENS1_30default_config_static_selectorELNS0_4arch9wavefront6targetE1EEEvSW_ ; -- Begin function _ZN7rocprim17ROCPRIM_400000_NS6detail17trampoline_kernelINS0_14default_configENS1_22reduce_config_selectorIlEEZNS1_11reduce_implILb1ES3_N6thrust23THRUST_200600_302600_NS11hip_rocprim26transform_input_iterator_tIlNS8_12zip_iteratorINS8_5tupleINS8_6detail15normal_iteratorINS8_10device_ptrIfEEEESH_NS8_9null_typeESI_SI_SI_SI_SI_SI_SI_EEEENS9_21zip_adj_not_predicateINS8_8equal_toIfEEEEEEPllNS8_4plusIlEEEE10hipError_tPvRmT1_T2_T3_mT4_P12ihipStream_tbEUlT_E0_NS1_11comp_targetILNS1_3genE10ELNS1_11target_archE1200ELNS1_3gpuE4ELNS1_3repE0EEENS1_30default_config_static_selectorELNS0_4arch9wavefront6targetE1EEEvSW_
	.globl	_ZN7rocprim17ROCPRIM_400000_NS6detail17trampoline_kernelINS0_14default_configENS1_22reduce_config_selectorIlEEZNS1_11reduce_implILb1ES3_N6thrust23THRUST_200600_302600_NS11hip_rocprim26transform_input_iterator_tIlNS8_12zip_iteratorINS8_5tupleINS8_6detail15normal_iteratorINS8_10device_ptrIfEEEESH_NS8_9null_typeESI_SI_SI_SI_SI_SI_SI_EEEENS9_21zip_adj_not_predicateINS8_8equal_toIfEEEEEEPllNS8_4plusIlEEEE10hipError_tPvRmT1_T2_T3_mT4_P12ihipStream_tbEUlT_E0_NS1_11comp_targetILNS1_3genE10ELNS1_11target_archE1200ELNS1_3gpuE4ELNS1_3repE0EEENS1_30default_config_static_selectorELNS0_4arch9wavefront6targetE1EEEvSW_
	.p2align	8
	.type	_ZN7rocprim17ROCPRIM_400000_NS6detail17trampoline_kernelINS0_14default_configENS1_22reduce_config_selectorIlEEZNS1_11reduce_implILb1ES3_N6thrust23THRUST_200600_302600_NS11hip_rocprim26transform_input_iterator_tIlNS8_12zip_iteratorINS8_5tupleINS8_6detail15normal_iteratorINS8_10device_ptrIfEEEESH_NS8_9null_typeESI_SI_SI_SI_SI_SI_SI_EEEENS9_21zip_adj_not_predicateINS8_8equal_toIfEEEEEEPllNS8_4plusIlEEEE10hipError_tPvRmT1_T2_T3_mT4_P12ihipStream_tbEUlT_E0_NS1_11comp_targetILNS1_3genE10ELNS1_11target_archE1200ELNS1_3gpuE4ELNS1_3repE0EEENS1_30default_config_static_selectorELNS0_4arch9wavefront6targetE1EEEvSW_,@function
_ZN7rocprim17ROCPRIM_400000_NS6detail17trampoline_kernelINS0_14default_configENS1_22reduce_config_selectorIlEEZNS1_11reduce_implILb1ES3_N6thrust23THRUST_200600_302600_NS11hip_rocprim26transform_input_iterator_tIlNS8_12zip_iteratorINS8_5tupleINS8_6detail15normal_iteratorINS8_10device_ptrIfEEEESH_NS8_9null_typeESI_SI_SI_SI_SI_SI_SI_EEEENS9_21zip_adj_not_predicateINS8_8equal_toIfEEEEEEPllNS8_4plusIlEEEE10hipError_tPvRmT1_T2_T3_mT4_P12ihipStream_tbEUlT_E0_NS1_11comp_targetILNS1_3genE10ELNS1_11target_archE1200ELNS1_3gpuE4ELNS1_3repE0EEENS1_30default_config_static_selectorELNS0_4arch9wavefront6targetE1EEEvSW_: ; @_ZN7rocprim17ROCPRIM_400000_NS6detail17trampoline_kernelINS0_14default_configENS1_22reduce_config_selectorIlEEZNS1_11reduce_implILb1ES3_N6thrust23THRUST_200600_302600_NS11hip_rocprim26transform_input_iterator_tIlNS8_12zip_iteratorINS8_5tupleINS8_6detail15normal_iteratorINS8_10device_ptrIfEEEESH_NS8_9null_typeESI_SI_SI_SI_SI_SI_SI_EEEENS9_21zip_adj_not_predicateINS8_8equal_toIfEEEEEEPllNS8_4plusIlEEEE10hipError_tPvRmT1_T2_T3_mT4_P12ihipStream_tbEUlT_E0_NS1_11comp_targetILNS1_3genE10ELNS1_11target_archE1200ELNS1_3gpuE4ELNS1_3repE0EEENS1_30default_config_static_selectorELNS0_4arch9wavefront6targetE1EEEvSW_
; %bb.0:
	.section	.rodata,"a",@progbits
	.p2align	6, 0x0
	.amdhsa_kernel _ZN7rocprim17ROCPRIM_400000_NS6detail17trampoline_kernelINS0_14default_configENS1_22reduce_config_selectorIlEEZNS1_11reduce_implILb1ES3_N6thrust23THRUST_200600_302600_NS11hip_rocprim26transform_input_iterator_tIlNS8_12zip_iteratorINS8_5tupleINS8_6detail15normal_iteratorINS8_10device_ptrIfEEEESH_NS8_9null_typeESI_SI_SI_SI_SI_SI_SI_EEEENS9_21zip_adj_not_predicateINS8_8equal_toIfEEEEEEPllNS8_4plusIlEEEE10hipError_tPvRmT1_T2_T3_mT4_P12ihipStream_tbEUlT_E0_NS1_11comp_targetILNS1_3genE10ELNS1_11target_archE1200ELNS1_3gpuE4ELNS1_3repE0EEENS1_30default_config_static_selectorELNS0_4arch9wavefront6targetE1EEEvSW_
		.amdhsa_group_segment_fixed_size 0
		.amdhsa_private_segment_fixed_size 0
		.amdhsa_kernarg_size 80
		.amdhsa_user_sgpr_count 6
		.amdhsa_user_sgpr_private_segment_buffer 1
		.amdhsa_user_sgpr_dispatch_ptr 0
		.amdhsa_user_sgpr_queue_ptr 0
		.amdhsa_user_sgpr_kernarg_segment_ptr 1
		.amdhsa_user_sgpr_dispatch_id 0
		.amdhsa_user_sgpr_flat_scratch_init 0
		.amdhsa_user_sgpr_private_segment_size 0
		.amdhsa_uses_dynamic_stack 0
		.amdhsa_system_sgpr_private_segment_wavefront_offset 0
		.amdhsa_system_sgpr_workgroup_id_x 1
		.amdhsa_system_sgpr_workgroup_id_y 0
		.amdhsa_system_sgpr_workgroup_id_z 0
		.amdhsa_system_sgpr_workgroup_info 0
		.amdhsa_system_vgpr_workitem_id 0
		.amdhsa_next_free_vgpr 1
		.amdhsa_next_free_sgpr 0
		.amdhsa_reserve_vcc 0
		.amdhsa_reserve_flat_scratch 0
		.amdhsa_float_round_mode_32 0
		.amdhsa_float_round_mode_16_64 0
		.amdhsa_float_denorm_mode_32 3
		.amdhsa_float_denorm_mode_16_64 3
		.amdhsa_dx10_clamp 1
		.amdhsa_ieee_mode 1
		.amdhsa_fp16_overflow 0
		.amdhsa_exception_fp_ieee_invalid_op 0
		.amdhsa_exception_fp_denorm_src 0
		.amdhsa_exception_fp_ieee_div_zero 0
		.amdhsa_exception_fp_ieee_overflow 0
		.amdhsa_exception_fp_ieee_underflow 0
		.amdhsa_exception_fp_ieee_inexact 0
		.amdhsa_exception_int_div_zero 0
	.end_amdhsa_kernel
	.section	.text._ZN7rocprim17ROCPRIM_400000_NS6detail17trampoline_kernelINS0_14default_configENS1_22reduce_config_selectorIlEEZNS1_11reduce_implILb1ES3_N6thrust23THRUST_200600_302600_NS11hip_rocprim26transform_input_iterator_tIlNS8_12zip_iteratorINS8_5tupleINS8_6detail15normal_iteratorINS8_10device_ptrIfEEEESH_NS8_9null_typeESI_SI_SI_SI_SI_SI_SI_EEEENS9_21zip_adj_not_predicateINS8_8equal_toIfEEEEEEPllNS8_4plusIlEEEE10hipError_tPvRmT1_T2_T3_mT4_P12ihipStream_tbEUlT_E0_NS1_11comp_targetILNS1_3genE10ELNS1_11target_archE1200ELNS1_3gpuE4ELNS1_3repE0EEENS1_30default_config_static_selectorELNS0_4arch9wavefront6targetE1EEEvSW_,"axG",@progbits,_ZN7rocprim17ROCPRIM_400000_NS6detail17trampoline_kernelINS0_14default_configENS1_22reduce_config_selectorIlEEZNS1_11reduce_implILb1ES3_N6thrust23THRUST_200600_302600_NS11hip_rocprim26transform_input_iterator_tIlNS8_12zip_iteratorINS8_5tupleINS8_6detail15normal_iteratorINS8_10device_ptrIfEEEESH_NS8_9null_typeESI_SI_SI_SI_SI_SI_SI_EEEENS9_21zip_adj_not_predicateINS8_8equal_toIfEEEEEEPllNS8_4plusIlEEEE10hipError_tPvRmT1_T2_T3_mT4_P12ihipStream_tbEUlT_E0_NS1_11comp_targetILNS1_3genE10ELNS1_11target_archE1200ELNS1_3gpuE4ELNS1_3repE0EEENS1_30default_config_static_selectorELNS0_4arch9wavefront6targetE1EEEvSW_,comdat
.Lfunc_end785:
	.size	_ZN7rocprim17ROCPRIM_400000_NS6detail17trampoline_kernelINS0_14default_configENS1_22reduce_config_selectorIlEEZNS1_11reduce_implILb1ES3_N6thrust23THRUST_200600_302600_NS11hip_rocprim26transform_input_iterator_tIlNS8_12zip_iteratorINS8_5tupleINS8_6detail15normal_iteratorINS8_10device_ptrIfEEEESH_NS8_9null_typeESI_SI_SI_SI_SI_SI_SI_EEEENS9_21zip_adj_not_predicateINS8_8equal_toIfEEEEEEPllNS8_4plusIlEEEE10hipError_tPvRmT1_T2_T3_mT4_P12ihipStream_tbEUlT_E0_NS1_11comp_targetILNS1_3genE10ELNS1_11target_archE1200ELNS1_3gpuE4ELNS1_3repE0EEENS1_30default_config_static_selectorELNS0_4arch9wavefront6targetE1EEEvSW_, .Lfunc_end785-_ZN7rocprim17ROCPRIM_400000_NS6detail17trampoline_kernelINS0_14default_configENS1_22reduce_config_selectorIlEEZNS1_11reduce_implILb1ES3_N6thrust23THRUST_200600_302600_NS11hip_rocprim26transform_input_iterator_tIlNS8_12zip_iteratorINS8_5tupleINS8_6detail15normal_iteratorINS8_10device_ptrIfEEEESH_NS8_9null_typeESI_SI_SI_SI_SI_SI_SI_EEEENS9_21zip_adj_not_predicateINS8_8equal_toIfEEEEEEPllNS8_4plusIlEEEE10hipError_tPvRmT1_T2_T3_mT4_P12ihipStream_tbEUlT_E0_NS1_11comp_targetILNS1_3genE10ELNS1_11target_archE1200ELNS1_3gpuE4ELNS1_3repE0EEENS1_30default_config_static_selectorELNS0_4arch9wavefront6targetE1EEEvSW_
                                        ; -- End function
	.set _ZN7rocprim17ROCPRIM_400000_NS6detail17trampoline_kernelINS0_14default_configENS1_22reduce_config_selectorIlEEZNS1_11reduce_implILb1ES3_N6thrust23THRUST_200600_302600_NS11hip_rocprim26transform_input_iterator_tIlNS8_12zip_iteratorINS8_5tupleINS8_6detail15normal_iteratorINS8_10device_ptrIfEEEESH_NS8_9null_typeESI_SI_SI_SI_SI_SI_SI_EEEENS9_21zip_adj_not_predicateINS8_8equal_toIfEEEEEEPllNS8_4plusIlEEEE10hipError_tPvRmT1_T2_T3_mT4_P12ihipStream_tbEUlT_E0_NS1_11comp_targetILNS1_3genE10ELNS1_11target_archE1200ELNS1_3gpuE4ELNS1_3repE0EEENS1_30default_config_static_selectorELNS0_4arch9wavefront6targetE1EEEvSW_.num_vgpr, 0
	.set _ZN7rocprim17ROCPRIM_400000_NS6detail17trampoline_kernelINS0_14default_configENS1_22reduce_config_selectorIlEEZNS1_11reduce_implILb1ES3_N6thrust23THRUST_200600_302600_NS11hip_rocprim26transform_input_iterator_tIlNS8_12zip_iteratorINS8_5tupleINS8_6detail15normal_iteratorINS8_10device_ptrIfEEEESH_NS8_9null_typeESI_SI_SI_SI_SI_SI_SI_EEEENS9_21zip_adj_not_predicateINS8_8equal_toIfEEEEEEPllNS8_4plusIlEEEE10hipError_tPvRmT1_T2_T3_mT4_P12ihipStream_tbEUlT_E0_NS1_11comp_targetILNS1_3genE10ELNS1_11target_archE1200ELNS1_3gpuE4ELNS1_3repE0EEENS1_30default_config_static_selectorELNS0_4arch9wavefront6targetE1EEEvSW_.num_agpr, 0
	.set _ZN7rocprim17ROCPRIM_400000_NS6detail17trampoline_kernelINS0_14default_configENS1_22reduce_config_selectorIlEEZNS1_11reduce_implILb1ES3_N6thrust23THRUST_200600_302600_NS11hip_rocprim26transform_input_iterator_tIlNS8_12zip_iteratorINS8_5tupleINS8_6detail15normal_iteratorINS8_10device_ptrIfEEEESH_NS8_9null_typeESI_SI_SI_SI_SI_SI_SI_EEEENS9_21zip_adj_not_predicateINS8_8equal_toIfEEEEEEPllNS8_4plusIlEEEE10hipError_tPvRmT1_T2_T3_mT4_P12ihipStream_tbEUlT_E0_NS1_11comp_targetILNS1_3genE10ELNS1_11target_archE1200ELNS1_3gpuE4ELNS1_3repE0EEENS1_30default_config_static_selectorELNS0_4arch9wavefront6targetE1EEEvSW_.numbered_sgpr, 0
	.set _ZN7rocprim17ROCPRIM_400000_NS6detail17trampoline_kernelINS0_14default_configENS1_22reduce_config_selectorIlEEZNS1_11reduce_implILb1ES3_N6thrust23THRUST_200600_302600_NS11hip_rocprim26transform_input_iterator_tIlNS8_12zip_iteratorINS8_5tupleINS8_6detail15normal_iteratorINS8_10device_ptrIfEEEESH_NS8_9null_typeESI_SI_SI_SI_SI_SI_SI_EEEENS9_21zip_adj_not_predicateINS8_8equal_toIfEEEEEEPllNS8_4plusIlEEEE10hipError_tPvRmT1_T2_T3_mT4_P12ihipStream_tbEUlT_E0_NS1_11comp_targetILNS1_3genE10ELNS1_11target_archE1200ELNS1_3gpuE4ELNS1_3repE0EEENS1_30default_config_static_selectorELNS0_4arch9wavefront6targetE1EEEvSW_.num_named_barrier, 0
	.set _ZN7rocprim17ROCPRIM_400000_NS6detail17trampoline_kernelINS0_14default_configENS1_22reduce_config_selectorIlEEZNS1_11reduce_implILb1ES3_N6thrust23THRUST_200600_302600_NS11hip_rocprim26transform_input_iterator_tIlNS8_12zip_iteratorINS8_5tupleINS8_6detail15normal_iteratorINS8_10device_ptrIfEEEESH_NS8_9null_typeESI_SI_SI_SI_SI_SI_SI_EEEENS9_21zip_adj_not_predicateINS8_8equal_toIfEEEEEEPllNS8_4plusIlEEEE10hipError_tPvRmT1_T2_T3_mT4_P12ihipStream_tbEUlT_E0_NS1_11comp_targetILNS1_3genE10ELNS1_11target_archE1200ELNS1_3gpuE4ELNS1_3repE0EEENS1_30default_config_static_selectorELNS0_4arch9wavefront6targetE1EEEvSW_.private_seg_size, 0
	.set _ZN7rocprim17ROCPRIM_400000_NS6detail17trampoline_kernelINS0_14default_configENS1_22reduce_config_selectorIlEEZNS1_11reduce_implILb1ES3_N6thrust23THRUST_200600_302600_NS11hip_rocprim26transform_input_iterator_tIlNS8_12zip_iteratorINS8_5tupleINS8_6detail15normal_iteratorINS8_10device_ptrIfEEEESH_NS8_9null_typeESI_SI_SI_SI_SI_SI_SI_EEEENS9_21zip_adj_not_predicateINS8_8equal_toIfEEEEEEPllNS8_4plusIlEEEE10hipError_tPvRmT1_T2_T3_mT4_P12ihipStream_tbEUlT_E0_NS1_11comp_targetILNS1_3genE10ELNS1_11target_archE1200ELNS1_3gpuE4ELNS1_3repE0EEENS1_30default_config_static_selectorELNS0_4arch9wavefront6targetE1EEEvSW_.uses_vcc, 0
	.set _ZN7rocprim17ROCPRIM_400000_NS6detail17trampoline_kernelINS0_14default_configENS1_22reduce_config_selectorIlEEZNS1_11reduce_implILb1ES3_N6thrust23THRUST_200600_302600_NS11hip_rocprim26transform_input_iterator_tIlNS8_12zip_iteratorINS8_5tupleINS8_6detail15normal_iteratorINS8_10device_ptrIfEEEESH_NS8_9null_typeESI_SI_SI_SI_SI_SI_SI_EEEENS9_21zip_adj_not_predicateINS8_8equal_toIfEEEEEEPllNS8_4plusIlEEEE10hipError_tPvRmT1_T2_T3_mT4_P12ihipStream_tbEUlT_E0_NS1_11comp_targetILNS1_3genE10ELNS1_11target_archE1200ELNS1_3gpuE4ELNS1_3repE0EEENS1_30default_config_static_selectorELNS0_4arch9wavefront6targetE1EEEvSW_.uses_flat_scratch, 0
	.set _ZN7rocprim17ROCPRIM_400000_NS6detail17trampoline_kernelINS0_14default_configENS1_22reduce_config_selectorIlEEZNS1_11reduce_implILb1ES3_N6thrust23THRUST_200600_302600_NS11hip_rocprim26transform_input_iterator_tIlNS8_12zip_iteratorINS8_5tupleINS8_6detail15normal_iteratorINS8_10device_ptrIfEEEESH_NS8_9null_typeESI_SI_SI_SI_SI_SI_SI_EEEENS9_21zip_adj_not_predicateINS8_8equal_toIfEEEEEEPllNS8_4plusIlEEEE10hipError_tPvRmT1_T2_T3_mT4_P12ihipStream_tbEUlT_E0_NS1_11comp_targetILNS1_3genE10ELNS1_11target_archE1200ELNS1_3gpuE4ELNS1_3repE0EEENS1_30default_config_static_selectorELNS0_4arch9wavefront6targetE1EEEvSW_.has_dyn_sized_stack, 0
	.set _ZN7rocprim17ROCPRIM_400000_NS6detail17trampoline_kernelINS0_14default_configENS1_22reduce_config_selectorIlEEZNS1_11reduce_implILb1ES3_N6thrust23THRUST_200600_302600_NS11hip_rocprim26transform_input_iterator_tIlNS8_12zip_iteratorINS8_5tupleINS8_6detail15normal_iteratorINS8_10device_ptrIfEEEESH_NS8_9null_typeESI_SI_SI_SI_SI_SI_SI_EEEENS9_21zip_adj_not_predicateINS8_8equal_toIfEEEEEEPllNS8_4plusIlEEEE10hipError_tPvRmT1_T2_T3_mT4_P12ihipStream_tbEUlT_E0_NS1_11comp_targetILNS1_3genE10ELNS1_11target_archE1200ELNS1_3gpuE4ELNS1_3repE0EEENS1_30default_config_static_selectorELNS0_4arch9wavefront6targetE1EEEvSW_.has_recursion, 0
	.set _ZN7rocprim17ROCPRIM_400000_NS6detail17trampoline_kernelINS0_14default_configENS1_22reduce_config_selectorIlEEZNS1_11reduce_implILb1ES3_N6thrust23THRUST_200600_302600_NS11hip_rocprim26transform_input_iterator_tIlNS8_12zip_iteratorINS8_5tupleINS8_6detail15normal_iteratorINS8_10device_ptrIfEEEESH_NS8_9null_typeESI_SI_SI_SI_SI_SI_SI_EEEENS9_21zip_adj_not_predicateINS8_8equal_toIfEEEEEEPllNS8_4plusIlEEEE10hipError_tPvRmT1_T2_T3_mT4_P12ihipStream_tbEUlT_E0_NS1_11comp_targetILNS1_3genE10ELNS1_11target_archE1200ELNS1_3gpuE4ELNS1_3repE0EEENS1_30default_config_static_selectorELNS0_4arch9wavefront6targetE1EEEvSW_.has_indirect_call, 0
	.section	.AMDGPU.csdata,"",@progbits
; Kernel info:
; codeLenInByte = 0
; TotalNumSgprs: 4
; NumVgprs: 0
; ScratchSize: 0
; MemoryBound: 0
; FloatMode: 240
; IeeeMode: 1
; LDSByteSize: 0 bytes/workgroup (compile time only)
; SGPRBlocks: 0
; VGPRBlocks: 0
; NumSGPRsForWavesPerEU: 4
; NumVGPRsForWavesPerEU: 1
; Occupancy: 10
; WaveLimiterHint : 0
; COMPUTE_PGM_RSRC2:SCRATCH_EN: 0
; COMPUTE_PGM_RSRC2:USER_SGPR: 6
; COMPUTE_PGM_RSRC2:TRAP_HANDLER: 0
; COMPUTE_PGM_RSRC2:TGID_X_EN: 1
; COMPUTE_PGM_RSRC2:TGID_Y_EN: 0
; COMPUTE_PGM_RSRC2:TGID_Z_EN: 0
; COMPUTE_PGM_RSRC2:TIDIG_COMP_CNT: 0
	.section	.text._ZN7rocprim17ROCPRIM_400000_NS6detail17trampoline_kernelINS0_14default_configENS1_22reduce_config_selectorIlEEZNS1_11reduce_implILb1ES3_N6thrust23THRUST_200600_302600_NS11hip_rocprim26transform_input_iterator_tIlNS8_12zip_iteratorINS8_5tupleINS8_6detail15normal_iteratorINS8_10device_ptrIfEEEESH_NS8_9null_typeESI_SI_SI_SI_SI_SI_SI_EEEENS9_21zip_adj_not_predicateINS8_8equal_toIfEEEEEEPllNS8_4plusIlEEEE10hipError_tPvRmT1_T2_T3_mT4_P12ihipStream_tbEUlT_E0_NS1_11comp_targetILNS1_3genE9ELNS1_11target_archE1100ELNS1_3gpuE3ELNS1_3repE0EEENS1_30default_config_static_selectorELNS0_4arch9wavefront6targetE1EEEvSW_,"axG",@progbits,_ZN7rocprim17ROCPRIM_400000_NS6detail17trampoline_kernelINS0_14default_configENS1_22reduce_config_selectorIlEEZNS1_11reduce_implILb1ES3_N6thrust23THRUST_200600_302600_NS11hip_rocprim26transform_input_iterator_tIlNS8_12zip_iteratorINS8_5tupleINS8_6detail15normal_iteratorINS8_10device_ptrIfEEEESH_NS8_9null_typeESI_SI_SI_SI_SI_SI_SI_EEEENS9_21zip_adj_not_predicateINS8_8equal_toIfEEEEEEPllNS8_4plusIlEEEE10hipError_tPvRmT1_T2_T3_mT4_P12ihipStream_tbEUlT_E0_NS1_11comp_targetILNS1_3genE9ELNS1_11target_archE1100ELNS1_3gpuE3ELNS1_3repE0EEENS1_30default_config_static_selectorELNS0_4arch9wavefront6targetE1EEEvSW_,comdat
	.protected	_ZN7rocprim17ROCPRIM_400000_NS6detail17trampoline_kernelINS0_14default_configENS1_22reduce_config_selectorIlEEZNS1_11reduce_implILb1ES3_N6thrust23THRUST_200600_302600_NS11hip_rocprim26transform_input_iterator_tIlNS8_12zip_iteratorINS8_5tupleINS8_6detail15normal_iteratorINS8_10device_ptrIfEEEESH_NS8_9null_typeESI_SI_SI_SI_SI_SI_SI_EEEENS9_21zip_adj_not_predicateINS8_8equal_toIfEEEEEEPllNS8_4plusIlEEEE10hipError_tPvRmT1_T2_T3_mT4_P12ihipStream_tbEUlT_E0_NS1_11comp_targetILNS1_3genE9ELNS1_11target_archE1100ELNS1_3gpuE3ELNS1_3repE0EEENS1_30default_config_static_selectorELNS0_4arch9wavefront6targetE1EEEvSW_ ; -- Begin function _ZN7rocprim17ROCPRIM_400000_NS6detail17trampoline_kernelINS0_14default_configENS1_22reduce_config_selectorIlEEZNS1_11reduce_implILb1ES3_N6thrust23THRUST_200600_302600_NS11hip_rocprim26transform_input_iterator_tIlNS8_12zip_iteratorINS8_5tupleINS8_6detail15normal_iteratorINS8_10device_ptrIfEEEESH_NS8_9null_typeESI_SI_SI_SI_SI_SI_SI_EEEENS9_21zip_adj_not_predicateINS8_8equal_toIfEEEEEEPllNS8_4plusIlEEEE10hipError_tPvRmT1_T2_T3_mT4_P12ihipStream_tbEUlT_E0_NS1_11comp_targetILNS1_3genE9ELNS1_11target_archE1100ELNS1_3gpuE3ELNS1_3repE0EEENS1_30default_config_static_selectorELNS0_4arch9wavefront6targetE1EEEvSW_
	.globl	_ZN7rocprim17ROCPRIM_400000_NS6detail17trampoline_kernelINS0_14default_configENS1_22reduce_config_selectorIlEEZNS1_11reduce_implILb1ES3_N6thrust23THRUST_200600_302600_NS11hip_rocprim26transform_input_iterator_tIlNS8_12zip_iteratorINS8_5tupleINS8_6detail15normal_iteratorINS8_10device_ptrIfEEEESH_NS8_9null_typeESI_SI_SI_SI_SI_SI_SI_EEEENS9_21zip_adj_not_predicateINS8_8equal_toIfEEEEEEPllNS8_4plusIlEEEE10hipError_tPvRmT1_T2_T3_mT4_P12ihipStream_tbEUlT_E0_NS1_11comp_targetILNS1_3genE9ELNS1_11target_archE1100ELNS1_3gpuE3ELNS1_3repE0EEENS1_30default_config_static_selectorELNS0_4arch9wavefront6targetE1EEEvSW_
	.p2align	8
	.type	_ZN7rocprim17ROCPRIM_400000_NS6detail17trampoline_kernelINS0_14default_configENS1_22reduce_config_selectorIlEEZNS1_11reduce_implILb1ES3_N6thrust23THRUST_200600_302600_NS11hip_rocprim26transform_input_iterator_tIlNS8_12zip_iteratorINS8_5tupleINS8_6detail15normal_iteratorINS8_10device_ptrIfEEEESH_NS8_9null_typeESI_SI_SI_SI_SI_SI_SI_EEEENS9_21zip_adj_not_predicateINS8_8equal_toIfEEEEEEPllNS8_4plusIlEEEE10hipError_tPvRmT1_T2_T3_mT4_P12ihipStream_tbEUlT_E0_NS1_11comp_targetILNS1_3genE9ELNS1_11target_archE1100ELNS1_3gpuE3ELNS1_3repE0EEENS1_30default_config_static_selectorELNS0_4arch9wavefront6targetE1EEEvSW_,@function
_ZN7rocprim17ROCPRIM_400000_NS6detail17trampoline_kernelINS0_14default_configENS1_22reduce_config_selectorIlEEZNS1_11reduce_implILb1ES3_N6thrust23THRUST_200600_302600_NS11hip_rocprim26transform_input_iterator_tIlNS8_12zip_iteratorINS8_5tupleINS8_6detail15normal_iteratorINS8_10device_ptrIfEEEESH_NS8_9null_typeESI_SI_SI_SI_SI_SI_SI_EEEENS9_21zip_adj_not_predicateINS8_8equal_toIfEEEEEEPllNS8_4plusIlEEEE10hipError_tPvRmT1_T2_T3_mT4_P12ihipStream_tbEUlT_E0_NS1_11comp_targetILNS1_3genE9ELNS1_11target_archE1100ELNS1_3gpuE3ELNS1_3repE0EEENS1_30default_config_static_selectorELNS0_4arch9wavefront6targetE1EEEvSW_: ; @_ZN7rocprim17ROCPRIM_400000_NS6detail17trampoline_kernelINS0_14default_configENS1_22reduce_config_selectorIlEEZNS1_11reduce_implILb1ES3_N6thrust23THRUST_200600_302600_NS11hip_rocprim26transform_input_iterator_tIlNS8_12zip_iteratorINS8_5tupleINS8_6detail15normal_iteratorINS8_10device_ptrIfEEEESH_NS8_9null_typeESI_SI_SI_SI_SI_SI_SI_EEEENS9_21zip_adj_not_predicateINS8_8equal_toIfEEEEEEPllNS8_4plusIlEEEE10hipError_tPvRmT1_T2_T3_mT4_P12ihipStream_tbEUlT_E0_NS1_11comp_targetILNS1_3genE9ELNS1_11target_archE1100ELNS1_3gpuE3ELNS1_3repE0EEENS1_30default_config_static_selectorELNS0_4arch9wavefront6targetE1EEEvSW_
; %bb.0:
	.section	.rodata,"a",@progbits
	.p2align	6, 0x0
	.amdhsa_kernel _ZN7rocprim17ROCPRIM_400000_NS6detail17trampoline_kernelINS0_14default_configENS1_22reduce_config_selectorIlEEZNS1_11reduce_implILb1ES3_N6thrust23THRUST_200600_302600_NS11hip_rocprim26transform_input_iterator_tIlNS8_12zip_iteratorINS8_5tupleINS8_6detail15normal_iteratorINS8_10device_ptrIfEEEESH_NS8_9null_typeESI_SI_SI_SI_SI_SI_SI_EEEENS9_21zip_adj_not_predicateINS8_8equal_toIfEEEEEEPllNS8_4plusIlEEEE10hipError_tPvRmT1_T2_T3_mT4_P12ihipStream_tbEUlT_E0_NS1_11comp_targetILNS1_3genE9ELNS1_11target_archE1100ELNS1_3gpuE3ELNS1_3repE0EEENS1_30default_config_static_selectorELNS0_4arch9wavefront6targetE1EEEvSW_
		.amdhsa_group_segment_fixed_size 0
		.amdhsa_private_segment_fixed_size 0
		.amdhsa_kernarg_size 80
		.amdhsa_user_sgpr_count 6
		.amdhsa_user_sgpr_private_segment_buffer 1
		.amdhsa_user_sgpr_dispatch_ptr 0
		.amdhsa_user_sgpr_queue_ptr 0
		.amdhsa_user_sgpr_kernarg_segment_ptr 1
		.amdhsa_user_sgpr_dispatch_id 0
		.amdhsa_user_sgpr_flat_scratch_init 0
		.amdhsa_user_sgpr_private_segment_size 0
		.amdhsa_uses_dynamic_stack 0
		.amdhsa_system_sgpr_private_segment_wavefront_offset 0
		.amdhsa_system_sgpr_workgroup_id_x 1
		.amdhsa_system_sgpr_workgroup_id_y 0
		.amdhsa_system_sgpr_workgroup_id_z 0
		.amdhsa_system_sgpr_workgroup_info 0
		.amdhsa_system_vgpr_workitem_id 0
		.amdhsa_next_free_vgpr 1
		.amdhsa_next_free_sgpr 0
		.amdhsa_reserve_vcc 0
		.amdhsa_reserve_flat_scratch 0
		.amdhsa_float_round_mode_32 0
		.amdhsa_float_round_mode_16_64 0
		.amdhsa_float_denorm_mode_32 3
		.amdhsa_float_denorm_mode_16_64 3
		.amdhsa_dx10_clamp 1
		.amdhsa_ieee_mode 1
		.amdhsa_fp16_overflow 0
		.amdhsa_exception_fp_ieee_invalid_op 0
		.amdhsa_exception_fp_denorm_src 0
		.amdhsa_exception_fp_ieee_div_zero 0
		.amdhsa_exception_fp_ieee_overflow 0
		.amdhsa_exception_fp_ieee_underflow 0
		.amdhsa_exception_fp_ieee_inexact 0
		.amdhsa_exception_int_div_zero 0
	.end_amdhsa_kernel
	.section	.text._ZN7rocprim17ROCPRIM_400000_NS6detail17trampoline_kernelINS0_14default_configENS1_22reduce_config_selectorIlEEZNS1_11reduce_implILb1ES3_N6thrust23THRUST_200600_302600_NS11hip_rocprim26transform_input_iterator_tIlNS8_12zip_iteratorINS8_5tupleINS8_6detail15normal_iteratorINS8_10device_ptrIfEEEESH_NS8_9null_typeESI_SI_SI_SI_SI_SI_SI_EEEENS9_21zip_adj_not_predicateINS8_8equal_toIfEEEEEEPllNS8_4plusIlEEEE10hipError_tPvRmT1_T2_T3_mT4_P12ihipStream_tbEUlT_E0_NS1_11comp_targetILNS1_3genE9ELNS1_11target_archE1100ELNS1_3gpuE3ELNS1_3repE0EEENS1_30default_config_static_selectorELNS0_4arch9wavefront6targetE1EEEvSW_,"axG",@progbits,_ZN7rocprim17ROCPRIM_400000_NS6detail17trampoline_kernelINS0_14default_configENS1_22reduce_config_selectorIlEEZNS1_11reduce_implILb1ES3_N6thrust23THRUST_200600_302600_NS11hip_rocprim26transform_input_iterator_tIlNS8_12zip_iteratorINS8_5tupleINS8_6detail15normal_iteratorINS8_10device_ptrIfEEEESH_NS8_9null_typeESI_SI_SI_SI_SI_SI_SI_EEEENS9_21zip_adj_not_predicateINS8_8equal_toIfEEEEEEPllNS8_4plusIlEEEE10hipError_tPvRmT1_T2_T3_mT4_P12ihipStream_tbEUlT_E0_NS1_11comp_targetILNS1_3genE9ELNS1_11target_archE1100ELNS1_3gpuE3ELNS1_3repE0EEENS1_30default_config_static_selectorELNS0_4arch9wavefront6targetE1EEEvSW_,comdat
.Lfunc_end786:
	.size	_ZN7rocprim17ROCPRIM_400000_NS6detail17trampoline_kernelINS0_14default_configENS1_22reduce_config_selectorIlEEZNS1_11reduce_implILb1ES3_N6thrust23THRUST_200600_302600_NS11hip_rocprim26transform_input_iterator_tIlNS8_12zip_iteratorINS8_5tupleINS8_6detail15normal_iteratorINS8_10device_ptrIfEEEESH_NS8_9null_typeESI_SI_SI_SI_SI_SI_SI_EEEENS9_21zip_adj_not_predicateINS8_8equal_toIfEEEEEEPllNS8_4plusIlEEEE10hipError_tPvRmT1_T2_T3_mT4_P12ihipStream_tbEUlT_E0_NS1_11comp_targetILNS1_3genE9ELNS1_11target_archE1100ELNS1_3gpuE3ELNS1_3repE0EEENS1_30default_config_static_selectorELNS0_4arch9wavefront6targetE1EEEvSW_, .Lfunc_end786-_ZN7rocprim17ROCPRIM_400000_NS6detail17trampoline_kernelINS0_14default_configENS1_22reduce_config_selectorIlEEZNS1_11reduce_implILb1ES3_N6thrust23THRUST_200600_302600_NS11hip_rocprim26transform_input_iterator_tIlNS8_12zip_iteratorINS8_5tupleINS8_6detail15normal_iteratorINS8_10device_ptrIfEEEESH_NS8_9null_typeESI_SI_SI_SI_SI_SI_SI_EEEENS9_21zip_adj_not_predicateINS8_8equal_toIfEEEEEEPllNS8_4plusIlEEEE10hipError_tPvRmT1_T2_T3_mT4_P12ihipStream_tbEUlT_E0_NS1_11comp_targetILNS1_3genE9ELNS1_11target_archE1100ELNS1_3gpuE3ELNS1_3repE0EEENS1_30default_config_static_selectorELNS0_4arch9wavefront6targetE1EEEvSW_
                                        ; -- End function
	.set _ZN7rocprim17ROCPRIM_400000_NS6detail17trampoline_kernelINS0_14default_configENS1_22reduce_config_selectorIlEEZNS1_11reduce_implILb1ES3_N6thrust23THRUST_200600_302600_NS11hip_rocprim26transform_input_iterator_tIlNS8_12zip_iteratorINS8_5tupleINS8_6detail15normal_iteratorINS8_10device_ptrIfEEEESH_NS8_9null_typeESI_SI_SI_SI_SI_SI_SI_EEEENS9_21zip_adj_not_predicateINS8_8equal_toIfEEEEEEPllNS8_4plusIlEEEE10hipError_tPvRmT1_T2_T3_mT4_P12ihipStream_tbEUlT_E0_NS1_11comp_targetILNS1_3genE9ELNS1_11target_archE1100ELNS1_3gpuE3ELNS1_3repE0EEENS1_30default_config_static_selectorELNS0_4arch9wavefront6targetE1EEEvSW_.num_vgpr, 0
	.set _ZN7rocprim17ROCPRIM_400000_NS6detail17trampoline_kernelINS0_14default_configENS1_22reduce_config_selectorIlEEZNS1_11reduce_implILb1ES3_N6thrust23THRUST_200600_302600_NS11hip_rocprim26transform_input_iterator_tIlNS8_12zip_iteratorINS8_5tupleINS8_6detail15normal_iteratorINS8_10device_ptrIfEEEESH_NS8_9null_typeESI_SI_SI_SI_SI_SI_SI_EEEENS9_21zip_adj_not_predicateINS8_8equal_toIfEEEEEEPllNS8_4plusIlEEEE10hipError_tPvRmT1_T2_T3_mT4_P12ihipStream_tbEUlT_E0_NS1_11comp_targetILNS1_3genE9ELNS1_11target_archE1100ELNS1_3gpuE3ELNS1_3repE0EEENS1_30default_config_static_selectorELNS0_4arch9wavefront6targetE1EEEvSW_.num_agpr, 0
	.set _ZN7rocprim17ROCPRIM_400000_NS6detail17trampoline_kernelINS0_14default_configENS1_22reduce_config_selectorIlEEZNS1_11reduce_implILb1ES3_N6thrust23THRUST_200600_302600_NS11hip_rocprim26transform_input_iterator_tIlNS8_12zip_iteratorINS8_5tupleINS8_6detail15normal_iteratorINS8_10device_ptrIfEEEESH_NS8_9null_typeESI_SI_SI_SI_SI_SI_SI_EEEENS9_21zip_adj_not_predicateINS8_8equal_toIfEEEEEEPllNS8_4plusIlEEEE10hipError_tPvRmT1_T2_T3_mT4_P12ihipStream_tbEUlT_E0_NS1_11comp_targetILNS1_3genE9ELNS1_11target_archE1100ELNS1_3gpuE3ELNS1_3repE0EEENS1_30default_config_static_selectorELNS0_4arch9wavefront6targetE1EEEvSW_.numbered_sgpr, 0
	.set _ZN7rocprim17ROCPRIM_400000_NS6detail17trampoline_kernelINS0_14default_configENS1_22reduce_config_selectorIlEEZNS1_11reduce_implILb1ES3_N6thrust23THRUST_200600_302600_NS11hip_rocprim26transform_input_iterator_tIlNS8_12zip_iteratorINS8_5tupleINS8_6detail15normal_iteratorINS8_10device_ptrIfEEEESH_NS8_9null_typeESI_SI_SI_SI_SI_SI_SI_EEEENS9_21zip_adj_not_predicateINS8_8equal_toIfEEEEEEPllNS8_4plusIlEEEE10hipError_tPvRmT1_T2_T3_mT4_P12ihipStream_tbEUlT_E0_NS1_11comp_targetILNS1_3genE9ELNS1_11target_archE1100ELNS1_3gpuE3ELNS1_3repE0EEENS1_30default_config_static_selectorELNS0_4arch9wavefront6targetE1EEEvSW_.num_named_barrier, 0
	.set _ZN7rocprim17ROCPRIM_400000_NS6detail17trampoline_kernelINS0_14default_configENS1_22reduce_config_selectorIlEEZNS1_11reduce_implILb1ES3_N6thrust23THRUST_200600_302600_NS11hip_rocprim26transform_input_iterator_tIlNS8_12zip_iteratorINS8_5tupleINS8_6detail15normal_iteratorINS8_10device_ptrIfEEEESH_NS8_9null_typeESI_SI_SI_SI_SI_SI_SI_EEEENS9_21zip_adj_not_predicateINS8_8equal_toIfEEEEEEPllNS8_4plusIlEEEE10hipError_tPvRmT1_T2_T3_mT4_P12ihipStream_tbEUlT_E0_NS1_11comp_targetILNS1_3genE9ELNS1_11target_archE1100ELNS1_3gpuE3ELNS1_3repE0EEENS1_30default_config_static_selectorELNS0_4arch9wavefront6targetE1EEEvSW_.private_seg_size, 0
	.set _ZN7rocprim17ROCPRIM_400000_NS6detail17trampoline_kernelINS0_14default_configENS1_22reduce_config_selectorIlEEZNS1_11reduce_implILb1ES3_N6thrust23THRUST_200600_302600_NS11hip_rocprim26transform_input_iterator_tIlNS8_12zip_iteratorINS8_5tupleINS8_6detail15normal_iteratorINS8_10device_ptrIfEEEESH_NS8_9null_typeESI_SI_SI_SI_SI_SI_SI_EEEENS9_21zip_adj_not_predicateINS8_8equal_toIfEEEEEEPllNS8_4plusIlEEEE10hipError_tPvRmT1_T2_T3_mT4_P12ihipStream_tbEUlT_E0_NS1_11comp_targetILNS1_3genE9ELNS1_11target_archE1100ELNS1_3gpuE3ELNS1_3repE0EEENS1_30default_config_static_selectorELNS0_4arch9wavefront6targetE1EEEvSW_.uses_vcc, 0
	.set _ZN7rocprim17ROCPRIM_400000_NS6detail17trampoline_kernelINS0_14default_configENS1_22reduce_config_selectorIlEEZNS1_11reduce_implILb1ES3_N6thrust23THRUST_200600_302600_NS11hip_rocprim26transform_input_iterator_tIlNS8_12zip_iteratorINS8_5tupleINS8_6detail15normal_iteratorINS8_10device_ptrIfEEEESH_NS8_9null_typeESI_SI_SI_SI_SI_SI_SI_EEEENS9_21zip_adj_not_predicateINS8_8equal_toIfEEEEEEPllNS8_4plusIlEEEE10hipError_tPvRmT1_T2_T3_mT4_P12ihipStream_tbEUlT_E0_NS1_11comp_targetILNS1_3genE9ELNS1_11target_archE1100ELNS1_3gpuE3ELNS1_3repE0EEENS1_30default_config_static_selectorELNS0_4arch9wavefront6targetE1EEEvSW_.uses_flat_scratch, 0
	.set _ZN7rocprim17ROCPRIM_400000_NS6detail17trampoline_kernelINS0_14default_configENS1_22reduce_config_selectorIlEEZNS1_11reduce_implILb1ES3_N6thrust23THRUST_200600_302600_NS11hip_rocprim26transform_input_iterator_tIlNS8_12zip_iteratorINS8_5tupleINS8_6detail15normal_iteratorINS8_10device_ptrIfEEEESH_NS8_9null_typeESI_SI_SI_SI_SI_SI_SI_EEEENS9_21zip_adj_not_predicateINS8_8equal_toIfEEEEEEPllNS8_4plusIlEEEE10hipError_tPvRmT1_T2_T3_mT4_P12ihipStream_tbEUlT_E0_NS1_11comp_targetILNS1_3genE9ELNS1_11target_archE1100ELNS1_3gpuE3ELNS1_3repE0EEENS1_30default_config_static_selectorELNS0_4arch9wavefront6targetE1EEEvSW_.has_dyn_sized_stack, 0
	.set _ZN7rocprim17ROCPRIM_400000_NS6detail17trampoline_kernelINS0_14default_configENS1_22reduce_config_selectorIlEEZNS1_11reduce_implILb1ES3_N6thrust23THRUST_200600_302600_NS11hip_rocprim26transform_input_iterator_tIlNS8_12zip_iteratorINS8_5tupleINS8_6detail15normal_iteratorINS8_10device_ptrIfEEEESH_NS8_9null_typeESI_SI_SI_SI_SI_SI_SI_EEEENS9_21zip_adj_not_predicateINS8_8equal_toIfEEEEEEPllNS8_4plusIlEEEE10hipError_tPvRmT1_T2_T3_mT4_P12ihipStream_tbEUlT_E0_NS1_11comp_targetILNS1_3genE9ELNS1_11target_archE1100ELNS1_3gpuE3ELNS1_3repE0EEENS1_30default_config_static_selectorELNS0_4arch9wavefront6targetE1EEEvSW_.has_recursion, 0
	.set _ZN7rocprim17ROCPRIM_400000_NS6detail17trampoline_kernelINS0_14default_configENS1_22reduce_config_selectorIlEEZNS1_11reduce_implILb1ES3_N6thrust23THRUST_200600_302600_NS11hip_rocprim26transform_input_iterator_tIlNS8_12zip_iteratorINS8_5tupleINS8_6detail15normal_iteratorINS8_10device_ptrIfEEEESH_NS8_9null_typeESI_SI_SI_SI_SI_SI_SI_EEEENS9_21zip_adj_not_predicateINS8_8equal_toIfEEEEEEPllNS8_4plusIlEEEE10hipError_tPvRmT1_T2_T3_mT4_P12ihipStream_tbEUlT_E0_NS1_11comp_targetILNS1_3genE9ELNS1_11target_archE1100ELNS1_3gpuE3ELNS1_3repE0EEENS1_30default_config_static_selectorELNS0_4arch9wavefront6targetE1EEEvSW_.has_indirect_call, 0
	.section	.AMDGPU.csdata,"",@progbits
; Kernel info:
; codeLenInByte = 0
; TotalNumSgprs: 4
; NumVgprs: 0
; ScratchSize: 0
; MemoryBound: 0
; FloatMode: 240
; IeeeMode: 1
; LDSByteSize: 0 bytes/workgroup (compile time only)
; SGPRBlocks: 0
; VGPRBlocks: 0
; NumSGPRsForWavesPerEU: 4
; NumVGPRsForWavesPerEU: 1
; Occupancy: 10
; WaveLimiterHint : 0
; COMPUTE_PGM_RSRC2:SCRATCH_EN: 0
; COMPUTE_PGM_RSRC2:USER_SGPR: 6
; COMPUTE_PGM_RSRC2:TRAP_HANDLER: 0
; COMPUTE_PGM_RSRC2:TGID_X_EN: 1
; COMPUTE_PGM_RSRC2:TGID_Y_EN: 0
; COMPUTE_PGM_RSRC2:TGID_Z_EN: 0
; COMPUTE_PGM_RSRC2:TIDIG_COMP_CNT: 0
	.section	.text._ZN7rocprim17ROCPRIM_400000_NS6detail17trampoline_kernelINS0_14default_configENS1_22reduce_config_selectorIlEEZNS1_11reduce_implILb1ES3_N6thrust23THRUST_200600_302600_NS11hip_rocprim26transform_input_iterator_tIlNS8_12zip_iteratorINS8_5tupleINS8_6detail15normal_iteratorINS8_10device_ptrIfEEEESH_NS8_9null_typeESI_SI_SI_SI_SI_SI_SI_EEEENS9_21zip_adj_not_predicateINS8_8equal_toIfEEEEEEPllNS8_4plusIlEEEE10hipError_tPvRmT1_T2_T3_mT4_P12ihipStream_tbEUlT_E0_NS1_11comp_targetILNS1_3genE8ELNS1_11target_archE1030ELNS1_3gpuE2ELNS1_3repE0EEENS1_30default_config_static_selectorELNS0_4arch9wavefront6targetE1EEEvSW_,"axG",@progbits,_ZN7rocprim17ROCPRIM_400000_NS6detail17trampoline_kernelINS0_14default_configENS1_22reduce_config_selectorIlEEZNS1_11reduce_implILb1ES3_N6thrust23THRUST_200600_302600_NS11hip_rocprim26transform_input_iterator_tIlNS8_12zip_iteratorINS8_5tupleINS8_6detail15normal_iteratorINS8_10device_ptrIfEEEESH_NS8_9null_typeESI_SI_SI_SI_SI_SI_SI_EEEENS9_21zip_adj_not_predicateINS8_8equal_toIfEEEEEEPllNS8_4plusIlEEEE10hipError_tPvRmT1_T2_T3_mT4_P12ihipStream_tbEUlT_E0_NS1_11comp_targetILNS1_3genE8ELNS1_11target_archE1030ELNS1_3gpuE2ELNS1_3repE0EEENS1_30default_config_static_selectorELNS0_4arch9wavefront6targetE1EEEvSW_,comdat
	.protected	_ZN7rocprim17ROCPRIM_400000_NS6detail17trampoline_kernelINS0_14default_configENS1_22reduce_config_selectorIlEEZNS1_11reduce_implILb1ES3_N6thrust23THRUST_200600_302600_NS11hip_rocprim26transform_input_iterator_tIlNS8_12zip_iteratorINS8_5tupleINS8_6detail15normal_iteratorINS8_10device_ptrIfEEEESH_NS8_9null_typeESI_SI_SI_SI_SI_SI_SI_EEEENS9_21zip_adj_not_predicateINS8_8equal_toIfEEEEEEPllNS8_4plusIlEEEE10hipError_tPvRmT1_T2_T3_mT4_P12ihipStream_tbEUlT_E0_NS1_11comp_targetILNS1_3genE8ELNS1_11target_archE1030ELNS1_3gpuE2ELNS1_3repE0EEENS1_30default_config_static_selectorELNS0_4arch9wavefront6targetE1EEEvSW_ ; -- Begin function _ZN7rocprim17ROCPRIM_400000_NS6detail17trampoline_kernelINS0_14default_configENS1_22reduce_config_selectorIlEEZNS1_11reduce_implILb1ES3_N6thrust23THRUST_200600_302600_NS11hip_rocprim26transform_input_iterator_tIlNS8_12zip_iteratorINS8_5tupleINS8_6detail15normal_iteratorINS8_10device_ptrIfEEEESH_NS8_9null_typeESI_SI_SI_SI_SI_SI_SI_EEEENS9_21zip_adj_not_predicateINS8_8equal_toIfEEEEEEPllNS8_4plusIlEEEE10hipError_tPvRmT1_T2_T3_mT4_P12ihipStream_tbEUlT_E0_NS1_11comp_targetILNS1_3genE8ELNS1_11target_archE1030ELNS1_3gpuE2ELNS1_3repE0EEENS1_30default_config_static_selectorELNS0_4arch9wavefront6targetE1EEEvSW_
	.globl	_ZN7rocprim17ROCPRIM_400000_NS6detail17trampoline_kernelINS0_14default_configENS1_22reduce_config_selectorIlEEZNS1_11reduce_implILb1ES3_N6thrust23THRUST_200600_302600_NS11hip_rocprim26transform_input_iterator_tIlNS8_12zip_iteratorINS8_5tupleINS8_6detail15normal_iteratorINS8_10device_ptrIfEEEESH_NS8_9null_typeESI_SI_SI_SI_SI_SI_SI_EEEENS9_21zip_adj_not_predicateINS8_8equal_toIfEEEEEEPllNS8_4plusIlEEEE10hipError_tPvRmT1_T2_T3_mT4_P12ihipStream_tbEUlT_E0_NS1_11comp_targetILNS1_3genE8ELNS1_11target_archE1030ELNS1_3gpuE2ELNS1_3repE0EEENS1_30default_config_static_selectorELNS0_4arch9wavefront6targetE1EEEvSW_
	.p2align	8
	.type	_ZN7rocprim17ROCPRIM_400000_NS6detail17trampoline_kernelINS0_14default_configENS1_22reduce_config_selectorIlEEZNS1_11reduce_implILb1ES3_N6thrust23THRUST_200600_302600_NS11hip_rocprim26transform_input_iterator_tIlNS8_12zip_iteratorINS8_5tupleINS8_6detail15normal_iteratorINS8_10device_ptrIfEEEESH_NS8_9null_typeESI_SI_SI_SI_SI_SI_SI_EEEENS9_21zip_adj_not_predicateINS8_8equal_toIfEEEEEEPllNS8_4plusIlEEEE10hipError_tPvRmT1_T2_T3_mT4_P12ihipStream_tbEUlT_E0_NS1_11comp_targetILNS1_3genE8ELNS1_11target_archE1030ELNS1_3gpuE2ELNS1_3repE0EEENS1_30default_config_static_selectorELNS0_4arch9wavefront6targetE1EEEvSW_,@function
_ZN7rocprim17ROCPRIM_400000_NS6detail17trampoline_kernelINS0_14default_configENS1_22reduce_config_selectorIlEEZNS1_11reduce_implILb1ES3_N6thrust23THRUST_200600_302600_NS11hip_rocprim26transform_input_iterator_tIlNS8_12zip_iteratorINS8_5tupleINS8_6detail15normal_iteratorINS8_10device_ptrIfEEEESH_NS8_9null_typeESI_SI_SI_SI_SI_SI_SI_EEEENS9_21zip_adj_not_predicateINS8_8equal_toIfEEEEEEPllNS8_4plusIlEEEE10hipError_tPvRmT1_T2_T3_mT4_P12ihipStream_tbEUlT_E0_NS1_11comp_targetILNS1_3genE8ELNS1_11target_archE1030ELNS1_3gpuE2ELNS1_3repE0EEENS1_30default_config_static_selectorELNS0_4arch9wavefront6targetE1EEEvSW_: ; @_ZN7rocprim17ROCPRIM_400000_NS6detail17trampoline_kernelINS0_14default_configENS1_22reduce_config_selectorIlEEZNS1_11reduce_implILb1ES3_N6thrust23THRUST_200600_302600_NS11hip_rocprim26transform_input_iterator_tIlNS8_12zip_iteratorINS8_5tupleINS8_6detail15normal_iteratorINS8_10device_ptrIfEEEESH_NS8_9null_typeESI_SI_SI_SI_SI_SI_SI_EEEENS9_21zip_adj_not_predicateINS8_8equal_toIfEEEEEEPllNS8_4plusIlEEEE10hipError_tPvRmT1_T2_T3_mT4_P12ihipStream_tbEUlT_E0_NS1_11comp_targetILNS1_3genE8ELNS1_11target_archE1030ELNS1_3gpuE2ELNS1_3repE0EEENS1_30default_config_static_selectorELNS0_4arch9wavefront6targetE1EEEvSW_
; %bb.0:
	.section	.rodata,"a",@progbits
	.p2align	6, 0x0
	.amdhsa_kernel _ZN7rocprim17ROCPRIM_400000_NS6detail17trampoline_kernelINS0_14default_configENS1_22reduce_config_selectorIlEEZNS1_11reduce_implILb1ES3_N6thrust23THRUST_200600_302600_NS11hip_rocprim26transform_input_iterator_tIlNS8_12zip_iteratorINS8_5tupleINS8_6detail15normal_iteratorINS8_10device_ptrIfEEEESH_NS8_9null_typeESI_SI_SI_SI_SI_SI_SI_EEEENS9_21zip_adj_not_predicateINS8_8equal_toIfEEEEEEPllNS8_4plusIlEEEE10hipError_tPvRmT1_T2_T3_mT4_P12ihipStream_tbEUlT_E0_NS1_11comp_targetILNS1_3genE8ELNS1_11target_archE1030ELNS1_3gpuE2ELNS1_3repE0EEENS1_30default_config_static_selectorELNS0_4arch9wavefront6targetE1EEEvSW_
		.amdhsa_group_segment_fixed_size 0
		.amdhsa_private_segment_fixed_size 0
		.amdhsa_kernarg_size 80
		.amdhsa_user_sgpr_count 6
		.amdhsa_user_sgpr_private_segment_buffer 1
		.amdhsa_user_sgpr_dispatch_ptr 0
		.amdhsa_user_sgpr_queue_ptr 0
		.amdhsa_user_sgpr_kernarg_segment_ptr 1
		.amdhsa_user_sgpr_dispatch_id 0
		.amdhsa_user_sgpr_flat_scratch_init 0
		.amdhsa_user_sgpr_private_segment_size 0
		.amdhsa_uses_dynamic_stack 0
		.amdhsa_system_sgpr_private_segment_wavefront_offset 0
		.amdhsa_system_sgpr_workgroup_id_x 1
		.amdhsa_system_sgpr_workgroup_id_y 0
		.amdhsa_system_sgpr_workgroup_id_z 0
		.amdhsa_system_sgpr_workgroup_info 0
		.amdhsa_system_vgpr_workitem_id 0
		.amdhsa_next_free_vgpr 1
		.amdhsa_next_free_sgpr 0
		.amdhsa_reserve_vcc 0
		.amdhsa_reserve_flat_scratch 0
		.amdhsa_float_round_mode_32 0
		.amdhsa_float_round_mode_16_64 0
		.amdhsa_float_denorm_mode_32 3
		.amdhsa_float_denorm_mode_16_64 3
		.amdhsa_dx10_clamp 1
		.amdhsa_ieee_mode 1
		.amdhsa_fp16_overflow 0
		.amdhsa_exception_fp_ieee_invalid_op 0
		.amdhsa_exception_fp_denorm_src 0
		.amdhsa_exception_fp_ieee_div_zero 0
		.amdhsa_exception_fp_ieee_overflow 0
		.amdhsa_exception_fp_ieee_underflow 0
		.amdhsa_exception_fp_ieee_inexact 0
		.amdhsa_exception_int_div_zero 0
	.end_amdhsa_kernel
	.section	.text._ZN7rocprim17ROCPRIM_400000_NS6detail17trampoline_kernelINS0_14default_configENS1_22reduce_config_selectorIlEEZNS1_11reduce_implILb1ES3_N6thrust23THRUST_200600_302600_NS11hip_rocprim26transform_input_iterator_tIlNS8_12zip_iteratorINS8_5tupleINS8_6detail15normal_iteratorINS8_10device_ptrIfEEEESH_NS8_9null_typeESI_SI_SI_SI_SI_SI_SI_EEEENS9_21zip_adj_not_predicateINS8_8equal_toIfEEEEEEPllNS8_4plusIlEEEE10hipError_tPvRmT1_T2_T3_mT4_P12ihipStream_tbEUlT_E0_NS1_11comp_targetILNS1_3genE8ELNS1_11target_archE1030ELNS1_3gpuE2ELNS1_3repE0EEENS1_30default_config_static_selectorELNS0_4arch9wavefront6targetE1EEEvSW_,"axG",@progbits,_ZN7rocprim17ROCPRIM_400000_NS6detail17trampoline_kernelINS0_14default_configENS1_22reduce_config_selectorIlEEZNS1_11reduce_implILb1ES3_N6thrust23THRUST_200600_302600_NS11hip_rocprim26transform_input_iterator_tIlNS8_12zip_iteratorINS8_5tupleINS8_6detail15normal_iteratorINS8_10device_ptrIfEEEESH_NS8_9null_typeESI_SI_SI_SI_SI_SI_SI_EEEENS9_21zip_adj_not_predicateINS8_8equal_toIfEEEEEEPllNS8_4plusIlEEEE10hipError_tPvRmT1_T2_T3_mT4_P12ihipStream_tbEUlT_E0_NS1_11comp_targetILNS1_3genE8ELNS1_11target_archE1030ELNS1_3gpuE2ELNS1_3repE0EEENS1_30default_config_static_selectorELNS0_4arch9wavefront6targetE1EEEvSW_,comdat
.Lfunc_end787:
	.size	_ZN7rocprim17ROCPRIM_400000_NS6detail17trampoline_kernelINS0_14default_configENS1_22reduce_config_selectorIlEEZNS1_11reduce_implILb1ES3_N6thrust23THRUST_200600_302600_NS11hip_rocprim26transform_input_iterator_tIlNS8_12zip_iteratorINS8_5tupleINS8_6detail15normal_iteratorINS8_10device_ptrIfEEEESH_NS8_9null_typeESI_SI_SI_SI_SI_SI_SI_EEEENS9_21zip_adj_not_predicateINS8_8equal_toIfEEEEEEPllNS8_4plusIlEEEE10hipError_tPvRmT1_T2_T3_mT4_P12ihipStream_tbEUlT_E0_NS1_11comp_targetILNS1_3genE8ELNS1_11target_archE1030ELNS1_3gpuE2ELNS1_3repE0EEENS1_30default_config_static_selectorELNS0_4arch9wavefront6targetE1EEEvSW_, .Lfunc_end787-_ZN7rocprim17ROCPRIM_400000_NS6detail17trampoline_kernelINS0_14default_configENS1_22reduce_config_selectorIlEEZNS1_11reduce_implILb1ES3_N6thrust23THRUST_200600_302600_NS11hip_rocprim26transform_input_iterator_tIlNS8_12zip_iteratorINS8_5tupleINS8_6detail15normal_iteratorINS8_10device_ptrIfEEEESH_NS8_9null_typeESI_SI_SI_SI_SI_SI_SI_EEEENS9_21zip_adj_not_predicateINS8_8equal_toIfEEEEEEPllNS8_4plusIlEEEE10hipError_tPvRmT1_T2_T3_mT4_P12ihipStream_tbEUlT_E0_NS1_11comp_targetILNS1_3genE8ELNS1_11target_archE1030ELNS1_3gpuE2ELNS1_3repE0EEENS1_30default_config_static_selectorELNS0_4arch9wavefront6targetE1EEEvSW_
                                        ; -- End function
	.set _ZN7rocprim17ROCPRIM_400000_NS6detail17trampoline_kernelINS0_14default_configENS1_22reduce_config_selectorIlEEZNS1_11reduce_implILb1ES3_N6thrust23THRUST_200600_302600_NS11hip_rocprim26transform_input_iterator_tIlNS8_12zip_iteratorINS8_5tupleINS8_6detail15normal_iteratorINS8_10device_ptrIfEEEESH_NS8_9null_typeESI_SI_SI_SI_SI_SI_SI_EEEENS9_21zip_adj_not_predicateINS8_8equal_toIfEEEEEEPllNS8_4plusIlEEEE10hipError_tPvRmT1_T2_T3_mT4_P12ihipStream_tbEUlT_E0_NS1_11comp_targetILNS1_3genE8ELNS1_11target_archE1030ELNS1_3gpuE2ELNS1_3repE0EEENS1_30default_config_static_selectorELNS0_4arch9wavefront6targetE1EEEvSW_.num_vgpr, 0
	.set _ZN7rocprim17ROCPRIM_400000_NS6detail17trampoline_kernelINS0_14default_configENS1_22reduce_config_selectorIlEEZNS1_11reduce_implILb1ES3_N6thrust23THRUST_200600_302600_NS11hip_rocprim26transform_input_iterator_tIlNS8_12zip_iteratorINS8_5tupleINS8_6detail15normal_iteratorINS8_10device_ptrIfEEEESH_NS8_9null_typeESI_SI_SI_SI_SI_SI_SI_EEEENS9_21zip_adj_not_predicateINS8_8equal_toIfEEEEEEPllNS8_4plusIlEEEE10hipError_tPvRmT1_T2_T3_mT4_P12ihipStream_tbEUlT_E0_NS1_11comp_targetILNS1_3genE8ELNS1_11target_archE1030ELNS1_3gpuE2ELNS1_3repE0EEENS1_30default_config_static_selectorELNS0_4arch9wavefront6targetE1EEEvSW_.num_agpr, 0
	.set _ZN7rocprim17ROCPRIM_400000_NS6detail17trampoline_kernelINS0_14default_configENS1_22reduce_config_selectorIlEEZNS1_11reduce_implILb1ES3_N6thrust23THRUST_200600_302600_NS11hip_rocprim26transform_input_iterator_tIlNS8_12zip_iteratorINS8_5tupleINS8_6detail15normal_iteratorINS8_10device_ptrIfEEEESH_NS8_9null_typeESI_SI_SI_SI_SI_SI_SI_EEEENS9_21zip_adj_not_predicateINS8_8equal_toIfEEEEEEPllNS8_4plusIlEEEE10hipError_tPvRmT1_T2_T3_mT4_P12ihipStream_tbEUlT_E0_NS1_11comp_targetILNS1_3genE8ELNS1_11target_archE1030ELNS1_3gpuE2ELNS1_3repE0EEENS1_30default_config_static_selectorELNS0_4arch9wavefront6targetE1EEEvSW_.numbered_sgpr, 0
	.set _ZN7rocprim17ROCPRIM_400000_NS6detail17trampoline_kernelINS0_14default_configENS1_22reduce_config_selectorIlEEZNS1_11reduce_implILb1ES3_N6thrust23THRUST_200600_302600_NS11hip_rocprim26transform_input_iterator_tIlNS8_12zip_iteratorINS8_5tupleINS8_6detail15normal_iteratorINS8_10device_ptrIfEEEESH_NS8_9null_typeESI_SI_SI_SI_SI_SI_SI_EEEENS9_21zip_adj_not_predicateINS8_8equal_toIfEEEEEEPllNS8_4plusIlEEEE10hipError_tPvRmT1_T2_T3_mT4_P12ihipStream_tbEUlT_E0_NS1_11comp_targetILNS1_3genE8ELNS1_11target_archE1030ELNS1_3gpuE2ELNS1_3repE0EEENS1_30default_config_static_selectorELNS0_4arch9wavefront6targetE1EEEvSW_.num_named_barrier, 0
	.set _ZN7rocprim17ROCPRIM_400000_NS6detail17trampoline_kernelINS0_14default_configENS1_22reduce_config_selectorIlEEZNS1_11reduce_implILb1ES3_N6thrust23THRUST_200600_302600_NS11hip_rocprim26transform_input_iterator_tIlNS8_12zip_iteratorINS8_5tupleINS8_6detail15normal_iteratorINS8_10device_ptrIfEEEESH_NS8_9null_typeESI_SI_SI_SI_SI_SI_SI_EEEENS9_21zip_adj_not_predicateINS8_8equal_toIfEEEEEEPllNS8_4plusIlEEEE10hipError_tPvRmT1_T2_T3_mT4_P12ihipStream_tbEUlT_E0_NS1_11comp_targetILNS1_3genE8ELNS1_11target_archE1030ELNS1_3gpuE2ELNS1_3repE0EEENS1_30default_config_static_selectorELNS0_4arch9wavefront6targetE1EEEvSW_.private_seg_size, 0
	.set _ZN7rocprim17ROCPRIM_400000_NS6detail17trampoline_kernelINS0_14default_configENS1_22reduce_config_selectorIlEEZNS1_11reduce_implILb1ES3_N6thrust23THRUST_200600_302600_NS11hip_rocprim26transform_input_iterator_tIlNS8_12zip_iteratorINS8_5tupleINS8_6detail15normal_iteratorINS8_10device_ptrIfEEEESH_NS8_9null_typeESI_SI_SI_SI_SI_SI_SI_EEEENS9_21zip_adj_not_predicateINS8_8equal_toIfEEEEEEPllNS8_4plusIlEEEE10hipError_tPvRmT1_T2_T3_mT4_P12ihipStream_tbEUlT_E0_NS1_11comp_targetILNS1_3genE8ELNS1_11target_archE1030ELNS1_3gpuE2ELNS1_3repE0EEENS1_30default_config_static_selectorELNS0_4arch9wavefront6targetE1EEEvSW_.uses_vcc, 0
	.set _ZN7rocprim17ROCPRIM_400000_NS6detail17trampoline_kernelINS0_14default_configENS1_22reduce_config_selectorIlEEZNS1_11reduce_implILb1ES3_N6thrust23THRUST_200600_302600_NS11hip_rocprim26transform_input_iterator_tIlNS8_12zip_iteratorINS8_5tupleINS8_6detail15normal_iteratorINS8_10device_ptrIfEEEESH_NS8_9null_typeESI_SI_SI_SI_SI_SI_SI_EEEENS9_21zip_adj_not_predicateINS8_8equal_toIfEEEEEEPllNS8_4plusIlEEEE10hipError_tPvRmT1_T2_T3_mT4_P12ihipStream_tbEUlT_E0_NS1_11comp_targetILNS1_3genE8ELNS1_11target_archE1030ELNS1_3gpuE2ELNS1_3repE0EEENS1_30default_config_static_selectorELNS0_4arch9wavefront6targetE1EEEvSW_.uses_flat_scratch, 0
	.set _ZN7rocprim17ROCPRIM_400000_NS6detail17trampoline_kernelINS0_14default_configENS1_22reduce_config_selectorIlEEZNS1_11reduce_implILb1ES3_N6thrust23THRUST_200600_302600_NS11hip_rocprim26transform_input_iterator_tIlNS8_12zip_iteratorINS8_5tupleINS8_6detail15normal_iteratorINS8_10device_ptrIfEEEESH_NS8_9null_typeESI_SI_SI_SI_SI_SI_SI_EEEENS9_21zip_adj_not_predicateINS8_8equal_toIfEEEEEEPllNS8_4plusIlEEEE10hipError_tPvRmT1_T2_T3_mT4_P12ihipStream_tbEUlT_E0_NS1_11comp_targetILNS1_3genE8ELNS1_11target_archE1030ELNS1_3gpuE2ELNS1_3repE0EEENS1_30default_config_static_selectorELNS0_4arch9wavefront6targetE1EEEvSW_.has_dyn_sized_stack, 0
	.set _ZN7rocprim17ROCPRIM_400000_NS6detail17trampoline_kernelINS0_14default_configENS1_22reduce_config_selectorIlEEZNS1_11reduce_implILb1ES3_N6thrust23THRUST_200600_302600_NS11hip_rocprim26transform_input_iterator_tIlNS8_12zip_iteratorINS8_5tupleINS8_6detail15normal_iteratorINS8_10device_ptrIfEEEESH_NS8_9null_typeESI_SI_SI_SI_SI_SI_SI_EEEENS9_21zip_adj_not_predicateINS8_8equal_toIfEEEEEEPllNS8_4plusIlEEEE10hipError_tPvRmT1_T2_T3_mT4_P12ihipStream_tbEUlT_E0_NS1_11comp_targetILNS1_3genE8ELNS1_11target_archE1030ELNS1_3gpuE2ELNS1_3repE0EEENS1_30default_config_static_selectorELNS0_4arch9wavefront6targetE1EEEvSW_.has_recursion, 0
	.set _ZN7rocprim17ROCPRIM_400000_NS6detail17trampoline_kernelINS0_14default_configENS1_22reduce_config_selectorIlEEZNS1_11reduce_implILb1ES3_N6thrust23THRUST_200600_302600_NS11hip_rocprim26transform_input_iterator_tIlNS8_12zip_iteratorINS8_5tupleINS8_6detail15normal_iteratorINS8_10device_ptrIfEEEESH_NS8_9null_typeESI_SI_SI_SI_SI_SI_SI_EEEENS9_21zip_adj_not_predicateINS8_8equal_toIfEEEEEEPllNS8_4plusIlEEEE10hipError_tPvRmT1_T2_T3_mT4_P12ihipStream_tbEUlT_E0_NS1_11comp_targetILNS1_3genE8ELNS1_11target_archE1030ELNS1_3gpuE2ELNS1_3repE0EEENS1_30default_config_static_selectorELNS0_4arch9wavefront6targetE1EEEvSW_.has_indirect_call, 0
	.section	.AMDGPU.csdata,"",@progbits
; Kernel info:
; codeLenInByte = 0
; TotalNumSgprs: 4
; NumVgprs: 0
; ScratchSize: 0
; MemoryBound: 0
; FloatMode: 240
; IeeeMode: 1
; LDSByteSize: 0 bytes/workgroup (compile time only)
; SGPRBlocks: 0
; VGPRBlocks: 0
; NumSGPRsForWavesPerEU: 4
; NumVGPRsForWavesPerEU: 1
; Occupancy: 10
; WaveLimiterHint : 0
; COMPUTE_PGM_RSRC2:SCRATCH_EN: 0
; COMPUTE_PGM_RSRC2:USER_SGPR: 6
; COMPUTE_PGM_RSRC2:TRAP_HANDLER: 0
; COMPUTE_PGM_RSRC2:TGID_X_EN: 1
; COMPUTE_PGM_RSRC2:TGID_Y_EN: 0
; COMPUTE_PGM_RSRC2:TGID_Z_EN: 0
; COMPUTE_PGM_RSRC2:TIDIG_COMP_CNT: 0
	.section	.text._ZN7rocprim17ROCPRIM_400000_NS6detail17trampoline_kernelINS0_14default_configENS1_22reduce_config_selectorIlEEZNS1_11reduce_implILb1ES3_N6thrust23THRUST_200600_302600_NS11hip_rocprim26transform_input_iterator_tIlNS8_12zip_iteratorINS8_5tupleINS8_6detail15normal_iteratorINS8_10device_ptrIfEEEESH_NS8_9null_typeESI_SI_SI_SI_SI_SI_SI_EEEENS9_21zip_adj_not_predicateINS8_8equal_toIfEEEEEEPllNS8_4plusIlEEEE10hipError_tPvRmT1_T2_T3_mT4_P12ihipStream_tbEUlT_E1_NS1_11comp_targetILNS1_3genE0ELNS1_11target_archE4294967295ELNS1_3gpuE0ELNS1_3repE0EEENS1_30default_config_static_selectorELNS0_4arch9wavefront6targetE1EEEvSW_,"axG",@progbits,_ZN7rocprim17ROCPRIM_400000_NS6detail17trampoline_kernelINS0_14default_configENS1_22reduce_config_selectorIlEEZNS1_11reduce_implILb1ES3_N6thrust23THRUST_200600_302600_NS11hip_rocprim26transform_input_iterator_tIlNS8_12zip_iteratorINS8_5tupleINS8_6detail15normal_iteratorINS8_10device_ptrIfEEEESH_NS8_9null_typeESI_SI_SI_SI_SI_SI_SI_EEEENS9_21zip_adj_not_predicateINS8_8equal_toIfEEEEEEPllNS8_4plusIlEEEE10hipError_tPvRmT1_T2_T3_mT4_P12ihipStream_tbEUlT_E1_NS1_11comp_targetILNS1_3genE0ELNS1_11target_archE4294967295ELNS1_3gpuE0ELNS1_3repE0EEENS1_30default_config_static_selectorELNS0_4arch9wavefront6targetE1EEEvSW_,comdat
	.protected	_ZN7rocprim17ROCPRIM_400000_NS6detail17trampoline_kernelINS0_14default_configENS1_22reduce_config_selectorIlEEZNS1_11reduce_implILb1ES3_N6thrust23THRUST_200600_302600_NS11hip_rocprim26transform_input_iterator_tIlNS8_12zip_iteratorINS8_5tupleINS8_6detail15normal_iteratorINS8_10device_ptrIfEEEESH_NS8_9null_typeESI_SI_SI_SI_SI_SI_SI_EEEENS9_21zip_adj_not_predicateINS8_8equal_toIfEEEEEEPllNS8_4plusIlEEEE10hipError_tPvRmT1_T2_T3_mT4_P12ihipStream_tbEUlT_E1_NS1_11comp_targetILNS1_3genE0ELNS1_11target_archE4294967295ELNS1_3gpuE0ELNS1_3repE0EEENS1_30default_config_static_selectorELNS0_4arch9wavefront6targetE1EEEvSW_ ; -- Begin function _ZN7rocprim17ROCPRIM_400000_NS6detail17trampoline_kernelINS0_14default_configENS1_22reduce_config_selectorIlEEZNS1_11reduce_implILb1ES3_N6thrust23THRUST_200600_302600_NS11hip_rocprim26transform_input_iterator_tIlNS8_12zip_iteratorINS8_5tupleINS8_6detail15normal_iteratorINS8_10device_ptrIfEEEESH_NS8_9null_typeESI_SI_SI_SI_SI_SI_SI_EEEENS9_21zip_adj_not_predicateINS8_8equal_toIfEEEEEEPllNS8_4plusIlEEEE10hipError_tPvRmT1_T2_T3_mT4_P12ihipStream_tbEUlT_E1_NS1_11comp_targetILNS1_3genE0ELNS1_11target_archE4294967295ELNS1_3gpuE0ELNS1_3repE0EEENS1_30default_config_static_selectorELNS0_4arch9wavefront6targetE1EEEvSW_
	.globl	_ZN7rocprim17ROCPRIM_400000_NS6detail17trampoline_kernelINS0_14default_configENS1_22reduce_config_selectorIlEEZNS1_11reduce_implILb1ES3_N6thrust23THRUST_200600_302600_NS11hip_rocprim26transform_input_iterator_tIlNS8_12zip_iteratorINS8_5tupleINS8_6detail15normal_iteratorINS8_10device_ptrIfEEEESH_NS8_9null_typeESI_SI_SI_SI_SI_SI_SI_EEEENS9_21zip_adj_not_predicateINS8_8equal_toIfEEEEEEPllNS8_4plusIlEEEE10hipError_tPvRmT1_T2_T3_mT4_P12ihipStream_tbEUlT_E1_NS1_11comp_targetILNS1_3genE0ELNS1_11target_archE4294967295ELNS1_3gpuE0ELNS1_3repE0EEENS1_30default_config_static_selectorELNS0_4arch9wavefront6targetE1EEEvSW_
	.p2align	8
	.type	_ZN7rocprim17ROCPRIM_400000_NS6detail17trampoline_kernelINS0_14default_configENS1_22reduce_config_selectorIlEEZNS1_11reduce_implILb1ES3_N6thrust23THRUST_200600_302600_NS11hip_rocprim26transform_input_iterator_tIlNS8_12zip_iteratorINS8_5tupleINS8_6detail15normal_iteratorINS8_10device_ptrIfEEEESH_NS8_9null_typeESI_SI_SI_SI_SI_SI_SI_EEEENS9_21zip_adj_not_predicateINS8_8equal_toIfEEEEEEPllNS8_4plusIlEEEE10hipError_tPvRmT1_T2_T3_mT4_P12ihipStream_tbEUlT_E1_NS1_11comp_targetILNS1_3genE0ELNS1_11target_archE4294967295ELNS1_3gpuE0ELNS1_3repE0EEENS1_30default_config_static_selectorELNS0_4arch9wavefront6targetE1EEEvSW_,@function
_ZN7rocprim17ROCPRIM_400000_NS6detail17trampoline_kernelINS0_14default_configENS1_22reduce_config_selectorIlEEZNS1_11reduce_implILb1ES3_N6thrust23THRUST_200600_302600_NS11hip_rocprim26transform_input_iterator_tIlNS8_12zip_iteratorINS8_5tupleINS8_6detail15normal_iteratorINS8_10device_ptrIfEEEESH_NS8_9null_typeESI_SI_SI_SI_SI_SI_SI_EEEENS9_21zip_adj_not_predicateINS8_8equal_toIfEEEEEEPllNS8_4plusIlEEEE10hipError_tPvRmT1_T2_T3_mT4_P12ihipStream_tbEUlT_E1_NS1_11comp_targetILNS1_3genE0ELNS1_11target_archE4294967295ELNS1_3gpuE0ELNS1_3repE0EEENS1_30default_config_static_selectorELNS0_4arch9wavefront6targetE1EEEvSW_: ; @_ZN7rocprim17ROCPRIM_400000_NS6detail17trampoline_kernelINS0_14default_configENS1_22reduce_config_selectorIlEEZNS1_11reduce_implILb1ES3_N6thrust23THRUST_200600_302600_NS11hip_rocprim26transform_input_iterator_tIlNS8_12zip_iteratorINS8_5tupleINS8_6detail15normal_iteratorINS8_10device_ptrIfEEEESH_NS8_9null_typeESI_SI_SI_SI_SI_SI_SI_EEEENS9_21zip_adj_not_predicateINS8_8equal_toIfEEEEEEPllNS8_4plusIlEEEE10hipError_tPvRmT1_T2_T3_mT4_P12ihipStream_tbEUlT_E1_NS1_11comp_targetILNS1_3genE0ELNS1_11target_archE4294967295ELNS1_3gpuE0ELNS1_3repE0EEENS1_30default_config_static_selectorELNS0_4arch9wavefront6targetE1EEEvSW_
; %bb.0:
	.section	.rodata,"a",@progbits
	.p2align	6, 0x0
	.amdhsa_kernel _ZN7rocprim17ROCPRIM_400000_NS6detail17trampoline_kernelINS0_14default_configENS1_22reduce_config_selectorIlEEZNS1_11reduce_implILb1ES3_N6thrust23THRUST_200600_302600_NS11hip_rocprim26transform_input_iterator_tIlNS8_12zip_iteratorINS8_5tupleINS8_6detail15normal_iteratorINS8_10device_ptrIfEEEESH_NS8_9null_typeESI_SI_SI_SI_SI_SI_SI_EEEENS9_21zip_adj_not_predicateINS8_8equal_toIfEEEEEEPllNS8_4plusIlEEEE10hipError_tPvRmT1_T2_T3_mT4_P12ihipStream_tbEUlT_E1_NS1_11comp_targetILNS1_3genE0ELNS1_11target_archE4294967295ELNS1_3gpuE0ELNS1_3repE0EEENS1_30default_config_static_selectorELNS0_4arch9wavefront6targetE1EEEvSW_
		.amdhsa_group_segment_fixed_size 0
		.amdhsa_private_segment_fixed_size 0
		.amdhsa_kernarg_size 64
		.amdhsa_user_sgpr_count 6
		.amdhsa_user_sgpr_private_segment_buffer 1
		.amdhsa_user_sgpr_dispatch_ptr 0
		.amdhsa_user_sgpr_queue_ptr 0
		.amdhsa_user_sgpr_kernarg_segment_ptr 1
		.amdhsa_user_sgpr_dispatch_id 0
		.amdhsa_user_sgpr_flat_scratch_init 0
		.amdhsa_user_sgpr_private_segment_size 0
		.amdhsa_uses_dynamic_stack 0
		.amdhsa_system_sgpr_private_segment_wavefront_offset 0
		.amdhsa_system_sgpr_workgroup_id_x 1
		.amdhsa_system_sgpr_workgroup_id_y 0
		.amdhsa_system_sgpr_workgroup_id_z 0
		.amdhsa_system_sgpr_workgroup_info 0
		.amdhsa_system_vgpr_workitem_id 0
		.amdhsa_next_free_vgpr 1
		.amdhsa_next_free_sgpr 0
		.amdhsa_reserve_vcc 0
		.amdhsa_reserve_flat_scratch 0
		.amdhsa_float_round_mode_32 0
		.amdhsa_float_round_mode_16_64 0
		.amdhsa_float_denorm_mode_32 3
		.amdhsa_float_denorm_mode_16_64 3
		.amdhsa_dx10_clamp 1
		.amdhsa_ieee_mode 1
		.amdhsa_fp16_overflow 0
		.amdhsa_exception_fp_ieee_invalid_op 0
		.amdhsa_exception_fp_denorm_src 0
		.amdhsa_exception_fp_ieee_div_zero 0
		.amdhsa_exception_fp_ieee_overflow 0
		.amdhsa_exception_fp_ieee_underflow 0
		.amdhsa_exception_fp_ieee_inexact 0
		.amdhsa_exception_int_div_zero 0
	.end_amdhsa_kernel
	.section	.text._ZN7rocprim17ROCPRIM_400000_NS6detail17trampoline_kernelINS0_14default_configENS1_22reduce_config_selectorIlEEZNS1_11reduce_implILb1ES3_N6thrust23THRUST_200600_302600_NS11hip_rocprim26transform_input_iterator_tIlNS8_12zip_iteratorINS8_5tupleINS8_6detail15normal_iteratorINS8_10device_ptrIfEEEESH_NS8_9null_typeESI_SI_SI_SI_SI_SI_SI_EEEENS9_21zip_adj_not_predicateINS8_8equal_toIfEEEEEEPllNS8_4plusIlEEEE10hipError_tPvRmT1_T2_T3_mT4_P12ihipStream_tbEUlT_E1_NS1_11comp_targetILNS1_3genE0ELNS1_11target_archE4294967295ELNS1_3gpuE0ELNS1_3repE0EEENS1_30default_config_static_selectorELNS0_4arch9wavefront6targetE1EEEvSW_,"axG",@progbits,_ZN7rocprim17ROCPRIM_400000_NS6detail17trampoline_kernelINS0_14default_configENS1_22reduce_config_selectorIlEEZNS1_11reduce_implILb1ES3_N6thrust23THRUST_200600_302600_NS11hip_rocprim26transform_input_iterator_tIlNS8_12zip_iteratorINS8_5tupleINS8_6detail15normal_iteratorINS8_10device_ptrIfEEEESH_NS8_9null_typeESI_SI_SI_SI_SI_SI_SI_EEEENS9_21zip_adj_not_predicateINS8_8equal_toIfEEEEEEPllNS8_4plusIlEEEE10hipError_tPvRmT1_T2_T3_mT4_P12ihipStream_tbEUlT_E1_NS1_11comp_targetILNS1_3genE0ELNS1_11target_archE4294967295ELNS1_3gpuE0ELNS1_3repE0EEENS1_30default_config_static_selectorELNS0_4arch9wavefront6targetE1EEEvSW_,comdat
.Lfunc_end788:
	.size	_ZN7rocprim17ROCPRIM_400000_NS6detail17trampoline_kernelINS0_14default_configENS1_22reduce_config_selectorIlEEZNS1_11reduce_implILb1ES3_N6thrust23THRUST_200600_302600_NS11hip_rocprim26transform_input_iterator_tIlNS8_12zip_iteratorINS8_5tupleINS8_6detail15normal_iteratorINS8_10device_ptrIfEEEESH_NS8_9null_typeESI_SI_SI_SI_SI_SI_SI_EEEENS9_21zip_adj_not_predicateINS8_8equal_toIfEEEEEEPllNS8_4plusIlEEEE10hipError_tPvRmT1_T2_T3_mT4_P12ihipStream_tbEUlT_E1_NS1_11comp_targetILNS1_3genE0ELNS1_11target_archE4294967295ELNS1_3gpuE0ELNS1_3repE0EEENS1_30default_config_static_selectorELNS0_4arch9wavefront6targetE1EEEvSW_, .Lfunc_end788-_ZN7rocprim17ROCPRIM_400000_NS6detail17trampoline_kernelINS0_14default_configENS1_22reduce_config_selectorIlEEZNS1_11reduce_implILb1ES3_N6thrust23THRUST_200600_302600_NS11hip_rocprim26transform_input_iterator_tIlNS8_12zip_iteratorINS8_5tupleINS8_6detail15normal_iteratorINS8_10device_ptrIfEEEESH_NS8_9null_typeESI_SI_SI_SI_SI_SI_SI_EEEENS9_21zip_adj_not_predicateINS8_8equal_toIfEEEEEEPllNS8_4plusIlEEEE10hipError_tPvRmT1_T2_T3_mT4_P12ihipStream_tbEUlT_E1_NS1_11comp_targetILNS1_3genE0ELNS1_11target_archE4294967295ELNS1_3gpuE0ELNS1_3repE0EEENS1_30default_config_static_selectorELNS0_4arch9wavefront6targetE1EEEvSW_
                                        ; -- End function
	.set _ZN7rocprim17ROCPRIM_400000_NS6detail17trampoline_kernelINS0_14default_configENS1_22reduce_config_selectorIlEEZNS1_11reduce_implILb1ES3_N6thrust23THRUST_200600_302600_NS11hip_rocprim26transform_input_iterator_tIlNS8_12zip_iteratorINS8_5tupleINS8_6detail15normal_iteratorINS8_10device_ptrIfEEEESH_NS8_9null_typeESI_SI_SI_SI_SI_SI_SI_EEEENS9_21zip_adj_not_predicateINS8_8equal_toIfEEEEEEPllNS8_4plusIlEEEE10hipError_tPvRmT1_T2_T3_mT4_P12ihipStream_tbEUlT_E1_NS1_11comp_targetILNS1_3genE0ELNS1_11target_archE4294967295ELNS1_3gpuE0ELNS1_3repE0EEENS1_30default_config_static_selectorELNS0_4arch9wavefront6targetE1EEEvSW_.num_vgpr, 0
	.set _ZN7rocprim17ROCPRIM_400000_NS6detail17trampoline_kernelINS0_14default_configENS1_22reduce_config_selectorIlEEZNS1_11reduce_implILb1ES3_N6thrust23THRUST_200600_302600_NS11hip_rocprim26transform_input_iterator_tIlNS8_12zip_iteratorINS8_5tupleINS8_6detail15normal_iteratorINS8_10device_ptrIfEEEESH_NS8_9null_typeESI_SI_SI_SI_SI_SI_SI_EEEENS9_21zip_adj_not_predicateINS8_8equal_toIfEEEEEEPllNS8_4plusIlEEEE10hipError_tPvRmT1_T2_T3_mT4_P12ihipStream_tbEUlT_E1_NS1_11comp_targetILNS1_3genE0ELNS1_11target_archE4294967295ELNS1_3gpuE0ELNS1_3repE0EEENS1_30default_config_static_selectorELNS0_4arch9wavefront6targetE1EEEvSW_.num_agpr, 0
	.set _ZN7rocprim17ROCPRIM_400000_NS6detail17trampoline_kernelINS0_14default_configENS1_22reduce_config_selectorIlEEZNS1_11reduce_implILb1ES3_N6thrust23THRUST_200600_302600_NS11hip_rocprim26transform_input_iterator_tIlNS8_12zip_iteratorINS8_5tupleINS8_6detail15normal_iteratorINS8_10device_ptrIfEEEESH_NS8_9null_typeESI_SI_SI_SI_SI_SI_SI_EEEENS9_21zip_adj_not_predicateINS8_8equal_toIfEEEEEEPllNS8_4plusIlEEEE10hipError_tPvRmT1_T2_T3_mT4_P12ihipStream_tbEUlT_E1_NS1_11comp_targetILNS1_3genE0ELNS1_11target_archE4294967295ELNS1_3gpuE0ELNS1_3repE0EEENS1_30default_config_static_selectorELNS0_4arch9wavefront6targetE1EEEvSW_.numbered_sgpr, 0
	.set _ZN7rocprim17ROCPRIM_400000_NS6detail17trampoline_kernelINS0_14default_configENS1_22reduce_config_selectorIlEEZNS1_11reduce_implILb1ES3_N6thrust23THRUST_200600_302600_NS11hip_rocprim26transform_input_iterator_tIlNS8_12zip_iteratorINS8_5tupleINS8_6detail15normal_iteratorINS8_10device_ptrIfEEEESH_NS8_9null_typeESI_SI_SI_SI_SI_SI_SI_EEEENS9_21zip_adj_not_predicateINS8_8equal_toIfEEEEEEPllNS8_4plusIlEEEE10hipError_tPvRmT1_T2_T3_mT4_P12ihipStream_tbEUlT_E1_NS1_11comp_targetILNS1_3genE0ELNS1_11target_archE4294967295ELNS1_3gpuE0ELNS1_3repE0EEENS1_30default_config_static_selectorELNS0_4arch9wavefront6targetE1EEEvSW_.num_named_barrier, 0
	.set _ZN7rocprim17ROCPRIM_400000_NS6detail17trampoline_kernelINS0_14default_configENS1_22reduce_config_selectorIlEEZNS1_11reduce_implILb1ES3_N6thrust23THRUST_200600_302600_NS11hip_rocprim26transform_input_iterator_tIlNS8_12zip_iteratorINS8_5tupleINS8_6detail15normal_iteratorINS8_10device_ptrIfEEEESH_NS8_9null_typeESI_SI_SI_SI_SI_SI_SI_EEEENS9_21zip_adj_not_predicateINS8_8equal_toIfEEEEEEPllNS8_4plusIlEEEE10hipError_tPvRmT1_T2_T3_mT4_P12ihipStream_tbEUlT_E1_NS1_11comp_targetILNS1_3genE0ELNS1_11target_archE4294967295ELNS1_3gpuE0ELNS1_3repE0EEENS1_30default_config_static_selectorELNS0_4arch9wavefront6targetE1EEEvSW_.private_seg_size, 0
	.set _ZN7rocprim17ROCPRIM_400000_NS6detail17trampoline_kernelINS0_14default_configENS1_22reduce_config_selectorIlEEZNS1_11reduce_implILb1ES3_N6thrust23THRUST_200600_302600_NS11hip_rocprim26transform_input_iterator_tIlNS8_12zip_iteratorINS8_5tupleINS8_6detail15normal_iteratorINS8_10device_ptrIfEEEESH_NS8_9null_typeESI_SI_SI_SI_SI_SI_SI_EEEENS9_21zip_adj_not_predicateINS8_8equal_toIfEEEEEEPllNS8_4plusIlEEEE10hipError_tPvRmT1_T2_T3_mT4_P12ihipStream_tbEUlT_E1_NS1_11comp_targetILNS1_3genE0ELNS1_11target_archE4294967295ELNS1_3gpuE0ELNS1_3repE0EEENS1_30default_config_static_selectorELNS0_4arch9wavefront6targetE1EEEvSW_.uses_vcc, 0
	.set _ZN7rocprim17ROCPRIM_400000_NS6detail17trampoline_kernelINS0_14default_configENS1_22reduce_config_selectorIlEEZNS1_11reduce_implILb1ES3_N6thrust23THRUST_200600_302600_NS11hip_rocprim26transform_input_iterator_tIlNS8_12zip_iteratorINS8_5tupleINS8_6detail15normal_iteratorINS8_10device_ptrIfEEEESH_NS8_9null_typeESI_SI_SI_SI_SI_SI_SI_EEEENS9_21zip_adj_not_predicateINS8_8equal_toIfEEEEEEPllNS8_4plusIlEEEE10hipError_tPvRmT1_T2_T3_mT4_P12ihipStream_tbEUlT_E1_NS1_11comp_targetILNS1_3genE0ELNS1_11target_archE4294967295ELNS1_3gpuE0ELNS1_3repE0EEENS1_30default_config_static_selectorELNS0_4arch9wavefront6targetE1EEEvSW_.uses_flat_scratch, 0
	.set _ZN7rocprim17ROCPRIM_400000_NS6detail17trampoline_kernelINS0_14default_configENS1_22reduce_config_selectorIlEEZNS1_11reduce_implILb1ES3_N6thrust23THRUST_200600_302600_NS11hip_rocprim26transform_input_iterator_tIlNS8_12zip_iteratorINS8_5tupleINS8_6detail15normal_iteratorINS8_10device_ptrIfEEEESH_NS8_9null_typeESI_SI_SI_SI_SI_SI_SI_EEEENS9_21zip_adj_not_predicateINS8_8equal_toIfEEEEEEPllNS8_4plusIlEEEE10hipError_tPvRmT1_T2_T3_mT4_P12ihipStream_tbEUlT_E1_NS1_11comp_targetILNS1_3genE0ELNS1_11target_archE4294967295ELNS1_3gpuE0ELNS1_3repE0EEENS1_30default_config_static_selectorELNS0_4arch9wavefront6targetE1EEEvSW_.has_dyn_sized_stack, 0
	.set _ZN7rocprim17ROCPRIM_400000_NS6detail17trampoline_kernelINS0_14default_configENS1_22reduce_config_selectorIlEEZNS1_11reduce_implILb1ES3_N6thrust23THRUST_200600_302600_NS11hip_rocprim26transform_input_iterator_tIlNS8_12zip_iteratorINS8_5tupleINS8_6detail15normal_iteratorINS8_10device_ptrIfEEEESH_NS8_9null_typeESI_SI_SI_SI_SI_SI_SI_EEEENS9_21zip_adj_not_predicateINS8_8equal_toIfEEEEEEPllNS8_4plusIlEEEE10hipError_tPvRmT1_T2_T3_mT4_P12ihipStream_tbEUlT_E1_NS1_11comp_targetILNS1_3genE0ELNS1_11target_archE4294967295ELNS1_3gpuE0ELNS1_3repE0EEENS1_30default_config_static_selectorELNS0_4arch9wavefront6targetE1EEEvSW_.has_recursion, 0
	.set _ZN7rocprim17ROCPRIM_400000_NS6detail17trampoline_kernelINS0_14default_configENS1_22reduce_config_selectorIlEEZNS1_11reduce_implILb1ES3_N6thrust23THRUST_200600_302600_NS11hip_rocprim26transform_input_iterator_tIlNS8_12zip_iteratorINS8_5tupleINS8_6detail15normal_iteratorINS8_10device_ptrIfEEEESH_NS8_9null_typeESI_SI_SI_SI_SI_SI_SI_EEEENS9_21zip_adj_not_predicateINS8_8equal_toIfEEEEEEPllNS8_4plusIlEEEE10hipError_tPvRmT1_T2_T3_mT4_P12ihipStream_tbEUlT_E1_NS1_11comp_targetILNS1_3genE0ELNS1_11target_archE4294967295ELNS1_3gpuE0ELNS1_3repE0EEENS1_30default_config_static_selectorELNS0_4arch9wavefront6targetE1EEEvSW_.has_indirect_call, 0
	.section	.AMDGPU.csdata,"",@progbits
; Kernel info:
; codeLenInByte = 0
; TotalNumSgprs: 4
; NumVgprs: 0
; ScratchSize: 0
; MemoryBound: 0
; FloatMode: 240
; IeeeMode: 1
; LDSByteSize: 0 bytes/workgroup (compile time only)
; SGPRBlocks: 0
; VGPRBlocks: 0
; NumSGPRsForWavesPerEU: 4
; NumVGPRsForWavesPerEU: 1
; Occupancy: 10
; WaveLimiterHint : 0
; COMPUTE_PGM_RSRC2:SCRATCH_EN: 0
; COMPUTE_PGM_RSRC2:USER_SGPR: 6
; COMPUTE_PGM_RSRC2:TRAP_HANDLER: 0
; COMPUTE_PGM_RSRC2:TGID_X_EN: 1
; COMPUTE_PGM_RSRC2:TGID_Y_EN: 0
; COMPUTE_PGM_RSRC2:TGID_Z_EN: 0
; COMPUTE_PGM_RSRC2:TIDIG_COMP_CNT: 0
	.section	.text._ZN7rocprim17ROCPRIM_400000_NS6detail17trampoline_kernelINS0_14default_configENS1_22reduce_config_selectorIlEEZNS1_11reduce_implILb1ES3_N6thrust23THRUST_200600_302600_NS11hip_rocprim26transform_input_iterator_tIlNS8_12zip_iteratorINS8_5tupleINS8_6detail15normal_iteratorINS8_10device_ptrIfEEEESH_NS8_9null_typeESI_SI_SI_SI_SI_SI_SI_EEEENS9_21zip_adj_not_predicateINS8_8equal_toIfEEEEEEPllNS8_4plusIlEEEE10hipError_tPvRmT1_T2_T3_mT4_P12ihipStream_tbEUlT_E1_NS1_11comp_targetILNS1_3genE5ELNS1_11target_archE942ELNS1_3gpuE9ELNS1_3repE0EEENS1_30default_config_static_selectorELNS0_4arch9wavefront6targetE1EEEvSW_,"axG",@progbits,_ZN7rocprim17ROCPRIM_400000_NS6detail17trampoline_kernelINS0_14default_configENS1_22reduce_config_selectorIlEEZNS1_11reduce_implILb1ES3_N6thrust23THRUST_200600_302600_NS11hip_rocprim26transform_input_iterator_tIlNS8_12zip_iteratorINS8_5tupleINS8_6detail15normal_iteratorINS8_10device_ptrIfEEEESH_NS8_9null_typeESI_SI_SI_SI_SI_SI_SI_EEEENS9_21zip_adj_not_predicateINS8_8equal_toIfEEEEEEPllNS8_4plusIlEEEE10hipError_tPvRmT1_T2_T3_mT4_P12ihipStream_tbEUlT_E1_NS1_11comp_targetILNS1_3genE5ELNS1_11target_archE942ELNS1_3gpuE9ELNS1_3repE0EEENS1_30default_config_static_selectorELNS0_4arch9wavefront6targetE1EEEvSW_,comdat
	.protected	_ZN7rocprim17ROCPRIM_400000_NS6detail17trampoline_kernelINS0_14default_configENS1_22reduce_config_selectorIlEEZNS1_11reduce_implILb1ES3_N6thrust23THRUST_200600_302600_NS11hip_rocprim26transform_input_iterator_tIlNS8_12zip_iteratorINS8_5tupleINS8_6detail15normal_iteratorINS8_10device_ptrIfEEEESH_NS8_9null_typeESI_SI_SI_SI_SI_SI_SI_EEEENS9_21zip_adj_not_predicateINS8_8equal_toIfEEEEEEPllNS8_4plusIlEEEE10hipError_tPvRmT1_T2_T3_mT4_P12ihipStream_tbEUlT_E1_NS1_11comp_targetILNS1_3genE5ELNS1_11target_archE942ELNS1_3gpuE9ELNS1_3repE0EEENS1_30default_config_static_selectorELNS0_4arch9wavefront6targetE1EEEvSW_ ; -- Begin function _ZN7rocprim17ROCPRIM_400000_NS6detail17trampoline_kernelINS0_14default_configENS1_22reduce_config_selectorIlEEZNS1_11reduce_implILb1ES3_N6thrust23THRUST_200600_302600_NS11hip_rocprim26transform_input_iterator_tIlNS8_12zip_iteratorINS8_5tupleINS8_6detail15normal_iteratorINS8_10device_ptrIfEEEESH_NS8_9null_typeESI_SI_SI_SI_SI_SI_SI_EEEENS9_21zip_adj_not_predicateINS8_8equal_toIfEEEEEEPllNS8_4plusIlEEEE10hipError_tPvRmT1_T2_T3_mT4_P12ihipStream_tbEUlT_E1_NS1_11comp_targetILNS1_3genE5ELNS1_11target_archE942ELNS1_3gpuE9ELNS1_3repE0EEENS1_30default_config_static_selectorELNS0_4arch9wavefront6targetE1EEEvSW_
	.globl	_ZN7rocprim17ROCPRIM_400000_NS6detail17trampoline_kernelINS0_14default_configENS1_22reduce_config_selectorIlEEZNS1_11reduce_implILb1ES3_N6thrust23THRUST_200600_302600_NS11hip_rocprim26transform_input_iterator_tIlNS8_12zip_iteratorINS8_5tupleINS8_6detail15normal_iteratorINS8_10device_ptrIfEEEESH_NS8_9null_typeESI_SI_SI_SI_SI_SI_SI_EEEENS9_21zip_adj_not_predicateINS8_8equal_toIfEEEEEEPllNS8_4plusIlEEEE10hipError_tPvRmT1_T2_T3_mT4_P12ihipStream_tbEUlT_E1_NS1_11comp_targetILNS1_3genE5ELNS1_11target_archE942ELNS1_3gpuE9ELNS1_3repE0EEENS1_30default_config_static_selectorELNS0_4arch9wavefront6targetE1EEEvSW_
	.p2align	8
	.type	_ZN7rocprim17ROCPRIM_400000_NS6detail17trampoline_kernelINS0_14default_configENS1_22reduce_config_selectorIlEEZNS1_11reduce_implILb1ES3_N6thrust23THRUST_200600_302600_NS11hip_rocprim26transform_input_iterator_tIlNS8_12zip_iteratorINS8_5tupleINS8_6detail15normal_iteratorINS8_10device_ptrIfEEEESH_NS8_9null_typeESI_SI_SI_SI_SI_SI_SI_EEEENS9_21zip_adj_not_predicateINS8_8equal_toIfEEEEEEPllNS8_4plusIlEEEE10hipError_tPvRmT1_T2_T3_mT4_P12ihipStream_tbEUlT_E1_NS1_11comp_targetILNS1_3genE5ELNS1_11target_archE942ELNS1_3gpuE9ELNS1_3repE0EEENS1_30default_config_static_selectorELNS0_4arch9wavefront6targetE1EEEvSW_,@function
_ZN7rocprim17ROCPRIM_400000_NS6detail17trampoline_kernelINS0_14default_configENS1_22reduce_config_selectorIlEEZNS1_11reduce_implILb1ES3_N6thrust23THRUST_200600_302600_NS11hip_rocprim26transform_input_iterator_tIlNS8_12zip_iteratorINS8_5tupleINS8_6detail15normal_iteratorINS8_10device_ptrIfEEEESH_NS8_9null_typeESI_SI_SI_SI_SI_SI_SI_EEEENS9_21zip_adj_not_predicateINS8_8equal_toIfEEEEEEPllNS8_4plusIlEEEE10hipError_tPvRmT1_T2_T3_mT4_P12ihipStream_tbEUlT_E1_NS1_11comp_targetILNS1_3genE5ELNS1_11target_archE942ELNS1_3gpuE9ELNS1_3repE0EEENS1_30default_config_static_selectorELNS0_4arch9wavefront6targetE1EEEvSW_: ; @_ZN7rocprim17ROCPRIM_400000_NS6detail17trampoline_kernelINS0_14default_configENS1_22reduce_config_selectorIlEEZNS1_11reduce_implILb1ES3_N6thrust23THRUST_200600_302600_NS11hip_rocprim26transform_input_iterator_tIlNS8_12zip_iteratorINS8_5tupleINS8_6detail15normal_iteratorINS8_10device_ptrIfEEEESH_NS8_9null_typeESI_SI_SI_SI_SI_SI_SI_EEEENS9_21zip_adj_not_predicateINS8_8equal_toIfEEEEEEPllNS8_4plusIlEEEE10hipError_tPvRmT1_T2_T3_mT4_P12ihipStream_tbEUlT_E1_NS1_11comp_targetILNS1_3genE5ELNS1_11target_archE942ELNS1_3gpuE9ELNS1_3repE0EEENS1_30default_config_static_selectorELNS0_4arch9wavefront6targetE1EEEvSW_
; %bb.0:
	.section	.rodata,"a",@progbits
	.p2align	6, 0x0
	.amdhsa_kernel _ZN7rocprim17ROCPRIM_400000_NS6detail17trampoline_kernelINS0_14default_configENS1_22reduce_config_selectorIlEEZNS1_11reduce_implILb1ES3_N6thrust23THRUST_200600_302600_NS11hip_rocprim26transform_input_iterator_tIlNS8_12zip_iteratorINS8_5tupleINS8_6detail15normal_iteratorINS8_10device_ptrIfEEEESH_NS8_9null_typeESI_SI_SI_SI_SI_SI_SI_EEEENS9_21zip_adj_not_predicateINS8_8equal_toIfEEEEEEPllNS8_4plusIlEEEE10hipError_tPvRmT1_T2_T3_mT4_P12ihipStream_tbEUlT_E1_NS1_11comp_targetILNS1_3genE5ELNS1_11target_archE942ELNS1_3gpuE9ELNS1_3repE0EEENS1_30default_config_static_selectorELNS0_4arch9wavefront6targetE1EEEvSW_
		.amdhsa_group_segment_fixed_size 0
		.amdhsa_private_segment_fixed_size 0
		.amdhsa_kernarg_size 64
		.amdhsa_user_sgpr_count 6
		.amdhsa_user_sgpr_private_segment_buffer 1
		.amdhsa_user_sgpr_dispatch_ptr 0
		.amdhsa_user_sgpr_queue_ptr 0
		.amdhsa_user_sgpr_kernarg_segment_ptr 1
		.amdhsa_user_sgpr_dispatch_id 0
		.amdhsa_user_sgpr_flat_scratch_init 0
		.amdhsa_user_sgpr_private_segment_size 0
		.amdhsa_uses_dynamic_stack 0
		.amdhsa_system_sgpr_private_segment_wavefront_offset 0
		.amdhsa_system_sgpr_workgroup_id_x 1
		.amdhsa_system_sgpr_workgroup_id_y 0
		.amdhsa_system_sgpr_workgroup_id_z 0
		.amdhsa_system_sgpr_workgroup_info 0
		.amdhsa_system_vgpr_workitem_id 0
		.amdhsa_next_free_vgpr 1
		.amdhsa_next_free_sgpr 0
		.amdhsa_reserve_vcc 0
		.amdhsa_reserve_flat_scratch 0
		.amdhsa_float_round_mode_32 0
		.amdhsa_float_round_mode_16_64 0
		.amdhsa_float_denorm_mode_32 3
		.amdhsa_float_denorm_mode_16_64 3
		.amdhsa_dx10_clamp 1
		.amdhsa_ieee_mode 1
		.amdhsa_fp16_overflow 0
		.amdhsa_exception_fp_ieee_invalid_op 0
		.amdhsa_exception_fp_denorm_src 0
		.amdhsa_exception_fp_ieee_div_zero 0
		.amdhsa_exception_fp_ieee_overflow 0
		.amdhsa_exception_fp_ieee_underflow 0
		.amdhsa_exception_fp_ieee_inexact 0
		.amdhsa_exception_int_div_zero 0
	.end_amdhsa_kernel
	.section	.text._ZN7rocprim17ROCPRIM_400000_NS6detail17trampoline_kernelINS0_14default_configENS1_22reduce_config_selectorIlEEZNS1_11reduce_implILb1ES3_N6thrust23THRUST_200600_302600_NS11hip_rocprim26transform_input_iterator_tIlNS8_12zip_iteratorINS8_5tupleINS8_6detail15normal_iteratorINS8_10device_ptrIfEEEESH_NS8_9null_typeESI_SI_SI_SI_SI_SI_SI_EEEENS9_21zip_adj_not_predicateINS8_8equal_toIfEEEEEEPllNS8_4plusIlEEEE10hipError_tPvRmT1_T2_T3_mT4_P12ihipStream_tbEUlT_E1_NS1_11comp_targetILNS1_3genE5ELNS1_11target_archE942ELNS1_3gpuE9ELNS1_3repE0EEENS1_30default_config_static_selectorELNS0_4arch9wavefront6targetE1EEEvSW_,"axG",@progbits,_ZN7rocprim17ROCPRIM_400000_NS6detail17trampoline_kernelINS0_14default_configENS1_22reduce_config_selectorIlEEZNS1_11reduce_implILb1ES3_N6thrust23THRUST_200600_302600_NS11hip_rocprim26transform_input_iterator_tIlNS8_12zip_iteratorINS8_5tupleINS8_6detail15normal_iteratorINS8_10device_ptrIfEEEESH_NS8_9null_typeESI_SI_SI_SI_SI_SI_SI_EEEENS9_21zip_adj_not_predicateINS8_8equal_toIfEEEEEEPllNS8_4plusIlEEEE10hipError_tPvRmT1_T2_T3_mT4_P12ihipStream_tbEUlT_E1_NS1_11comp_targetILNS1_3genE5ELNS1_11target_archE942ELNS1_3gpuE9ELNS1_3repE0EEENS1_30default_config_static_selectorELNS0_4arch9wavefront6targetE1EEEvSW_,comdat
.Lfunc_end789:
	.size	_ZN7rocprim17ROCPRIM_400000_NS6detail17trampoline_kernelINS0_14default_configENS1_22reduce_config_selectorIlEEZNS1_11reduce_implILb1ES3_N6thrust23THRUST_200600_302600_NS11hip_rocprim26transform_input_iterator_tIlNS8_12zip_iteratorINS8_5tupleINS8_6detail15normal_iteratorINS8_10device_ptrIfEEEESH_NS8_9null_typeESI_SI_SI_SI_SI_SI_SI_EEEENS9_21zip_adj_not_predicateINS8_8equal_toIfEEEEEEPllNS8_4plusIlEEEE10hipError_tPvRmT1_T2_T3_mT4_P12ihipStream_tbEUlT_E1_NS1_11comp_targetILNS1_3genE5ELNS1_11target_archE942ELNS1_3gpuE9ELNS1_3repE0EEENS1_30default_config_static_selectorELNS0_4arch9wavefront6targetE1EEEvSW_, .Lfunc_end789-_ZN7rocprim17ROCPRIM_400000_NS6detail17trampoline_kernelINS0_14default_configENS1_22reduce_config_selectorIlEEZNS1_11reduce_implILb1ES3_N6thrust23THRUST_200600_302600_NS11hip_rocprim26transform_input_iterator_tIlNS8_12zip_iteratorINS8_5tupleINS8_6detail15normal_iteratorINS8_10device_ptrIfEEEESH_NS8_9null_typeESI_SI_SI_SI_SI_SI_SI_EEEENS9_21zip_adj_not_predicateINS8_8equal_toIfEEEEEEPllNS8_4plusIlEEEE10hipError_tPvRmT1_T2_T3_mT4_P12ihipStream_tbEUlT_E1_NS1_11comp_targetILNS1_3genE5ELNS1_11target_archE942ELNS1_3gpuE9ELNS1_3repE0EEENS1_30default_config_static_selectorELNS0_4arch9wavefront6targetE1EEEvSW_
                                        ; -- End function
	.set _ZN7rocprim17ROCPRIM_400000_NS6detail17trampoline_kernelINS0_14default_configENS1_22reduce_config_selectorIlEEZNS1_11reduce_implILb1ES3_N6thrust23THRUST_200600_302600_NS11hip_rocprim26transform_input_iterator_tIlNS8_12zip_iteratorINS8_5tupleINS8_6detail15normal_iteratorINS8_10device_ptrIfEEEESH_NS8_9null_typeESI_SI_SI_SI_SI_SI_SI_EEEENS9_21zip_adj_not_predicateINS8_8equal_toIfEEEEEEPllNS8_4plusIlEEEE10hipError_tPvRmT1_T2_T3_mT4_P12ihipStream_tbEUlT_E1_NS1_11comp_targetILNS1_3genE5ELNS1_11target_archE942ELNS1_3gpuE9ELNS1_3repE0EEENS1_30default_config_static_selectorELNS0_4arch9wavefront6targetE1EEEvSW_.num_vgpr, 0
	.set _ZN7rocprim17ROCPRIM_400000_NS6detail17trampoline_kernelINS0_14default_configENS1_22reduce_config_selectorIlEEZNS1_11reduce_implILb1ES3_N6thrust23THRUST_200600_302600_NS11hip_rocprim26transform_input_iterator_tIlNS8_12zip_iteratorINS8_5tupleINS8_6detail15normal_iteratorINS8_10device_ptrIfEEEESH_NS8_9null_typeESI_SI_SI_SI_SI_SI_SI_EEEENS9_21zip_adj_not_predicateINS8_8equal_toIfEEEEEEPllNS8_4plusIlEEEE10hipError_tPvRmT1_T2_T3_mT4_P12ihipStream_tbEUlT_E1_NS1_11comp_targetILNS1_3genE5ELNS1_11target_archE942ELNS1_3gpuE9ELNS1_3repE0EEENS1_30default_config_static_selectorELNS0_4arch9wavefront6targetE1EEEvSW_.num_agpr, 0
	.set _ZN7rocprim17ROCPRIM_400000_NS6detail17trampoline_kernelINS0_14default_configENS1_22reduce_config_selectorIlEEZNS1_11reduce_implILb1ES3_N6thrust23THRUST_200600_302600_NS11hip_rocprim26transform_input_iterator_tIlNS8_12zip_iteratorINS8_5tupleINS8_6detail15normal_iteratorINS8_10device_ptrIfEEEESH_NS8_9null_typeESI_SI_SI_SI_SI_SI_SI_EEEENS9_21zip_adj_not_predicateINS8_8equal_toIfEEEEEEPllNS8_4plusIlEEEE10hipError_tPvRmT1_T2_T3_mT4_P12ihipStream_tbEUlT_E1_NS1_11comp_targetILNS1_3genE5ELNS1_11target_archE942ELNS1_3gpuE9ELNS1_3repE0EEENS1_30default_config_static_selectorELNS0_4arch9wavefront6targetE1EEEvSW_.numbered_sgpr, 0
	.set _ZN7rocprim17ROCPRIM_400000_NS6detail17trampoline_kernelINS0_14default_configENS1_22reduce_config_selectorIlEEZNS1_11reduce_implILb1ES3_N6thrust23THRUST_200600_302600_NS11hip_rocprim26transform_input_iterator_tIlNS8_12zip_iteratorINS8_5tupleINS8_6detail15normal_iteratorINS8_10device_ptrIfEEEESH_NS8_9null_typeESI_SI_SI_SI_SI_SI_SI_EEEENS9_21zip_adj_not_predicateINS8_8equal_toIfEEEEEEPllNS8_4plusIlEEEE10hipError_tPvRmT1_T2_T3_mT4_P12ihipStream_tbEUlT_E1_NS1_11comp_targetILNS1_3genE5ELNS1_11target_archE942ELNS1_3gpuE9ELNS1_3repE0EEENS1_30default_config_static_selectorELNS0_4arch9wavefront6targetE1EEEvSW_.num_named_barrier, 0
	.set _ZN7rocprim17ROCPRIM_400000_NS6detail17trampoline_kernelINS0_14default_configENS1_22reduce_config_selectorIlEEZNS1_11reduce_implILb1ES3_N6thrust23THRUST_200600_302600_NS11hip_rocprim26transform_input_iterator_tIlNS8_12zip_iteratorINS8_5tupleINS8_6detail15normal_iteratorINS8_10device_ptrIfEEEESH_NS8_9null_typeESI_SI_SI_SI_SI_SI_SI_EEEENS9_21zip_adj_not_predicateINS8_8equal_toIfEEEEEEPllNS8_4plusIlEEEE10hipError_tPvRmT1_T2_T3_mT4_P12ihipStream_tbEUlT_E1_NS1_11comp_targetILNS1_3genE5ELNS1_11target_archE942ELNS1_3gpuE9ELNS1_3repE0EEENS1_30default_config_static_selectorELNS0_4arch9wavefront6targetE1EEEvSW_.private_seg_size, 0
	.set _ZN7rocprim17ROCPRIM_400000_NS6detail17trampoline_kernelINS0_14default_configENS1_22reduce_config_selectorIlEEZNS1_11reduce_implILb1ES3_N6thrust23THRUST_200600_302600_NS11hip_rocprim26transform_input_iterator_tIlNS8_12zip_iteratorINS8_5tupleINS8_6detail15normal_iteratorINS8_10device_ptrIfEEEESH_NS8_9null_typeESI_SI_SI_SI_SI_SI_SI_EEEENS9_21zip_adj_not_predicateINS8_8equal_toIfEEEEEEPllNS8_4plusIlEEEE10hipError_tPvRmT1_T2_T3_mT4_P12ihipStream_tbEUlT_E1_NS1_11comp_targetILNS1_3genE5ELNS1_11target_archE942ELNS1_3gpuE9ELNS1_3repE0EEENS1_30default_config_static_selectorELNS0_4arch9wavefront6targetE1EEEvSW_.uses_vcc, 0
	.set _ZN7rocprim17ROCPRIM_400000_NS6detail17trampoline_kernelINS0_14default_configENS1_22reduce_config_selectorIlEEZNS1_11reduce_implILb1ES3_N6thrust23THRUST_200600_302600_NS11hip_rocprim26transform_input_iterator_tIlNS8_12zip_iteratorINS8_5tupleINS8_6detail15normal_iteratorINS8_10device_ptrIfEEEESH_NS8_9null_typeESI_SI_SI_SI_SI_SI_SI_EEEENS9_21zip_adj_not_predicateINS8_8equal_toIfEEEEEEPllNS8_4plusIlEEEE10hipError_tPvRmT1_T2_T3_mT4_P12ihipStream_tbEUlT_E1_NS1_11comp_targetILNS1_3genE5ELNS1_11target_archE942ELNS1_3gpuE9ELNS1_3repE0EEENS1_30default_config_static_selectorELNS0_4arch9wavefront6targetE1EEEvSW_.uses_flat_scratch, 0
	.set _ZN7rocprim17ROCPRIM_400000_NS6detail17trampoline_kernelINS0_14default_configENS1_22reduce_config_selectorIlEEZNS1_11reduce_implILb1ES3_N6thrust23THRUST_200600_302600_NS11hip_rocprim26transform_input_iterator_tIlNS8_12zip_iteratorINS8_5tupleINS8_6detail15normal_iteratorINS8_10device_ptrIfEEEESH_NS8_9null_typeESI_SI_SI_SI_SI_SI_SI_EEEENS9_21zip_adj_not_predicateINS8_8equal_toIfEEEEEEPllNS8_4plusIlEEEE10hipError_tPvRmT1_T2_T3_mT4_P12ihipStream_tbEUlT_E1_NS1_11comp_targetILNS1_3genE5ELNS1_11target_archE942ELNS1_3gpuE9ELNS1_3repE0EEENS1_30default_config_static_selectorELNS0_4arch9wavefront6targetE1EEEvSW_.has_dyn_sized_stack, 0
	.set _ZN7rocprim17ROCPRIM_400000_NS6detail17trampoline_kernelINS0_14default_configENS1_22reduce_config_selectorIlEEZNS1_11reduce_implILb1ES3_N6thrust23THRUST_200600_302600_NS11hip_rocprim26transform_input_iterator_tIlNS8_12zip_iteratorINS8_5tupleINS8_6detail15normal_iteratorINS8_10device_ptrIfEEEESH_NS8_9null_typeESI_SI_SI_SI_SI_SI_SI_EEEENS9_21zip_adj_not_predicateINS8_8equal_toIfEEEEEEPllNS8_4plusIlEEEE10hipError_tPvRmT1_T2_T3_mT4_P12ihipStream_tbEUlT_E1_NS1_11comp_targetILNS1_3genE5ELNS1_11target_archE942ELNS1_3gpuE9ELNS1_3repE0EEENS1_30default_config_static_selectorELNS0_4arch9wavefront6targetE1EEEvSW_.has_recursion, 0
	.set _ZN7rocprim17ROCPRIM_400000_NS6detail17trampoline_kernelINS0_14default_configENS1_22reduce_config_selectorIlEEZNS1_11reduce_implILb1ES3_N6thrust23THRUST_200600_302600_NS11hip_rocprim26transform_input_iterator_tIlNS8_12zip_iteratorINS8_5tupleINS8_6detail15normal_iteratorINS8_10device_ptrIfEEEESH_NS8_9null_typeESI_SI_SI_SI_SI_SI_SI_EEEENS9_21zip_adj_not_predicateINS8_8equal_toIfEEEEEEPllNS8_4plusIlEEEE10hipError_tPvRmT1_T2_T3_mT4_P12ihipStream_tbEUlT_E1_NS1_11comp_targetILNS1_3genE5ELNS1_11target_archE942ELNS1_3gpuE9ELNS1_3repE0EEENS1_30default_config_static_selectorELNS0_4arch9wavefront6targetE1EEEvSW_.has_indirect_call, 0
	.section	.AMDGPU.csdata,"",@progbits
; Kernel info:
; codeLenInByte = 0
; TotalNumSgprs: 4
; NumVgprs: 0
; ScratchSize: 0
; MemoryBound: 0
; FloatMode: 240
; IeeeMode: 1
; LDSByteSize: 0 bytes/workgroup (compile time only)
; SGPRBlocks: 0
; VGPRBlocks: 0
; NumSGPRsForWavesPerEU: 4
; NumVGPRsForWavesPerEU: 1
; Occupancy: 10
; WaveLimiterHint : 0
; COMPUTE_PGM_RSRC2:SCRATCH_EN: 0
; COMPUTE_PGM_RSRC2:USER_SGPR: 6
; COMPUTE_PGM_RSRC2:TRAP_HANDLER: 0
; COMPUTE_PGM_RSRC2:TGID_X_EN: 1
; COMPUTE_PGM_RSRC2:TGID_Y_EN: 0
; COMPUTE_PGM_RSRC2:TGID_Z_EN: 0
; COMPUTE_PGM_RSRC2:TIDIG_COMP_CNT: 0
	.section	.text._ZN7rocprim17ROCPRIM_400000_NS6detail17trampoline_kernelINS0_14default_configENS1_22reduce_config_selectorIlEEZNS1_11reduce_implILb1ES3_N6thrust23THRUST_200600_302600_NS11hip_rocprim26transform_input_iterator_tIlNS8_12zip_iteratorINS8_5tupleINS8_6detail15normal_iteratorINS8_10device_ptrIfEEEESH_NS8_9null_typeESI_SI_SI_SI_SI_SI_SI_EEEENS9_21zip_adj_not_predicateINS8_8equal_toIfEEEEEEPllNS8_4plusIlEEEE10hipError_tPvRmT1_T2_T3_mT4_P12ihipStream_tbEUlT_E1_NS1_11comp_targetILNS1_3genE4ELNS1_11target_archE910ELNS1_3gpuE8ELNS1_3repE0EEENS1_30default_config_static_selectorELNS0_4arch9wavefront6targetE1EEEvSW_,"axG",@progbits,_ZN7rocprim17ROCPRIM_400000_NS6detail17trampoline_kernelINS0_14default_configENS1_22reduce_config_selectorIlEEZNS1_11reduce_implILb1ES3_N6thrust23THRUST_200600_302600_NS11hip_rocprim26transform_input_iterator_tIlNS8_12zip_iteratorINS8_5tupleINS8_6detail15normal_iteratorINS8_10device_ptrIfEEEESH_NS8_9null_typeESI_SI_SI_SI_SI_SI_SI_EEEENS9_21zip_adj_not_predicateINS8_8equal_toIfEEEEEEPllNS8_4plusIlEEEE10hipError_tPvRmT1_T2_T3_mT4_P12ihipStream_tbEUlT_E1_NS1_11comp_targetILNS1_3genE4ELNS1_11target_archE910ELNS1_3gpuE8ELNS1_3repE0EEENS1_30default_config_static_selectorELNS0_4arch9wavefront6targetE1EEEvSW_,comdat
	.protected	_ZN7rocprim17ROCPRIM_400000_NS6detail17trampoline_kernelINS0_14default_configENS1_22reduce_config_selectorIlEEZNS1_11reduce_implILb1ES3_N6thrust23THRUST_200600_302600_NS11hip_rocprim26transform_input_iterator_tIlNS8_12zip_iteratorINS8_5tupleINS8_6detail15normal_iteratorINS8_10device_ptrIfEEEESH_NS8_9null_typeESI_SI_SI_SI_SI_SI_SI_EEEENS9_21zip_adj_not_predicateINS8_8equal_toIfEEEEEEPllNS8_4plusIlEEEE10hipError_tPvRmT1_T2_T3_mT4_P12ihipStream_tbEUlT_E1_NS1_11comp_targetILNS1_3genE4ELNS1_11target_archE910ELNS1_3gpuE8ELNS1_3repE0EEENS1_30default_config_static_selectorELNS0_4arch9wavefront6targetE1EEEvSW_ ; -- Begin function _ZN7rocprim17ROCPRIM_400000_NS6detail17trampoline_kernelINS0_14default_configENS1_22reduce_config_selectorIlEEZNS1_11reduce_implILb1ES3_N6thrust23THRUST_200600_302600_NS11hip_rocprim26transform_input_iterator_tIlNS8_12zip_iteratorINS8_5tupleINS8_6detail15normal_iteratorINS8_10device_ptrIfEEEESH_NS8_9null_typeESI_SI_SI_SI_SI_SI_SI_EEEENS9_21zip_adj_not_predicateINS8_8equal_toIfEEEEEEPllNS8_4plusIlEEEE10hipError_tPvRmT1_T2_T3_mT4_P12ihipStream_tbEUlT_E1_NS1_11comp_targetILNS1_3genE4ELNS1_11target_archE910ELNS1_3gpuE8ELNS1_3repE0EEENS1_30default_config_static_selectorELNS0_4arch9wavefront6targetE1EEEvSW_
	.globl	_ZN7rocprim17ROCPRIM_400000_NS6detail17trampoline_kernelINS0_14default_configENS1_22reduce_config_selectorIlEEZNS1_11reduce_implILb1ES3_N6thrust23THRUST_200600_302600_NS11hip_rocprim26transform_input_iterator_tIlNS8_12zip_iteratorINS8_5tupleINS8_6detail15normal_iteratorINS8_10device_ptrIfEEEESH_NS8_9null_typeESI_SI_SI_SI_SI_SI_SI_EEEENS9_21zip_adj_not_predicateINS8_8equal_toIfEEEEEEPllNS8_4plusIlEEEE10hipError_tPvRmT1_T2_T3_mT4_P12ihipStream_tbEUlT_E1_NS1_11comp_targetILNS1_3genE4ELNS1_11target_archE910ELNS1_3gpuE8ELNS1_3repE0EEENS1_30default_config_static_selectorELNS0_4arch9wavefront6targetE1EEEvSW_
	.p2align	8
	.type	_ZN7rocprim17ROCPRIM_400000_NS6detail17trampoline_kernelINS0_14default_configENS1_22reduce_config_selectorIlEEZNS1_11reduce_implILb1ES3_N6thrust23THRUST_200600_302600_NS11hip_rocprim26transform_input_iterator_tIlNS8_12zip_iteratorINS8_5tupleINS8_6detail15normal_iteratorINS8_10device_ptrIfEEEESH_NS8_9null_typeESI_SI_SI_SI_SI_SI_SI_EEEENS9_21zip_adj_not_predicateINS8_8equal_toIfEEEEEEPllNS8_4plusIlEEEE10hipError_tPvRmT1_T2_T3_mT4_P12ihipStream_tbEUlT_E1_NS1_11comp_targetILNS1_3genE4ELNS1_11target_archE910ELNS1_3gpuE8ELNS1_3repE0EEENS1_30default_config_static_selectorELNS0_4arch9wavefront6targetE1EEEvSW_,@function
_ZN7rocprim17ROCPRIM_400000_NS6detail17trampoline_kernelINS0_14default_configENS1_22reduce_config_selectorIlEEZNS1_11reduce_implILb1ES3_N6thrust23THRUST_200600_302600_NS11hip_rocprim26transform_input_iterator_tIlNS8_12zip_iteratorINS8_5tupleINS8_6detail15normal_iteratorINS8_10device_ptrIfEEEESH_NS8_9null_typeESI_SI_SI_SI_SI_SI_SI_EEEENS9_21zip_adj_not_predicateINS8_8equal_toIfEEEEEEPllNS8_4plusIlEEEE10hipError_tPvRmT1_T2_T3_mT4_P12ihipStream_tbEUlT_E1_NS1_11comp_targetILNS1_3genE4ELNS1_11target_archE910ELNS1_3gpuE8ELNS1_3repE0EEENS1_30default_config_static_selectorELNS0_4arch9wavefront6targetE1EEEvSW_: ; @_ZN7rocprim17ROCPRIM_400000_NS6detail17trampoline_kernelINS0_14default_configENS1_22reduce_config_selectorIlEEZNS1_11reduce_implILb1ES3_N6thrust23THRUST_200600_302600_NS11hip_rocprim26transform_input_iterator_tIlNS8_12zip_iteratorINS8_5tupleINS8_6detail15normal_iteratorINS8_10device_ptrIfEEEESH_NS8_9null_typeESI_SI_SI_SI_SI_SI_SI_EEEENS9_21zip_adj_not_predicateINS8_8equal_toIfEEEEEEPllNS8_4plusIlEEEE10hipError_tPvRmT1_T2_T3_mT4_P12ihipStream_tbEUlT_E1_NS1_11comp_targetILNS1_3genE4ELNS1_11target_archE910ELNS1_3gpuE8ELNS1_3repE0EEENS1_30default_config_static_selectorELNS0_4arch9wavefront6targetE1EEEvSW_
; %bb.0:
	.section	.rodata,"a",@progbits
	.p2align	6, 0x0
	.amdhsa_kernel _ZN7rocprim17ROCPRIM_400000_NS6detail17trampoline_kernelINS0_14default_configENS1_22reduce_config_selectorIlEEZNS1_11reduce_implILb1ES3_N6thrust23THRUST_200600_302600_NS11hip_rocprim26transform_input_iterator_tIlNS8_12zip_iteratorINS8_5tupleINS8_6detail15normal_iteratorINS8_10device_ptrIfEEEESH_NS8_9null_typeESI_SI_SI_SI_SI_SI_SI_EEEENS9_21zip_adj_not_predicateINS8_8equal_toIfEEEEEEPllNS8_4plusIlEEEE10hipError_tPvRmT1_T2_T3_mT4_P12ihipStream_tbEUlT_E1_NS1_11comp_targetILNS1_3genE4ELNS1_11target_archE910ELNS1_3gpuE8ELNS1_3repE0EEENS1_30default_config_static_selectorELNS0_4arch9wavefront6targetE1EEEvSW_
		.amdhsa_group_segment_fixed_size 0
		.amdhsa_private_segment_fixed_size 0
		.amdhsa_kernarg_size 64
		.amdhsa_user_sgpr_count 6
		.amdhsa_user_sgpr_private_segment_buffer 1
		.amdhsa_user_sgpr_dispatch_ptr 0
		.amdhsa_user_sgpr_queue_ptr 0
		.amdhsa_user_sgpr_kernarg_segment_ptr 1
		.amdhsa_user_sgpr_dispatch_id 0
		.amdhsa_user_sgpr_flat_scratch_init 0
		.amdhsa_user_sgpr_private_segment_size 0
		.amdhsa_uses_dynamic_stack 0
		.amdhsa_system_sgpr_private_segment_wavefront_offset 0
		.amdhsa_system_sgpr_workgroup_id_x 1
		.amdhsa_system_sgpr_workgroup_id_y 0
		.amdhsa_system_sgpr_workgroup_id_z 0
		.amdhsa_system_sgpr_workgroup_info 0
		.amdhsa_system_vgpr_workitem_id 0
		.amdhsa_next_free_vgpr 1
		.amdhsa_next_free_sgpr 0
		.amdhsa_reserve_vcc 0
		.amdhsa_reserve_flat_scratch 0
		.amdhsa_float_round_mode_32 0
		.amdhsa_float_round_mode_16_64 0
		.amdhsa_float_denorm_mode_32 3
		.amdhsa_float_denorm_mode_16_64 3
		.amdhsa_dx10_clamp 1
		.amdhsa_ieee_mode 1
		.amdhsa_fp16_overflow 0
		.amdhsa_exception_fp_ieee_invalid_op 0
		.amdhsa_exception_fp_denorm_src 0
		.amdhsa_exception_fp_ieee_div_zero 0
		.amdhsa_exception_fp_ieee_overflow 0
		.amdhsa_exception_fp_ieee_underflow 0
		.amdhsa_exception_fp_ieee_inexact 0
		.amdhsa_exception_int_div_zero 0
	.end_amdhsa_kernel
	.section	.text._ZN7rocprim17ROCPRIM_400000_NS6detail17trampoline_kernelINS0_14default_configENS1_22reduce_config_selectorIlEEZNS1_11reduce_implILb1ES3_N6thrust23THRUST_200600_302600_NS11hip_rocprim26transform_input_iterator_tIlNS8_12zip_iteratorINS8_5tupleINS8_6detail15normal_iteratorINS8_10device_ptrIfEEEESH_NS8_9null_typeESI_SI_SI_SI_SI_SI_SI_EEEENS9_21zip_adj_not_predicateINS8_8equal_toIfEEEEEEPllNS8_4plusIlEEEE10hipError_tPvRmT1_T2_T3_mT4_P12ihipStream_tbEUlT_E1_NS1_11comp_targetILNS1_3genE4ELNS1_11target_archE910ELNS1_3gpuE8ELNS1_3repE0EEENS1_30default_config_static_selectorELNS0_4arch9wavefront6targetE1EEEvSW_,"axG",@progbits,_ZN7rocprim17ROCPRIM_400000_NS6detail17trampoline_kernelINS0_14default_configENS1_22reduce_config_selectorIlEEZNS1_11reduce_implILb1ES3_N6thrust23THRUST_200600_302600_NS11hip_rocprim26transform_input_iterator_tIlNS8_12zip_iteratorINS8_5tupleINS8_6detail15normal_iteratorINS8_10device_ptrIfEEEESH_NS8_9null_typeESI_SI_SI_SI_SI_SI_SI_EEEENS9_21zip_adj_not_predicateINS8_8equal_toIfEEEEEEPllNS8_4plusIlEEEE10hipError_tPvRmT1_T2_T3_mT4_P12ihipStream_tbEUlT_E1_NS1_11comp_targetILNS1_3genE4ELNS1_11target_archE910ELNS1_3gpuE8ELNS1_3repE0EEENS1_30default_config_static_selectorELNS0_4arch9wavefront6targetE1EEEvSW_,comdat
.Lfunc_end790:
	.size	_ZN7rocprim17ROCPRIM_400000_NS6detail17trampoline_kernelINS0_14default_configENS1_22reduce_config_selectorIlEEZNS1_11reduce_implILb1ES3_N6thrust23THRUST_200600_302600_NS11hip_rocprim26transform_input_iterator_tIlNS8_12zip_iteratorINS8_5tupleINS8_6detail15normal_iteratorINS8_10device_ptrIfEEEESH_NS8_9null_typeESI_SI_SI_SI_SI_SI_SI_EEEENS9_21zip_adj_not_predicateINS8_8equal_toIfEEEEEEPllNS8_4plusIlEEEE10hipError_tPvRmT1_T2_T3_mT4_P12ihipStream_tbEUlT_E1_NS1_11comp_targetILNS1_3genE4ELNS1_11target_archE910ELNS1_3gpuE8ELNS1_3repE0EEENS1_30default_config_static_selectorELNS0_4arch9wavefront6targetE1EEEvSW_, .Lfunc_end790-_ZN7rocprim17ROCPRIM_400000_NS6detail17trampoline_kernelINS0_14default_configENS1_22reduce_config_selectorIlEEZNS1_11reduce_implILb1ES3_N6thrust23THRUST_200600_302600_NS11hip_rocprim26transform_input_iterator_tIlNS8_12zip_iteratorINS8_5tupleINS8_6detail15normal_iteratorINS8_10device_ptrIfEEEESH_NS8_9null_typeESI_SI_SI_SI_SI_SI_SI_EEEENS9_21zip_adj_not_predicateINS8_8equal_toIfEEEEEEPllNS8_4plusIlEEEE10hipError_tPvRmT1_T2_T3_mT4_P12ihipStream_tbEUlT_E1_NS1_11comp_targetILNS1_3genE4ELNS1_11target_archE910ELNS1_3gpuE8ELNS1_3repE0EEENS1_30default_config_static_selectorELNS0_4arch9wavefront6targetE1EEEvSW_
                                        ; -- End function
	.set _ZN7rocprim17ROCPRIM_400000_NS6detail17trampoline_kernelINS0_14default_configENS1_22reduce_config_selectorIlEEZNS1_11reduce_implILb1ES3_N6thrust23THRUST_200600_302600_NS11hip_rocprim26transform_input_iterator_tIlNS8_12zip_iteratorINS8_5tupleINS8_6detail15normal_iteratorINS8_10device_ptrIfEEEESH_NS8_9null_typeESI_SI_SI_SI_SI_SI_SI_EEEENS9_21zip_adj_not_predicateINS8_8equal_toIfEEEEEEPllNS8_4plusIlEEEE10hipError_tPvRmT1_T2_T3_mT4_P12ihipStream_tbEUlT_E1_NS1_11comp_targetILNS1_3genE4ELNS1_11target_archE910ELNS1_3gpuE8ELNS1_3repE0EEENS1_30default_config_static_selectorELNS0_4arch9wavefront6targetE1EEEvSW_.num_vgpr, 0
	.set _ZN7rocprim17ROCPRIM_400000_NS6detail17trampoline_kernelINS0_14default_configENS1_22reduce_config_selectorIlEEZNS1_11reduce_implILb1ES3_N6thrust23THRUST_200600_302600_NS11hip_rocprim26transform_input_iterator_tIlNS8_12zip_iteratorINS8_5tupleINS8_6detail15normal_iteratorINS8_10device_ptrIfEEEESH_NS8_9null_typeESI_SI_SI_SI_SI_SI_SI_EEEENS9_21zip_adj_not_predicateINS8_8equal_toIfEEEEEEPllNS8_4plusIlEEEE10hipError_tPvRmT1_T2_T3_mT4_P12ihipStream_tbEUlT_E1_NS1_11comp_targetILNS1_3genE4ELNS1_11target_archE910ELNS1_3gpuE8ELNS1_3repE0EEENS1_30default_config_static_selectorELNS0_4arch9wavefront6targetE1EEEvSW_.num_agpr, 0
	.set _ZN7rocprim17ROCPRIM_400000_NS6detail17trampoline_kernelINS0_14default_configENS1_22reduce_config_selectorIlEEZNS1_11reduce_implILb1ES3_N6thrust23THRUST_200600_302600_NS11hip_rocprim26transform_input_iterator_tIlNS8_12zip_iteratorINS8_5tupleINS8_6detail15normal_iteratorINS8_10device_ptrIfEEEESH_NS8_9null_typeESI_SI_SI_SI_SI_SI_SI_EEEENS9_21zip_adj_not_predicateINS8_8equal_toIfEEEEEEPllNS8_4plusIlEEEE10hipError_tPvRmT1_T2_T3_mT4_P12ihipStream_tbEUlT_E1_NS1_11comp_targetILNS1_3genE4ELNS1_11target_archE910ELNS1_3gpuE8ELNS1_3repE0EEENS1_30default_config_static_selectorELNS0_4arch9wavefront6targetE1EEEvSW_.numbered_sgpr, 0
	.set _ZN7rocprim17ROCPRIM_400000_NS6detail17trampoline_kernelINS0_14default_configENS1_22reduce_config_selectorIlEEZNS1_11reduce_implILb1ES3_N6thrust23THRUST_200600_302600_NS11hip_rocprim26transform_input_iterator_tIlNS8_12zip_iteratorINS8_5tupleINS8_6detail15normal_iteratorINS8_10device_ptrIfEEEESH_NS8_9null_typeESI_SI_SI_SI_SI_SI_SI_EEEENS9_21zip_adj_not_predicateINS8_8equal_toIfEEEEEEPllNS8_4plusIlEEEE10hipError_tPvRmT1_T2_T3_mT4_P12ihipStream_tbEUlT_E1_NS1_11comp_targetILNS1_3genE4ELNS1_11target_archE910ELNS1_3gpuE8ELNS1_3repE0EEENS1_30default_config_static_selectorELNS0_4arch9wavefront6targetE1EEEvSW_.num_named_barrier, 0
	.set _ZN7rocprim17ROCPRIM_400000_NS6detail17trampoline_kernelINS0_14default_configENS1_22reduce_config_selectorIlEEZNS1_11reduce_implILb1ES3_N6thrust23THRUST_200600_302600_NS11hip_rocprim26transform_input_iterator_tIlNS8_12zip_iteratorINS8_5tupleINS8_6detail15normal_iteratorINS8_10device_ptrIfEEEESH_NS8_9null_typeESI_SI_SI_SI_SI_SI_SI_EEEENS9_21zip_adj_not_predicateINS8_8equal_toIfEEEEEEPllNS8_4plusIlEEEE10hipError_tPvRmT1_T2_T3_mT4_P12ihipStream_tbEUlT_E1_NS1_11comp_targetILNS1_3genE4ELNS1_11target_archE910ELNS1_3gpuE8ELNS1_3repE0EEENS1_30default_config_static_selectorELNS0_4arch9wavefront6targetE1EEEvSW_.private_seg_size, 0
	.set _ZN7rocprim17ROCPRIM_400000_NS6detail17trampoline_kernelINS0_14default_configENS1_22reduce_config_selectorIlEEZNS1_11reduce_implILb1ES3_N6thrust23THRUST_200600_302600_NS11hip_rocprim26transform_input_iterator_tIlNS8_12zip_iteratorINS8_5tupleINS8_6detail15normal_iteratorINS8_10device_ptrIfEEEESH_NS8_9null_typeESI_SI_SI_SI_SI_SI_SI_EEEENS9_21zip_adj_not_predicateINS8_8equal_toIfEEEEEEPllNS8_4plusIlEEEE10hipError_tPvRmT1_T2_T3_mT4_P12ihipStream_tbEUlT_E1_NS1_11comp_targetILNS1_3genE4ELNS1_11target_archE910ELNS1_3gpuE8ELNS1_3repE0EEENS1_30default_config_static_selectorELNS0_4arch9wavefront6targetE1EEEvSW_.uses_vcc, 0
	.set _ZN7rocprim17ROCPRIM_400000_NS6detail17trampoline_kernelINS0_14default_configENS1_22reduce_config_selectorIlEEZNS1_11reduce_implILb1ES3_N6thrust23THRUST_200600_302600_NS11hip_rocprim26transform_input_iterator_tIlNS8_12zip_iteratorINS8_5tupleINS8_6detail15normal_iteratorINS8_10device_ptrIfEEEESH_NS8_9null_typeESI_SI_SI_SI_SI_SI_SI_EEEENS9_21zip_adj_not_predicateINS8_8equal_toIfEEEEEEPllNS8_4plusIlEEEE10hipError_tPvRmT1_T2_T3_mT4_P12ihipStream_tbEUlT_E1_NS1_11comp_targetILNS1_3genE4ELNS1_11target_archE910ELNS1_3gpuE8ELNS1_3repE0EEENS1_30default_config_static_selectorELNS0_4arch9wavefront6targetE1EEEvSW_.uses_flat_scratch, 0
	.set _ZN7rocprim17ROCPRIM_400000_NS6detail17trampoline_kernelINS0_14default_configENS1_22reduce_config_selectorIlEEZNS1_11reduce_implILb1ES3_N6thrust23THRUST_200600_302600_NS11hip_rocprim26transform_input_iterator_tIlNS8_12zip_iteratorINS8_5tupleINS8_6detail15normal_iteratorINS8_10device_ptrIfEEEESH_NS8_9null_typeESI_SI_SI_SI_SI_SI_SI_EEEENS9_21zip_adj_not_predicateINS8_8equal_toIfEEEEEEPllNS8_4plusIlEEEE10hipError_tPvRmT1_T2_T3_mT4_P12ihipStream_tbEUlT_E1_NS1_11comp_targetILNS1_3genE4ELNS1_11target_archE910ELNS1_3gpuE8ELNS1_3repE0EEENS1_30default_config_static_selectorELNS0_4arch9wavefront6targetE1EEEvSW_.has_dyn_sized_stack, 0
	.set _ZN7rocprim17ROCPRIM_400000_NS6detail17trampoline_kernelINS0_14default_configENS1_22reduce_config_selectorIlEEZNS1_11reduce_implILb1ES3_N6thrust23THRUST_200600_302600_NS11hip_rocprim26transform_input_iterator_tIlNS8_12zip_iteratorINS8_5tupleINS8_6detail15normal_iteratorINS8_10device_ptrIfEEEESH_NS8_9null_typeESI_SI_SI_SI_SI_SI_SI_EEEENS9_21zip_adj_not_predicateINS8_8equal_toIfEEEEEEPllNS8_4plusIlEEEE10hipError_tPvRmT1_T2_T3_mT4_P12ihipStream_tbEUlT_E1_NS1_11comp_targetILNS1_3genE4ELNS1_11target_archE910ELNS1_3gpuE8ELNS1_3repE0EEENS1_30default_config_static_selectorELNS0_4arch9wavefront6targetE1EEEvSW_.has_recursion, 0
	.set _ZN7rocprim17ROCPRIM_400000_NS6detail17trampoline_kernelINS0_14default_configENS1_22reduce_config_selectorIlEEZNS1_11reduce_implILb1ES3_N6thrust23THRUST_200600_302600_NS11hip_rocprim26transform_input_iterator_tIlNS8_12zip_iteratorINS8_5tupleINS8_6detail15normal_iteratorINS8_10device_ptrIfEEEESH_NS8_9null_typeESI_SI_SI_SI_SI_SI_SI_EEEENS9_21zip_adj_not_predicateINS8_8equal_toIfEEEEEEPllNS8_4plusIlEEEE10hipError_tPvRmT1_T2_T3_mT4_P12ihipStream_tbEUlT_E1_NS1_11comp_targetILNS1_3genE4ELNS1_11target_archE910ELNS1_3gpuE8ELNS1_3repE0EEENS1_30default_config_static_selectorELNS0_4arch9wavefront6targetE1EEEvSW_.has_indirect_call, 0
	.section	.AMDGPU.csdata,"",@progbits
; Kernel info:
; codeLenInByte = 0
; TotalNumSgprs: 4
; NumVgprs: 0
; ScratchSize: 0
; MemoryBound: 0
; FloatMode: 240
; IeeeMode: 1
; LDSByteSize: 0 bytes/workgroup (compile time only)
; SGPRBlocks: 0
; VGPRBlocks: 0
; NumSGPRsForWavesPerEU: 4
; NumVGPRsForWavesPerEU: 1
; Occupancy: 10
; WaveLimiterHint : 0
; COMPUTE_PGM_RSRC2:SCRATCH_EN: 0
; COMPUTE_PGM_RSRC2:USER_SGPR: 6
; COMPUTE_PGM_RSRC2:TRAP_HANDLER: 0
; COMPUTE_PGM_RSRC2:TGID_X_EN: 1
; COMPUTE_PGM_RSRC2:TGID_Y_EN: 0
; COMPUTE_PGM_RSRC2:TGID_Z_EN: 0
; COMPUTE_PGM_RSRC2:TIDIG_COMP_CNT: 0
	.section	.text._ZN7rocprim17ROCPRIM_400000_NS6detail17trampoline_kernelINS0_14default_configENS1_22reduce_config_selectorIlEEZNS1_11reduce_implILb1ES3_N6thrust23THRUST_200600_302600_NS11hip_rocprim26transform_input_iterator_tIlNS8_12zip_iteratorINS8_5tupleINS8_6detail15normal_iteratorINS8_10device_ptrIfEEEESH_NS8_9null_typeESI_SI_SI_SI_SI_SI_SI_EEEENS9_21zip_adj_not_predicateINS8_8equal_toIfEEEEEEPllNS8_4plusIlEEEE10hipError_tPvRmT1_T2_T3_mT4_P12ihipStream_tbEUlT_E1_NS1_11comp_targetILNS1_3genE3ELNS1_11target_archE908ELNS1_3gpuE7ELNS1_3repE0EEENS1_30default_config_static_selectorELNS0_4arch9wavefront6targetE1EEEvSW_,"axG",@progbits,_ZN7rocprim17ROCPRIM_400000_NS6detail17trampoline_kernelINS0_14default_configENS1_22reduce_config_selectorIlEEZNS1_11reduce_implILb1ES3_N6thrust23THRUST_200600_302600_NS11hip_rocprim26transform_input_iterator_tIlNS8_12zip_iteratorINS8_5tupleINS8_6detail15normal_iteratorINS8_10device_ptrIfEEEESH_NS8_9null_typeESI_SI_SI_SI_SI_SI_SI_EEEENS9_21zip_adj_not_predicateINS8_8equal_toIfEEEEEEPllNS8_4plusIlEEEE10hipError_tPvRmT1_T2_T3_mT4_P12ihipStream_tbEUlT_E1_NS1_11comp_targetILNS1_3genE3ELNS1_11target_archE908ELNS1_3gpuE7ELNS1_3repE0EEENS1_30default_config_static_selectorELNS0_4arch9wavefront6targetE1EEEvSW_,comdat
	.protected	_ZN7rocprim17ROCPRIM_400000_NS6detail17trampoline_kernelINS0_14default_configENS1_22reduce_config_selectorIlEEZNS1_11reduce_implILb1ES3_N6thrust23THRUST_200600_302600_NS11hip_rocprim26transform_input_iterator_tIlNS8_12zip_iteratorINS8_5tupleINS8_6detail15normal_iteratorINS8_10device_ptrIfEEEESH_NS8_9null_typeESI_SI_SI_SI_SI_SI_SI_EEEENS9_21zip_adj_not_predicateINS8_8equal_toIfEEEEEEPllNS8_4plusIlEEEE10hipError_tPvRmT1_T2_T3_mT4_P12ihipStream_tbEUlT_E1_NS1_11comp_targetILNS1_3genE3ELNS1_11target_archE908ELNS1_3gpuE7ELNS1_3repE0EEENS1_30default_config_static_selectorELNS0_4arch9wavefront6targetE1EEEvSW_ ; -- Begin function _ZN7rocprim17ROCPRIM_400000_NS6detail17trampoline_kernelINS0_14default_configENS1_22reduce_config_selectorIlEEZNS1_11reduce_implILb1ES3_N6thrust23THRUST_200600_302600_NS11hip_rocprim26transform_input_iterator_tIlNS8_12zip_iteratorINS8_5tupleINS8_6detail15normal_iteratorINS8_10device_ptrIfEEEESH_NS8_9null_typeESI_SI_SI_SI_SI_SI_SI_EEEENS9_21zip_adj_not_predicateINS8_8equal_toIfEEEEEEPllNS8_4plusIlEEEE10hipError_tPvRmT1_T2_T3_mT4_P12ihipStream_tbEUlT_E1_NS1_11comp_targetILNS1_3genE3ELNS1_11target_archE908ELNS1_3gpuE7ELNS1_3repE0EEENS1_30default_config_static_selectorELNS0_4arch9wavefront6targetE1EEEvSW_
	.globl	_ZN7rocprim17ROCPRIM_400000_NS6detail17trampoline_kernelINS0_14default_configENS1_22reduce_config_selectorIlEEZNS1_11reduce_implILb1ES3_N6thrust23THRUST_200600_302600_NS11hip_rocprim26transform_input_iterator_tIlNS8_12zip_iteratorINS8_5tupleINS8_6detail15normal_iteratorINS8_10device_ptrIfEEEESH_NS8_9null_typeESI_SI_SI_SI_SI_SI_SI_EEEENS9_21zip_adj_not_predicateINS8_8equal_toIfEEEEEEPllNS8_4plusIlEEEE10hipError_tPvRmT1_T2_T3_mT4_P12ihipStream_tbEUlT_E1_NS1_11comp_targetILNS1_3genE3ELNS1_11target_archE908ELNS1_3gpuE7ELNS1_3repE0EEENS1_30default_config_static_selectorELNS0_4arch9wavefront6targetE1EEEvSW_
	.p2align	8
	.type	_ZN7rocprim17ROCPRIM_400000_NS6detail17trampoline_kernelINS0_14default_configENS1_22reduce_config_selectorIlEEZNS1_11reduce_implILb1ES3_N6thrust23THRUST_200600_302600_NS11hip_rocprim26transform_input_iterator_tIlNS8_12zip_iteratorINS8_5tupleINS8_6detail15normal_iteratorINS8_10device_ptrIfEEEESH_NS8_9null_typeESI_SI_SI_SI_SI_SI_SI_EEEENS9_21zip_adj_not_predicateINS8_8equal_toIfEEEEEEPllNS8_4plusIlEEEE10hipError_tPvRmT1_T2_T3_mT4_P12ihipStream_tbEUlT_E1_NS1_11comp_targetILNS1_3genE3ELNS1_11target_archE908ELNS1_3gpuE7ELNS1_3repE0EEENS1_30default_config_static_selectorELNS0_4arch9wavefront6targetE1EEEvSW_,@function
_ZN7rocprim17ROCPRIM_400000_NS6detail17trampoline_kernelINS0_14default_configENS1_22reduce_config_selectorIlEEZNS1_11reduce_implILb1ES3_N6thrust23THRUST_200600_302600_NS11hip_rocprim26transform_input_iterator_tIlNS8_12zip_iteratorINS8_5tupleINS8_6detail15normal_iteratorINS8_10device_ptrIfEEEESH_NS8_9null_typeESI_SI_SI_SI_SI_SI_SI_EEEENS9_21zip_adj_not_predicateINS8_8equal_toIfEEEEEEPllNS8_4plusIlEEEE10hipError_tPvRmT1_T2_T3_mT4_P12ihipStream_tbEUlT_E1_NS1_11comp_targetILNS1_3genE3ELNS1_11target_archE908ELNS1_3gpuE7ELNS1_3repE0EEENS1_30default_config_static_selectorELNS0_4arch9wavefront6targetE1EEEvSW_: ; @_ZN7rocprim17ROCPRIM_400000_NS6detail17trampoline_kernelINS0_14default_configENS1_22reduce_config_selectorIlEEZNS1_11reduce_implILb1ES3_N6thrust23THRUST_200600_302600_NS11hip_rocprim26transform_input_iterator_tIlNS8_12zip_iteratorINS8_5tupleINS8_6detail15normal_iteratorINS8_10device_ptrIfEEEESH_NS8_9null_typeESI_SI_SI_SI_SI_SI_SI_EEEENS9_21zip_adj_not_predicateINS8_8equal_toIfEEEEEEPllNS8_4plusIlEEEE10hipError_tPvRmT1_T2_T3_mT4_P12ihipStream_tbEUlT_E1_NS1_11comp_targetILNS1_3genE3ELNS1_11target_archE908ELNS1_3gpuE7ELNS1_3repE0EEENS1_30default_config_static_selectorELNS0_4arch9wavefront6targetE1EEEvSW_
; %bb.0:
	.section	.rodata,"a",@progbits
	.p2align	6, 0x0
	.amdhsa_kernel _ZN7rocprim17ROCPRIM_400000_NS6detail17trampoline_kernelINS0_14default_configENS1_22reduce_config_selectorIlEEZNS1_11reduce_implILb1ES3_N6thrust23THRUST_200600_302600_NS11hip_rocprim26transform_input_iterator_tIlNS8_12zip_iteratorINS8_5tupleINS8_6detail15normal_iteratorINS8_10device_ptrIfEEEESH_NS8_9null_typeESI_SI_SI_SI_SI_SI_SI_EEEENS9_21zip_adj_not_predicateINS8_8equal_toIfEEEEEEPllNS8_4plusIlEEEE10hipError_tPvRmT1_T2_T3_mT4_P12ihipStream_tbEUlT_E1_NS1_11comp_targetILNS1_3genE3ELNS1_11target_archE908ELNS1_3gpuE7ELNS1_3repE0EEENS1_30default_config_static_selectorELNS0_4arch9wavefront6targetE1EEEvSW_
		.amdhsa_group_segment_fixed_size 0
		.amdhsa_private_segment_fixed_size 0
		.amdhsa_kernarg_size 64
		.amdhsa_user_sgpr_count 6
		.amdhsa_user_sgpr_private_segment_buffer 1
		.amdhsa_user_sgpr_dispatch_ptr 0
		.amdhsa_user_sgpr_queue_ptr 0
		.amdhsa_user_sgpr_kernarg_segment_ptr 1
		.amdhsa_user_sgpr_dispatch_id 0
		.amdhsa_user_sgpr_flat_scratch_init 0
		.amdhsa_user_sgpr_private_segment_size 0
		.amdhsa_uses_dynamic_stack 0
		.amdhsa_system_sgpr_private_segment_wavefront_offset 0
		.amdhsa_system_sgpr_workgroup_id_x 1
		.amdhsa_system_sgpr_workgroup_id_y 0
		.amdhsa_system_sgpr_workgroup_id_z 0
		.amdhsa_system_sgpr_workgroup_info 0
		.amdhsa_system_vgpr_workitem_id 0
		.amdhsa_next_free_vgpr 1
		.amdhsa_next_free_sgpr 0
		.amdhsa_reserve_vcc 0
		.amdhsa_reserve_flat_scratch 0
		.amdhsa_float_round_mode_32 0
		.amdhsa_float_round_mode_16_64 0
		.amdhsa_float_denorm_mode_32 3
		.amdhsa_float_denorm_mode_16_64 3
		.amdhsa_dx10_clamp 1
		.amdhsa_ieee_mode 1
		.amdhsa_fp16_overflow 0
		.amdhsa_exception_fp_ieee_invalid_op 0
		.amdhsa_exception_fp_denorm_src 0
		.amdhsa_exception_fp_ieee_div_zero 0
		.amdhsa_exception_fp_ieee_overflow 0
		.amdhsa_exception_fp_ieee_underflow 0
		.amdhsa_exception_fp_ieee_inexact 0
		.amdhsa_exception_int_div_zero 0
	.end_amdhsa_kernel
	.section	.text._ZN7rocprim17ROCPRIM_400000_NS6detail17trampoline_kernelINS0_14default_configENS1_22reduce_config_selectorIlEEZNS1_11reduce_implILb1ES3_N6thrust23THRUST_200600_302600_NS11hip_rocprim26transform_input_iterator_tIlNS8_12zip_iteratorINS8_5tupleINS8_6detail15normal_iteratorINS8_10device_ptrIfEEEESH_NS8_9null_typeESI_SI_SI_SI_SI_SI_SI_EEEENS9_21zip_adj_not_predicateINS8_8equal_toIfEEEEEEPllNS8_4plusIlEEEE10hipError_tPvRmT1_T2_T3_mT4_P12ihipStream_tbEUlT_E1_NS1_11comp_targetILNS1_3genE3ELNS1_11target_archE908ELNS1_3gpuE7ELNS1_3repE0EEENS1_30default_config_static_selectorELNS0_4arch9wavefront6targetE1EEEvSW_,"axG",@progbits,_ZN7rocprim17ROCPRIM_400000_NS6detail17trampoline_kernelINS0_14default_configENS1_22reduce_config_selectorIlEEZNS1_11reduce_implILb1ES3_N6thrust23THRUST_200600_302600_NS11hip_rocprim26transform_input_iterator_tIlNS8_12zip_iteratorINS8_5tupleINS8_6detail15normal_iteratorINS8_10device_ptrIfEEEESH_NS8_9null_typeESI_SI_SI_SI_SI_SI_SI_EEEENS9_21zip_adj_not_predicateINS8_8equal_toIfEEEEEEPllNS8_4plusIlEEEE10hipError_tPvRmT1_T2_T3_mT4_P12ihipStream_tbEUlT_E1_NS1_11comp_targetILNS1_3genE3ELNS1_11target_archE908ELNS1_3gpuE7ELNS1_3repE0EEENS1_30default_config_static_selectorELNS0_4arch9wavefront6targetE1EEEvSW_,comdat
.Lfunc_end791:
	.size	_ZN7rocprim17ROCPRIM_400000_NS6detail17trampoline_kernelINS0_14default_configENS1_22reduce_config_selectorIlEEZNS1_11reduce_implILb1ES3_N6thrust23THRUST_200600_302600_NS11hip_rocprim26transform_input_iterator_tIlNS8_12zip_iteratorINS8_5tupleINS8_6detail15normal_iteratorINS8_10device_ptrIfEEEESH_NS8_9null_typeESI_SI_SI_SI_SI_SI_SI_EEEENS9_21zip_adj_not_predicateINS8_8equal_toIfEEEEEEPllNS8_4plusIlEEEE10hipError_tPvRmT1_T2_T3_mT4_P12ihipStream_tbEUlT_E1_NS1_11comp_targetILNS1_3genE3ELNS1_11target_archE908ELNS1_3gpuE7ELNS1_3repE0EEENS1_30default_config_static_selectorELNS0_4arch9wavefront6targetE1EEEvSW_, .Lfunc_end791-_ZN7rocprim17ROCPRIM_400000_NS6detail17trampoline_kernelINS0_14default_configENS1_22reduce_config_selectorIlEEZNS1_11reduce_implILb1ES3_N6thrust23THRUST_200600_302600_NS11hip_rocprim26transform_input_iterator_tIlNS8_12zip_iteratorINS8_5tupleINS8_6detail15normal_iteratorINS8_10device_ptrIfEEEESH_NS8_9null_typeESI_SI_SI_SI_SI_SI_SI_EEEENS9_21zip_adj_not_predicateINS8_8equal_toIfEEEEEEPllNS8_4plusIlEEEE10hipError_tPvRmT1_T2_T3_mT4_P12ihipStream_tbEUlT_E1_NS1_11comp_targetILNS1_3genE3ELNS1_11target_archE908ELNS1_3gpuE7ELNS1_3repE0EEENS1_30default_config_static_selectorELNS0_4arch9wavefront6targetE1EEEvSW_
                                        ; -- End function
	.set _ZN7rocprim17ROCPRIM_400000_NS6detail17trampoline_kernelINS0_14default_configENS1_22reduce_config_selectorIlEEZNS1_11reduce_implILb1ES3_N6thrust23THRUST_200600_302600_NS11hip_rocprim26transform_input_iterator_tIlNS8_12zip_iteratorINS8_5tupleINS8_6detail15normal_iteratorINS8_10device_ptrIfEEEESH_NS8_9null_typeESI_SI_SI_SI_SI_SI_SI_EEEENS9_21zip_adj_not_predicateINS8_8equal_toIfEEEEEEPllNS8_4plusIlEEEE10hipError_tPvRmT1_T2_T3_mT4_P12ihipStream_tbEUlT_E1_NS1_11comp_targetILNS1_3genE3ELNS1_11target_archE908ELNS1_3gpuE7ELNS1_3repE0EEENS1_30default_config_static_selectorELNS0_4arch9wavefront6targetE1EEEvSW_.num_vgpr, 0
	.set _ZN7rocprim17ROCPRIM_400000_NS6detail17trampoline_kernelINS0_14default_configENS1_22reduce_config_selectorIlEEZNS1_11reduce_implILb1ES3_N6thrust23THRUST_200600_302600_NS11hip_rocprim26transform_input_iterator_tIlNS8_12zip_iteratorINS8_5tupleINS8_6detail15normal_iteratorINS8_10device_ptrIfEEEESH_NS8_9null_typeESI_SI_SI_SI_SI_SI_SI_EEEENS9_21zip_adj_not_predicateINS8_8equal_toIfEEEEEEPllNS8_4plusIlEEEE10hipError_tPvRmT1_T2_T3_mT4_P12ihipStream_tbEUlT_E1_NS1_11comp_targetILNS1_3genE3ELNS1_11target_archE908ELNS1_3gpuE7ELNS1_3repE0EEENS1_30default_config_static_selectorELNS0_4arch9wavefront6targetE1EEEvSW_.num_agpr, 0
	.set _ZN7rocprim17ROCPRIM_400000_NS6detail17trampoline_kernelINS0_14default_configENS1_22reduce_config_selectorIlEEZNS1_11reduce_implILb1ES3_N6thrust23THRUST_200600_302600_NS11hip_rocprim26transform_input_iterator_tIlNS8_12zip_iteratorINS8_5tupleINS8_6detail15normal_iteratorINS8_10device_ptrIfEEEESH_NS8_9null_typeESI_SI_SI_SI_SI_SI_SI_EEEENS9_21zip_adj_not_predicateINS8_8equal_toIfEEEEEEPllNS8_4plusIlEEEE10hipError_tPvRmT1_T2_T3_mT4_P12ihipStream_tbEUlT_E1_NS1_11comp_targetILNS1_3genE3ELNS1_11target_archE908ELNS1_3gpuE7ELNS1_3repE0EEENS1_30default_config_static_selectorELNS0_4arch9wavefront6targetE1EEEvSW_.numbered_sgpr, 0
	.set _ZN7rocprim17ROCPRIM_400000_NS6detail17trampoline_kernelINS0_14default_configENS1_22reduce_config_selectorIlEEZNS1_11reduce_implILb1ES3_N6thrust23THRUST_200600_302600_NS11hip_rocprim26transform_input_iterator_tIlNS8_12zip_iteratorINS8_5tupleINS8_6detail15normal_iteratorINS8_10device_ptrIfEEEESH_NS8_9null_typeESI_SI_SI_SI_SI_SI_SI_EEEENS9_21zip_adj_not_predicateINS8_8equal_toIfEEEEEEPllNS8_4plusIlEEEE10hipError_tPvRmT1_T2_T3_mT4_P12ihipStream_tbEUlT_E1_NS1_11comp_targetILNS1_3genE3ELNS1_11target_archE908ELNS1_3gpuE7ELNS1_3repE0EEENS1_30default_config_static_selectorELNS0_4arch9wavefront6targetE1EEEvSW_.num_named_barrier, 0
	.set _ZN7rocprim17ROCPRIM_400000_NS6detail17trampoline_kernelINS0_14default_configENS1_22reduce_config_selectorIlEEZNS1_11reduce_implILb1ES3_N6thrust23THRUST_200600_302600_NS11hip_rocprim26transform_input_iterator_tIlNS8_12zip_iteratorINS8_5tupleINS8_6detail15normal_iteratorINS8_10device_ptrIfEEEESH_NS8_9null_typeESI_SI_SI_SI_SI_SI_SI_EEEENS9_21zip_adj_not_predicateINS8_8equal_toIfEEEEEEPllNS8_4plusIlEEEE10hipError_tPvRmT1_T2_T3_mT4_P12ihipStream_tbEUlT_E1_NS1_11comp_targetILNS1_3genE3ELNS1_11target_archE908ELNS1_3gpuE7ELNS1_3repE0EEENS1_30default_config_static_selectorELNS0_4arch9wavefront6targetE1EEEvSW_.private_seg_size, 0
	.set _ZN7rocprim17ROCPRIM_400000_NS6detail17trampoline_kernelINS0_14default_configENS1_22reduce_config_selectorIlEEZNS1_11reduce_implILb1ES3_N6thrust23THRUST_200600_302600_NS11hip_rocprim26transform_input_iterator_tIlNS8_12zip_iteratorINS8_5tupleINS8_6detail15normal_iteratorINS8_10device_ptrIfEEEESH_NS8_9null_typeESI_SI_SI_SI_SI_SI_SI_EEEENS9_21zip_adj_not_predicateINS8_8equal_toIfEEEEEEPllNS8_4plusIlEEEE10hipError_tPvRmT1_T2_T3_mT4_P12ihipStream_tbEUlT_E1_NS1_11comp_targetILNS1_3genE3ELNS1_11target_archE908ELNS1_3gpuE7ELNS1_3repE0EEENS1_30default_config_static_selectorELNS0_4arch9wavefront6targetE1EEEvSW_.uses_vcc, 0
	.set _ZN7rocprim17ROCPRIM_400000_NS6detail17trampoline_kernelINS0_14default_configENS1_22reduce_config_selectorIlEEZNS1_11reduce_implILb1ES3_N6thrust23THRUST_200600_302600_NS11hip_rocprim26transform_input_iterator_tIlNS8_12zip_iteratorINS8_5tupleINS8_6detail15normal_iteratorINS8_10device_ptrIfEEEESH_NS8_9null_typeESI_SI_SI_SI_SI_SI_SI_EEEENS9_21zip_adj_not_predicateINS8_8equal_toIfEEEEEEPllNS8_4plusIlEEEE10hipError_tPvRmT1_T2_T3_mT4_P12ihipStream_tbEUlT_E1_NS1_11comp_targetILNS1_3genE3ELNS1_11target_archE908ELNS1_3gpuE7ELNS1_3repE0EEENS1_30default_config_static_selectorELNS0_4arch9wavefront6targetE1EEEvSW_.uses_flat_scratch, 0
	.set _ZN7rocprim17ROCPRIM_400000_NS6detail17trampoline_kernelINS0_14default_configENS1_22reduce_config_selectorIlEEZNS1_11reduce_implILb1ES3_N6thrust23THRUST_200600_302600_NS11hip_rocprim26transform_input_iterator_tIlNS8_12zip_iteratorINS8_5tupleINS8_6detail15normal_iteratorINS8_10device_ptrIfEEEESH_NS8_9null_typeESI_SI_SI_SI_SI_SI_SI_EEEENS9_21zip_adj_not_predicateINS8_8equal_toIfEEEEEEPllNS8_4plusIlEEEE10hipError_tPvRmT1_T2_T3_mT4_P12ihipStream_tbEUlT_E1_NS1_11comp_targetILNS1_3genE3ELNS1_11target_archE908ELNS1_3gpuE7ELNS1_3repE0EEENS1_30default_config_static_selectorELNS0_4arch9wavefront6targetE1EEEvSW_.has_dyn_sized_stack, 0
	.set _ZN7rocprim17ROCPRIM_400000_NS6detail17trampoline_kernelINS0_14default_configENS1_22reduce_config_selectorIlEEZNS1_11reduce_implILb1ES3_N6thrust23THRUST_200600_302600_NS11hip_rocprim26transform_input_iterator_tIlNS8_12zip_iteratorINS8_5tupleINS8_6detail15normal_iteratorINS8_10device_ptrIfEEEESH_NS8_9null_typeESI_SI_SI_SI_SI_SI_SI_EEEENS9_21zip_adj_not_predicateINS8_8equal_toIfEEEEEEPllNS8_4plusIlEEEE10hipError_tPvRmT1_T2_T3_mT4_P12ihipStream_tbEUlT_E1_NS1_11comp_targetILNS1_3genE3ELNS1_11target_archE908ELNS1_3gpuE7ELNS1_3repE0EEENS1_30default_config_static_selectorELNS0_4arch9wavefront6targetE1EEEvSW_.has_recursion, 0
	.set _ZN7rocprim17ROCPRIM_400000_NS6detail17trampoline_kernelINS0_14default_configENS1_22reduce_config_selectorIlEEZNS1_11reduce_implILb1ES3_N6thrust23THRUST_200600_302600_NS11hip_rocprim26transform_input_iterator_tIlNS8_12zip_iteratorINS8_5tupleINS8_6detail15normal_iteratorINS8_10device_ptrIfEEEESH_NS8_9null_typeESI_SI_SI_SI_SI_SI_SI_EEEENS9_21zip_adj_not_predicateINS8_8equal_toIfEEEEEEPllNS8_4plusIlEEEE10hipError_tPvRmT1_T2_T3_mT4_P12ihipStream_tbEUlT_E1_NS1_11comp_targetILNS1_3genE3ELNS1_11target_archE908ELNS1_3gpuE7ELNS1_3repE0EEENS1_30default_config_static_selectorELNS0_4arch9wavefront6targetE1EEEvSW_.has_indirect_call, 0
	.section	.AMDGPU.csdata,"",@progbits
; Kernel info:
; codeLenInByte = 0
; TotalNumSgprs: 4
; NumVgprs: 0
; ScratchSize: 0
; MemoryBound: 0
; FloatMode: 240
; IeeeMode: 1
; LDSByteSize: 0 bytes/workgroup (compile time only)
; SGPRBlocks: 0
; VGPRBlocks: 0
; NumSGPRsForWavesPerEU: 4
; NumVGPRsForWavesPerEU: 1
; Occupancy: 10
; WaveLimiterHint : 0
; COMPUTE_PGM_RSRC2:SCRATCH_EN: 0
; COMPUTE_PGM_RSRC2:USER_SGPR: 6
; COMPUTE_PGM_RSRC2:TRAP_HANDLER: 0
; COMPUTE_PGM_RSRC2:TGID_X_EN: 1
; COMPUTE_PGM_RSRC2:TGID_Y_EN: 0
; COMPUTE_PGM_RSRC2:TGID_Z_EN: 0
; COMPUTE_PGM_RSRC2:TIDIG_COMP_CNT: 0
	.section	.text._ZN7rocprim17ROCPRIM_400000_NS6detail17trampoline_kernelINS0_14default_configENS1_22reduce_config_selectorIlEEZNS1_11reduce_implILb1ES3_N6thrust23THRUST_200600_302600_NS11hip_rocprim26transform_input_iterator_tIlNS8_12zip_iteratorINS8_5tupleINS8_6detail15normal_iteratorINS8_10device_ptrIfEEEESH_NS8_9null_typeESI_SI_SI_SI_SI_SI_SI_EEEENS9_21zip_adj_not_predicateINS8_8equal_toIfEEEEEEPllNS8_4plusIlEEEE10hipError_tPvRmT1_T2_T3_mT4_P12ihipStream_tbEUlT_E1_NS1_11comp_targetILNS1_3genE2ELNS1_11target_archE906ELNS1_3gpuE6ELNS1_3repE0EEENS1_30default_config_static_selectorELNS0_4arch9wavefront6targetE1EEEvSW_,"axG",@progbits,_ZN7rocprim17ROCPRIM_400000_NS6detail17trampoline_kernelINS0_14default_configENS1_22reduce_config_selectorIlEEZNS1_11reduce_implILb1ES3_N6thrust23THRUST_200600_302600_NS11hip_rocprim26transform_input_iterator_tIlNS8_12zip_iteratorINS8_5tupleINS8_6detail15normal_iteratorINS8_10device_ptrIfEEEESH_NS8_9null_typeESI_SI_SI_SI_SI_SI_SI_EEEENS9_21zip_adj_not_predicateINS8_8equal_toIfEEEEEEPllNS8_4plusIlEEEE10hipError_tPvRmT1_T2_T3_mT4_P12ihipStream_tbEUlT_E1_NS1_11comp_targetILNS1_3genE2ELNS1_11target_archE906ELNS1_3gpuE6ELNS1_3repE0EEENS1_30default_config_static_selectorELNS0_4arch9wavefront6targetE1EEEvSW_,comdat
	.protected	_ZN7rocprim17ROCPRIM_400000_NS6detail17trampoline_kernelINS0_14default_configENS1_22reduce_config_selectorIlEEZNS1_11reduce_implILb1ES3_N6thrust23THRUST_200600_302600_NS11hip_rocprim26transform_input_iterator_tIlNS8_12zip_iteratorINS8_5tupleINS8_6detail15normal_iteratorINS8_10device_ptrIfEEEESH_NS8_9null_typeESI_SI_SI_SI_SI_SI_SI_EEEENS9_21zip_adj_not_predicateINS8_8equal_toIfEEEEEEPllNS8_4plusIlEEEE10hipError_tPvRmT1_T2_T3_mT4_P12ihipStream_tbEUlT_E1_NS1_11comp_targetILNS1_3genE2ELNS1_11target_archE906ELNS1_3gpuE6ELNS1_3repE0EEENS1_30default_config_static_selectorELNS0_4arch9wavefront6targetE1EEEvSW_ ; -- Begin function _ZN7rocprim17ROCPRIM_400000_NS6detail17trampoline_kernelINS0_14default_configENS1_22reduce_config_selectorIlEEZNS1_11reduce_implILb1ES3_N6thrust23THRUST_200600_302600_NS11hip_rocprim26transform_input_iterator_tIlNS8_12zip_iteratorINS8_5tupleINS8_6detail15normal_iteratorINS8_10device_ptrIfEEEESH_NS8_9null_typeESI_SI_SI_SI_SI_SI_SI_EEEENS9_21zip_adj_not_predicateINS8_8equal_toIfEEEEEEPllNS8_4plusIlEEEE10hipError_tPvRmT1_T2_T3_mT4_P12ihipStream_tbEUlT_E1_NS1_11comp_targetILNS1_3genE2ELNS1_11target_archE906ELNS1_3gpuE6ELNS1_3repE0EEENS1_30default_config_static_selectorELNS0_4arch9wavefront6targetE1EEEvSW_
	.globl	_ZN7rocprim17ROCPRIM_400000_NS6detail17trampoline_kernelINS0_14default_configENS1_22reduce_config_selectorIlEEZNS1_11reduce_implILb1ES3_N6thrust23THRUST_200600_302600_NS11hip_rocprim26transform_input_iterator_tIlNS8_12zip_iteratorINS8_5tupleINS8_6detail15normal_iteratorINS8_10device_ptrIfEEEESH_NS8_9null_typeESI_SI_SI_SI_SI_SI_SI_EEEENS9_21zip_adj_not_predicateINS8_8equal_toIfEEEEEEPllNS8_4plusIlEEEE10hipError_tPvRmT1_T2_T3_mT4_P12ihipStream_tbEUlT_E1_NS1_11comp_targetILNS1_3genE2ELNS1_11target_archE906ELNS1_3gpuE6ELNS1_3repE0EEENS1_30default_config_static_selectorELNS0_4arch9wavefront6targetE1EEEvSW_
	.p2align	8
	.type	_ZN7rocprim17ROCPRIM_400000_NS6detail17trampoline_kernelINS0_14default_configENS1_22reduce_config_selectorIlEEZNS1_11reduce_implILb1ES3_N6thrust23THRUST_200600_302600_NS11hip_rocprim26transform_input_iterator_tIlNS8_12zip_iteratorINS8_5tupleINS8_6detail15normal_iteratorINS8_10device_ptrIfEEEESH_NS8_9null_typeESI_SI_SI_SI_SI_SI_SI_EEEENS9_21zip_adj_not_predicateINS8_8equal_toIfEEEEEEPllNS8_4plusIlEEEE10hipError_tPvRmT1_T2_T3_mT4_P12ihipStream_tbEUlT_E1_NS1_11comp_targetILNS1_3genE2ELNS1_11target_archE906ELNS1_3gpuE6ELNS1_3repE0EEENS1_30default_config_static_selectorELNS0_4arch9wavefront6targetE1EEEvSW_,@function
_ZN7rocprim17ROCPRIM_400000_NS6detail17trampoline_kernelINS0_14default_configENS1_22reduce_config_selectorIlEEZNS1_11reduce_implILb1ES3_N6thrust23THRUST_200600_302600_NS11hip_rocprim26transform_input_iterator_tIlNS8_12zip_iteratorINS8_5tupleINS8_6detail15normal_iteratorINS8_10device_ptrIfEEEESH_NS8_9null_typeESI_SI_SI_SI_SI_SI_SI_EEEENS9_21zip_adj_not_predicateINS8_8equal_toIfEEEEEEPllNS8_4plusIlEEEE10hipError_tPvRmT1_T2_T3_mT4_P12ihipStream_tbEUlT_E1_NS1_11comp_targetILNS1_3genE2ELNS1_11target_archE906ELNS1_3gpuE6ELNS1_3repE0EEENS1_30default_config_static_selectorELNS0_4arch9wavefront6targetE1EEEvSW_: ; @_ZN7rocprim17ROCPRIM_400000_NS6detail17trampoline_kernelINS0_14default_configENS1_22reduce_config_selectorIlEEZNS1_11reduce_implILb1ES3_N6thrust23THRUST_200600_302600_NS11hip_rocprim26transform_input_iterator_tIlNS8_12zip_iteratorINS8_5tupleINS8_6detail15normal_iteratorINS8_10device_ptrIfEEEESH_NS8_9null_typeESI_SI_SI_SI_SI_SI_SI_EEEENS9_21zip_adj_not_predicateINS8_8equal_toIfEEEEEEPllNS8_4plusIlEEEE10hipError_tPvRmT1_T2_T3_mT4_P12ihipStream_tbEUlT_E1_NS1_11comp_targetILNS1_3genE2ELNS1_11target_archE906ELNS1_3gpuE6ELNS1_3repE0EEENS1_30default_config_static_selectorELNS0_4arch9wavefront6targetE1EEEvSW_
; %bb.0:
	s_load_dword s30, s[4:5], 0x4
	s_load_dwordx4 s[24:27], s[4:5], 0x8
	s_load_dwordx4 s[20:23], s[4:5], 0x20
	s_waitcnt lgkmcnt(0)
	s_cmp_lt_i32 s30, 4
	s_cbranch_scc1 .LBB792_10
; %bb.1:
	s_cmp_gt_i32 s30, 7
	s_cbranch_scc0 .LBB792_11
; %bb.2:
	s_cmp_gt_i32 s30, 15
	s_cbranch_scc0 .LBB792_12
; %bb.3:
	s_mov_b64 s[2:3], 0
	s_cmp_eq_u32 s30, 16
	s_mov_b64 s[0:1], 0
                                        ; implicit-def: $vgpr1_vgpr2
                                        ; implicit-def: $vgpr3_vgpr4
	s_cbranch_scc0 .LBB792_13
; %bb.4:
	s_mov_b32 s7, 0
	s_lshl_b32 s12, s6, 12
	s_mov_b32 s13, s7
	s_lshr_b64 s[0:1], s[20:21], 12
	s_lshl_b64 s[10:11], s[12:13], 2
	s_add_u32 s8, s24, s10
	s_addc_u32 s9, s25, s11
	s_add_u32 s10, s26, s10
	s_addc_u32 s11, s27, s11
	s_cmp_lg_u64 s[0:1], s[6:7]
	s_cbranch_scc0 .LBB792_21
; %bb.5:
	v_lshlrev_b32_e32 v13, 2, v0
	v_mov_b32_e32 v1, s9
	v_add_co_u32_e32 v9, vcc, s8, v13
	v_addc_co_u32_e32 v10, vcc, 0, v1, vcc
	v_mov_b32_e32 v1, s11
	v_add_co_u32_e32 v11, vcc, s10, v13
	v_addc_co_u32_e32 v12, vcc, 0, v1, vcc
	s_movk_i32 s0, 0x2000
	v_add_co_u32_e32 v1, vcc, s0, v9
	v_addc_co_u32_e32 v2, vcc, 0, v10, vcc
	v_add_co_u32_e32 v3, vcc, s0, v11
	v_addc_co_u32_e32 v4, vcc, 0, v12, vcc
	global_load_dword v14, v[1:2], off offset:-4096
	global_load_dword v15, v[3:4], off offset:-4096
	global_load_dword v16, v13, s[10:11] offset:3072
	global_load_dword v17, v13, s[8:9] offset:3072
	s_movk_i32 s0, 0x1000
	v_add_co_u32_e32 v5, vcc, s0, v9
	v_addc_co_u32_e32 v6, vcc, 0, v10, vcc
	v_add_co_u32_e32 v7, vcc, s0, v11
	s_movk_i32 s1, 0x3000
	v_addc_co_u32_e32 v8, vcc, 0, v12, vcc
	v_add_co_u32_e32 v9, vcc, s1, v9
	v_addc_co_u32_e32 v10, vcc, 0, v10, vcc
	v_add_co_u32_e32 v11, vcc, s1, v11
	v_addc_co_u32_e32 v12, vcc, 0, v12, vcc
	global_load_dword v18, v[5:6], off offset:1024
	global_load_dword v19, v[5:6], off offset:2048
	;; [unrolled: 1-line block ×6, first 2 shown]
	global_load_dword v24, v[1:2], off
	global_load_dword v25, v[1:2], off offset:1024
	global_load_dword v26, v[1:2], off offset:2048
	;; [unrolled: 1-line block ×3, first 2 shown]
	global_load_dword v28, v[3:4], off
	global_load_dword v29, v[3:4], off offset:1024
	global_load_dword v30, v[3:4], off offset:2048
	;; [unrolled: 1-line block ×3, first 2 shown]
	global_load_dword v32, v[9:10], off
                                        ; kill: killed $vgpr3 killed $vgpr4
                                        ; kill: killed $vgpr1 killed $vgpr2
                                        ; kill: killed $vgpr7 killed $vgpr8
                                        ; kill: killed $vgpr5 killed $vgpr6
	global_load_dword v1, v[9:10], off offset:1024
	global_load_dword v2, v[9:10], off offset:2048
	s_nop 0
	global_load_dword v3, v[9:10], off offset:3072
	global_load_dword v4, v[11:12], off
	global_load_dword v5, v[11:12], off offset:1024
	global_load_dword v6, v[11:12], off offset:2048
	global_load_dword v7, v[11:12], off offset:3072
	s_waitcnt vmcnt(24)
	v_cmp_neq_f32_e32 vcc, v14, v15
	global_load_dword v8, v13, s[10:11] offset:1024
	global_load_dword v9, v13, s[10:11] offset:2048
	;; [unrolled: 1-line block ×3, first 2 shown]
	global_load_dword v11, v13, s[10:11]
	global_load_dword v12, v13, s[8:9] offset:2048
	global_load_dword v14, v13, s[8:9]
	s_waitcnt vmcnt(28)
	v_cmp_neq_f32_e64 s[0:1], v17, v16
	v_cndmask_b32_e64 v16, 0, 1, vcc
	s_waitcnt vmcnt(24)
	v_cmp_neq_f32_e32 vcc, v18, v21
	v_cndmask_b32_e64 v17, 0, 1, vcc
	s_waitcnt vmcnt(23)
	v_cmp_neq_f32_e32 vcc, v19, v22
	;; [unrolled: 3-line block ×11, first 2 shown]
	v_cndmask_b32_e64 v3, 0, 1, vcc
	v_cndmask_b32_e64 v15, 0, 1, s[0:1]
	v_mov_b32_e32 v13, 0
	s_waitcnt vmcnt(3)
	v_cmp_neq_f32_e32 vcc, v10, v8
	v_cndmask_b32_e64 v5, 0, 1, vcc
	s_waitcnt vmcnt(0)
	v_cmp_neq_f32_e32 vcc, v14, v11
	v_cndmask_b32_e64 v6, 0, 1, vcc
	v_cmp_neq_f32_e32 vcc, v12, v9
	v_addc_co_u32_e32 v5, vcc, v5, v6, vcc
	v_add_co_u32_e32 v5, vcc, v5, v15
	v_addc_co_u32_e64 v6, s[0:1], 0, 0, vcc
	v_add_co_u32_e32 v5, vcc, v5, v16
	v_addc_co_u32_e32 v6, vcc, 0, v6, vcc
	v_add_co_u32_e32 v5, vcc, v5, v17
	v_addc_co_u32_e32 v6, vcc, 0, v6, vcc
	;; [unrolled: 2-line block ×12, first 2 shown]
	s_nop 0
	v_mov_b32_dpp v4, v1 quad_perm:[1,0,3,2] row_mask:0xf bank_mask:0xf bound_ctrl:1
	v_add_co_u32_e32 v1, vcc, v1, v4
	v_addc_co_u32_e32 v2, vcc, 0, v2, vcc
	v_mov_b32_dpp v5, v13 quad_perm:[1,0,3,2] row_mask:0xf bank_mask:0xf bound_ctrl:1
	v_add_co_u32_e32 v4, vcc, 0, v1
	v_addc_co_u32_e32 v2, vcc, v5, v2, vcc
	v_mov_b32_dpp v1, v1 quad_perm:[2,3,0,1] row_mask:0xf bank_mask:0xf bound_ctrl:1
	v_add_co_u32_e32 v1, vcc, v4, v1
	v_mov_b32_dpp v5, v2 quad_perm:[2,3,0,1] row_mask:0xf bank_mask:0xf bound_ctrl:1
	v_addc_co_u32_e32 v2, vcc, 0, v2, vcc
	v_add_co_u32_e32 v4, vcc, 0, v1
	v_addc_co_u32_e32 v2, vcc, v2, v5, vcc
	v_mov_b32_dpp v1, v1 row_ror:4 row_mask:0xf bank_mask:0xf bound_ctrl:1
	v_add_co_u32_e32 v1, vcc, v4, v1
	v_mov_b32_dpp v5, v2 row_ror:4 row_mask:0xf bank_mask:0xf bound_ctrl:1
	v_addc_co_u32_e32 v2, vcc, 0, v2, vcc
	v_add_co_u32_e32 v4, vcc, 0, v1
	v_addc_co_u32_e32 v2, vcc, v2, v5, vcc
	v_mov_b32_dpp v1, v1 row_ror:8 row_mask:0xf bank_mask:0xf bound_ctrl:1
	v_add_co_u32_e32 v1, vcc, v4, v1
	v_mov_b32_dpp v5, v2 row_ror:8 row_mask:0xf bank_mask:0xf bound_ctrl:1
	v_addc_co_u32_e32 v2, vcc, 0, v2, vcc
	v_add_co_u32_e32 v4, vcc, 0, v1
	v_addc_co_u32_e32 v2, vcc, v2, v5, vcc
	v_mov_b32_dpp v1, v1 row_bcast:15 row_mask:0xf bank_mask:0xf bound_ctrl:1
	v_add_co_u32_e32 v1, vcc, v4, v1
	v_mov_b32_dpp v5, v2 row_bcast:15 row_mask:0xf bank_mask:0xf bound_ctrl:1
	v_addc_co_u32_e32 v2, vcc, 0, v2, vcc
	v_add_co_u32_e32 v4, vcc, 0, v1
	v_addc_co_u32_e32 v2, vcc, v2, v5, vcc
	v_mov_b32_dpp v1, v1 row_bcast:31 row_mask:0xf bank_mask:0xf bound_ctrl:1
	v_mbcnt_lo_u32_b32 v3, -1, 0
	v_add_co_u32_e32 v1, vcc, v4, v1
	v_mbcnt_hi_u32_b32 v3, -1, v3
	v_addc_co_u32_e32 v4, vcc, 0, v2, vcc
	v_cmp_eq_u32_e32 vcc, 0, v3
	s_nop 0
	v_add_u32_dpp v2, v2, v4 row_bcast:31 row_mask:0xf bank_mask:0xf bound_ctrl:1
	v_lshlrev_b32_e32 v4, 2, v3
	v_or_b32_e32 v5, 0xfc, v4
	ds_bpermute_b32 v1, v5, v1
	ds_bpermute_b32 v2, v5, v2
	s_and_saveexec_b64 s[0:1], vcc
	s_cbranch_execz .LBB792_7
; %bb.6:
	v_lshrrev_b32_e32 v5, 3, v0
	v_and_b32_e32 v5, 24, v5
	s_waitcnt lgkmcnt(0)
	ds_write_b64 v5, v[1:2]
.LBB792_7:
	s_or_b64 exec, exec, s[0:1]
	v_cmp_gt_u32_e32 vcc, 64, v0
	s_waitcnt lgkmcnt(0)
	s_barrier
	s_and_saveexec_b64 s[0:1], vcc
	s_cbranch_execz .LBB792_9
; %bb.8:
	v_and_b32_e32 v5, 3, v3
	v_lshlrev_b32_e32 v1, 3, v5
	ds_read_b64 v[1:2], v1
	v_cmp_ne_u32_e32 vcc, 3, v5
	v_addc_co_u32_e32 v3, vcc, 0, v3, vcc
	v_lshlrev_b32_e32 v3, 2, v3
	s_waitcnt lgkmcnt(0)
	ds_bpermute_b32 v5, v3, v1
	ds_bpermute_b32 v3, v3, v2
	v_or_b32_e32 v4, 8, v4
	s_waitcnt lgkmcnt(1)
	v_add_co_u32_e32 v1, vcc, v1, v5
	v_addc_co_u32_e32 v2, vcc, 0, v2, vcc
	ds_bpermute_b32 v5, v4, v1
	v_add_co_u32_e32 v1, vcc, 0, v1
	s_waitcnt lgkmcnt(1)
	v_addc_co_u32_e32 v2, vcc, v3, v2, vcc
	ds_bpermute_b32 v3, v4, v2
	s_waitcnt lgkmcnt(1)
	v_add_co_u32_e32 v1, vcc, v1, v5
	v_addc_co_u32_e32 v2, vcc, 0, v2, vcc
	v_add_co_u32_e32 v1, vcc, 0, v1
	s_waitcnt lgkmcnt(0)
	v_addc_co_u32_e32 v2, vcc, v2, v3, vcc
.LBB792_9:
	s_or_b64 exec, exec, s[0:1]
	s_mov_b64 s[0:1], 0
	s_branch .LBB792_22
.LBB792_10:
	s_mov_b64 s[0:1], 0
                                        ; implicit-def: $vgpr1_vgpr2
                                        ; implicit-def: $vgpr3_vgpr4
	s_cbranch_execnz .LBB792_145
	s_branch .LBB792_206
.LBB792_11:
	s_mov_b64 s[0:1], 0
                                        ; implicit-def: $vgpr1_vgpr2
                                        ; implicit-def: $vgpr3_vgpr4
	s_cbranch_execnz .LBB792_110
	s_branch .LBB792_144
.LBB792_12:
	s_mov_b64 s[2:3], -1
	s_mov_b64 s[0:1], 0
                                        ; implicit-def: $vgpr1_vgpr2
                                        ; implicit-def: $vgpr3_vgpr4
.LBB792_13:
	s_and_b64 vcc, exec, s[2:3]
	s_cbranch_vccz .LBB792_109
.LBB792_14:
	s_cmp_eq_u32 s30, 8
                                        ; implicit-def: $vgpr1_vgpr2
                                        ; implicit-def: $vgpr3_vgpr4
	s_cbranch_scc0 .LBB792_109
; %bb.15:
	s_mov_b32 s7, 0
	s_lshl_b32 s0, s6, 11
	s_mov_b32 s1, s7
	s_lshr_b64 s[2:3], s[20:21], 11
	s_lshl_b64 s[8:9], s[0:1], 2
	s_add_u32 s16, s24, s8
	s_addc_u32 s17, s25, s9
	s_add_u32 s18, s26, s8
	s_addc_u32 s19, s27, s9
	s_cmp_lg_u64 s[2:3], s[6:7]
	s_cbranch_scc0 .LBB792_73
; %bb.16:
	v_lshlrev_b32_e32 v1, 2, v0
	v_mov_b32_e32 v2, s17
	v_add_co_u32_e32 v3, vcc, s16, v1
	global_load_dword v6, v1, s[16:17]
	global_load_dword v7, v1, s[18:19]
	global_load_dword v8, v1, s[16:17] offset:1024
	global_load_dword v9, v1, s[18:19] offset:1024
	;; [unrolled: 1-line block ×6, first 2 shown]
	v_addc_co_u32_e32 v2, vcc, 0, v2, vcc
	v_mov_b32_e32 v4, s19
	v_add_co_u32_e32 v5, vcc, s18, v1
	v_addc_co_u32_e32 v4, vcc, 0, v4, vcc
	s_movk_i32 s1, 0x1000
	v_add_co_u32_e32 v1, vcc, s1, v3
	v_addc_co_u32_e32 v2, vcc, 0, v2, vcc
	v_add_co_u32_e32 v3, vcc, s1, v5
	v_addc_co_u32_e32 v4, vcc, 0, v4, vcc
	global_load_dword v5, v[3:4], off
	global_load_dword v14, v[1:2], off
	global_load_dword v15, v[1:2], off offset:1024
	global_load_dword v16, v[3:4], off offset:1024
	;; [unrolled: 1-line block ×6, first 2 shown]
	v_mbcnt_lo_u32_b32 v2, -1, 0
	v_mbcnt_hi_u32_b32 v3, -1, v2
	v_mov_b32_e32 v1, 0
	s_waitcnt vmcnt(8)
	v_cmp_neq_f32_e32 vcc, v13, v12
	v_cndmask_b32_e64 v2, 0, 1, vcc
	v_cmp_neq_f32_e32 vcc, v8, v9
	v_cndmask_b32_e64 v4, 0, 1, vcc
	;; [unrolled: 2-line block ×3, first 2 shown]
	v_cmp_neq_f32_e32 vcc, v10, v11
	v_addc_co_u32_e32 v4, vcc, v4, v6, vcc
	v_mov_b32_dpp v1, v1 quad_perm:[1,0,3,2] row_mask:0xf bank_mask:0xf bound_ctrl:1
	s_waitcnt vmcnt(6)
	v_cmp_neq_f32_e32 vcc, v14, v5
	v_cndmask_b32_e64 v5, 0, 1, vcc
	s_waitcnt vmcnt(4)
	v_cmp_neq_f32_e32 vcc, v15, v16
	v_cndmask_b32_e64 v6, 0, 1, vcc
	;; [unrolled: 3-line block ×4, first 2 shown]
	v_add_co_u32_e32 v2, vcc, v4, v2
	v_addc_co_u32_e64 v4, s[2:3], 0, 0, vcc
	v_add_co_u32_e32 v2, vcc, v2, v5
	v_addc_co_u32_e32 v4, vcc, 0, v4, vcc
	v_add_co_u32_e32 v2, vcc, v2, v6
	v_addc_co_u32_e32 v4, vcc, 0, v4, vcc
	;; [unrolled: 2-line block ×4, first 2 shown]
	s_nop 0
	v_mov_b32_dpp v5, v2 quad_perm:[1,0,3,2] row_mask:0xf bank_mask:0xf bound_ctrl:1
	v_add_co_u32_e32 v2, vcc, v2, v5
	v_addc_co_u32_e32 v4, vcc, 0, v4, vcc
	v_add_co_u32_e32 v5, vcc, 0, v2
	v_addc_co_u32_e32 v1, vcc, v1, v4, vcc
	v_mov_b32_dpp v2, v2 quad_perm:[2,3,0,1] row_mask:0xf bank_mask:0xf bound_ctrl:1
	v_add_co_u32_e32 v2, vcc, v5, v2
	v_mov_b32_dpp v4, v1 quad_perm:[2,3,0,1] row_mask:0xf bank_mask:0xf bound_ctrl:1
	v_addc_co_u32_e32 v1, vcc, 0, v1, vcc
	v_add_co_u32_e32 v5, vcc, 0, v2
	v_addc_co_u32_e32 v1, vcc, v1, v4, vcc
	v_mov_b32_dpp v2, v2 row_ror:4 row_mask:0xf bank_mask:0xf bound_ctrl:1
	v_add_co_u32_e32 v2, vcc, v5, v2
	v_mov_b32_dpp v4, v1 row_ror:4 row_mask:0xf bank_mask:0xf bound_ctrl:1
	v_addc_co_u32_e32 v1, vcc, 0, v1, vcc
	v_add_co_u32_e32 v5, vcc, 0, v2
	v_addc_co_u32_e32 v1, vcc, v1, v4, vcc
	v_mov_b32_dpp v2, v2 row_ror:8 row_mask:0xf bank_mask:0xf bound_ctrl:1
	v_add_co_u32_e32 v2, vcc, v5, v2
	v_mov_b32_dpp v4, v1 row_ror:8 row_mask:0xf bank_mask:0xf bound_ctrl:1
	v_addc_co_u32_e32 v1, vcc, 0, v1, vcc
	v_add_co_u32_e32 v5, vcc, 0, v2
	v_addc_co_u32_e32 v1, vcc, v1, v4, vcc
	v_mov_b32_dpp v2, v2 row_bcast:15 row_mask:0xf bank_mask:0xf bound_ctrl:1
	v_add_co_u32_e32 v2, vcc, v5, v2
	v_mov_b32_dpp v4, v1 row_bcast:15 row_mask:0xf bank_mask:0xf bound_ctrl:1
	v_addc_co_u32_e32 v1, vcc, 0, v1, vcc
	v_add_co_u32_e32 v5, vcc, 0, v2
	v_addc_co_u32_e32 v1, vcc, v1, v4, vcc
	v_mov_b32_dpp v2, v2 row_bcast:31 row_mask:0xf bank_mask:0xf bound_ctrl:1
	v_add_co_u32_e32 v2, vcc, v5, v2
	v_addc_co_u32_e32 v4, vcc, 0, v1, vcc
	v_cmp_eq_u32_e32 vcc, 0, v3
	s_nop 0
	v_add_u32_dpp v5, v1, v4 row_bcast:31 row_mask:0xf bank_mask:0xf bound_ctrl:1
	v_lshlrev_b32_e32 v4, 2, v3
	v_or_b32_e32 v6, 0xfc, v4
	ds_bpermute_b32 v1, v6, v2
	ds_bpermute_b32 v2, v6, v5
	s_and_saveexec_b64 s[2:3], vcc
	s_cbranch_execz .LBB792_18
; %bb.17:
	v_lshrrev_b32_e32 v5, 3, v0
	v_and_b32_e32 v5, 24, v5
	s_waitcnt lgkmcnt(0)
	ds_write_b64 v5, v[1:2] offset:128
.LBB792_18:
	s_or_b64 exec, exec, s[2:3]
	v_cmp_gt_u32_e32 vcc, 64, v0
	s_waitcnt lgkmcnt(0)
	s_barrier
	s_and_saveexec_b64 s[2:3], vcc
	s_cbranch_execz .LBB792_20
; %bb.19:
	v_and_b32_e32 v5, 3, v3
	v_lshlrev_b32_e32 v1, 3, v5
	ds_read_b64 v[1:2], v1 offset:128
	v_cmp_ne_u32_e32 vcc, 3, v5
	v_addc_co_u32_e32 v3, vcc, 0, v3, vcc
	v_lshlrev_b32_e32 v3, 2, v3
	s_waitcnt lgkmcnt(0)
	ds_bpermute_b32 v5, v3, v1
	ds_bpermute_b32 v3, v3, v2
	v_or_b32_e32 v4, 8, v4
	s_waitcnt lgkmcnt(1)
	v_add_co_u32_e32 v1, vcc, v1, v5
	v_addc_co_u32_e32 v2, vcc, 0, v2, vcc
	ds_bpermute_b32 v5, v4, v1
	v_add_co_u32_e32 v1, vcc, 0, v1
	s_waitcnt lgkmcnt(1)
	v_addc_co_u32_e32 v2, vcc, v3, v2, vcc
	ds_bpermute_b32 v3, v4, v2
	s_waitcnt lgkmcnt(1)
	v_add_co_u32_e32 v1, vcc, v1, v5
	v_addc_co_u32_e32 v2, vcc, 0, v2, vcc
	v_add_co_u32_e32 v1, vcc, 0, v1
	s_waitcnt lgkmcnt(0)
	v_addc_co_u32_e32 v2, vcc, v2, v3, vcc
.LBB792_20:
	s_or_b64 exec, exec, s[2:3]
	s_mov_b64 s[2:3], 0
	s_branch .LBB792_74
.LBB792_21:
	s_mov_b64 s[0:1], -1
                                        ; implicit-def: $vgpr1_vgpr2
.LBB792_22:
	s_and_b64 vcc, exec, s[0:1]
	s_cbranch_vccz .LBB792_72
; %bb.23:
	s_sub_i32 s12, s20, s12
	v_cmp_gt_u32_e32 vcc, s12, v0
                                        ; implicit-def: $vgpr1_vgpr2
	s_and_saveexec_b64 s[0:1], vcc
	s_cbranch_execz .LBB792_25
; %bb.24:
	v_lshlrev_b32_e32 v1, 2, v0
	global_load_dword v2, v1, s[8:9]
	global_load_dword v3, v1, s[10:11]
	s_mov_b32 s13, 0
	s_waitcnt vmcnt(0)
	v_cmp_neq_f32_e32 vcc, v2, v3
	v_cndmask_b32_e64 v1, 0, 1, vcc
	v_mov_b32_e32 v2, s13
.LBB792_25:
	s_or_b64 exec, exec, s[0:1]
	v_or_b32_e32 v7, 0x100, v0
	v_mov_b32_e32 v3, 0
	v_mov_b32_e32 v5, 0
	;; [unrolled: 1-line block ×4, first 2 shown]
	v_cmp_gt_u32_e32 vcc, s12, v7
	s_and_saveexec_b64 s[0:1], vcc
	s_cbranch_execz .LBB792_27
; %bb.26:
	v_lshlrev_b32_e32 v5, 2, v0
	global_load_dword v6, v5, s[8:9] offset:1024
	global_load_dword v7, v5, s[10:11] offset:1024
	s_mov_b32 s13, 0
	s_waitcnt vmcnt(0)
	v_cmp_neq_f32_e32 vcc, v6, v7
	v_cndmask_b32_e64 v5, 0, 1, vcc
	v_mov_b32_e32 v6, s13
.LBB792_27:
	s_or_b64 exec, exec, s[0:1]
	v_or_b32_e32 v7, 0x200, v0
	v_cmp_gt_u32_e32 vcc, s12, v7
	s_and_saveexec_b64 s[0:1], vcc
	s_cbranch_execz .LBB792_29
; %bb.28:
	v_lshlrev_b32_e32 v3, 2, v0
	global_load_dword v4, v3, s[8:9] offset:2048
	global_load_dword v7, v3, s[10:11] offset:2048
	s_mov_b32 s13, 0
	s_waitcnt vmcnt(0)
	v_cmp_neq_f32_e32 vcc, v4, v7
	v_cndmask_b32_e64 v3, 0, 1, vcc
	v_mov_b32_e32 v4, s13
.LBB792_29:
	s_or_b64 exec, exec, s[0:1]
	v_or_b32_e32 v11, 0x300, v0
	v_mov_b32_e32 v7, 0
	v_mov_b32_e32 v9, 0
	;; [unrolled: 1-line block ×4, first 2 shown]
	v_cmp_gt_u32_e32 vcc, s12, v11
	s_and_saveexec_b64 s[0:1], vcc
	s_cbranch_execz .LBB792_31
; %bb.30:
	v_lshlrev_b32_e32 v9, 2, v0
	global_load_dword v10, v9, s[8:9] offset:3072
	global_load_dword v11, v9, s[10:11] offset:3072
	s_mov_b32 s13, 0
	s_waitcnt vmcnt(0)
	v_cmp_neq_f32_e32 vcc, v10, v11
	v_cndmask_b32_e64 v9, 0, 1, vcc
	v_mov_b32_e32 v10, s13
.LBB792_31:
	s_or_b64 exec, exec, s[0:1]
	v_or_b32_e32 v11, 0x400, v0
	v_cmp_gt_u32_e32 vcc, s12, v11
	s_and_saveexec_b64 s[0:1], vcc
	s_cbranch_execz .LBB792_33
; %bb.32:
	v_lshlrev_b32_e32 v7, 2, v11
	global_load_dword v8, v7, s[8:9]
	global_load_dword v11, v7, s[10:11]
	s_mov_b32 s13, 0
	s_waitcnt vmcnt(0)
	v_cmp_neq_f32_e32 vcc, v8, v11
	v_cndmask_b32_e64 v7, 0, 1, vcc
	v_mov_b32_e32 v8, s13
.LBB792_33:
	s_or_b64 exec, exec, s[0:1]
	v_or_b32_e32 v15, 0x500, v0
	v_mov_b32_e32 v11, 0
	v_mov_b32_e32 v13, 0
	v_mov_b32_e32 v12, 0
	v_mov_b32_e32 v14, 0
	v_cmp_gt_u32_e32 vcc, s12, v15
	s_and_saveexec_b64 s[0:1], vcc
	s_cbranch_execz .LBB792_35
; %bb.34:
	v_lshlrev_b32_e32 v13, 2, v15
	global_load_dword v14, v13, s[8:9]
	global_load_dword v15, v13, s[10:11]
	s_mov_b32 s13, 0
	s_waitcnt vmcnt(0)
	v_cmp_neq_f32_e32 vcc, v14, v15
	v_cndmask_b32_e64 v13, 0, 1, vcc
	v_mov_b32_e32 v14, s13
.LBB792_35:
	s_or_b64 exec, exec, s[0:1]
	v_or_b32_e32 v15, 0x600, v0
	v_cmp_gt_u32_e32 vcc, s12, v15
	s_and_saveexec_b64 s[0:1], vcc
	s_cbranch_execz .LBB792_37
; %bb.36:
	v_lshlrev_b32_e32 v11, 2, v15
	global_load_dword v12, v11, s[8:9]
	global_load_dword v15, v11, s[10:11]
	s_mov_b32 s13, 0
	s_waitcnt vmcnt(0)
	v_cmp_neq_f32_e32 vcc, v12, v15
	v_cndmask_b32_e64 v11, 0, 1, vcc
	v_mov_b32_e32 v12, s13
.LBB792_37:
	s_or_b64 exec, exec, s[0:1]
	v_or_b32_e32 v19, 0x700, v0
	v_mov_b32_e32 v15, 0
	v_mov_b32_e32 v17, 0
	v_mov_b32_e32 v16, 0
	v_mov_b32_e32 v18, 0
	v_cmp_gt_u32_e32 vcc, s12, v19
	s_and_saveexec_b64 s[0:1], vcc
	s_cbranch_execz .LBB792_39
; %bb.38:
	v_lshlrev_b32_e32 v17, 2, v19
	global_load_dword v18, v17, s[8:9]
	global_load_dword v19, v17, s[10:11]
	s_mov_b32 s13, 0
	s_waitcnt vmcnt(0)
	v_cmp_neq_f32_e32 vcc, v18, v19
	v_cndmask_b32_e64 v17, 0, 1, vcc
	v_mov_b32_e32 v18, s13
.LBB792_39:
	;; [unrolled: 34-line block ×5, first 2 shown]
	s_or_b64 exec, exec, s[0:1]
	v_or_b32_e32 v31, 0xe00, v0
	v_cmp_gt_u32_e32 vcc, s12, v31
	s_and_saveexec_b64 s[0:1], vcc
	s_cbranch_execz .LBB792_53
; %bb.52:
	v_lshlrev_b32_e32 v27, 2, v31
	global_load_dword v28, v27, s[8:9]
	global_load_dword v31, v27, s[10:11]
	s_mov_b32 s13, 0
	s_waitcnt vmcnt(0)
	v_cmp_neq_f32_e32 vcc, v28, v31
	v_cndmask_b32_e64 v27, 0, 1, vcc
	v_mov_b32_e32 v28, s13
.LBB792_53:
	s_or_b64 exec, exec, s[0:1]
	v_or_b32_e32 v33, 0xf00, v0
	v_mov_b32_e32 v31, 0
	v_mov_b32_e32 v32, 0
	v_cmp_gt_u32_e32 vcc, s12, v33
	s_and_saveexec_b64 s[0:1], vcc
	s_cbranch_execz .LBB792_55
; %bb.54:
	v_lshlrev_b32_e32 v31, 2, v33
	global_load_dword v32, v31, s[8:9]
	global_load_dword v33, v31, s[10:11]
	s_mov_b32 s8, 0
	s_waitcnt vmcnt(0)
	v_cmp_neq_f32_e32 vcc, v32, v33
	v_cndmask_b32_e64 v31, 0, 1, vcc
	v_mov_b32_e32 v32, s8
.LBB792_55:
	s_or_b64 exec, exec, s[0:1]
	v_add_co_u32_e32 v1, vcc, v5, v1
	v_addc_co_u32_e32 v2, vcc, v6, v2, vcc
	v_add_co_u32_e32 v1, vcc, v1, v3
	v_addc_co_u32_e32 v2, vcc, v2, v4, vcc
	;; [unrolled: 2-line block ×14, first 2 shown]
	v_mbcnt_lo_u32_b32 v3, -1, 0
	v_add_co_u32_e32 v1, vcc, v1, v31
	v_mbcnt_hi_u32_b32 v3, -1, v3
	v_addc_co_u32_e32 v2, vcc, v2, v32, vcc
	v_and_b32_e32 v4, 63, v3
	v_cmp_ne_u32_e32 vcc, 63, v4
	v_addc_co_u32_e32 v6, vcc, 0, v3, vcc
	v_lshlrev_b32_e32 v6, 2, v6
	ds_bpermute_b32 v8, v6, v1
	ds_bpermute_b32 v7, v6, v2
	s_min_u32 s8, s12, 0x100
	v_and_b32_e32 v5, 0xc0, v0
	v_sub_u32_e64 v5, s8, v5 clamp
	v_add_u32_e32 v6, 1, v4
	v_cmp_lt_u32_e32 vcc, v6, v5
	v_mov_b32_e32 v6, v1
	s_and_saveexec_b64 s[0:1], vcc
	s_cbranch_execz .LBB792_57
; %bb.56:
	s_waitcnt lgkmcnt(1)
	v_add_co_u32_e32 v6, vcc, v1, v8
	v_addc_co_u32_e32 v2, vcc, 0, v2, vcc
	v_add_co_u32_e32 v1, vcc, 0, v6
	s_waitcnt lgkmcnt(0)
	v_addc_co_u32_e32 v2, vcc, v7, v2, vcc
.LBB792_57:
	s_or_b64 exec, exec, s[0:1]
	v_cmp_gt_u32_e32 vcc, 62, v4
	s_waitcnt lgkmcnt(0)
	v_cndmask_b32_e64 v7, 0, 2, vcc
	v_add_lshl_u32 v7, v7, v3, 2
	ds_bpermute_b32 v8, v7, v6
	ds_bpermute_b32 v7, v7, v2
	v_add_u32_e32 v9, 2, v4
	v_cmp_lt_u32_e32 vcc, v9, v5
	s_and_saveexec_b64 s[0:1], vcc
	s_cbranch_execz .LBB792_59
; %bb.58:
	s_waitcnt lgkmcnt(1)
	v_add_co_u32_e32 v6, vcc, v1, v8
	v_addc_co_u32_e32 v2, vcc, 0, v2, vcc
	v_add_co_u32_e32 v1, vcc, 0, v6
	s_waitcnt lgkmcnt(0)
	v_addc_co_u32_e32 v2, vcc, v7, v2, vcc
.LBB792_59:
	s_or_b64 exec, exec, s[0:1]
	v_cmp_gt_u32_e32 vcc, 60, v4
	s_waitcnt lgkmcnt(0)
	v_cndmask_b32_e64 v7, 0, 4, vcc
	v_add_lshl_u32 v7, v7, v3, 2
	ds_bpermute_b32 v8, v7, v6
	ds_bpermute_b32 v7, v7, v2
	v_add_u32_e32 v9, 4, v4
	v_cmp_lt_u32_e32 vcc, v9, v5
	;; [unrolled: 19-line block ×4, first 2 shown]
	s_and_saveexec_b64 s[0:1], vcc
	s_cbranch_execz .LBB792_65
; %bb.64:
	s_waitcnt lgkmcnt(1)
	v_add_co_u32_e32 v6, vcc, v1, v8
	v_addc_co_u32_e32 v2, vcc, 0, v2, vcc
	v_add_co_u32_e32 v1, vcc, 0, v6
	s_waitcnt lgkmcnt(0)
	v_addc_co_u32_e32 v2, vcc, v7, v2, vcc
.LBB792_65:
	s_or_b64 exec, exec, s[0:1]
	s_waitcnt lgkmcnt(0)
	v_lshlrev_b32_e32 v7, 2, v3
	v_or_b32_e32 v8, 0x80, v7
	ds_bpermute_b32 v6, v8, v6
	ds_bpermute_b32 v8, v8, v2
	v_add_u32_e32 v4, 32, v4
	s_waitcnt lgkmcnt(1)
	v_add_co_u32_e32 v6, vcc, v1, v6
	v_addc_co_u32_e32 v9, vcc, 0, v2, vcc
	v_add_co_u32_e32 v6, vcc, 0, v6
	s_waitcnt lgkmcnt(0)
	v_addc_co_u32_e32 v8, vcc, v9, v8, vcc
	v_cmp_lt_u32_e32 vcc, v4, v5
	v_cndmask_b32_e32 v2, v2, v8, vcc
	v_cndmask_b32_e32 v1, v1, v6, vcc
	v_cmp_eq_u32_e32 vcc, 0, v3
	s_and_saveexec_b64 s[0:1], vcc
; %bb.66:
	v_lshrrev_b32_e32 v4, 3, v0
	v_and_b32_e32 v4, 24, v4
	ds_write_b64 v4, v[1:2] offset:160
; %bb.67:
	s_or_b64 exec, exec, s[0:1]
	v_cmp_gt_u32_e32 vcc, 4, v0
	s_waitcnt lgkmcnt(0)
	s_barrier
	s_and_saveexec_b64 s[0:1], vcc
	s_cbranch_execz .LBB792_71
; %bb.68:
	v_lshlrev_b32_e32 v1, 3, v3
	ds_read_b64 v[1:2], v1 offset:160
	v_and_b32_e32 v4, 3, v3
	v_cmp_ne_u32_e32 vcc, 3, v4
	v_addc_co_u32_e32 v3, vcc, 0, v3, vcc
	v_lshlrev_b32_e32 v3, 2, v3
	s_waitcnt lgkmcnt(0)
	ds_bpermute_b32 v6, v3, v1
	ds_bpermute_b32 v5, v3, v2
	s_add_i32 s8, s8, 63
	s_lshr_b32 s10, s8, 6
	v_add_u32_e32 v3, 1, v4
	v_cmp_gt_u32_e32 vcc, s10, v3
	v_mov_b32_e32 v3, v1
	s_and_saveexec_b64 s[8:9], vcc
	s_cbranch_execz .LBB792_70
; %bb.69:
	s_waitcnt lgkmcnt(1)
	v_add_co_u32_e32 v3, vcc, v1, v6
	v_addc_co_u32_e32 v2, vcc, 0, v2, vcc
	v_add_co_u32_e32 v1, vcc, 0, v3
	s_waitcnt lgkmcnt(0)
	v_addc_co_u32_e32 v2, vcc, v5, v2, vcc
.LBB792_70:
	s_or_b64 exec, exec, s[8:9]
	s_waitcnt lgkmcnt(0)
	v_or_b32_e32 v5, 8, v7
	ds_bpermute_b32 v3, v5, v3
	ds_bpermute_b32 v5, v5, v2
	v_add_u32_e32 v4, 2, v4
	s_waitcnt lgkmcnt(1)
	v_add_co_u32_e32 v3, vcc, v1, v3
	v_addc_co_u32_e32 v6, vcc, 0, v2, vcc
	v_add_co_u32_e32 v3, vcc, 0, v3
	s_waitcnt lgkmcnt(0)
	v_addc_co_u32_e32 v5, vcc, v6, v5, vcc
	v_cmp_gt_u32_e32 vcc, s10, v4
	v_cndmask_b32_e32 v2, v2, v5, vcc
	v_cndmask_b32_e32 v1, v1, v3, vcc
.LBB792_71:
	s_or_b64 exec, exec, s[0:1]
.LBB792_72:
	v_mov_b32_e32 v3, s6
	v_cmp_eq_u32_e64 s[0:1], 0, v0
	v_mov_b32_e32 v4, s7
	s_and_b64 vcc, exec, s[2:3]
	s_cbranch_vccnz .LBB792_14
	s_branch .LBB792_109
.LBB792_73:
	s_mov_b64 s[2:3], -1
                                        ; implicit-def: $vgpr1_vgpr2
.LBB792_74:
	s_and_b64 vcc, exec, s[2:3]
	s_cbranch_vccz .LBB792_108
; %bb.75:
	s_sub_i32 s31, s20, s0
	v_mov_b32_e32 v1, 0
	v_cmp_gt_u32_e32 vcc, s31, v0
	v_mov_b32_e32 v2, v1
	v_mov_b32_e32 v3, v1
	;; [unrolled: 1-line block ×15, first 2 shown]
	s_and_saveexec_b64 s[0:1], vcc
	s_cbranch_execz .LBB792_77
; %bb.76:
	v_mov_b32_e32 v2, v1
	v_mov_b32_e32 v3, v1
	v_mov_b32_e32 v4, v1
	v_mov_b32_e32 v5, v1
	v_mov_b32_e32 v6, v1
	v_mov_b32_e32 v7, v1
	v_mov_b32_e32 v8, v1
	v_mov_b32_e32 v9, v1
	v_mov_b32_e32 v10, v1
	v_mov_b32_e32 v11, v1
	v_mov_b32_e32 v12, v1
	v_mov_b32_e32 v13, v1
	v_mov_b32_e32 v14, v1
	v_mov_b32_e32 v15, v1
	v_mov_b32_e32 v16, v1
	v_lshlrev_b32_e32 v1, 2, v0
	global_load_dword v17, v1, s[16:17]
	global_load_dword v18, v1, s[18:19]
	s_waitcnt vmcnt(0)
	v_cmp_neq_f32_e32 vcc, v17, v18
	v_cndmask_b32_e64 v1, 0, 1, vcc
	v_and_b32_e32 v1, 0xffff, v1
.LBB792_77:
	s_or_b64 exec, exec, s[0:1]
	v_or_b32_e32 v17, 0x100, v0
	v_cmp_gt_u32_e32 vcc, s31, v17
	s_and_saveexec_b64 s[2:3], vcc
	s_cbranch_execz .LBB792_79
; %bb.78:
	v_lshlrev_b32_e32 v3, 2, v0
	global_load_dword v4, v3, s[16:17] offset:1024
	global_load_dword v17, v3, s[18:19] offset:1024
	s_mov_b32 s8, 0
	s_waitcnt vmcnt(0)
	v_cmp_neq_f32_e64 s[0:1], v4, v17
	v_cndmask_b32_e64 v3, 0, 1, s[0:1]
	v_mov_b32_e32 v4, s8
.LBB792_79:
	s_or_b64 exec, exec, s[2:3]
	v_or_b32_e32 v17, 0x200, v0
	v_cmp_gt_u32_e64 s[0:1], s31, v17
	s_and_saveexec_b64 s[8:9], s[0:1]
	s_cbranch_execz .LBB792_81
; %bb.80:
	v_lshlrev_b32_e32 v5, 2, v0
	global_load_dword v6, v5, s[16:17] offset:2048
	global_load_dword v17, v5, s[18:19] offset:2048
	s_mov_b32 s10, 0
	s_waitcnt vmcnt(0)
	v_cmp_neq_f32_e64 s[2:3], v6, v17
	v_cndmask_b32_e64 v5, 0, 1, s[2:3]
	v_mov_b32_e32 v6, s10
.LBB792_81:
	s_or_b64 exec, exec, s[8:9]
	v_or_b32_e32 v17, 0x300, v0
	v_cmp_gt_u32_e64 s[2:3], s31, v17
	s_and_saveexec_b64 s[10:11], s[2:3]
	;; [unrolled: 15-line block ×3, first 2 shown]
	s_cbranch_execz .LBB792_85
; %bb.84:
	v_lshlrev_b32_e32 v9, 2, v17
	global_load_dword v10, v9, s[16:17]
	global_load_dword v17, v9, s[18:19]
	s_mov_b32 s14, 0
	s_waitcnt vmcnt(0)
	v_cmp_neq_f32_e64 s[10:11], v10, v17
	v_cndmask_b32_e64 v9, 0, 1, s[10:11]
	v_mov_b32_e32 v10, s14
.LBB792_85:
	s_or_b64 exec, exec, s[12:13]
	v_or_b32_e32 v17, 0x500, v0
	v_cmp_gt_u32_e64 s[10:11], s31, v17
	s_and_saveexec_b64 s[14:15], s[10:11]
	s_cbranch_execz .LBB792_87
; %bb.86:
	v_lshlrev_b32_e32 v11, 2, v17
	global_load_dword v12, v11, s[16:17]
	global_load_dword v17, v11, s[18:19]
	s_mov_b32 s28, 0
	s_waitcnt vmcnt(0)
	v_cmp_neq_f32_e64 s[12:13], v12, v17
	v_cndmask_b32_e64 v11, 0, 1, s[12:13]
	v_mov_b32_e32 v12, s28
.LBB792_87:
	s_or_b64 exec, exec, s[14:15]
	v_or_b32_e32 v17, 0x600, v0
	v_cmp_gt_u32_e64 s[12:13], s31, v17
	s_and_saveexec_b64 s[28:29], s[12:13]
	s_cbranch_execz .LBB792_89
; %bb.88:
	v_lshlrev_b32_e32 v13, 2, v17
	global_load_dword v14, v13, s[16:17]
	global_load_dword v17, v13, s[18:19]
	s_mov_b32 s33, 0
	s_waitcnt vmcnt(0)
	v_cmp_neq_f32_e64 s[14:15], v14, v17
	v_cndmask_b32_e64 v13, 0, 1, s[14:15]
	v_mov_b32_e32 v14, s33
.LBB792_89:
	s_or_b64 exec, exec, s[28:29]
	v_or_b32_e32 v17, 0x700, v0
	v_cmp_gt_u32_e64 s[14:15], s31, v17
	s_and_saveexec_b64 s[28:29], s[14:15]
	s_cbranch_execz .LBB792_91
; %bb.90:
	v_lshlrev_b32_e32 v15, 2, v17
	global_load_dword v16, v15, s[16:17]
	global_load_dword v17, v15, s[18:19]
	s_mov_b32 s18, 0
	s_waitcnt vmcnt(0)
	v_cmp_neq_f32_e64 s[16:17], v16, v17
	v_cndmask_b32_e64 v15, 0, 1, s[16:17]
	v_mov_b32_e32 v16, s18
.LBB792_91:
	s_or_b64 exec, exec, s[28:29]
	v_cndmask_b32_e32 v3, 0, v3, vcc
	v_cndmask_b32_e32 v4, 0, v4, vcc
	v_add_co_u32_e32 v1, vcc, v3, v1
	v_addc_co_u32_e32 v2, vcc, v4, v2, vcc
	v_cndmask_b32_e64 v4, 0, v5, s[0:1]
	v_cndmask_b32_e64 v3, 0, v6, s[0:1]
	v_add_co_u32_e32 v1, vcc, v1, v4
	v_addc_co_u32_e32 v2, vcc, v2, v3, vcc
	v_cndmask_b32_e64 v4, 0, v7, s[2:3]
	v_cndmask_b32_e64 v3, 0, v8, s[2:3]
	;; [unrolled: 4-line block ×6, first 2 shown]
	v_add_co_u32_e32 v1, vcc, v1, v4
	v_addc_co_u32_e32 v2, vcc, v2, v3, vcc
	v_mbcnt_lo_u32_b32 v3, -1, 0
	v_mbcnt_hi_u32_b32 v3, -1, v3
	v_and_b32_e32 v4, 63, v3
	v_cmp_ne_u32_e32 vcc, 63, v4
	v_addc_co_u32_e32 v6, vcc, 0, v3, vcc
	v_lshlrev_b32_e32 v6, 2, v6
	ds_bpermute_b32 v8, v6, v1
	ds_bpermute_b32 v7, v6, v2
	s_min_u32 s2, s31, 0x100
	v_and_b32_e32 v5, 0xc0, v0
	v_sub_u32_e64 v5, s2, v5 clamp
	v_add_u32_e32 v6, 1, v4
	v_cmp_lt_u32_e32 vcc, v6, v5
	v_mov_b32_e32 v6, v1
	s_and_saveexec_b64 s[0:1], vcc
	s_cbranch_execz .LBB792_93
; %bb.92:
	s_waitcnt lgkmcnt(1)
	v_add_co_u32_e32 v6, vcc, v1, v8
	v_addc_co_u32_e32 v2, vcc, 0, v2, vcc
	v_add_co_u32_e32 v1, vcc, 0, v6
	s_waitcnt lgkmcnt(0)
	v_addc_co_u32_e32 v2, vcc, v2, v7, vcc
.LBB792_93:
	s_or_b64 exec, exec, s[0:1]
	v_cmp_gt_u32_e32 vcc, 62, v4
	s_waitcnt lgkmcnt(0)
	v_cndmask_b32_e64 v7, 0, 2, vcc
	v_add_lshl_u32 v7, v7, v3, 2
	ds_bpermute_b32 v8, v7, v6
	ds_bpermute_b32 v7, v7, v2
	v_add_u32_e32 v9, 2, v4
	v_cmp_lt_u32_e32 vcc, v9, v5
	s_and_saveexec_b64 s[0:1], vcc
	s_cbranch_execz .LBB792_95
; %bb.94:
	s_waitcnt lgkmcnt(1)
	v_add_co_u32_e32 v6, vcc, v1, v8
	v_addc_co_u32_e32 v2, vcc, 0, v2, vcc
	v_add_co_u32_e32 v1, vcc, 0, v6
	s_waitcnt lgkmcnt(0)
	v_addc_co_u32_e32 v2, vcc, v7, v2, vcc
.LBB792_95:
	s_or_b64 exec, exec, s[0:1]
	v_cmp_gt_u32_e32 vcc, 60, v4
	s_waitcnt lgkmcnt(0)
	v_cndmask_b32_e64 v7, 0, 4, vcc
	v_add_lshl_u32 v7, v7, v3, 2
	ds_bpermute_b32 v8, v7, v6
	ds_bpermute_b32 v7, v7, v2
	v_add_u32_e32 v9, 4, v4
	v_cmp_lt_u32_e32 vcc, v9, v5
	;; [unrolled: 19-line block ×4, first 2 shown]
	s_and_saveexec_b64 s[0:1], vcc
	s_cbranch_execz .LBB792_101
; %bb.100:
	s_waitcnt lgkmcnt(1)
	v_add_co_u32_e32 v6, vcc, v1, v8
	v_addc_co_u32_e32 v2, vcc, 0, v2, vcc
	v_add_co_u32_e32 v1, vcc, 0, v6
	s_waitcnt lgkmcnt(0)
	v_addc_co_u32_e32 v2, vcc, v7, v2, vcc
.LBB792_101:
	s_or_b64 exec, exec, s[0:1]
	s_waitcnt lgkmcnt(0)
	v_lshlrev_b32_e32 v7, 2, v3
	v_or_b32_e32 v8, 0x80, v7
	ds_bpermute_b32 v6, v8, v6
	ds_bpermute_b32 v8, v8, v2
	v_add_u32_e32 v4, 32, v4
	s_waitcnt lgkmcnt(1)
	v_add_co_u32_e32 v6, vcc, v1, v6
	v_addc_co_u32_e32 v9, vcc, 0, v2, vcc
	v_add_co_u32_e32 v6, vcc, 0, v6
	s_waitcnt lgkmcnt(0)
	v_addc_co_u32_e32 v8, vcc, v9, v8, vcc
	v_cmp_lt_u32_e32 vcc, v4, v5
	v_cndmask_b32_e32 v2, v2, v8, vcc
	v_cndmask_b32_e32 v1, v1, v6, vcc
	v_cmp_eq_u32_e32 vcc, 0, v3
	s_and_saveexec_b64 s[0:1], vcc
; %bb.102:
	v_lshrrev_b32_e32 v4, 3, v0
	v_and_b32_e32 v4, 24, v4
	ds_write_b64 v4, v[1:2] offset:160
; %bb.103:
	s_or_b64 exec, exec, s[0:1]
	v_cmp_gt_u32_e32 vcc, 4, v0
	s_waitcnt lgkmcnt(0)
	s_barrier
	s_and_saveexec_b64 s[0:1], vcc
	s_cbranch_execz .LBB792_107
; %bb.104:
	v_lshlrev_b32_e32 v1, 3, v3
	ds_read_b64 v[1:2], v1 offset:160
	v_and_b32_e32 v4, 3, v3
	v_cmp_ne_u32_e32 vcc, 3, v4
	v_addc_co_u32_e32 v3, vcc, 0, v3, vcc
	v_lshlrev_b32_e32 v3, 2, v3
	s_waitcnt lgkmcnt(0)
	ds_bpermute_b32 v6, v3, v1
	ds_bpermute_b32 v5, v3, v2
	s_add_i32 s2, s2, 63
	s_lshr_b32 s8, s2, 6
	v_add_u32_e32 v3, 1, v4
	v_cmp_gt_u32_e32 vcc, s8, v3
	v_mov_b32_e32 v3, v1
	s_and_saveexec_b64 s[2:3], vcc
	s_cbranch_execz .LBB792_106
; %bb.105:
	s_waitcnt lgkmcnt(1)
	v_add_co_u32_e32 v3, vcc, v1, v6
	v_addc_co_u32_e32 v2, vcc, 0, v2, vcc
	v_add_co_u32_e32 v1, vcc, 0, v3
	s_waitcnt lgkmcnt(0)
	v_addc_co_u32_e32 v2, vcc, v5, v2, vcc
.LBB792_106:
	s_or_b64 exec, exec, s[2:3]
	s_waitcnt lgkmcnt(0)
	v_or_b32_e32 v5, 8, v7
	ds_bpermute_b32 v3, v5, v3
	ds_bpermute_b32 v5, v5, v2
	v_add_u32_e32 v4, 2, v4
	s_waitcnt lgkmcnt(1)
	v_add_co_u32_e32 v3, vcc, v1, v3
	v_addc_co_u32_e32 v6, vcc, 0, v2, vcc
	v_add_co_u32_e32 v3, vcc, 0, v3
	s_waitcnt lgkmcnt(0)
	v_addc_co_u32_e32 v5, vcc, v6, v5, vcc
	v_cmp_gt_u32_e32 vcc, s8, v4
	v_cndmask_b32_e32 v2, v2, v5, vcc
	v_cndmask_b32_e32 v1, v1, v3, vcc
.LBB792_107:
	s_or_b64 exec, exec, s[0:1]
.LBB792_108:
	v_mov_b32_e32 v3, s6
	v_cmp_eq_u32_e64 s[0:1], 0, v0
	v_mov_b32_e32 v4, s7
.LBB792_109:
	s_branch .LBB792_144
.LBB792_110:
	s_cmp_eq_u32 s30, 4
                                        ; implicit-def: $vgpr1_vgpr2
                                        ; implicit-def: $vgpr3_vgpr4
	s_cbranch_scc0 .LBB792_144
; %bb.111:
	s_mov_b32 s7, 0
	s_lshl_b32 s0, s6, 10
	s_mov_b32 s1, s7
	s_lshr_b64 s[2:3], s[20:21], 10
	s_lshl_b64 s[10:11], s[0:1], 2
	s_add_u32 s8, s24, s10
	s_addc_u32 s9, s25, s11
	s_add_u32 s10, s26, s10
	s_addc_u32 s11, s27, s11
	s_cmp_lg_u64 s[2:3], s[6:7]
	s_cbranch_scc0 .LBB792_117
; %bb.112:
	v_lshlrev_b32_e32 v1, 2, v0
	global_load_dword v2, v1, s[10:11] offset:1024
	global_load_dword v5, v1, s[10:11] offset:2048
	;; [unrolled: 1-line block ×5, first 2 shown]
	global_load_dword v9, v1, s[10:11]
	global_load_dword v10, v1, s[8:9]
	global_load_dword v11, v1, s[8:9] offset:2048
	v_mov_b32_e32 v1, 0
	v_mbcnt_lo_u32_b32 v3, -1, 0
	v_mbcnt_hi_u32_b32 v3, -1, v3
	v_mov_b32_dpp v1, v1 quad_perm:[1,0,3,2] row_mask:0xf bank_mask:0xf bound_ctrl:1
	v_lshlrev_b32_e32 v4, 2, v3
	v_or_b32_e32 v12, 0xfc, v4
	s_waitcnt vmcnt(4)
	v_cmp_neq_f32_e32 vcc, v7, v6
	v_cndmask_b32_e64 v6, 0, 1, vcc
	s_waitcnt vmcnt(3)
	v_cmp_neq_f32_e32 vcc, v8, v2
	v_cndmask_b32_e64 v2, 0, 1, vcc
	;; [unrolled: 3-line block ×3, first 2 shown]
	s_waitcnt vmcnt(0)
	v_cmp_neq_f32_e32 vcc, v11, v5
	v_addc_co_u32_e32 v2, vcc, v2, v7, vcc
	v_add_co_u32_e32 v2, vcc, v2, v6
	v_addc_co_u32_e64 v5, s[2:3], 0, 0, vcc
	s_nop 0
	v_mov_b32_dpp v6, v2 quad_perm:[1,0,3,2] row_mask:0xf bank_mask:0xf bound_ctrl:1
	v_add_co_u32_e32 v2, vcc, v2, v6
	v_addc_co_u32_e32 v5, vcc, 0, v5, vcc
	v_add_co_u32_e32 v6, vcc, 0, v2
	v_addc_co_u32_e32 v1, vcc, v1, v5, vcc
	v_mov_b32_dpp v2, v2 quad_perm:[2,3,0,1] row_mask:0xf bank_mask:0xf bound_ctrl:1
	v_add_co_u32_e32 v2, vcc, v6, v2
	v_mov_b32_dpp v5, v1 quad_perm:[2,3,0,1] row_mask:0xf bank_mask:0xf bound_ctrl:1
	v_addc_co_u32_e32 v1, vcc, 0, v1, vcc
	v_add_co_u32_e32 v6, vcc, 0, v2
	v_addc_co_u32_e32 v1, vcc, v1, v5, vcc
	v_mov_b32_dpp v2, v2 row_ror:4 row_mask:0xf bank_mask:0xf bound_ctrl:1
	v_add_co_u32_e32 v2, vcc, v6, v2
	v_mov_b32_dpp v5, v1 row_ror:4 row_mask:0xf bank_mask:0xf bound_ctrl:1
	v_addc_co_u32_e32 v1, vcc, 0, v1, vcc
	v_add_co_u32_e32 v6, vcc, 0, v2
	v_addc_co_u32_e32 v1, vcc, v1, v5, vcc
	v_mov_b32_dpp v2, v2 row_ror:8 row_mask:0xf bank_mask:0xf bound_ctrl:1
	v_add_co_u32_e32 v2, vcc, v6, v2
	v_mov_b32_dpp v5, v1 row_ror:8 row_mask:0xf bank_mask:0xf bound_ctrl:1
	v_addc_co_u32_e32 v1, vcc, 0, v1, vcc
	v_add_co_u32_e32 v6, vcc, 0, v2
	v_addc_co_u32_e32 v1, vcc, v1, v5, vcc
	v_mov_b32_dpp v2, v2 row_bcast:15 row_mask:0xf bank_mask:0xf bound_ctrl:1
	v_add_co_u32_e32 v2, vcc, v6, v2
	v_mov_b32_dpp v5, v1 row_bcast:15 row_mask:0xf bank_mask:0xf bound_ctrl:1
	v_addc_co_u32_e32 v1, vcc, 0, v1, vcc
	v_add_co_u32_e32 v6, vcc, 0, v2
	v_addc_co_u32_e32 v1, vcc, v1, v5, vcc
	v_mov_b32_dpp v2, v2 row_bcast:31 row_mask:0xf bank_mask:0xf bound_ctrl:1
	v_add_co_u32_e32 v2, vcc, v6, v2
	v_addc_co_u32_e32 v5, vcc, 0, v1, vcc
	v_cmp_eq_u32_e32 vcc, 0, v3
	s_nop 0
	v_add_u32_dpp v5, v1, v5 row_bcast:31 row_mask:0xf bank_mask:0xf bound_ctrl:1
	ds_bpermute_b32 v1, v12, v2
	ds_bpermute_b32 v2, v12, v5
	s_and_saveexec_b64 s[2:3], vcc
	s_cbranch_execz .LBB792_114
; %bb.113:
	v_lshrrev_b32_e32 v5, 3, v0
	v_and_b32_e32 v5, 24, v5
	s_waitcnt lgkmcnt(0)
	ds_write_b64 v5, v[1:2] offset:96
.LBB792_114:
	s_or_b64 exec, exec, s[2:3]
	v_cmp_gt_u32_e32 vcc, 64, v0
	s_waitcnt lgkmcnt(0)
	s_barrier
	s_and_saveexec_b64 s[2:3], vcc
	s_cbranch_execz .LBB792_116
; %bb.115:
	v_and_b32_e32 v5, 3, v3
	v_lshlrev_b32_e32 v1, 3, v5
	ds_read_b64 v[1:2], v1 offset:96
	v_cmp_ne_u32_e32 vcc, 3, v5
	v_addc_co_u32_e32 v3, vcc, 0, v3, vcc
	v_lshlrev_b32_e32 v3, 2, v3
	s_waitcnt lgkmcnt(0)
	ds_bpermute_b32 v5, v3, v1
	ds_bpermute_b32 v3, v3, v2
	v_or_b32_e32 v4, 8, v4
	s_waitcnt lgkmcnt(1)
	v_add_co_u32_e32 v1, vcc, v1, v5
	v_addc_co_u32_e32 v2, vcc, 0, v2, vcc
	ds_bpermute_b32 v5, v4, v1
	v_add_co_u32_e32 v1, vcc, 0, v1
	s_waitcnt lgkmcnt(1)
	v_addc_co_u32_e32 v2, vcc, v3, v2, vcc
	ds_bpermute_b32 v3, v4, v2
	s_waitcnt lgkmcnt(1)
	v_add_co_u32_e32 v1, vcc, v1, v5
	v_addc_co_u32_e32 v2, vcc, 0, v2, vcc
	v_add_co_u32_e32 v1, vcc, 0, v1
	s_waitcnt lgkmcnt(0)
	v_addc_co_u32_e32 v2, vcc, v2, v3, vcc
.LBB792_116:
	s_or_b64 exec, exec, s[2:3]
	s_branch .LBB792_143
.LBB792_117:
                                        ; implicit-def: $vgpr1_vgpr2
	s_cbranch_execz .LBB792_143
; %bb.118:
	s_sub_i32 s14, s20, s0
	v_mov_b32_e32 v1, 0
	v_cmp_gt_u32_e32 vcc, s14, v0
	v_mov_b32_e32 v2, v1
	v_mov_b32_e32 v3, v1
	;; [unrolled: 1-line block ×7, first 2 shown]
	s_and_saveexec_b64 s[0:1], vcc
	s_cbranch_execz .LBB792_120
; %bb.119:
	v_lshlrev_b32_e32 v2, 2, v0
	global_load_dword v9, v2, s[8:9]
	global_load_dword v10, v2, s[10:11]
	v_mov_b32_e32 v3, v1
	v_mov_b32_e32 v4, v1
	v_mov_b32_e32 v5, v1
	v_mov_b32_e32 v6, v1
	v_mov_b32_e32 v7, v1
	v_mov_b32_e32 v8, v1
	s_waitcnt vmcnt(0)
	v_cmp_neq_f32_e32 vcc, v9, v10
	v_cndmask_b32_e64 v2, 0, 1, vcc
	v_and_b32_e32 v2, 0xffff, v2
	v_mov_b32_e32 v9, v1
	v_mov_b32_e32 v1, v2
	v_mov_b32_e32 v2, v3
	v_mov_b32_e32 v3, v4
	v_mov_b32_e32 v4, v5
	v_mov_b32_e32 v5, v6
	v_mov_b32_e32 v6, v7
	v_mov_b32_e32 v7, v8
	v_mov_b32_e32 v8, v9
.LBB792_120:
	s_or_b64 exec, exec, s[0:1]
	v_or_b32_e32 v9, 0x100, v0
	v_cmp_gt_u32_e32 vcc, s14, v9
	s_and_saveexec_b64 s[2:3], vcc
	s_cbranch_execz .LBB792_122
; %bb.121:
	v_lshlrev_b32_e32 v3, 2, v0
	global_load_dword v4, v3, s[8:9] offset:1024
	global_load_dword v9, v3, s[10:11] offset:1024
	s_mov_b32 s12, 0
	s_waitcnt vmcnt(0)
	v_cmp_neq_f32_e64 s[0:1], v4, v9
	v_cndmask_b32_e64 v3, 0, 1, s[0:1]
	v_mov_b32_e32 v4, s12
.LBB792_122:
	s_or_b64 exec, exec, s[2:3]
	v_or_b32_e32 v9, 0x200, v0
	v_cmp_gt_u32_e64 s[0:1], s14, v9
	s_and_saveexec_b64 s[12:13], s[0:1]
	s_cbranch_execz .LBB792_124
; %bb.123:
	v_lshlrev_b32_e32 v5, 2, v0
	global_load_dword v6, v5, s[8:9] offset:2048
	global_load_dword v9, v5, s[10:11] offset:2048
	s_mov_b32 s15, 0
	s_waitcnt vmcnt(0)
	v_cmp_neq_f32_e64 s[2:3], v6, v9
	v_cndmask_b32_e64 v5, 0, 1, s[2:3]
	v_mov_b32_e32 v6, s15
.LBB792_124:
	s_or_b64 exec, exec, s[12:13]
	v_or_b32_e32 v9, 0x300, v0
	v_cmp_gt_u32_e64 s[2:3], s14, v9
	s_and_saveexec_b64 s[12:13], s[2:3]
	s_cbranch_execz .LBB792_126
; %bb.125:
	v_lshlrev_b32_e32 v7, 2, v0
	global_load_dword v8, v7, s[8:9] offset:3072
	global_load_dword v9, v7, s[10:11] offset:3072
	s_mov_b32 s10, 0
	s_waitcnt vmcnt(0)
	v_cmp_neq_f32_e64 s[8:9], v8, v9
	v_cndmask_b32_e64 v7, 0, 1, s[8:9]
	v_mov_b32_e32 v8, s10
.LBB792_126:
	s_or_b64 exec, exec, s[12:13]
	v_cndmask_b32_e32 v3, 0, v3, vcc
	v_cndmask_b32_e32 v4, 0, v4, vcc
	v_add_co_u32_e32 v1, vcc, v3, v1
	v_addc_co_u32_e32 v2, vcc, v4, v2, vcc
	v_cndmask_b32_e64 v4, 0, v5, s[0:1]
	v_cndmask_b32_e64 v3, 0, v6, s[0:1]
	v_add_co_u32_e32 v1, vcc, v1, v4
	v_addc_co_u32_e32 v2, vcc, v2, v3, vcc
	v_cndmask_b32_e64 v4, 0, v7, s[2:3]
	v_cndmask_b32_e64 v3, 0, v8, s[2:3]
	v_add_co_u32_e32 v1, vcc, v1, v4
	v_addc_co_u32_e32 v2, vcc, v2, v3, vcc
	v_mbcnt_lo_u32_b32 v3, -1, 0
	v_mbcnt_hi_u32_b32 v3, -1, v3
	v_and_b32_e32 v4, 63, v3
	v_cmp_ne_u32_e32 vcc, 63, v4
	v_addc_co_u32_e32 v6, vcc, 0, v3, vcc
	v_lshlrev_b32_e32 v6, 2, v6
	ds_bpermute_b32 v8, v6, v1
	ds_bpermute_b32 v7, v6, v2
	s_min_u32 s2, s14, 0x100
	v_and_b32_e32 v5, 0xc0, v0
	v_sub_u32_e64 v5, s2, v5 clamp
	v_add_u32_e32 v6, 1, v4
	v_cmp_lt_u32_e32 vcc, v6, v5
	v_mov_b32_e32 v6, v1
	s_and_saveexec_b64 s[0:1], vcc
	s_cbranch_execz .LBB792_128
; %bb.127:
	s_waitcnt lgkmcnt(1)
	v_add_co_u32_e32 v6, vcc, v1, v8
	v_addc_co_u32_e32 v2, vcc, 0, v2, vcc
	v_add_co_u32_e32 v1, vcc, 0, v6
	s_waitcnt lgkmcnt(0)
	v_addc_co_u32_e32 v2, vcc, v7, v2, vcc
.LBB792_128:
	s_or_b64 exec, exec, s[0:1]
	v_cmp_gt_u32_e32 vcc, 62, v4
	s_waitcnt lgkmcnt(0)
	v_cndmask_b32_e64 v7, 0, 2, vcc
	v_add_lshl_u32 v7, v7, v3, 2
	ds_bpermute_b32 v8, v7, v6
	ds_bpermute_b32 v7, v7, v2
	v_add_u32_e32 v9, 2, v4
	v_cmp_lt_u32_e32 vcc, v9, v5
	s_and_saveexec_b64 s[0:1], vcc
	s_cbranch_execz .LBB792_130
; %bb.129:
	s_waitcnt lgkmcnt(1)
	v_add_co_u32_e32 v6, vcc, v1, v8
	v_addc_co_u32_e32 v2, vcc, 0, v2, vcc
	v_add_co_u32_e32 v1, vcc, 0, v6
	s_waitcnt lgkmcnt(0)
	v_addc_co_u32_e32 v2, vcc, v7, v2, vcc
.LBB792_130:
	s_or_b64 exec, exec, s[0:1]
	v_cmp_gt_u32_e32 vcc, 60, v4
	s_waitcnt lgkmcnt(0)
	v_cndmask_b32_e64 v7, 0, 4, vcc
	v_add_lshl_u32 v7, v7, v3, 2
	ds_bpermute_b32 v8, v7, v6
	ds_bpermute_b32 v7, v7, v2
	v_add_u32_e32 v9, 4, v4
	v_cmp_lt_u32_e32 vcc, v9, v5
	;; [unrolled: 19-line block ×4, first 2 shown]
	s_and_saveexec_b64 s[0:1], vcc
	s_cbranch_execz .LBB792_136
; %bb.135:
	s_waitcnt lgkmcnt(1)
	v_add_co_u32_e32 v6, vcc, v1, v8
	v_addc_co_u32_e32 v2, vcc, 0, v2, vcc
	v_add_co_u32_e32 v1, vcc, 0, v6
	s_waitcnt lgkmcnt(0)
	v_addc_co_u32_e32 v2, vcc, v7, v2, vcc
.LBB792_136:
	s_or_b64 exec, exec, s[0:1]
	s_waitcnt lgkmcnt(0)
	v_lshlrev_b32_e32 v7, 2, v3
	v_or_b32_e32 v8, 0x80, v7
	ds_bpermute_b32 v6, v8, v6
	ds_bpermute_b32 v8, v8, v2
	v_add_u32_e32 v4, 32, v4
	s_waitcnt lgkmcnt(1)
	v_add_co_u32_e32 v6, vcc, v1, v6
	v_addc_co_u32_e32 v9, vcc, 0, v2, vcc
	v_add_co_u32_e32 v6, vcc, 0, v6
	s_waitcnt lgkmcnt(0)
	v_addc_co_u32_e32 v8, vcc, v9, v8, vcc
	v_cmp_lt_u32_e32 vcc, v4, v5
	v_cndmask_b32_e32 v2, v2, v8, vcc
	v_cndmask_b32_e32 v1, v1, v6, vcc
	v_cmp_eq_u32_e32 vcc, 0, v3
	s_and_saveexec_b64 s[0:1], vcc
; %bb.137:
	v_lshrrev_b32_e32 v4, 3, v0
	v_and_b32_e32 v4, 24, v4
	ds_write_b64 v4, v[1:2] offset:160
; %bb.138:
	s_or_b64 exec, exec, s[0:1]
	v_cmp_gt_u32_e32 vcc, 4, v0
	s_waitcnt lgkmcnt(0)
	s_barrier
	s_and_saveexec_b64 s[0:1], vcc
	s_cbranch_execz .LBB792_142
; %bb.139:
	v_lshlrev_b32_e32 v1, 3, v3
	ds_read_b64 v[1:2], v1 offset:160
	v_and_b32_e32 v4, 3, v3
	v_cmp_ne_u32_e32 vcc, 3, v4
	v_addc_co_u32_e32 v3, vcc, 0, v3, vcc
	v_lshlrev_b32_e32 v3, 2, v3
	s_waitcnt lgkmcnt(0)
	ds_bpermute_b32 v6, v3, v1
	ds_bpermute_b32 v5, v3, v2
	s_add_i32 s2, s2, 63
	s_lshr_b32 s8, s2, 6
	v_add_u32_e32 v3, 1, v4
	v_cmp_gt_u32_e32 vcc, s8, v3
	v_mov_b32_e32 v3, v1
	s_and_saveexec_b64 s[2:3], vcc
	s_cbranch_execz .LBB792_141
; %bb.140:
	s_waitcnt lgkmcnt(1)
	v_add_co_u32_e32 v3, vcc, v1, v6
	v_addc_co_u32_e32 v2, vcc, 0, v2, vcc
	v_add_co_u32_e32 v1, vcc, 0, v3
	s_waitcnt lgkmcnt(0)
	v_addc_co_u32_e32 v2, vcc, v5, v2, vcc
.LBB792_141:
	s_or_b64 exec, exec, s[2:3]
	s_waitcnt lgkmcnt(0)
	v_or_b32_e32 v5, 8, v7
	ds_bpermute_b32 v3, v5, v3
	ds_bpermute_b32 v5, v5, v2
	v_add_u32_e32 v4, 2, v4
	s_waitcnt lgkmcnt(1)
	v_add_co_u32_e32 v3, vcc, v1, v3
	v_addc_co_u32_e32 v6, vcc, 0, v2, vcc
	v_add_co_u32_e32 v3, vcc, 0, v3
	s_waitcnt lgkmcnt(0)
	v_addc_co_u32_e32 v5, vcc, v6, v5, vcc
	v_cmp_gt_u32_e32 vcc, s8, v4
	v_cndmask_b32_e32 v2, v2, v5, vcc
	v_cndmask_b32_e32 v1, v1, v3, vcc
.LBB792_142:
	s_or_b64 exec, exec, s[0:1]
.LBB792_143:
	v_mov_b32_e32 v3, s6
	v_cmp_eq_u32_e64 s[0:1], 0, v0
	v_mov_b32_e32 v4, s7
.LBB792_144:
	s_branch .LBB792_206
.LBB792_145:
	s_cmp_gt_i32 s30, 1
	s_cbranch_scc0 .LBB792_153
; %bb.146:
	s_cmp_eq_u32 s30, 2
                                        ; implicit-def: $vgpr1_vgpr2
                                        ; implicit-def: $vgpr3_vgpr4
	s_cbranch_scc0 .LBB792_154
; %bb.147:
	s_mov_b32 s7, 0
	s_lshl_b32 s8, s6, 9
	s_mov_b32 s9, s7
	s_lshr_b64 s[10:11], s[20:21], 9
	s_lshl_b64 s[2:3], s[8:9], 2
	s_add_u32 s0, s24, s2
	s_addc_u32 s1, s25, s3
	s_add_u32 s2, s26, s2
	s_addc_u32 s3, s27, s3
	s_cmp_lg_u64 s[10:11], s[6:7]
	s_cbranch_scc0 .LBB792_155
; %bb.148:
	v_lshlrev_b32_e32 v1, 2, v0
	global_load_dword v2, v1, s[0:1]
	global_load_dword v5, v1, s[2:3]
	global_load_dword v6, v1, s[2:3] offset:1024
	global_load_dword v7, v1, s[0:1] offset:1024
	v_mov_b32_e32 v1, 0
	v_mbcnt_lo_u32_b32 v3, -1, 0
	v_mbcnt_hi_u32_b32 v3, -1, v3
	v_mov_b32_dpp v1, v1 quad_perm:[1,0,3,2] row_mask:0xf bank_mask:0xf bound_ctrl:1
	v_lshlrev_b32_e32 v4, 2, v3
	v_or_b32_e32 v8, 0xfc, v4
	s_waitcnt vmcnt(2)
	v_cmp_neq_f32_e32 vcc, v2, v5
	v_cndmask_b32_e64 v2, 0, 1, vcc
	s_waitcnt vmcnt(0)
	v_cmp_neq_f32_e32 vcc, v7, v6
	v_addc_co_u32_e32 v2, vcc, 0, v2, vcc
	s_nop 1
	v_mov_b32_dpp v5, v2 quad_perm:[1,0,3,2] row_mask:0xf bank_mask:0xf bound_ctrl:1
	v_add_co_u32_e32 v2, vcc, v2, v5
	v_addc_co_u32_e64 v5, s[10:11], 0, 0, vcc
	v_add_co_u32_e32 v6, vcc, 0, v2
	v_addc_co_u32_e32 v1, vcc, v1, v5, vcc
	v_mov_b32_dpp v2, v2 quad_perm:[2,3,0,1] row_mask:0xf bank_mask:0xf bound_ctrl:1
	v_add_co_u32_e32 v2, vcc, v6, v2
	v_mov_b32_dpp v5, v1 quad_perm:[2,3,0,1] row_mask:0xf bank_mask:0xf bound_ctrl:1
	v_addc_co_u32_e32 v1, vcc, 0, v1, vcc
	v_add_co_u32_e32 v6, vcc, 0, v2
	v_addc_co_u32_e32 v1, vcc, v1, v5, vcc
	v_mov_b32_dpp v2, v2 row_ror:4 row_mask:0xf bank_mask:0xf bound_ctrl:1
	v_add_co_u32_e32 v2, vcc, v6, v2
	v_mov_b32_dpp v5, v1 row_ror:4 row_mask:0xf bank_mask:0xf bound_ctrl:1
	v_addc_co_u32_e32 v1, vcc, 0, v1, vcc
	v_add_co_u32_e32 v6, vcc, 0, v2
	v_addc_co_u32_e32 v1, vcc, v1, v5, vcc
	v_mov_b32_dpp v2, v2 row_ror:8 row_mask:0xf bank_mask:0xf bound_ctrl:1
	v_add_co_u32_e32 v2, vcc, v6, v2
	v_mov_b32_dpp v5, v1 row_ror:8 row_mask:0xf bank_mask:0xf bound_ctrl:1
	v_addc_co_u32_e32 v1, vcc, 0, v1, vcc
	v_add_co_u32_e32 v6, vcc, 0, v2
	v_addc_co_u32_e32 v1, vcc, v1, v5, vcc
	v_mov_b32_dpp v2, v2 row_bcast:15 row_mask:0xf bank_mask:0xf bound_ctrl:1
	v_add_co_u32_e32 v2, vcc, v6, v2
	v_mov_b32_dpp v5, v1 row_bcast:15 row_mask:0xf bank_mask:0xf bound_ctrl:1
	v_addc_co_u32_e32 v1, vcc, 0, v1, vcc
	v_add_co_u32_e32 v6, vcc, 0, v2
	v_addc_co_u32_e32 v1, vcc, v1, v5, vcc
	v_mov_b32_dpp v2, v2 row_bcast:31 row_mask:0xf bank_mask:0xf bound_ctrl:1
	v_add_co_u32_e32 v2, vcc, v6, v2
	v_addc_co_u32_e32 v5, vcc, 0, v1, vcc
	v_cmp_eq_u32_e32 vcc, 0, v3
	s_nop 0
	v_add_u32_dpp v5, v1, v5 row_bcast:31 row_mask:0xf bank_mask:0xf bound_ctrl:1
	ds_bpermute_b32 v1, v8, v2
	ds_bpermute_b32 v2, v8, v5
	s_and_saveexec_b64 s[10:11], vcc
	s_cbranch_execz .LBB792_150
; %bb.149:
	v_lshrrev_b32_e32 v5, 3, v0
	v_and_b32_e32 v5, 24, v5
	s_waitcnt lgkmcnt(0)
	ds_write_b64 v5, v[1:2] offset:64
.LBB792_150:
	s_or_b64 exec, exec, s[10:11]
	v_cmp_gt_u32_e32 vcc, 64, v0
	s_waitcnt lgkmcnt(0)
	s_barrier
	s_and_saveexec_b64 s[10:11], vcc
	s_cbranch_execz .LBB792_152
; %bb.151:
	v_and_b32_e32 v5, 3, v3
	v_lshlrev_b32_e32 v1, 3, v5
	ds_read_b64 v[1:2], v1 offset:64
	v_cmp_ne_u32_e32 vcc, 3, v5
	v_addc_co_u32_e32 v3, vcc, 0, v3, vcc
	v_lshlrev_b32_e32 v3, 2, v3
	s_waitcnt lgkmcnt(0)
	ds_bpermute_b32 v5, v3, v1
	ds_bpermute_b32 v3, v3, v2
	v_or_b32_e32 v4, 8, v4
	s_waitcnt lgkmcnt(1)
	v_add_co_u32_e32 v1, vcc, v1, v5
	v_addc_co_u32_e32 v2, vcc, 0, v2, vcc
	ds_bpermute_b32 v5, v4, v1
	v_add_co_u32_e32 v1, vcc, 0, v1
	s_waitcnt lgkmcnt(1)
	v_addc_co_u32_e32 v2, vcc, v3, v2, vcc
	ds_bpermute_b32 v3, v4, v2
	s_waitcnt lgkmcnt(1)
	v_add_co_u32_e32 v1, vcc, v1, v5
	v_addc_co_u32_e32 v2, vcc, 0, v2, vcc
	v_add_co_u32_e32 v1, vcc, 0, v1
	s_waitcnt lgkmcnt(0)
	v_addc_co_u32_e32 v2, vcc, v2, v3, vcc
.LBB792_152:
	s_or_b64 exec, exec, s[10:11]
	s_branch .LBB792_177
.LBB792_153:
                                        ; implicit-def: $vgpr1_vgpr2
                                        ; implicit-def: $vgpr3_vgpr4
	s_cbranch_execnz .LBB792_178
	s_branch .LBB792_206
.LBB792_154:
	s_branch .LBB792_206
.LBB792_155:
                                        ; implicit-def: $vgpr1_vgpr2
	s_cbranch_execz .LBB792_177
; %bb.156:
	s_sub_i32 s10, s20, s8
	v_mov_b32_e32 v1, 0
	v_cmp_gt_u32_e32 vcc, s10, v0
	v_mov_b32_e32 v2, v1
	v_mov_b32_e32 v3, v1
	;; [unrolled: 1-line block ×3, first 2 shown]
	s_and_saveexec_b64 s[8:9], vcc
	s_cbranch_execz .LBB792_158
; %bb.157:
	v_lshlrev_b32_e32 v2, 2, v0
	global_load_dword v5, v2, s[0:1]
	global_load_dword v6, v2, s[2:3]
	v_mov_b32_e32 v3, v1
	v_mov_b32_e32 v4, v1
	s_waitcnt vmcnt(0)
	v_cmp_neq_f32_e32 vcc, v5, v6
	v_cndmask_b32_e64 v2, 0, 1, vcc
	v_and_b32_e32 v2, 0xffff, v2
	v_mov_b32_e32 v5, v1
	v_mov_b32_e32 v1, v2
	v_mov_b32_e32 v2, v3
	v_mov_b32_e32 v3, v4
	v_mov_b32_e32 v4, v5
.LBB792_158:
	s_or_b64 exec, exec, s[8:9]
	v_or_b32_e32 v5, 0x100, v0
	v_cmp_gt_u32_e32 vcc, s10, v5
	s_and_saveexec_b64 s[8:9], vcc
	s_cbranch_execz .LBB792_160
; %bb.159:
	v_lshlrev_b32_e32 v3, 2, v0
	global_load_dword v4, v3, s[0:1] offset:1024
	global_load_dword v5, v3, s[2:3] offset:1024
	s_mov_b32 s2, 0
	s_waitcnt vmcnt(0)
	v_cmp_neq_f32_e64 s[0:1], v4, v5
	v_cndmask_b32_e64 v3, 0, 1, s[0:1]
	v_mov_b32_e32 v4, s2
.LBB792_160:
	s_or_b64 exec, exec, s[8:9]
	v_cndmask_b32_e32 v3, 0, v3, vcc
	v_cndmask_b32_e32 v4, 0, v4, vcc
	v_add_co_u32_e32 v1, vcc, v3, v1
	v_mbcnt_lo_u32_b32 v3, -1, 0
	v_mbcnt_hi_u32_b32 v3, -1, v3
	v_addc_co_u32_e32 v2, vcc, v4, v2, vcc
	v_and_b32_e32 v4, 63, v3
	v_cmp_ne_u32_e32 vcc, 63, v4
	v_addc_co_u32_e32 v6, vcc, 0, v3, vcc
	v_lshlrev_b32_e32 v6, 2, v6
	ds_bpermute_b32 v8, v6, v1
	ds_bpermute_b32 v7, v6, v2
	s_min_u32 s2, s10, 0x100
	v_and_b32_e32 v5, 0xc0, v0
	v_sub_u32_e64 v5, s2, v5 clamp
	v_add_u32_e32 v6, 1, v4
	v_cmp_lt_u32_e32 vcc, v6, v5
	v_mov_b32_e32 v6, v1
	s_and_saveexec_b64 s[0:1], vcc
	s_cbranch_execz .LBB792_162
; %bb.161:
	s_waitcnt lgkmcnt(1)
	v_add_co_u32_e32 v6, vcc, v1, v8
	v_addc_co_u32_e32 v2, vcc, 0, v2, vcc
	v_add_co_u32_e32 v1, vcc, 0, v6
	s_waitcnt lgkmcnt(0)
	v_addc_co_u32_e32 v2, vcc, v7, v2, vcc
.LBB792_162:
	s_or_b64 exec, exec, s[0:1]
	v_cmp_gt_u32_e32 vcc, 62, v4
	s_waitcnt lgkmcnt(0)
	v_cndmask_b32_e64 v7, 0, 2, vcc
	v_add_lshl_u32 v7, v7, v3, 2
	ds_bpermute_b32 v8, v7, v6
	ds_bpermute_b32 v7, v7, v2
	v_add_u32_e32 v9, 2, v4
	v_cmp_lt_u32_e32 vcc, v9, v5
	s_and_saveexec_b64 s[0:1], vcc
	s_cbranch_execz .LBB792_164
; %bb.163:
	s_waitcnt lgkmcnt(1)
	v_add_co_u32_e32 v6, vcc, v1, v8
	v_addc_co_u32_e32 v2, vcc, 0, v2, vcc
	v_add_co_u32_e32 v1, vcc, 0, v6
	s_waitcnt lgkmcnt(0)
	v_addc_co_u32_e32 v2, vcc, v7, v2, vcc
.LBB792_164:
	s_or_b64 exec, exec, s[0:1]
	v_cmp_gt_u32_e32 vcc, 60, v4
	s_waitcnt lgkmcnt(0)
	v_cndmask_b32_e64 v7, 0, 4, vcc
	v_add_lshl_u32 v7, v7, v3, 2
	ds_bpermute_b32 v8, v7, v6
	ds_bpermute_b32 v7, v7, v2
	v_add_u32_e32 v9, 4, v4
	v_cmp_lt_u32_e32 vcc, v9, v5
	;; [unrolled: 19-line block ×4, first 2 shown]
	s_and_saveexec_b64 s[0:1], vcc
	s_cbranch_execz .LBB792_170
; %bb.169:
	s_waitcnt lgkmcnt(1)
	v_add_co_u32_e32 v6, vcc, v1, v8
	v_addc_co_u32_e32 v2, vcc, 0, v2, vcc
	v_add_co_u32_e32 v1, vcc, 0, v6
	s_waitcnt lgkmcnt(0)
	v_addc_co_u32_e32 v2, vcc, v7, v2, vcc
.LBB792_170:
	s_or_b64 exec, exec, s[0:1]
	s_waitcnt lgkmcnt(0)
	v_lshlrev_b32_e32 v7, 2, v3
	v_or_b32_e32 v8, 0x80, v7
	ds_bpermute_b32 v6, v8, v6
	ds_bpermute_b32 v8, v8, v2
	v_add_u32_e32 v4, 32, v4
	s_waitcnt lgkmcnt(1)
	v_add_co_u32_e32 v6, vcc, v1, v6
	v_addc_co_u32_e32 v9, vcc, 0, v2, vcc
	v_add_co_u32_e32 v6, vcc, 0, v6
	s_waitcnt lgkmcnt(0)
	v_addc_co_u32_e32 v8, vcc, v9, v8, vcc
	v_cmp_lt_u32_e32 vcc, v4, v5
	v_cndmask_b32_e32 v2, v2, v8, vcc
	v_cndmask_b32_e32 v1, v1, v6, vcc
	v_cmp_eq_u32_e32 vcc, 0, v3
	s_and_saveexec_b64 s[0:1], vcc
; %bb.171:
	v_lshrrev_b32_e32 v4, 3, v0
	v_and_b32_e32 v4, 24, v4
	ds_write_b64 v4, v[1:2] offset:160
; %bb.172:
	s_or_b64 exec, exec, s[0:1]
	v_cmp_gt_u32_e32 vcc, 4, v0
	s_waitcnt lgkmcnt(0)
	s_barrier
	s_and_saveexec_b64 s[0:1], vcc
	s_cbranch_execz .LBB792_176
; %bb.173:
	v_lshlrev_b32_e32 v1, 3, v3
	ds_read_b64 v[1:2], v1 offset:160
	v_and_b32_e32 v4, 3, v3
	v_cmp_ne_u32_e32 vcc, 3, v4
	v_addc_co_u32_e32 v3, vcc, 0, v3, vcc
	v_lshlrev_b32_e32 v3, 2, v3
	s_waitcnt lgkmcnt(0)
	ds_bpermute_b32 v6, v3, v1
	ds_bpermute_b32 v5, v3, v2
	s_add_i32 s2, s2, 63
	s_lshr_b32 s8, s2, 6
	v_add_u32_e32 v3, 1, v4
	v_cmp_gt_u32_e32 vcc, s8, v3
	v_mov_b32_e32 v3, v1
	s_and_saveexec_b64 s[2:3], vcc
	s_cbranch_execz .LBB792_175
; %bb.174:
	s_waitcnt lgkmcnt(1)
	v_add_co_u32_e32 v3, vcc, v1, v6
	v_addc_co_u32_e32 v2, vcc, 0, v2, vcc
	v_add_co_u32_e32 v1, vcc, 0, v3
	s_waitcnt lgkmcnt(0)
	v_addc_co_u32_e32 v2, vcc, v5, v2, vcc
.LBB792_175:
	s_or_b64 exec, exec, s[2:3]
	s_waitcnt lgkmcnt(0)
	v_or_b32_e32 v5, 8, v7
	ds_bpermute_b32 v3, v5, v3
	ds_bpermute_b32 v5, v5, v2
	v_add_u32_e32 v4, 2, v4
	s_waitcnt lgkmcnt(1)
	v_add_co_u32_e32 v3, vcc, v1, v3
	v_addc_co_u32_e32 v6, vcc, 0, v2, vcc
	v_add_co_u32_e32 v3, vcc, 0, v3
	s_waitcnt lgkmcnt(0)
	v_addc_co_u32_e32 v5, vcc, v6, v5, vcc
	v_cmp_gt_u32_e32 vcc, s8, v4
	v_cndmask_b32_e32 v2, v2, v5, vcc
	v_cndmask_b32_e32 v1, v1, v3, vcc
.LBB792_176:
	s_or_b64 exec, exec, s[0:1]
.LBB792_177:
	v_mov_b32_e32 v3, s6
	v_cmp_eq_u32_e64 s[0:1], 0, v0
	v_mov_b32_e32 v4, s7
	s_branch .LBB792_206
.LBB792_178:
	s_cmp_eq_u32 s30, 1
                                        ; implicit-def: $vgpr1_vgpr2
                                        ; implicit-def: $vgpr3_vgpr4
	s_cbranch_scc0 .LBB792_206
; %bb.179:
	s_mov_b32 s1, 0
	s_lshl_b32 s0, s6, 8
	s_mov_b32 s7, s1
	s_lshr_b64 s[2:3], s[20:21], 8
	s_cmp_lg_u64 s[2:3], s[6:7]
	v_mbcnt_lo_u32_b32 v3, -1, 0
	s_cbranch_scc0 .LBB792_185
; %bb.180:
	s_lshl_b64 s[2:3], s[0:1], 2
	s_add_u32 s8, s24, s2
	s_addc_u32 s9, s25, s3
	s_add_u32 s2, s26, s2
	v_lshlrev_b32_e32 v1, 2, v0
	s_addc_u32 s3, s27, s3
	global_load_dword v2, v1, s[8:9]
	global_load_dword v6, v1, s[2:3]
	v_mov_b32_e32 v1, 0
	v_mbcnt_hi_u32_b32 v4, -1, v3
	v_lshlrev_b32_e32 v5, 2, v4
	v_mov_b32_dpp v1, v1 quad_perm:[1,0,3,2] row_mask:0xf bank_mask:0xf bound_ctrl:1
	v_or_b32_e32 v7, 0xfc, v5
	s_waitcnt vmcnt(0)
	v_cmp_neq_f32_e32 vcc, v2, v6
	v_cndmask_b32_e64 v2, 0, 1, vcc
	s_nop 1
	v_mov_b32_dpp v6, v2 quad_perm:[1,0,3,2] row_mask:0xf bank_mask:0xf bound_ctrl:1
	v_add_co_u32_e32 v2, vcc, v6, v2
	v_addc_co_u32_e64 v6, s[2:3], 0, 0, vcc
	v_add_co_u32_e32 v8, vcc, 0, v2
	v_addc_co_u32_e32 v1, vcc, v1, v6, vcc
	v_mov_b32_dpp v2, v2 quad_perm:[2,3,0,1] row_mask:0xf bank_mask:0xf bound_ctrl:1
	v_add_co_u32_e32 v2, vcc, v8, v2
	v_mov_b32_dpp v6, v1 quad_perm:[2,3,0,1] row_mask:0xf bank_mask:0xf bound_ctrl:1
	v_addc_co_u32_e32 v1, vcc, 0, v1, vcc
	v_add_co_u32_e32 v8, vcc, 0, v2
	v_addc_co_u32_e32 v1, vcc, v1, v6, vcc
	v_mov_b32_dpp v2, v2 row_ror:4 row_mask:0xf bank_mask:0xf bound_ctrl:1
	v_add_co_u32_e32 v2, vcc, v8, v2
	v_mov_b32_dpp v6, v1 row_ror:4 row_mask:0xf bank_mask:0xf bound_ctrl:1
	v_addc_co_u32_e32 v1, vcc, 0, v1, vcc
	v_add_co_u32_e32 v8, vcc, 0, v2
	v_addc_co_u32_e32 v1, vcc, v1, v6, vcc
	v_mov_b32_dpp v2, v2 row_ror:8 row_mask:0xf bank_mask:0xf bound_ctrl:1
	v_add_co_u32_e32 v2, vcc, v8, v2
	v_mov_b32_dpp v6, v1 row_ror:8 row_mask:0xf bank_mask:0xf bound_ctrl:1
	v_addc_co_u32_e32 v1, vcc, 0, v1, vcc
	v_add_co_u32_e32 v8, vcc, 0, v2
	v_addc_co_u32_e32 v1, vcc, v1, v6, vcc
	v_mov_b32_dpp v2, v2 row_bcast:15 row_mask:0xf bank_mask:0xf bound_ctrl:1
	v_add_co_u32_e32 v2, vcc, v8, v2
	v_mov_b32_dpp v6, v1 row_bcast:15 row_mask:0xf bank_mask:0xf bound_ctrl:1
	v_addc_co_u32_e32 v1, vcc, 0, v1, vcc
	v_add_co_u32_e32 v8, vcc, 0, v2
	v_addc_co_u32_e32 v1, vcc, v1, v6, vcc
	v_mov_b32_dpp v2, v2 row_bcast:31 row_mask:0xf bank_mask:0xf bound_ctrl:1
	v_add_co_u32_e32 v2, vcc, v8, v2
	v_addc_co_u32_e32 v6, vcc, 0, v1, vcc
	v_cmp_eq_u32_e32 vcc, 0, v4
	s_nop 0
	v_add_u32_dpp v6, v1, v6 row_bcast:31 row_mask:0xf bank_mask:0xf bound_ctrl:1
	ds_bpermute_b32 v1, v7, v2
	ds_bpermute_b32 v2, v7, v6
	s_and_saveexec_b64 s[2:3], vcc
	s_cbranch_execz .LBB792_182
; %bb.181:
	v_lshrrev_b32_e32 v6, 3, v0
	v_and_b32_e32 v6, 24, v6
	s_waitcnt lgkmcnt(0)
	ds_write_b64 v6, v[1:2] offset:32
.LBB792_182:
	s_or_b64 exec, exec, s[2:3]
	v_cmp_gt_u32_e32 vcc, 64, v0
	s_waitcnt lgkmcnt(0)
	s_barrier
	s_and_saveexec_b64 s[2:3], vcc
	s_cbranch_execz .LBB792_184
; %bb.183:
	v_and_b32_e32 v6, 3, v4
	v_lshlrev_b32_e32 v1, 3, v6
	ds_read_b64 v[1:2], v1 offset:32
	v_cmp_ne_u32_e32 vcc, 3, v6
	v_addc_co_u32_e32 v4, vcc, 0, v4, vcc
	v_lshlrev_b32_e32 v4, 2, v4
	s_waitcnt lgkmcnt(0)
	ds_bpermute_b32 v6, v4, v1
	ds_bpermute_b32 v4, v4, v2
	v_or_b32_e32 v5, 8, v5
	s_waitcnt lgkmcnt(1)
	v_add_co_u32_e32 v1, vcc, v1, v6
	v_addc_co_u32_e32 v2, vcc, 0, v2, vcc
	ds_bpermute_b32 v6, v5, v1
	v_add_co_u32_e32 v1, vcc, 0, v1
	s_waitcnt lgkmcnt(1)
	v_addc_co_u32_e32 v2, vcc, v4, v2, vcc
	ds_bpermute_b32 v4, v5, v2
	s_waitcnt lgkmcnt(1)
	v_add_co_u32_e32 v1, vcc, v1, v6
	v_addc_co_u32_e32 v2, vcc, 0, v2, vcc
	v_add_co_u32_e32 v1, vcc, 0, v1
	s_waitcnt lgkmcnt(0)
	v_addc_co_u32_e32 v2, vcc, v2, v4, vcc
.LBB792_184:
	s_or_b64 exec, exec, s[2:3]
	s_branch .LBB792_205
.LBB792_185:
                                        ; implicit-def: $vgpr1_vgpr2
	s_cbranch_execz .LBB792_205
; %bb.186:
	s_sub_i32 s8, s20, s0
	v_cmp_gt_u32_e32 vcc, s8, v0
                                        ; implicit-def: $vgpr1_vgpr2
	s_and_saveexec_b64 s[2:3], vcc
	s_cbranch_execz .LBB792_188
; %bb.187:
	s_lshl_b64 s[0:1], s[0:1], 2
	s_add_u32 s10, s26, s0
	s_addc_u32 s11, s27, s1
	s_add_u32 s0, s24, s0
	v_lshlrev_b32_e32 v1, 2, v0
	s_addc_u32 s1, s25, s1
	global_load_dword v2, v1, s[0:1]
	global_load_dword v4, v1, s[10:11]
	s_mov_b32 s0, 0
	s_waitcnt vmcnt(0)
	v_cmp_neq_f32_e32 vcc, v2, v4
	v_cndmask_b32_e64 v1, 0, 1, vcc
	v_mov_b32_e32 v2, s0
.LBB792_188:
	s_or_b64 exec, exec, s[2:3]
	v_mbcnt_hi_u32_b32 v3, -1, v3
	v_and_b32_e32 v4, 63, v3
	v_cmp_ne_u32_e32 vcc, 63, v4
	v_addc_co_u32_e32 v6, vcc, 0, v3, vcc
	v_lshlrev_b32_e32 v6, 2, v6
	ds_bpermute_b32 v8, v6, v1
	ds_bpermute_b32 v7, v6, v2
	s_min_u32 s2, s8, 0x100
	v_and_b32_e32 v5, 0xc0, v0
	v_sub_u32_e64 v5, s2, v5 clamp
	v_add_u32_e32 v6, 1, v4
	v_cmp_lt_u32_e32 vcc, v6, v5
	v_mov_b32_e32 v6, v1
	s_and_saveexec_b64 s[0:1], vcc
	s_cbranch_execz .LBB792_190
; %bb.189:
	s_waitcnt lgkmcnt(1)
	v_add_co_u32_e32 v6, vcc, v1, v8
	v_addc_co_u32_e32 v2, vcc, 0, v2, vcc
	v_add_co_u32_e32 v1, vcc, 0, v6
	s_waitcnt lgkmcnt(0)
	v_addc_co_u32_e32 v2, vcc, v7, v2, vcc
.LBB792_190:
	s_or_b64 exec, exec, s[0:1]
	v_cmp_gt_u32_e32 vcc, 62, v4
	s_waitcnt lgkmcnt(0)
	v_cndmask_b32_e64 v7, 0, 2, vcc
	v_add_lshl_u32 v7, v7, v3, 2
	ds_bpermute_b32 v8, v7, v6
	ds_bpermute_b32 v7, v7, v2
	v_add_u32_e32 v9, 2, v4
	v_cmp_lt_u32_e32 vcc, v9, v5
	s_and_saveexec_b64 s[0:1], vcc
	s_cbranch_execz .LBB792_192
; %bb.191:
	s_waitcnt lgkmcnt(1)
	v_add_co_u32_e32 v6, vcc, v1, v8
	v_addc_co_u32_e32 v2, vcc, 0, v2, vcc
	v_add_co_u32_e32 v1, vcc, 0, v6
	s_waitcnt lgkmcnt(0)
	v_addc_co_u32_e32 v2, vcc, v7, v2, vcc
.LBB792_192:
	s_or_b64 exec, exec, s[0:1]
	v_cmp_gt_u32_e32 vcc, 60, v4
	s_waitcnt lgkmcnt(0)
	v_cndmask_b32_e64 v7, 0, 4, vcc
	v_add_lshl_u32 v7, v7, v3, 2
	ds_bpermute_b32 v8, v7, v6
	ds_bpermute_b32 v7, v7, v2
	v_add_u32_e32 v9, 4, v4
	v_cmp_lt_u32_e32 vcc, v9, v5
	;; [unrolled: 19-line block ×4, first 2 shown]
	s_and_saveexec_b64 s[0:1], vcc
	s_cbranch_execz .LBB792_198
; %bb.197:
	s_waitcnt lgkmcnt(1)
	v_add_co_u32_e32 v6, vcc, v1, v8
	v_addc_co_u32_e32 v2, vcc, 0, v2, vcc
	v_add_co_u32_e32 v1, vcc, 0, v6
	s_waitcnt lgkmcnt(0)
	v_addc_co_u32_e32 v2, vcc, v7, v2, vcc
.LBB792_198:
	s_or_b64 exec, exec, s[0:1]
	s_waitcnt lgkmcnt(0)
	v_lshlrev_b32_e32 v7, 2, v3
	v_or_b32_e32 v8, 0x80, v7
	ds_bpermute_b32 v6, v8, v6
	ds_bpermute_b32 v8, v8, v2
	v_add_u32_e32 v4, 32, v4
	s_waitcnt lgkmcnt(1)
	v_add_co_u32_e32 v6, vcc, v1, v6
	v_addc_co_u32_e32 v9, vcc, 0, v2, vcc
	v_add_co_u32_e32 v6, vcc, 0, v6
	s_waitcnt lgkmcnt(0)
	v_addc_co_u32_e32 v8, vcc, v9, v8, vcc
	v_cmp_lt_u32_e32 vcc, v4, v5
	v_cndmask_b32_e32 v2, v2, v8, vcc
	v_cndmask_b32_e32 v1, v1, v6, vcc
	v_cmp_eq_u32_e32 vcc, 0, v3
	s_and_saveexec_b64 s[0:1], vcc
; %bb.199:
	v_lshrrev_b32_e32 v4, 3, v0
	v_and_b32_e32 v4, 24, v4
	ds_write_b64 v4, v[1:2] offset:160
; %bb.200:
	s_or_b64 exec, exec, s[0:1]
	v_cmp_gt_u32_e32 vcc, 4, v0
	s_waitcnt lgkmcnt(0)
	s_barrier
	s_and_saveexec_b64 s[0:1], vcc
	s_cbranch_execz .LBB792_204
; %bb.201:
	v_lshlrev_b32_e32 v1, 3, v3
	ds_read_b64 v[1:2], v1 offset:160
	v_and_b32_e32 v4, 3, v3
	v_cmp_ne_u32_e32 vcc, 3, v4
	v_addc_co_u32_e32 v3, vcc, 0, v3, vcc
	v_lshlrev_b32_e32 v3, 2, v3
	s_waitcnt lgkmcnt(0)
	ds_bpermute_b32 v6, v3, v1
	ds_bpermute_b32 v5, v3, v2
	s_add_i32 s2, s2, 63
	s_lshr_b32 s8, s2, 6
	v_add_u32_e32 v3, 1, v4
	v_cmp_gt_u32_e32 vcc, s8, v3
	v_mov_b32_e32 v3, v1
	s_and_saveexec_b64 s[2:3], vcc
	s_cbranch_execz .LBB792_203
; %bb.202:
	s_waitcnt lgkmcnt(1)
	v_add_co_u32_e32 v3, vcc, v1, v6
	v_addc_co_u32_e32 v2, vcc, 0, v2, vcc
	v_add_co_u32_e32 v1, vcc, 0, v3
	s_waitcnt lgkmcnt(0)
	v_addc_co_u32_e32 v2, vcc, v5, v2, vcc
.LBB792_203:
	s_or_b64 exec, exec, s[2:3]
	s_waitcnt lgkmcnt(0)
	v_or_b32_e32 v5, 8, v7
	ds_bpermute_b32 v3, v5, v3
	ds_bpermute_b32 v5, v5, v2
	v_add_u32_e32 v4, 2, v4
	s_waitcnt lgkmcnt(1)
	v_add_co_u32_e32 v3, vcc, v1, v3
	v_addc_co_u32_e32 v6, vcc, 0, v2, vcc
	v_add_co_u32_e32 v3, vcc, 0, v3
	s_waitcnt lgkmcnt(0)
	v_addc_co_u32_e32 v5, vcc, v6, v5, vcc
	v_cmp_gt_u32_e32 vcc, s8, v4
	v_cndmask_b32_e32 v2, v2, v5, vcc
	v_cndmask_b32_e32 v1, v1, v3, vcc
.LBB792_204:
	s_or_b64 exec, exec, s[0:1]
.LBB792_205:
	v_mov_b32_e32 v3, s6
	v_cmp_eq_u32_e64 s[0:1], 0, v0
	v_mov_b32_e32 v4, s7
.LBB792_206:
	s_and_saveexec_b64 s[2:3], s[0:1]
	s_cbranch_execz .LBB792_208
; %bb.207:
	v_lshlrev_b64 v[3:4], 3, v[3:4]
	s_load_dwordx2 s[0:1], s[4:5], 0x30
	v_mov_b32_e32 v0, s23
	v_add_co_u32_e32 v3, vcc, s22, v3
	v_addc_co_u32_e32 v4, vcc, v0, v4, vcc
	s_cmp_lg_u64 s[20:21], 0
	s_cselect_b64 vcc, -1, 0
	v_cndmask_b32_e32 v0, 0, v1, vcc
	v_cndmask_b32_e32 v2, 0, v2, vcc
	s_waitcnt lgkmcnt(0)
	v_mov_b32_e32 v1, s1
	v_add_co_u32_e32 v0, vcc, s0, v0
	v_addc_co_u32_e32 v1, vcc, v2, v1, vcc
	global_store_dwordx2 v[3:4], v[0:1], off
.LBB792_208:
	s_endpgm
	.section	.rodata,"a",@progbits
	.p2align	6, 0x0
	.amdhsa_kernel _ZN7rocprim17ROCPRIM_400000_NS6detail17trampoline_kernelINS0_14default_configENS1_22reduce_config_selectorIlEEZNS1_11reduce_implILb1ES3_N6thrust23THRUST_200600_302600_NS11hip_rocprim26transform_input_iterator_tIlNS8_12zip_iteratorINS8_5tupleINS8_6detail15normal_iteratorINS8_10device_ptrIfEEEESH_NS8_9null_typeESI_SI_SI_SI_SI_SI_SI_EEEENS9_21zip_adj_not_predicateINS8_8equal_toIfEEEEEEPllNS8_4plusIlEEEE10hipError_tPvRmT1_T2_T3_mT4_P12ihipStream_tbEUlT_E1_NS1_11comp_targetILNS1_3genE2ELNS1_11target_archE906ELNS1_3gpuE6ELNS1_3repE0EEENS1_30default_config_static_selectorELNS0_4arch9wavefront6targetE1EEEvSW_
		.amdhsa_group_segment_fixed_size 192
		.amdhsa_private_segment_fixed_size 0
		.amdhsa_kernarg_size 64
		.amdhsa_user_sgpr_count 6
		.amdhsa_user_sgpr_private_segment_buffer 1
		.amdhsa_user_sgpr_dispatch_ptr 0
		.amdhsa_user_sgpr_queue_ptr 0
		.amdhsa_user_sgpr_kernarg_segment_ptr 1
		.amdhsa_user_sgpr_dispatch_id 0
		.amdhsa_user_sgpr_flat_scratch_init 0
		.amdhsa_user_sgpr_private_segment_size 0
		.amdhsa_uses_dynamic_stack 0
		.amdhsa_system_sgpr_private_segment_wavefront_offset 0
		.amdhsa_system_sgpr_workgroup_id_x 1
		.amdhsa_system_sgpr_workgroup_id_y 0
		.amdhsa_system_sgpr_workgroup_id_z 0
		.amdhsa_system_sgpr_workgroup_info 0
		.amdhsa_system_vgpr_workitem_id 0
		.amdhsa_next_free_vgpr 34
		.amdhsa_next_free_sgpr 34
		.amdhsa_reserve_vcc 1
		.amdhsa_reserve_flat_scratch 0
		.amdhsa_float_round_mode_32 0
		.amdhsa_float_round_mode_16_64 0
		.amdhsa_float_denorm_mode_32 3
		.amdhsa_float_denorm_mode_16_64 3
		.amdhsa_dx10_clamp 1
		.amdhsa_ieee_mode 1
		.amdhsa_fp16_overflow 0
		.amdhsa_exception_fp_ieee_invalid_op 0
		.amdhsa_exception_fp_denorm_src 0
		.amdhsa_exception_fp_ieee_div_zero 0
		.amdhsa_exception_fp_ieee_overflow 0
		.amdhsa_exception_fp_ieee_underflow 0
		.amdhsa_exception_fp_ieee_inexact 0
		.amdhsa_exception_int_div_zero 0
	.end_amdhsa_kernel
	.section	.text._ZN7rocprim17ROCPRIM_400000_NS6detail17trampoline_kernelINS0_14default_configENS1_22reduce_config_selectorIlEEZNS1_11reduce_implILb1ES3_N6thrust23THRUST_200600_302600_NS11hip_rocprim26transform_input_iterator_tIlNS8_12zip_iteratorINS8_5tupleINS8_6detail15normal_iteratorINS8_10device_ptrIfEEEESH_NS8_9null_typeESI_SI_SI_SI_SI_SI_SI_EEEENS9_21zip_adj_not_predicateINS8_8equal_toIfEEEEEEPllNS8_4plusIlEEEE10hipError_tPvRmT1_T2_T3_mT4_P12ihipStream_tbEUlT_E1_NS1_11comp_targetILNS1_3genE2ELNS1_11target_archE906ELNS1_3gpuE6ELNS1_3repE0EEENS1_30default_config_static_selectorELNS0_4arch9wavefront6targetE1EEEvSW_,"axG",@progbits,_ZN7rocprim17ROCPRIM_400000_NS6detail17trampoline_kernelINS0_14default_configENS1_22reduce_config_selectorIlEEZNS1_11reduce_implILb1ES3_N6thrust23THRUST_200600_302600_NS11hip_rocprim26transform_input_iterator_tIlNS8_12zip_iteratorINS8_5tupleINS8_6detail15normal_iteratorINS8_10device_ptrIfEEEESH_NS8_9null_typeESI_SI_SI_SI_SI_SI_SI_EEEENS9_21zip_adj_not_predicateINS8_8equal_toIfEEEEEEPllNS8_4plusIlEEEE10hipError_tPvRmT1_T2_T3_mT4_P12ihipStream_tbEUlT_E1_NS1_11comp_targetILNS1_3genE2ELNS1_11target_archE906ELNS1_3gpuE6ELNS1_3repE0EEENS1_30default_config_static_selectorELNS0_4arch9wavefront6targetE1EEEvSW_,comdat
.Lfunc_end792:
	.size	_ZN7rocprim17ROCPRIM_400000_NS6detail17trampoline_kernelINS0_14default_configENS1_22reduce_config_selectorIlEEZNS1_11reduce_implILb1ES3_N6thrust23THRUST_200600_302600_NS11hip_rocprim26transform_input_iterator_tIlNS8_12zip_iteratorINS8_5tupleINS8_6detail15normal_iteratorINS8_10device_ptrIfEEEESH_NS8_9null_typeESI_SI_SI_SI_SI_SI_SI_EEEENS9_21zip_adj_not_predicateINS8_8equal_toIfEEEEEEPllNS8_4plusIlEEEE10hipError_tPvRmT1_T2_T3_mT4_P12ihipStream_tbEUlT_E1_NS1_11comp_targetILNS1_3genE2ELNS1_11target_archE906ELNS1_3gpuE6ELNS1_3repE0EEENS1_30default_config_static_selectorELNS0_4arch9wavefront6targetE1EEEvSW_, .Lfunc_end792-_ZN7rocprim17ROCPRIM_400000_NS6detail17trampoline_kernelINS0_14default_configENS1_22reduce_config_selectorIlEEZNS1_11reduce_implILb1ES3_N6thrust23THRUST_200600_302600_NS11hip_rocprim26transform_input_iterator_tIlNS8_12zip_iteratorINS8_5tupleINS8_6detail15normal_iteratorINS8_10device_ptrIfEEEESH_NS8_9null_typeESI_SI_SI_SI_SI_SI_SI_EEEENS9_21zip_adj_not_predicateINS8_8equal_toIfEEEEEEPllNS8_4plusIlEEEE10hipError_tPvRmT1_T2_T3_mT4_P12ihipStream_tbEUlT_E1_NS1_11comp_targetILNS1_3genE2ELNS1_11target_archE906ELNS1_3gpuE6ELNS1_3repE0EEENS1_30default_config_static_selectorELNS0_4arch9wavefront6targetE1EEEvSW_
                                        ; -- End function
	.set _ZN7rocprim17ROCPRIM_400000_NS6detail17trampoline_kernelINS0_14default_configENS1_22reduce_config_selectorIlEEZNS1_11reduce_implILb1ES3_N6thrust23THRUST_200600_302600_NS11hip_rocprim26transform_input_iterator_tIlNS8_12zip_iteratorINS8_5tupleINS8_6detail15normal_iteratorINS8_10device_ptrIfEEEESH_NS8_9null_typeESI_SI_SI_SI_SI_SI_SI_EEEENS9_21zip_adj_not_predicateINS8_8equal_toIfEEEEEEPllNS8_4plusIlEEEE10hipError_tPvRmT1_T2_T3_mT4_P12ihipStream_tbEUlT_E1_NS1_11comp_targetILNS1_3genE2ELNS1_11target_archE906ELNS1_3gpuE6ELNS1_3repE0EEENS1_30default_config_static_selectorELNS0_4arch9wavefront6targetE1EEEvSW_.num_vgpr, 34
	.set _ZN7rocprim17ROCPRIM_400000_NS6detail17trampoline_kernelINS0_14default_configENS1_22reduce_config_selectorIlEEZNS1_11reduce_implILb1ES3_N6thrust23THRUST_200600_302600_NS11hip_rocprim26transform_input_iterator_tIlNS8_12zip_iteratorINS8_5tupleINS8_6detail15normal_iteratorINS8_10device_ptrIfEEEESH_NS8_9null_typeESI_SI_SI_SI_SI_SI_SI_EEEENS9_21zip_adj_not_predicateINS8_8equal_toIfEEEEEEPllNS8_4plusIlEEEE10hipError_tPvRmT1_T2_T3_mT4_P12ihipStream_tbEUlT_E1_NS1_11comp_targetILNS1_3genE2ELNS1_11target_archE906ELNS1_3gpuE6ELNS1_3repE0EEENS1_30default_config_static_selectorELNS0_4arch9wavefront6targetE1EEEvSW_.num_agpr, 0
	.set _ZN7rocprim17ROCPRIM_400000_NS6detail17trampoline_kernelINS0_14default_configENS1_22reduce_config_selectorIlEEZNS1_11reduce_implILb1ES3_N6thrust23THRUST_200600_302600_NS11hip_rocprim26transform_input_iterator_tIlNS8_12zip_iteratorINS8_5tupleINS8_6detail15normal_iteratorINS8_10device_ptrIfEEEESH_NS8_9null_typeESI_SI_SI_SI_SI_SI_SI_EEEENS9_21zip_adj_not_predicateINS8_8equal_toIfEEEEEEPllNS8_4plusIlEEEE10hipError_tPvRmT1_T2_T3_mT4_P12ihipStream_tbEUlT_E1_NS1_11comp_targetILNS1_3genE2ELNS1_11target_archE906ELNS1_3gpuE6ELNS1_3repE0EEENS1_30default_config_static_selectorELNS0_4arch9wavefront6targetE1EEEvSW_.numbered_sgpr, 34
	.set _ZN7rocprim17ROCPRIM_400000_NS6detail17trampoline_kernelINS0_14default_configENS1_22reduce_config_selectorIlEEZNS1_11reduce_implILb1ES3_N6thrust23THRUST_200600_302600_NS11hip_rocprim26transform_input_iterator_tIlNS8_12zip_iteratorINS8_5tupleINS8_6detail15normal_iteratorINS8_10device_ptrIfEEEESH_NS8_9null_typeESI_SI_SI_SI_SI_SI_SI_EEEENS9_21zip_adj_not_predicateINS8_8equal_toIfEEEEEEPllNS8_4plusIlEEEE10hipError_tPvRmT1_T2_T3_mT4_P12ihipStream_tbEUlT_E1_NS1_11comp_targetILNS1_3genE2ELNS1_11target_archE906ELNS1_3gpuE6ELNS1_3repE0EEENS1_30default_config_static_selectorELNS0_4arch9wavefront6targetE1EEEvSW_.num_named_barrier, 0
	.set _ZN7rocprim17ROCPRIM_400000_NS6detail17trampoline_kernelINS0_14default_configENS1_22reduce_config_selectorIlEEZNS1_11reduce_implILb1ES3_N6thrust23THRUST_200600_302600_NS11hip_rocprim26transform_input_iterator_tIlNS8_12zip_iteratorINS8_5tupleINS8_6detail15normal_iteratorINS8_10device_ptrIfEEEESH_NS8_9null_typeESI_SI_SI_SI_SI_SI_SI_EEEENS9_21zip_adj_not_predicateINS8_8equal_toIfEEEEEEPllNS8_4plusIlEEEE10hipError_tPvRmT1_T2_T3_mT4_P12ihipStream_tbEUlT_E1_NS1_11comp_targetILNS1_3genE2ELNS1_11target_archE906ELNS1_3gpuE6ELNS1_3repE0EEENS1_30default_config_static_selectorELNS0_4arch9wavefront6targetE1EEEvSW_.private_seg_size, 0
	.set _ZN7rocprim17ROCPRIM_400000_NS6detail17trampoline_kernelINS0_14default_configENS1_22reduce_config_selectorIlEEZNS1_11reduce_implILb1ES3_N6thrust23THRUST_200600_302600_NS11hip_rocprim26transform_input_iterator_tIlNS8_12zip_iteratorINS8_5tupleINS8_6detail15normal_iteratorINS8_10device_ptrIfEEEESH_NS8_9null_typeESI_SI_SI_SI_SI_SI_SI_EEEENS9_21zip_adj_not_predicateINS8_8equal_toIfEEEEEEPllNS8_4plusIlEEEE10hipError_tPvRmT1_T2_T3_mT4_P12ihipStream_tbEUlT_E1_NS1_11comp_targetILNS1_3genE2ELNS1_11target_archE906ELNS1_3gpuE6ELNS1_3repE0EEENS1_30default_config_static_selectorELNS0_4arch9wavefront6targetE1EEEvSW_.uses_vcc, 1
	.set _ZN7rocprim17ROCPRIM_400000_NS6detail17trampoline_kernelINS0_14default_configENS1_22reduce_config_selectorIlEEZNS1_11reduce_implILb1ES3_N6thrust23THRUST_200600_302600_NS11hip_rocprim26transform_input_iterator_tIlNS8_12zip_iteratorINS8_5tupleINS8_6detail15normal_iteratorINS8_10device_ptrIfEEEESH_NS8_9null_typeESI_SI_SI_SI_SI_SI_SI_EEEENS9_21zip_adj_not_predicateINS8_8equal_toIfEEEEEEPllNS8_4plusIlEEEE10hipError_tPvRmT1_T2_T3_mT4_P12ihipStream_tbEUlT_E1_NS1_11comp_targetILNS1_3genE2ELNS1_11target_archE906ELNS1_3gpuE6ELNS1_3repE0EEENS1_30default_config_static_selectorELNS0_4arch9wavefront6targetE1EEEvSW_.uses_flat_scratch, 0
	.set _ZN7rocprim17ROCPRIM_400000_NS6detail17trampoline_kernelINS0_14default_configENS1_22reduce_config_selectorIlEEZNS1_11reduce_implILb1ES3_N6thrust23THRUST_200600_302600_NS11hip_rocprim26transform_input_iterator_tIlNS8_12zip_iteratorINS8_5tupleINS8_6detail15normal_iteratorINS8_10device_ptrIfEEEESH_NS8_9null_typeESI_SI_SI_SI_SI_SI_SI_EEEENS9_21zip_adj_not_predicateINS8_8equal_toIfEEEEEEPllNS8_4plusIlEEEE10hipError_tPvRmT1_T2_T3_mT4_P12ihipStream_tbEUlT_E1_NS1_11comp_targetILNS1_3genE2ELNS1_11target_archE906ELNS1_3gpuE6ELNS1_3repE0EEENS1_30default_config_static_selectorELNS0_4arch9wavefront6targetE1EEEvSW_.has_dyn_sized_stack, 0
	.set _ZN7rocprim17ROCPRIM_400000_NS6detail17trampoline_kernelINS0_14default_configENS1_22reduce_config_selectorIlEEZNS1_11reduce_implILb1ES3_N6thrust23THRUST_200600_302600_NS11hip_rocprim26transform_input_iterator_tIlNS8_12zip_iteratorINS8_5tupleINS8_6detail15normal_iteratorINS8_10device_ptrIfEEEESH_NS8_9null_typeESI_SI_SI_SI_SI_SI_SI_EEEENS9_21zip_adj_not_predicateINS8_8equal_toIfEEEEEEPllNS8_4plusIlEEEE10hipError_tPvRmT1_T2_T3_mT4_P12ihipStream_tbEUlT_E1_NS1_11comp_targetILNS1_3genE2ELNS1_11target_archE906ELNS1_3gpuE6ELNS1_3repE0EEENS1_30default_config_static_selectorELNS0_4arch9wavefront6targetE1EEEvSW_.has_recursion, 0
	.set _ZN7rocprim17ROCPRIM_400000_NS6detail17trampoline_kernelINS0_14default_configENS1_22reduce_config_selectorIlEEZNS1_11reduce_implILb1ES3_N6thrust23THRUST_200600_302600_NS11hip_rocprim26transform_input_iterator_tIlNS8_12zip_iteratorINS8_5tupleINS8_6detail15normal_iteratorINS8_10device_ptrIfEEEESH_NS8_9null_typeESI_SI_SI_SI_SI_SI_SI_EEEENS9_21zip_adj_not_predicateINS8_8equal_toIfEEEEEEPllNS8_4plusIlEEEE10hipError_tPvRmT1_T2_T3_mT4_P12ihipStream_tbEUlT_E1_NS1_11comp_targetILNS1_3genE2ELNS1_11target_archE906ELNS1_3gpuE6ELNS1_3repE0EEENS1_30default_config_static_selectorELNS0_4arch9wavefront6targetE1EEEvSW_.has_indirect_call, 0
	.section	.AMDGPU.csdata,"",@progbits
; Kernel info:
; codeLenInByte = 10652
; TotalNumSgprs: 38
; NumVgprs: 34
; ScratchSize: 0
; MemoryBound: 0
; FloatMode: 240
; IeeeMode: 1
; LDSByteSize: 192 bytes/workgroup (compile time only)
; SGPRBlocks: 4
; VGPRBlocks: 8
; NumSGPRsForWavesPerEU: 38
; NumVGPRsForWavesPerEU: 34
; Occupancy: 7
; WaveLimiterHint : 0
; COMPUTE_PGM_RSRC2:SCRATCH_EN: 0
; COMPUTE_PGM_RSRC2:USER_SGPR: 6
; COMPUTE_PGM_RSRC2:TRAP_HANDLER: 0
; COMPUTE_PGM_RSRC2:TGID_X_EN: 1
; COMPUTE_PGM_RSRC2:TGID_Y_EN: 0
; COMPUTE_PGM_RSRC2:TGID_Z_EN: 0
; COMPUTE_PGM_RSRC2:TIDIG_COMP_CNT: 0
	.section	.text._ZN7rocprim17ROCPRIM_400000_NS6detail17trampoline_kernelINS0_14default_configENS1_22reduce_config_selectorIlEEZNS1_11reduce_implILb1ES3_N6thrust23THRUST_200600_302600_NS11hip_rocprim26transform_input_iterator_tIlNS8_12zip_iteratorINS8_5tupleINS8_6detail15normal_iteratorINS8_10device_ptrIfEEEESH_NS8_9null_typeESI_SI_SI_SI_SI_SI_SI_EEEENS9_21zip_adj_not_predicateINS8_8equal_toIfEEEEEEPllNS8_4plusIlEEEE10hipError_tPvRmT1_T2_T3_mT4_P12ihipStream_tbEUlT_E1_NS1_11comp_targetILNS1_3genE10ELNS1_11target_archE1201ELNS1_3gpuE5ELNS1_3repE0EEENS1_30default_config_static_selectorELNS0_4arch9wavefront6targetE1EEEvSW_,"axG",@progbits,_ZN7rocprim17ROCPRIM_400000_NS6detail17trampoline_kernelINS0_14default_configENS1_22reduce_config_selectorIlEEZNS1_11reduce_implILb1ES3_N6thrust23THRUST_200600_302600_NS11hip_rocprim26transform_input_iterator_tIlNS8_12zip_iteratorINS8_5tupleINS8_6detail15normal_iteratorINS8_10device_ptrIfEEEESH_NS8_9null_typeESI_SI_SI_SI_SI_SI_SI_EEEENS9_21zip_adj_not_predicateINS8_8equal_toIfEEEEEEPllNS8_4plusIlEEEE10hipError_tPvRmT1_T2_T3_mT4_P12ihipStream_tbEUlT_E1_NS1_11comp_targetILNS1_3genE10ELNS1_11target_archE1201ELNS1_3gpuE5ELNS1_3repE0EEENS1_30default_config_static_selectorELNS0_4arch9wavefront6targetE1EEEvSW_,comdat
	.protected	_ZN7rocprim17ROCPRIM_400000_NS6detail17trampoline_kernelINS0_14default_configENS1_22reduce_config_selectorIlEEZNS1_11reduce_implILb1ES3_N6thrust23THRUST_200600_302600_NS11hip_rocprim26transform_input_iterator_tIlNS8_12zip_iteratorINS8_5tupleINS8_6detail15normal_iteratorINS8_10device_ptrIfEEEESH_NS8_9null_typeESI_SI_SI_SI_SI_SI_SI_EEEENS9_21zip_adj_not_predicateINS8_8equal_toIfEEEEEEPllNS8_4plusIlEEEE10hipError_tPvRmT1_T2_T3_mT4_P12ihipStream_tbEUlT_E1_NS1_11comp_targetILNS1_3genE10ELNS1_11target_archE1201ELNS1_3gpuE5ELNS1_3repE0EEENS1_30default_config_static_selectorELNS0_4arch9wavefront6targetE1EEEvSW_ ; -- Begin function _ZN7rocprim17ROCPRIM_400000_NS6detail17trampoline_kernelINS0_14default_configENS1_22reduce_config_selectorIlEEZNS1_11reduce_implILb1ES3_N6thrust23THRUST_200600_302600_NS11hip_rocprim26transform_input_iterator_tIlNS8_12zip_iteratorINS8_5tupleINS8_6detail15normal_iteratorINS8_10device_ptrIfEEEESH_NS8_9null_typeESI_SI_SI_SI_SI_SI_SI_EEEENS9_21zip_adj_not_predicateINS8_8equal_toIfEEEEEEPllNS8_4plusIlEEEE10hipError_tPvRmT1_T2_T3_mT4_P12ihipStream_tbEUlT_E1_NS1_11comp_targetILNS1_3genE10ELNS1_11target_archE1201ELNS1_3gpuE5ELNS1_3repE0EEENS1_30default_config_static_selectorELNS0_4arch9wavefront6targetE1EEEvSW_
	.globl	_ZN7rocprim17ROCPRIM_400000_NS6detail17trampoline_kernelINS0_14default_configENS1_22reduce_config_selectorIlEEZNS1_11reduce_implILb1ES3_N6thrust23THRUST_200600_302600_NS11hip_rocprim26transform_input_iterator_tIlNS8_12zip_iteratorINS8_5tupleINS8_6detail15normal_iteratorINS8_10device_ptrIfEEEESH_NS8_9null_typeESI_SI_SI_SI_SI_SI_SI_EEEENS9_21zip_adj_not_predicateINS8_8equal_toIfEEEEEEPllNS8_4plusIlEEEE10hipError_tPvRmT1_T2_T3_mT4_P12ihipStream_tbEUlT_E1_NS1_11comp_targetILNS1_3genE10ELNS1_11target_archE1201ELNS1_3gpuE5ELNS1_3repE0EEENS1_30default_config_static_selectorELNS0_4arch9wavefront6targetE1EEEvSW_
	.p2align	8
	.type	_ZN7rocprim17ROCPRIM_400000_NS6detail17trampoline_kernelINS0_14default_configENS1_22reduce_config_selectorIlEEZNS1_11reduce_implILb1ES3_N6thrust23THRUST_200600_302600_NS11hip_rocprim26transform_input_iterator_tIlNS8_12zip_iteratorINS8_5tupleINS8_6detail15normal_iteratorINS8_10device_ptrIfEEEESH_NS8_9null_typeESI_SI_SI_SI_SI_SI_SI_EEEENS9_21zip_adj_not_predicateINS8_8equal_toIfEEEEEEPllNS8_4plusIlEEEE10hipError_tPvRmT1_T2_T3_mT4_P12ihipStream_tbEUlT_E1_NS1_11comp_targetILNS1_3genE10ELNS1_11target_archE1201ELNS1_3gpuE5ELNS1_3repE0EEENS1_30default_config_static_selectorELNS0_4arch9wavefront6targetE1EEEvSW_,@function
_ZN7rocprim17ROCPRIM_400000_NS6detail17trampoline_kernelINS0_14default_configENS1_22reduce_config_selectorIlEEZNS1_11reduce_implILb1ES3_N6thrust23THRUST_200600_302600_NS11hip_rocprim26transform_input_iterator_tIlNS8_12zip_iteratorINS8_5tupleINS8_6detail15normal_iteratorINS8_10device_ptrIfEEEESH_NS8_9null_typeESI_SI_SI_SI_SI_SI_SI_EEEENS9_21zip_adj_not_predicateINS8_8equal_toIfEEEEEEPllNS8_4plusIlEEEE10hipError_tPvRmT1_T2_T3_mT4_P12ihipStream_tbEUlT_E1_NS1_11comp_targetILNS1_3genE10ELNS1_11target_archE1201ELNS1_3gpuE5ELNS1_3repE0EEENS1_30default_config_static_selectorELNS0_4arch9wavefront6targetE1EEEvSW_: ; @_ZN7rocprim17ROCPRIM_400000_NS6detail17trampoline_kernelINS0_14default_configENS1_22reduce_config_selectorIlEEZNS1_11reduce_implILb1ES3_N6thrust23THRUST_200600_302600_NS11hip_rocprim26transform_input_iterator_tIlNS8_12zip_iteratorINS8_5tupleINS8_6detail15normal_iteratorINS8_10device_ptrIfEEEESH_NS8_9null_typeESI_SI_SI_SI_SI_SI_SI_EEEENS9_21zip_adj_not_predicateINS8_8equal_toIfEEEEEEPllNS8_4plusIlEEEE10hipError_tPvRmT1_T2_T3_mT4_P12ihipStream_tbEUlT_E1_NS1_11comp_targetILNS1_3genE10ELNS1_11target_archE1201ELNS1_3gpuE5ELNS1_3repE0EEENS1_30default_config_static_selectorELNS0_4arch9wavefront6targetE1EEEvSW_
; %bb.0:
	.section	.rodata,"a",@progbits
	.p2align	6, 0x0
	.amdhsa_kernel _ZN7rocprim17ROCPRIM_400000_NS6detail17trampoline_kernelINS0_14default_configENS1_22reduce_config_selectorIlEEZNS1_11reduce_implILb1ES3_N6thrust23THRUST_200600_302600_NS11hip_rocprim26transform_input_iterator_tIlNS8_12zip_iteratorINS8_5tupleINS8_6detail15normal_iteratorINS8_10device_ptrIfEEEESH_NS8_9null_typeESI_SI_SI_SI_SI_SI_SI_EEEENS9_21zip_adj_not_predicateINS8_8equal_toIfEEEEEEPllNS8_4plusIlEEEE10hipError_tPvRmT1_T2_T3_mT4_P12ihipStream_tbEUlT_E1_NS1_11comp_targetILNS1_3genE10ELNS1_11target_archE1201ELNS1_3gpuE5ELNS1_3repE0EEENS1_30default_config_static_selectorELNS0_4arch9wavefront6targetE1EEEvSW_
		.amdhsa_group_segment_fixed_size 0
		.amdhsa_private_segment_fixed_size 0
		.amdhsa_kernarg_size 64
		.amdhsa_user_sgpr_count 6
		.amdhsa_user_sgpr_private_segment_buffer 1
		.amdhsa_user_sgpr_dispatch_ptr 0
		.amdhsa_user_sgpr_queue_ptr 0
		.amdhsa_user_sgpr_kernarg_segment_ptr 1
		.amdhsa_user_sgpr_dispatch_id 0
		.amdhsa_user_sgpr_flat_scratch_init 0
		.amdhsa_user_sgpr_private_segment_size 0
		.amdhsa_uses_dynamic_stack 0
		.amdhsa_system_sgpr_private_segment_wavefront_offset 0
		.amdhsa_system_sgpr_workgroup_id_x 1
		.amdhsa_system_sgpr_workgroup_id_y 0
		.amdhsa_system_sgpr_workgroup_id_z 0
		.amdhsa_system_sgpr_workgroup_info 0
		.amdhsa_system_vgpr_workitem_id 0
		.amdhsa_next_free_vgpr 1
		.amdhsa_next_free_sgpr 0
		.amdhsa_reserve_vcc 0
		.amdhsa_reserve_flat_scratch 0
		.amdhsa_float_round_mode_32 0
		.amdhsa_float_round_mode_16_64 0
		.amdhsa_float_denorm_mode_32 3
		.amdhsa_float_denorm_mode_16_64 3
		.amdhsa_dx10_clamp 1
		.amdhsa_ieee_mode 1
		.amdhsa_fp16_overflow 0
		.amdhsa_exception_fp_ieee_invalid_op 0
		.amdhsa_exception_fp_denorm_src 0
		.amdhsa_exception_fp_ieee_div_zero 0
		.amdhsa_exception_fp_ieee_overflow 0
		.amdhsa_exception_fp_ieee_underflow 0
		.amdhsa_exception_fp_ieee_inexact 0
		.amdhsa_exception_int_div_zero 0
	.end_amdhsa_kernel
	.section	.text._ZN7rocprim17ROCPRIM_400000_NS6detail17trampoline_kernelINS0_14default_configENS1_22reduce_config_selectorIlEEZNS1_11reduce_implILb1ES3_N6thrust23THRUST_200600_302600_NS11hip_rocprim26transform_input_iterator_tIlNS8_12zip_iteratorINS8_5tupleINS8_6detail15normal_iteratorINS8_10device_ptrIfEEEESH_NS8_9null_typeESI_SI_SI_SI_SI_SI_SI_EEEENS9_21zip_adj_not_predicateINS8_8equal_toIfEEEEEEPllNS8_4plusIlEEEE10hipError_tPvRmT1_T2_T3_mT4_P12ihipStream_tbEUlT_E1_NS1_11comp_targetILNS1_3genE10ELNS1_11target_archE1201ELNS1_3gpuE5ELNS1_3repE0EEENS1_30default_config_static_selectorELNS0_4arch9wavefront6targetE1EEEvSW_,"axG",@progbits,_ZN7rocprim17ROCPRIM_400000_NS6detail17trampoline_kernelINS0_14default_configENS1_22reduce_config_selectorIlEEZNS1_11reduce_implILb1ES3_N6thrust23THRUST_200600_302600_NS11hip_rocprim26transform_input_iterator_tIlNS8_12zip_iteratorINS8_5tupleINS8_6detail15normal_iteratorINS8_10device_ptrIfEEEESH_NS8_9null_typeESI_SI_SI_SI_SI_SI_SI_EEEENS9_21zip_adj_not_predicateINS8_8equal_toIfEEEEEEPllNS8_4plusIlEEEE10hipError_tPvRmT1_T2_T3_mT4_P12ihipStream_tbEUlT_E1_NS1_11comp_targetILNS1_3genE10ELNS1_11target_archE1201ELNS1_3gpuE5ELNS1_3repE0EEENS1_30default_config_static_selectorELNS0_4arch9wavefront6targetE1EEEvSW_,comdat
.Lfunc_end793:
	.size	_ZN7rocprim17ROCPRIM_400000_NS6detail17trampoline_kernelINS0_14default_configENS1_22reduce_config_selectorIlEEZNS1_11reduce_implILb1ES3_N6thrust23THRUST_200600_302600_NS11hip_rocprim26transform_input_iterator_tIlNS8_12zip_iteratorINS8_5tupleINS8_6detail15normal_iteratorINS8_10device_ptrIfEEEESH_NS8_9null_typeESI_SI_SI_SI_SI_SI_SI_EEEENS9_21zip_adj_not_predicateINS8_8equal_toIfEEEEEEPllNS8_4plusIlEEEE10hipError_tPvRmT1_T2_T3_mT4_P12ihipStream_tbEUlT_E1_NS1_11comp_targetILNS1_3genE10ELNS1_11target_archE1201ELNS1_3gpuE5ELNS1_3repE0EEENS1_30default_config_static_selectorELNS0_4arch9wavefront6targetE1EEEvSW_, .Lfunc_end793-_ZN7rocprim17ROCPRIM_400000_NS6detail17trampoline_kernelINS0_14default_configENS1_22reduce_config_selectorIlEEZNS1_11reduce_implILb1ES3_N6thrust23THRUST_200600_302600_NS11hip_rocprim26transform_input_iterator_tIlNS8_12zip_iteratorINS8_5tupleINS8_6detail15normal_iteratorINS8_10device_ptrIfEEEESH_NS8_9null_typeESI_SI_SI_SI_SI_SI_SI_EEEENS9_21zip_adj_not_predicateINS8_8equal_toIfEEEEEEPllNS8_4plusIlEEEE10hipError_tPvRmT1_T2_T3_mT4_P12ihipStream_tbEUlT_E1_NS1_11comp_targetILNS1_3genE10ELNS1_11target_archE1201ELNS1_3gpuE5ELNS1_3repE0EEENS1_30default_config_static_selectorELNS0_4arch9wavefront6targetE1EEEvSW_
                                        ; -- End function
	.set _ZN7rocprim17ROCPRIM_400000_NS6detail17trampoline_kernelINS0_14default_configENS1_22reduce_config_selectorIlEEZNS1_11reduce_implILb1ES3_N6thrust23THRUST_200600_302600_NS11hip_rocprim26transform_input_iterator_tIlNS8_12zip_iteratorINS8_5tupleINS8_6detail15normal_iteratorINS8_10device_ptrIfEEEESH_NS8_9null_typeESI_SI_SI_SI_SI_SI_SI_EEEENS9_21zip_adj_not_predicateINS8_8equal_toIfEEEEEEPllNS8_4plusIlEEEE10hipError_tPvRmT1_T2_T3_mT4_P12ihipStream_tbEUlT_E1_NS1_11comp_targetILNS1_3genE10ELNS1_11target_archE1201ELNS1_3gpuE5ELNS1_3repE0EEENS1_30default_config_static_selectorELNS0_4arch9wavefront6targetE1EEEvSW_.num_vgpr, 0
	.set _ZN7rocprim17ROCPRIM_400000_NS6detail17trampoline_kernelINS0_14default_configENS1_22reduce_config_selectorIlEEZNS1_11reduce_implILb1ES3_N6thrust23THRUST_200600_302600_NS11hip_rocprim26transform_input_iterator_tIlNS8_12zip_iteratorINS8_5tupleINS8_6detail15normal_iteratorINS8_10device_ptrIfEEEESH_NS8_9null_typeESI_SI_SI_SI_SI_SI_SI_EEEENS9_21zip_adj_not_predicateINS8_8equal_toIfEEEEEEPllNS8_4plusIlEEEE10hipError_tPvRmT1_T2_T3_mT4_P12ihipStream_tbEUlT_E1_NS1_11comp_targetILNS1_3genE10ELNS1_11target_archE1201ELNS1_3gpuE5ELNS1_3repE0EEENS1_30default_config_static_selectorELNS0_4arch9wavefront6targetE1EEEvSW_.num_agpr, 0
	.set _ZN7rocprim17ROCPRIM_400000_NS6detail17trampoline_kernelINS0_14default_configENS1_22reduce_config_selectorIlEEZNS1_11reduce_implILb1ES3_N6thrust23THRUST_200600_302600_NS11hip_rocprim26transform_input_iterator_tIlNS8_12zip_iteratorINS8_5tupleINS8_6detail15normal_iteratorINS8_10device_ptrIfEEEESH_NS8_9null_typeESI_SI_SI_SI_SI_SI_SI_EEEENS9_21zip_adj_not_predicateINS8_8equal_toIfEEEEEEPllNS8_4plusIlEEEE10hipError_tPvRmT1_T2_T3_mT4_P12ihipStream_tbEUlT_E1_NS1_11comp_targetILNS1_3genE10ELNS1_11target_archE1201ELNS1_3gpuE5ELNS1_3repE0EEENS1_30default_config_static_selectorELNS0_4arch9wavefront6targetE1EEEvSW_.numbered_sgpr, 0
	.set _ZN7rocprim17ROCPRIM_400000_NS6detail17trampoline_kernelINS0_14default_configENS1_22reduce_config_selectorIlEEZNS1_11reduce_implILb1ES3_N6thrust23THRUST_200600_302600_NS11hip_rocprim26transform_input_iterator_tIlNS8_12zip_iteratorINS8_5tupleINS8_6detail15normal_iteratorINS8_10device_ptrIfEEEESH_NS8_9null_typeESI_SI_SI_SI_SI_SI_SI_EEEENS9_21zip_adj_not_predicateINS8_8equal_toIfEEEEEEPllNS8_4plusIlEEEE10hipError_tPvRmT1_T2_T3_mT4_P12ihipStream_tbEUlT_E1_NS1_11comp_targetILNS1_3genE10ELNS1_11target_archE1201ELNS1_3gpuE5ELNS1_3repE0EEENS1_30default_config_static_selectorELNS0_4arch9wavefront6targetE1EEEvSW_.num_named_barrier, 0
	.set _ZN7rocprim17ROCPRIM_400000_NS6detail17trampoline_kernelINS0_14default_configENS1_22reduce_config_selectorIlEEZNS1_11reduce_implILb1ES3_N6thrust23THRUST_200600_302600_NS11hip_rocprim26transform_input_iterator_tIlNS8_12zip_iteratorINS8_5tupleINS8_6detail15normal_iteratorINS8_10device_ptrIfEEEESH_NS8_9null_typeESI_SI_SI_SI_SI_SI_SI_EEEENS9_21zip_adj_not_predicateINS8_8equal_toIfEEEEEEPllNS8_4plusIlEEEE10hipError_tPvRmT1_T2_T3_mT4_P12ihipStream_tbEUlT_E1_NS1_11comp_targetILNS1_3genE10ELNS1_11target_archE1201ELNS1_3gpuE5ELNS1_3repE0EEENS1_30default_config_static_selectorELNS0_4arch9wavefront6targetE1EEEvSW_.private_seg_size, 0
	.set _ZN7rocprim17ROCPRIM_400000_NS6detail17trampoline_kernelINS0_14default_configENS1_22reduce_config_selectorIlEEZNS1_11reduce_implILb1ES3_N6thrust23THRUST_200600_302600_NS11hip_rocprim26transform_input_iterator_tIlNS8_12zip_iteratorINS8_5tupleINS8_6detail15normal_iteratorINS8_10device_ptrIfEEEESH_NS8_9null_typeESI_SI_SI_SI_SI_SI_SI_EEEENS9_21zip_adj_not_predicateINS8_8equal_toIfEEEEEEPllNS8_4plusIlEEEE10hipError_tPvRmT1_T2_T3_mT4_P12ihipStream_tbEUlT_E1_NS1_11comp_targetILNS1_3genE10ELNS1_11target_archE1201ELNS1_3gpuE5ELNS1_3repE0EEENS1_30default_config_static_selectorELNS0_4arch9wavefront6targetE1EEEvSW_.uses_vcc, 0
	.set _ZN7rocprim17ROCPRIM_400000_NS6detail17trampoline_kernelINS0_14default_configENS1_22reduce_config_selectorIlEEZNS1_11reduce_implILb1ES3_N6thrust23THRUST_200600_302600_NS11hip_rocprim26transform_input_iterator_tIlNS8_12zip_iteratorINS8_5tupleINS8_6detail15normal_iteratorINS8_10device_ptrIfEEEESH_NS8_9null_typeESI_SI_SI_SI_SI_SI_SI_EEEENS9_21zip_adj_not_predicateINS8_8equal_toIfEEEEEEPllNS8_4plusIlEEEE10hipError_tPvRmT1_T2_T3_mT4_P12ihipStream_tbEUlT_E1_NS1_11comp_targetILNS1_3genE10ELNS1_11target_archE1201ELNS1_3gpuE5ELNS1_3repE0EEENS1_30default_config_static_selectorELNS0_4arch9wavefront6targetE1EEEvSW_.uses_flat_scratch, 0
	.set _ZN7rocprim17ROCPRIM_400000_NS6detail17trampoline_kernelINS0_14default_configENS1_22reduce_config_selectorIlEEZNS1_11reduce_implILb1ES3_N6thrust23THRUST_200600_302600_NS11hip_rocprim26transform_input_iterator_tIlNS8_12zip_iteratorINS8_5tupleINS8_6detail15normal_iteratorINS8_10device_ptrIfEEEESH_NS8_9null_typeESI_SI_SI_SI_SI_SI_SI_EEEENS9_21zip_adj_not_predicateINS8_8equal_toIfEEEEEEPllNS8_4plusIlEEEE10hipError_tPvRmT1_T2_T3_mT4_P12ihipStream_tbEUlT_E1_NS1_11comp_targetILNS1_3genE10ELNS1_11target_archE1201ELNS1_3gpuE5ELNS1_3repE0EEENS1_30default_config_static_selectorELNS0_4arch9wavefront6targetE1EEEvSW_.has_dyn_sized_stack, 0
	.set _ZN7rocprim17ROCPRIM_400000_NS6detail17trampoline_kernelINS0_14default_configENS1_22reduce_config_selectorIlEEZNS1_11reduce_implILb1ES3_N6thrust23THRUST_200600_302600_NS11hip_rocprim26transform_input_iterator_tIlNS8_12zip_iteratorINS8_5tupleINS8_6detail15normal_iteratorINS8_10device_ptrIfEEEESH_NS8_9null_typeESI_SI_SI_SI_SI_SI_SI_EEEENS9_21zip_adj_not_predicateINS8_8equal_toIfEEEEEEPllNS8_4plusIlEEEE10hipError_tPvRmT1_T2_T3_mT4_P12ihipStream_tbEUlT_E1_NS1_11comp_targetILNS1_3genE10ELNS1_11target_archE1201ELNS1_3gpuE5ELNS1_3repE0EEENS1_30default_config_static_selectorELNS0_4arch9wavefront6targetE1EEEvSW_.has_recursion, 0
	.set _ZN7rocprim17ROCPRIM_400000_NS6detail17trampoline_kernelINS0_14default_configENS1_22reduce_config_selectorIlEEZNS1_11reduce_implILb1ES3_N6thrust23THRUST_200600_302600_NS11hip_rocprim26transform_input_iterator_tIlNS8_12zip_iteratorINS8_5tupleINS8_6detail15normal_iteratorINS8_10device_ptrIfEEEESH_NS8_9null_typeESI_SI_SI_SI_SI_SI_SI_EEEENS9_21zip_adj_not_predicateINS8_8equal_toIfEEEEEEPllNS8_4plusIlEEEE10hipError_tPvRmT1_T2_T3_mT4_P12ihipStream_tbEUlT_E1_NS1_11comp_targetILNS1_3genE10ELNS1_11target_archE1201ELNS1_3gpuE5ELNS1_3repE0EEENS1_30default_config_static_selectorELNS0_4arch9wavefront6targetE1EEEvSW_.has_indirect_call, 0
	.section	.AMDGPU.csdata,"",@progbits
; Kernel info:
; codeLenInByte = 0
; TotalNumSgprs: 4
; NumVgprs: 0
; ScratchSize: 0
; MemoryBound: 0
; FloatMode: 240
; IeeeMode: 1
; LDSByteSize: 0 bytes/workgroup (compile time only)
; SGPRBlocks: 0
; VGPRBlocks: 0
; NumSGPRsForWavesPerEU: 4
; NumVGPRsForWavesPerEU: 1
; Occupancy: 10
; WaveLimiterHint : 0
; COMPUTE_PGM_RSRC2:SCRATCH_EN: 0
; COMPUTE_PGM_RSRC2:USER_SGPR: 6
; COMPUTE_PGM_RSRC2:TRAP_HANDLER: 0
; COMPUTE_PGM_RSRC2:TGID_X_EN: 1
; COMPUTE_PGM_RSRC2:TGID_Y_EN: 0
; COMPUTE_PGM_RSRC2:TGID_Z_EN: 0
; COMPUTE_PGM_RSRC2:TIDIG_COMP_CNT: 0
	.section	.text._ZN7rocprim17ROCPRIM_400000_NS6detail17trampoline_kernelINS0_14default_configENS1_22reduce_config_selectorIlEEZNS1_11reduce_implILb1ES3_N6thrust23THRUST_200600_302600_NS11hip_rocprim26transform_input_iterator_tIlNS8_12zip_iteratorINS8_5tupleINS8_6detail15normal_iteratorINS8_10device_ptrIfEEEESH_NS8_9null_typeESI_SI_SI_SI_SI_SI_SI_EEEENS9_21zip_adj_not_predicateINS8_8equal_toIfEEEEEEPllNS8_4plusIlEEEE10hipError_tPvRmT1_T2_T3_mT4_P12ihipStream_tbEUlT_E1_NS1_11comp_targetILNS1_3genE10ELNS1_11target_archE1200ELNS1_3gpuE4ELNS1_3repE0EEENS1_30default_config_static_selectorELNS0_4arch9wavefront6targetE1EEEvSW_,"axG",@progbits,_ZN7rocprim17ROCPRIM_400000_NS6detail17trampoline_kernelINS0_14default_configENS1_22reduce_config_selectorIlEEZNS1_11reduce_implILb1ES3_N6thrust23THRUST_200600_302600_NS11hip_rocprim26transform_input_iterator_tIlNS8_12zip_iteratorINS8_5tupleINS8_6detail15normal_iteratorINS8_10device_ptrIfEEEESH_NS8_9null_typeESI_SI_SI_SI_SI_SI_SI_EEEENS9_21zip_adj_not_predicateINS8_8equal_toIfEEEEEEPllNS8_4plusIlEEEE10hipError_tPvRmT1_T2_T3_mT4_P12ihipStream_tbEUlT_E1_NS1_11comp_targetILNS1_3genE10ELNS1_11target_archE1200ELNS1_3gpuE4ELNS1_3repE0EEENS1_30default_config_static_selectorELNS0_4arch9wavefront6targetE1EEEvSW_,comdat
	.protected	_ZN7rocprim17ROCPRIM_400000_NS6detail17trampoline_kernelINS0_14default_configENS1_22reduce_config_selectorIlEEZNS1_11reduce_implILb1ES3_N6thrust23THRUST_200600_302600_NS11hip_rocprim26transform_input_iterator_tIlNS8_12zip_iteratorINS8_5tupleINS8_6detail15normal_iteratorINS8_10device_ptrIfEEEESH_NS8_9null_typeESI_SI_SI_SI_SI_SI_SI_EEEENS9_21zip_adj_not_predicateINS8_8equal_toIfEEEEEEPllNS8_4plusIlEEEE10hipError_tPvRmT1_T2_T3_mT4_P12ihipStream_tbEUlT_E1_NS1_11comp_targetILNS1_3genE10ELNS1_11target_archE1200ELNS1_3gpuE4ELNS1_3repE0EEENS1_30default_config_static_selectorELNS0_4arch9wavefront6targetE1EEEvSW_ ; -- Begin function _ZN7rocprim17ROCPRIM_400000_NS6detail17trampoline_kernelINS0_14default_configENS1_22reduce_config_selectorIlEEZNS1_11reduce_implILb1ES3_N6thrust23THRUST_200600_302600_NS11hip_rocprim26transform_input_iterator_tIlNS8_12zip_iteratorINS8_5tupleINS8_6detail15normal_iteratorINS8_10device_ptrIfEEEESH_NS8_9null_typeESI_SI_SI_SI_SI_SI_SI_EEEENS9_21zip_adj_not_predicateINS8_8equal_toIfEEEEEEPllNS8_4plusIlEEEE10hipError_tPvRmT1_T2_T3_mT4_P12ihipStream_tbEUlT_E1_NS1_11comp_targetILNS1_3genE10ELNS1_11target_archE1200ELNS1_3gpuE4ELNS1_3repE0EEENS1_30default_config_static_selectorELNS0_4arch9wavefront6targetE1EEEvSW_
	.globl	_ZN7rocprim17ROCPRIM_400000_NS6detail17trampoline_kernelINS0_14default_configENS1_22reduce_config_selectorIlEEZNS1_11reduce_implILb1ES3_N6thrust23THRUST_200600_302600_NS11hip_rocprim26transform_input_iterator_tIlNS8_12zip_iteratorINS8_5tupleINS8_6detail15normal_iteratorINS8_10device_ptrIfEEEESH_NS8_9null_typeESI_SI_SI_SI_SI_SI_SI_EEEENS9_21zip_adj_not_predicateINS8_8equal_toIfEEEEEEPllNS8_4plusIlEEEE10hipError_tPvRmT1_T2_T3_mT4_P12ihipStream_tbEUlT_E1_NS1_11comp_targetILNS1_3genE10ELNS1_11target_archE1200ELNS1_3gpuE4ELNS1_3repE0EEENS1_30default_config_static_selectorELNS0_4arch9wavefront6targetE1EEEvSW_
	.p2align	8
	.type	_ZN7rocprim17ROCPRIM_400000_NS6detail17trampoline_kernelINS0_14default_configENS1_22reduce_config_selectorIlEEZNS1_11reduce_implILb1ES3_N6thrust23THRUST_200600_302600_NS11hip_rocprim26transform_input_iterator_tIlNS8_12zip_iteratorINS8_5tupleINS8_6detail15normal_iteratorINS8_10device_ptrIfEEEESH_NS8_9null_typeESI_SI_SI_SI_SI_SI_SI_EEEENS9_21zip_adj_not_predicateINS8_8equal_toIfEEEEEEPllNS8_4plusIlEEEE10hipError_tPvRmT1_T2_T3_mT4_P12ihipStream_tbEUlT_E1_NS1_11comp_targetILNS1_3genE10ELNS1_11target_archE1200ELNS1_3gpuE4ELNS1_3repE0EEENS1_30default_config_static_selectorELNS0_4arch9wavefront6targetE1EEEvSW_,@function
_ZN7rocprim17ROCPRIM_400000_NS6detail17trampoline_kernelINS0_14default_configENS1_22reduce_config_selectorIlEEZNS1_11reduce_implILb1ES3_N6thrust23THRUST_200600_302600_NS11hip_rocprim26transform_input_iterator_tIlNS8_12zip_iteratorINS8_5tupleINS8_6detail15normal_iteratorINS8_10device_ptrIfEEEESH_NS8_9null_typeESI_SI_SI_SI_SI_SI_SI_EEEENS9_21zip_adj_not_predicateINS8_8equal_toIfEEEEEEPllNS8_4plusIlEEEE10hipError_tPvRmT1_T2_T3_mT4_P12ihipStream_tbEUlT_E1_NS1_11comp_targetILNS1_3genE10ELNS1_11target_archE1200ELNS1_3gpuE4ELNS1_3repE0EEENS1_30default_config_static_selectorELNS0_4arch9wavefront6targetE1EEEvSW_: ; @_ZN7rocprim17ROCPRIM_400000_NS6detail17trampoline_kernelINS0_14default_configENS1_22reduce_config_selectorIlEEZNS1_11reduce_implILb1ES3_N6thrust23THRUST_200600_302600_NS11hip_rocprim26transform_input_iterator_tIlNS8_12zip_iteratorINS8_5tupleINS8_6detail15normal_iteratorINS8_10device_ptrIfEEEESH_NS8_9null_typeESI_SI_SI_SI_SI_SI_SI_EEEENS9_21zip_adj_not_predicateINS8_8equal_toIfEEEEEEPllNS8_4plusIlEEEE10hipError_tPvRmT1_T2_T3_mT4_P12ihipStream_tbEUlT_E1_NS1_11comp_targetILNS1_3genE10ELNS1_11target_archE1200ELNS1_3gpuE4ELNS1_3repE0EEENS1_30default_config_static_selectorELNS0_4arch9wavefront6targetE1EEEvSW_
; %bb.0:
	.section	.rodata,"a",@progbits
	.p2align	6, 0x0
	.amdhsa_kernel _ZN7rocprim17ROCPRIM_400000_NS6detail17trampoline_kernelINS0_14default_configENS1_22reduce_config_selectorIlEEZNS1_11reduce_implILb1ES3_N6thrust23THRUST_200600_302600_NS11hip_rocprim26transform_input_iterator_tIlNS8_12zip_iteratorINS8_5tupleINS8_6detail15normal_iteratorINS8_10device_ptrIfEEEESH_NS8_9null_typeESI_SI_SI_SI_SI_SI_SI_EEEENS9_21zip_adj_not_predicateINS8_8equal_toIfEEEEEEPllNS8_4plusIlEEEE10hipError_tPvRmT1_T2_T3_mT4_P12ihipStream_tbEUlT_E1_NS1_11comp_targetILNS1_3genE10ELNS1_11target_archE1200ELNS1_3gpuE4ELNS1_3repE0EEENS1_30default_config_static_selectorELNS0_4arch9wavefront6targetE1EEEvSW_
		.amdhsa_group_segment_fixed_size 0
		.amdhsa_private_segment_fixed_size 0
		.amdhsa_kernarg_size 64
		.amdhsa_user_sgpr_count 6
		.amdhsa_user_sgpr_private_segment_buffer 1
		.amdhsa_user_sgpr_dispatch_ptr 0
		.amdhsa_user_sgpr_queue_ptr 0
		.amdhsa_user_sgpr_kernarg_segment_ptr 1
		.amdhsa_user_sgpr_dispatch_id 0
		.amdhsa_user_sgpr_flat_scratch_init 0
		.amdhsa_user_sgpr_private_segment_size 0
		.amdhsa_uses_dynamic_stack 0
		.amdhsa_system_sgpr_private_segment_wavefront_offset 0
		.amdhsa_system_sgpr_workgroup_id_x 1
		.amdhsa_system_sgpr_workgroup_id_y 0
		.amdhsa_system_sgpr_workgroup_id_z 0
		.amdhsa_system_sgpr_workgroup_info 0
		.amdhsa_system_vgpr_workitem_id 0
		.amdhsa_next_free_vgpr 1
		.amdhsa_next_free_sgpr 0
		.amdhsa_reserve_vcc 0
		.amdhsa_reserve_flat_scratch 0
		.amdhsa_float_round_mode_32 0
		.amdhsa_float_round_mode_16_64 0
		.amdhsa_float_denorm_mode_32 3
		.amdhsa_float_denorm_mode_16_64 3
		.amdhsa_dx10_clamp 1
		.amdhsa_ieee_mode 1
		.amdhsa_fp16_overflow 0
		.amdhsa_exception_fp_ieee_invalid_op 0
		.amdhsa_exception_fp_denorm_src 0
		.amdhsa_exception_fp_ieee_div_zero 0
		.amdhsa_exception_fp_ieee_overflow 0
		.amdhsa_exception_fp_ieee_underflow 0
		.amdhsa_exception_fp_ieee_inexact 0
		.amdhsa_exception_int_div_zero 0
	.end_amdhsa_kernel
	.section	.text._ZN7rocprim17ROCPRIM_400000_NS6detail17trampoline_kernelINS0_14default_configENS1_22reduce_config_selectorIlEEZNS1_11reduce_implILb1ES3_N6thrust23THRUST_200600_302600_NS11hip_rocprim26transform_input_iterator_tIlNS8_12zip_iteratorINS8_5tupleINS8_6detail15normal_iteratorINS8_10device_ptrIfEEEESH_NS8_9null_typeESI_SI_SI_SI_SI_SI_SI_EEEENS9_21zip_adj_not_predicateINS8_8equal_toIfEEEEEEPllNS8_4plusIlEEEE10hipError_tPvRmT1_T2_T3_mT4_P12ihipStream_tbEUlT_E1_NS1_11comp_targetILNS1_3genE10ELNS1_11target_archE1200ELNS1_3gpuE4ELNS1_3repE0EEENS1_30default_config_static_selectorELNS0_4arch9wavefront6targetE1EEEvSW_,"axG",@progbits,_ZN7rocprim17ROCPRIM_400000_NS6detail17trampoline_kernelINS0_14default_configENS1_22reduce_config_selectorIlEEZNS1_11reduce_implILb1ES3_N6thrust23THRUST_200600_302600_NS11hip_rocprim26transform_input_iterator_tIlNS8_12zip_iteratorINS8_5tupleINS8_6detail15normal_iteratorINS8_10device_ptrIfEEEESH_NS8_9null_typeESI_SI_SI_SI_SI_SI_SI_EEEENS9_21zip_adj_not_predicateINS8_8equal_toIfEEEEEEPllNS8_4plusIlEEEE10hipError_tPvRmT1_T2_T3_mT4_P12ihipStream_tbEUlT_E1_NS1_11comp_targetILNS1_3genE10ELNS1_11target_archE1200ELNS1_3gpuE4ELNS1_3repE0EEENS1_30default_config_static_selectorELNS0_4arch9wavefront6targetE1EEEvSW_,comdat
.Lfunc_end794:
	.size	_ZN7rocprim17ROCPRIM_400000_NS6detail17trampoline_kernelINS0_14default_configENS1_22reduce_config_selectorIlEEZNS1_11reduce_implILb1ES3_N6thrust23THRUST_200600_302600_NS11hip_rocprim26transform_input_iterator_tIlNS8_12zip_iteratorINS8_5tupleINS8_6detail15normal_iteratorINS8_10device_ptrIfEEEESH_NS8_9null_typeESI_SI_SI_SI_SI_SI_SI_EEEENS9_21zip_adj_not_predicateINS8_8equal_toIfEEEEEEPllNS8_4plusIlEEEE10hipError_tPvRmT1_T2_T3_mT4_P12ihipStream_tbEUlT_E1_NS1_11comp_targetILNS1_3genE10ELNS1_11target_archE1200ELNS1_3gpuE4ELNS1_3repE0EEENS1_30default_config_static_selectorELNS0_4arch9wavefront6targetE1EEEvSW_, .Lfunc_end794-_ZN7rocprim17ROCPRIM_400000_NS6detail17trampoline_kernelINS0_14default_configENS1_22reduce_config_selectorIlEEZNS1_11reduce_implILb1ES3_N6thrust23THRUST_200600_302600_NS11hip_rocprim26transform_input_iterator_tIlNS8_12zip_iteratorINS8_5tupleINS8_6detail15normal_iteratorINS8_10device_ptrIfEEEESH_NS8_9null_typeESI_SI_SI_SI_SI_SI_SI_EEEENS9_21zip_adj_not_predicateINS8_8equal_toIfEEEEEEPllNS8_4plusIlEEEE10hipError_tPvRmT1_T2_T3_mT4_P12ihipStream_tbEUlT_E1_NS1_11comp_targetILNS1_3genE10ELNS1_11target_archE1200ELNS1_3gpuE4ELNS1_3repE0EEENS1_30default_config_static_selectorELNS0_4arch9wavefront6targetE1EEEvSW_
                                        ; -- End function
	.set _ZN7rocprim17ROCPRIM_400000_NS6detail17trampoline_kernelINS0_14default_configENS1_22reduce_config_selectorIlEEZNS1_11reduce_implILb1ES3_N6thrust23THRUST_200600_302600_NS11hip_rocprim26transform_input_iterator_tIlNS8_12zip_iteratorINS8_5tupleINS8_6detail15normal_iteratorINS8_10device_ptrIfEEEESH_NS8_9null_typeESI_SI_SI_SI_SI_SI_SI_EEEENS9_21zip_adj_not_predicateINS8_8equal_toIfEEEEEEPllNS8_4plusIlEEEE10hipError_tPvRmT1_T2_T3_mT4_P12ihipStream_tbEUlT_E1_NS1_11comp_targetILNS1_3genE10ELNS1_11target_archE1200ELNS1_3gpuE4ELNS1_3repE0EEENS1_30default_config_static_selectorELNS0_4arch9wavefront6targetE1EEEvSW_.num_vgpr, 0
	.set _ZN7rocprim17ROCPRIM_400000_NS6detail17trampoline_kernelINS0_14default_configENS1_22reduce_config_selectorIlEEZNS1_11reduce_implILb1ES3_N6thrust23THRUST_200600_302600_NS11hip_rocprim26transform_input_iterator_tIlNS8_12zip_iteratorINS8_5tupleINS8_6detail15normal_iteratorINS8_10device_ptrIfEEEESH_NS8_9null_typeESI_SI_SI_SI_SI_SI_SI_EEEENS9_21zip_adj_not_predicateINS8_8equal_toIfEEEEEEPllNS8_4plusIlEEEE10hipError_tPvRmT1_T2_T3_mT4_P12ihipStream_tbEUlT_E1_NS1_11comp_targetILNS1_3genE10ELNS1_11target_archE1200ELNS1_3gpuE4ELNS1_3repE0EEENS1_30default_config_static_selectorELNS0_4arch9wavefront6targetE1EEEvSW_.num_agpr, 0
	.set _ZN7rocprim17ROCPRIM_400000_NS6detail17trampoline_kernelINS0_14default_configENS1_22reduce_config_selectorIlEEZNS1_11reduce_implILb1ES3_N6thrust23THRUST_200600_302600_NS11hip_rocprim26transform_input_iterator_tIlNS8_12zip_iteratorINS8_5tupleINS8_6detail15normal_iteratorINS8_10device_ptrIfEEEESH_NS8_9null_typeESI_SI_SI_SI_SI_SI_SI_EEEENS9_21zip_adj_not_predicateINS8_8equal_toIfEEEEEEPllNS8_4plusIlEEEE10hipError_tPvRmT1_T2_T3_mT4_P12ihipStream_tbEUlT_E1_NS1_11comp_targetILNS1_3genE10ELNS1_11target_archE1200ELNS1_3gpuE4ELNS1_3repE0EEENS1_30default_config_static_selectorELNS0_4arch9wavefront6targetE1EEEvSW_.numbered_sgpr, 0
	.set _ZN7rocprim17ROCPRIM_400000_NS6detail17trampoline_kernelINS0_14default_configENS1_22reduce_config_selectorIlEEZNS1_11reduce_implILb1ES3_N6thrust23THRUST_200600_302600_NS11hip_rocprim26transform_input_iterator_tIlNS8_12zip_iteratorINS8_5tupleINS8_6detail15normal_iteratorINS8_10device_ptrIfEEEESH_NS8_9null_typeESI_SI_SI_SI_SI_SI_SI_EEEENS9_21zip_adj_not_predicateINS8_8equal_toIfEEEEEEPllNS8_4plusIlEEEE10hipError_tPvRmT1_T2_T3_mT4_P12ihipStream_tbEUlT_E1_NS1_11comp_targetILNS1_3genE10ELNS1_11target_archE1200ELNS1_3gpuE4ELNS1_3repE0EEENS1_30default_config_static_selectorELNS0_4arch9wavefront6targetE1EEEvSW_.num_named_barrier, 0
	.set _ZN7rocprim17ROCPRIM_400000_NS6detail17trampoline_kernelINS0_14default_configENS1_22reduce_config_selectorIlEEZNS1_11reduce_implILb1ES3_N6thrust23THRUST_200600_302600_NS11hip_rocprim26transform_input_iterator_tIlNS8_12zip_iteratorINS8_5tupleINS8_6detail15normal_iteratorINS8_10device_ptrIfEEEESH_NS8_9null_typeESI_SI_SI_SI_SI_SI_SI_EEEENS9_21zip_adj_not_predicateINS8_8equal_toIfEEEEEEPllNS8_4plusIlEEEE10hipError_tPvRmT1_T2_T3_mT4_P12ihipStream_tbEUlT_E1_NS1_11comp_targetILNS1_3genE10ELNS1_11target_archE1200ELNS1_3gpuE4ELNS1_3repE0EEENS1_30default_config_static_selectorELNS0_4arch9wavefront6targetE1EEEvSW_.private_seg_size, 0
	.set _ZN7rocprim17ROCPRIM_400000_NS6detail17trampoline_kernelINS0_14default_configENS1_22reduce_config_selectorIlEEZNS1_11reduce_implILb1ES3_N6thrust23THRUST_200600_302600_NS11hip_rocprim26transform_input_iterator_tIlNS8_12zip_iteratorINS8_5tupleINS8_6detail15normal_iteratorINS8_10device_ptrIfEEEESH_NS8_9null_typeESI_SI_SI_SI_SI_SI_SI_EEEENS9_21zip_adj_not_predicateINS8_8equal_toIfEEEEEEPllNS8_4plusIlEEEE10hipError_tPvRmT1_T2_T3_mT4_P12ihipStream_tbEUlT_E1_NS1_11comp_targetILNS1_3genE10ELNS1_11target_archE1200ELNS1_3gpuE4ELNS1_3repE0EEENS1_30default_config_static_selectorELNS0_4arch9wavefront6targetE1EEEvSW_.uses_vcc, 0
	.set _ZN7rocprim17ROCPRIM_400000_NS6detail17trampoline_kernelINS0_14default_configENS1_22reduce_config_selectorIlEEZNS1_11reduce_implILb1ES3_N6thrust23THRUST_200600_302600_NS11hip_rocprim26transform_input_iterator_tIlNS8_12zip_iteratorINS8_5tupleINS8_6detail15normal_iteratorINS8_10device_ptrIfEEEESH_NS8_9null_typeESI_SI_SI_SI_SI_SI_SI_EEEENS9_21zip_adj_not_predicateINS8_8equal_toIfEEEEEEPllNS8_4plusIlEEEE10hipError_tPvRmT1_T2_T3_mT4_P12ihipStream_tbEUlT_E1_NS1_11comp_targetILNS1_3genE10ELNS1_11target_archE1200ELNS1_3gpuE4ELNS1_3repE0EEENS1_30default_config_static_selectorELNS0_4arch9wavefront6targetE1EEEvSW_.uses_flat_scratch, 0
	.set _ZN7rocprim17ROCPRIM_400000_NS6detail17trampoline_kernelINS0_14default_configENS1_22reduce_config_selectorIlEEZNS1_11reduce_implILb1ES3_N6thrust23THRUST_200600_302600_NS11hip_rocprim26transform_input_iterator_tIlNS8_12zip_iteratorINS8_5tupleINS8_6detail15normal_iteratorINS8_10device_ptrIfEEEESH_NS8_9null_typeESI_SI_SI_SI_SI_SI_SI_EEEENS9_21zip_adj_not_predicateINS8_8equal_toIfEEEEEEPllNS8_4plusIlEEEE10hipError_tPvRmT1_T2_T3_mT4_P12ihipStream_tbEUlT_E1_NS1_11comp_targetILNS1_3genE10ELNS1_11target_archE1200ELNS1_3gpuE4ELNS1_3repE0EEENS1_30default_config_static_selectorELNS0_4arch9wavefront6targetE1EEEvSW_.has_dyn_sized_stack, 0
	.set _ZN7rocprim17ROCPRIM_400000_NS6detail17trampoline_kernelINS0_14default_configENS1_22reduce_config_selectorIlEEZNS1_11reduce_implILb1ES3_N6thrust23THRUST_200600_302600_NS11hip_rocprim26transform_input_iterator_tIlNS8_12zip_iteratorINS8_5tupleINS8_6detail15normal_iteratorINS8_10device_ptrIfEEEESH_NS8_9null_typeESI_SI_SI_SI_SI_SI_SI_EEEENS9_21zip_adj_not_predicateINS8_8equal_toIfEEEEEEPllNS8_4plusIlEEEE10hipError_tPvRmT1_T2_T3_mT4_P12ihipStream_tbEUlT_E1_NS1_11comp_targetILNS1_3genE10ELNS1_11target_archE1200ELNS1_3gpuE4ELNS1_3repE0EEENS1_30default_config_static_selectorELNS0_4arch9wavefront6targetE1EEEvSW_.has_recursion, 0
	.set _ZN7rocprim17ROCPRIM_400000_NS6detail17trampoline_kernelINS0_14default_configENS1_22reduce_config_selectorIlEEZNS1_11reduce_implILb1ES3_N6thrust23THRUST_200600_302600_NS11hip_rocprim26transform_input_iterator_tIlNS8_12zip_iteratorINS8_5tupleINS8_6detail15normal_iteratorINS8_10device_ptrIfEEEESH_NS8_9null_typeESI_SI_SI_SI_SI_SI_SI_EEEENS9_21zip_adj_not_predicateINS8_8equal_toIfEEEEEEPllNS8_4plusIlEEEE10hipError_tPvRmT1_T2_T3_mT4_P12ihipStream_tbEUlT_E1_NS1_11comp_targetILNS1_3genE10ELNS1_11target_archE1200ELNS1_3gpuE4ELNS1_3repE0EEENS1_30default_config_static_selectorELNS0_4arch9wavefront6targetE1EEEvSW_.has_indirect_call, 0
	.section	.AMDGPU.csdata,"",@progbits
; Kernel info:
; codeLenInByte = 0
; TotalNumSgprs: 4
; NumVgprs: 0
; ScratchSize: 0
; MemoryBound: 0
; FloatMode: 240
; IeeeMode: 1
; LDSByteSize: 0 bytes/workgroup (compile time only)
; SGPRBlocks: 0
; VGPRBlocks: 0
; NumSGPRsForWavesPerEU: 4
; NumVGPRsForWavesPerEU: 1
; Occupancy: 10
; WaveLimiterHint : 0
; COMPUTE_PGM_RSRC2:SCRATCH_EN: 0
; COMPUTE_PGM_RSRC2:USER_SGPR: 6
; COMPUTE_PGM_RSRC2:TRAP_HANDLER: 0
; COMPUTE_PGM_RSRC2:TGID_X_EN: 1
; COMPUTE_PGM_RSRC2:TGID_Y_EN: 0
; COMPUTE_PGM_RSRC2:TGID_Z_EN: 0
; COMPUTE_PGM_RSRC2:TIDIG_COMP_CNT: 0
	.section	.text._ZN7rocprim17ROCPRIM_400000_NS6detail17trampoline_kernelINS0_14default_configENS1_22reduce_config_selectorIlEEZNS1_11reduce_implILb1ES3_N6thrust23THRUST_200600_302600_NS11hip_rocprim26transform_input_iterator_tIlNS8_12zip_iteratorINS8_5tupleINS8_6detail15normal_iteratorINS8_10device_ptrIfEEEESH_NS8_9null_typeESI_SI_SI_SI_SI_SI_SI_EEEENS9_21zip_adj_not_predicateINS8_8equal_toIfEEEEEEPllNS8_4plusIlEEEE10hipError_tPvRmT1_T2_T3_mT4_P12ihipStream_tbEUlT_E1_NS1_11comp_targetILNS1_3genE9ELNS1_11target_archE1100ELNS1_3gpuE3ELNS1_3repE0EEENS1_30default_config_static_selectorELNS0_4arch9wavefront6targetE1EEEvSW_,"axG",@progbits,_ZN7rocprim17ROCPRIM_400000_NS6detail17trampoline_kernelINS0_14default_configENS1_22reduce_config_selectorIlEEZNS1_11reduce_implILb1ES3_N6thrust23THRUST_200600_302600_NS11hip_rocprim26transform_input_iterator_tIlNS8_12zip_iteratorINS8_5tupleINS8_6detail15normal_iteratorINS8_10device_ptrIfEEEESH_NS8_9null_typeESI_SI_SI_SI_SI_SI_SI_EEEENS9_21zip_adj_not_predicateINS8_8equal_toIfEEEEEEPllNS8_4plusIlEEEE10hipError_tPvRmT1_T2_T3_mT4_P12ihipStream_tbEUlT_E1_NS1_11comp_targetILNS1_3genE9ELNS1_11target_archE1100ELNS1_3gpuE3ELNS1_3repE0EEENS1_30default_config_static_selectorELNS0_4arch9wavefront6targetE1EEEvSW_,comdat
	.protected	_ZN7rocprim17ROCPRIM_400000_NS6detail17trampoline_kernelINS0_14default_configENS1_22reduce_config_selectorIlEEZNS1_11reduce_implILb1ES3_N6thrust23THRUST_200600_302600_NS11hip_rocprim26transform_input_iterator_tIlNS8_12zip_iteratorINS8_5tupleINS8_6detail15normal_iteratorINS8_10device_ptrIfEEEESH_NS8_9null_typeESI_SI_SI_SI_SI_SI_SI_EEEENS9_21zip_adj_not_predicateINS8_8equal_toIfEEEEEEPllNS8_4plusIlEEEE10hipError_tPvRmT1_T2_T3_mT4_P12ihipStream_tbEUlT_E1_NS1_11comp_targetILNS1_3genE9ELNS1_11target_archE1100ELNS1_3gpuE3ELNS1_3repE0EEENS1_30default_config_static_selectorELNS0_4arch9wavefront6targetE1EEEvSW_ ; -- Begin function _ZN7rocprim17ROCPRIM_400000_NS6detail17trampoline_kernelINS0_14default_configENS1_22reduce_config_selectorIlEEZNS1_11reduce_implILb1ES3_N6thrust23THRUST_200600_302600_NS11hip_rocprim26transform_input_iterator_tIlNS8_12zip_iteratorINS8_5tupleINS8_6detail15normal_iteratorINS8_10device_ptrIfEEEESH_NS8_9null_typeESI_SI_SI_SI_SI_SI_SI_EEEENS9_21zip_adj_not_predicateINS8_8equal_toIfEEEEEEPllNS8_4plusIlEEEE10hipError_tPvRmT1_T2_T3_mT4_P12ihipStream_tbEUlT_E1_NS1_11comp_targetILNS1_3genE9ELNS1_11target_archE1100ELNS1_3gpuE3ELNS1_3repE0EEENS1_30default_config_static_selectorELNS0_4arch9wavefront6targetE1EEEvSW_
	.globl	_ZN7rocprim17ROCPRIM_400000_NS6detail17trampoline_kernelINS0_14default_configENS1_22reduce_config_selectorIlEEZNS1_11reduce_implILb1ES3_N6thrust23THRUST_200600_302600_NS11hip_rocprim26transform_input_iterator_tIlNS8_12zip_iteratorINS8_5tupleINS8_6detail15normal_iteratorINS8_10device_ptrIfEEEESH_NS8_9null_typeESI_SI_SI_SI_SI_SI_SI_EEEENS9_21zip_adj_not_predicateINS8_8equal_toIfEEEEEEPllNS8_4plusIlEEEE10hipError_tPvRmT1_T2_T3_mT4_P12ihipStream_tbEUlT_E1_NS1_11comp_targetILNS1_3genE9ELNS1_11target_archE1100ELNS1_3gpuE3ELNS1_3repE0EEENS1_30default_config_static_selectorELNS0_4arch9wavefront6targetE1EEEvSW_
	.p2align	8
	.type	_ZN7rocprim17ROCPRIM_400000_NS6detail17trampoline_kernelINS0_14default_configENS1_22reduce_config_selectorIlEEZNS1_11reduce_implILb1ES3_N6thrust23THRUST_200600_302600_NS11hip_rocprim26transform_input_iterator_tIlNS8_12zip_iteratorINS8_5tupleINS8_6detail15normal_iteratorINS8_10device_ptrIfEEEESH_NS8_9null_typeESI_SI_SI_SI_SI_SI_SI_EEEENS9_21zip_adj_not_predicateINS8_8equal_toIfEEEEEEPllNS8_4plusIlEEEE10hipError_tPvRmT1_T2_T3_mT4_P12ihipStream_tbEUlT_E1_NS1_11comp_targetILNS1_3genE9ELNS1_11target_archE1100ELNS1_3gpuE3ELNS1_3repE0EEENS1_30default_config_static_selectorELNS0_4arch9wavefront6targetE1EEEvSW_,@function
_ZN7rocprim17ROCPRIM_400000_NS6detail17trampoline_kernelINS0_14default_configENS1_22reduce_config_selectorIlEEZNS1_11reduce_implILb1ES3_N6thrust23THRUST_200600_302600_NS11hip_rocprim26transform_input_iterator_tIlNS8_12zip_iteratorINS8_5tupleINS8_6detail15normal_iteratorINS8_10device_ptrIfEEEESH_NS8_9null_typeESI_SI_SI_SI_SI_SI_SI_EEEENS9_21zip_adj_not_predicateINS8_8equal_toIfEEEEEEPllNS8_4plusIlEEEE10hipError_tPvRmT1_T2_T3_mT4_P12ihipStream_tbEUlT_E1_NS1_11comp_targetILNS1_3genE9ELNS1_11target_archE1100ELNS1_3gpuE3ELNS1_3repE0EEENS1_30default_config_static_selectorELNS0_4arch9wavefront6targetE1EEEvSW_: ; @_ZN7rocprim17ROCPRIM_400000_NS6detail17trampoline_kernelINS0_14default_configENS1_22reduce_config_selectorIlEEZNS1_11reduce_implILb1ES3_N6thrust23THRUST_200600_302600_NS11hip_rocprim26transform_input_iterator_tIlNS8_12zip_iteratorINS8_5tupleINS8_6detail15normal_iteratorINS8_10device_ptrIfEEEESH_NS8_9null_typeESI_SI_SI_SI_SI_SI_SI_EEEENS9_21zip_adj_not_predicateINS8_8equal_toIfEEEEEEPllNS8_4plusIlEEEE10hipError_tPvRmT1_T2_T3_mT4_P12ihipStream_tbEUlT_E1_NS1_11comp_targetILNS1_3genE9ELNS1_11target_archE1100ELNS1_3gpuE3ELNS1_3repE0EEENS1_30default_config_static_selectorELNS0_4arch9wavefront6targetE1EEEvSW_
; %bb.0:
	.section	.rodata,"a",@progbits
	.p2align	6, 0x0
	.amdhsa_kernel _ZN7rocprim17ROCPRIM_400000_NS6detail17trampoline_kernelINS0_14default_configENS1_22reduce_config_selectorIlEEZNS1_11reduce_implILb1ES3_N6thrust23THRUST_200600_302600_NS11hip_rocprim26transform_input_iterator_tIlNS8_12zip_iteratorINS8_5tupleINS8_6detail15normal_iteratorINS8_10device_ptrIfEEEESH_NS8_9null_typeESI_SI_SI_SI_SI_SI_SI_EEEENS9_21zip_adj_not_predicateINS8_8equal_toIfEEEEEEPllNS8_4plusIlEEEE10hipError_tPvRmT1_T2_T3_mT4_P12ihipStream_tbEUlT_E1_NS1_11comp_targetILNS1_3genE9ELNS1_11target_archE1100ELNS1_3gpuE3ELNS1_3repE0EEENS1_30default_config_static_selectorELNS0_4arch9wavefront6targetE1EEEvSW_
		.amdhsa_group_segment_fixed_size 0
		.amdhsa_private_segment_fixed_size 0
		.amdhsa_kernarg_size 64
		.amdhsa_user_sgpr_count 6
		.amdhsa_user_sgpr_private_segment_buffer 1
		.amdhsa_user_sgpr_dispatch_ptr 0
		.amdhsa_user_sgpr_queue_ptr 0
		.amdhsa_user_sgpr_kernarg_segment_ptr 1
		.amdhsa_user_sgpr_dispatch_id 0
		.amdhsa_user_sgpr_flat_scratch_init 0
		.amdhsa_user_sgpr_private_segment_size 0
		.amdhsa_uses_dynamic_stack 0
		.amdhsa_system_sgpr_private_segment_wavefront_offset 0
		.amdhsa_system_sgpr_workgroup_id_x 1
		.amdhsa_system_sgpr_workgroup_id_y 0
		.amdhsa_system_sgpr_workgroup_id_z 0
		.amdhsa_system_sgpr_workgroup_info 0
		.amdhsa_system_vgpr_workitem_id 0
		.amdhsa_next_free_vgpr 1
		.amdhsa_next_free_sgpr 0
		.amdhsa_reserve_vcc 0
		.amdhsa_reserve_flat_scratch 0
		.amdhsa_float_round_mode_32 0
		.amdhsa_float_round_mode_16_64 0
		.amdhsa_float_denorm_mode_32 3
		.amdhsa_float_denorm_mode_16_64 3
		.amdhsa_dx10_clamp 1
		.amdhsa_ieee_mode 1
		.amdhsa_fp16_overflow 0
		.amdhsa_exception_fp_ieee_invalid_op 0
		.amdhsa_exception_fp_denorm_src 0
		.amdhsa_exception_fp_ieee_div_zero 0
		.amdhsa_exception_fp_ieee_overflow 0
		.amdhsa_exception_fp_ieee_underflow 0
		.amdhsa_exception_fp_ieee_inexact 0
		.amdhsa_exception_int_div_zero 0
	.end_amdhsa_kernel
	.section	.text._ZN7rocprim17ROCPRIM_400000_NS6detail17trampoline_kernelINS0_14default_configENS1_22reduce_config_selectorIlEEZNS1_11reduce_implILb1ES3_N6thrust23THRUST_200600_302600_NS11hip_rocprim26transform_input_iterator_tIlNS8_12zip_iteratorINS8_5tupleINS8_6detail15normal_iteratorINS8_10device_ptrIfEEEESH_NS8_9null_typeESI_SI_SI_SI_SI_SI_SI_EEEENS9_21zip_adj_not_predicateINS8_8equal_toIfEEEEEEPllNS8_4plusIlEEEE10hipError_tPvRmT1_T2_T3_mT4_P12ihipStream_tbEUlT_E1_NS1_11comp_targetILNS1_3genE9ELNS1_11target_archE1100ELNS1_3gpuE3ELNS1_3repE0EEENS1_30default_config_static_selectorELNS0_4arch9wavefront6targetE1EEEvSW_,"axG",@progbits,_ZN7rocprim17ROCPRIM_400000_NS6detail17trampoline_kernelINS0_14default_configENS1_22reduce_config_selectorIlEEZNS1_11reduce_implILb1ES3_N6thrust23THRUST_200600_302600_NS11hip_rocprim26transform_input_iterator_tIlNS8_12zip_iteratorINS8_5tupleINS8_6detail15normal_iteratorINS8_10device_ptrIfEEEESH_NS8_9null_typeESI_SI_SI_SI_SI_SI_SI_EEEENS9_21zip_adj_not_predicateINS8_8equal_toIfEEEEEEPllNS8_4plusIlEEEE10hipError_tPvRmT1_T2_T3_mT4_P12ihipStream_tbEUlT_E1_NS1_11comp_targetILNS1_3genE9ELNS1_11target_archE1100ELNS1_3gpuE3ELNS1_3repE0EEENS1_30default_config_static_selectorELNS0_4arch9wavefront6targetE1EEEvSW_,comdat
.Lfunc_end795:
	.size	_ZN7rocprim17ROCPRIM_400000_NS6detail17trampoline_kernelINS0_14default_configENS1_22reduce_config_selectorIlEEZNS1_11reduce_implILb1ES3_N6thrust23THRUST_200600_302600_NS11hip_rocprim26transform_input_iterator_tIlNS8_12zip_iteratorINS8_5tupleINS8_6detail15normal_iteratorINS8_10device_ptrIfEEEESH_NS8_9null_typeESI_SI_SI_SI_SI_SI_SI_EEEENS9_21zip_adj_not_predicateINS8_8equal_toIfEEEEEEPllNS8_4plusIlEEEE10hipError_tPvRmT1_T2_T3_mT4_P12ihipStream_tbEUlT_E1_NS1_11comp_targetILNS1_3genE9ELNS1_11target_archE1100ELNS1_3gpuE3ELNS1_3repE0EEENS1_30default_config_static_selectorELNS0_4arch9wavefront6targetE1EEEvSW_, .Lfunc_end795-_ZN7rocprim17ROCPRIM_400000_NS6detail17trampoline_kernelINS0_14default_configENS1_22reduce_config_selectorIlEEZNS1_11reduce_implILb1ES3_N6thrust23THRUST_200600_302600_NS11hip_rocprim26transform_input_iterator_tIlNS8_12zip_iteratorINS8_5tupleINS8_6detail15normal_iteratorINS8_10device_ptrIfEEEESH_NS8_9null_typeESI_SI_SI_SI_SI_SI_SI_EEEENS9_21zip_adj_not_predicateINS8_8equal_toIfEEEEEEPllNS8_4plusIlEEEE10hipError_tPvRmT1_T2_T3_mT4_P12ihipStream_tbEUlT_E1_NS1_11comp_targetILNS1_3genE9ELNS1_11target_archE1100ELNS1_3gpuE3ELNS1_3repE0EEENS1_30default_config_static_selectorELNS0_4arch9wavefront6targetE1EEEvSW_
                                        ; -- End function
	.set _ZN7rocprim17ROCPRIM_400000_NS6detail17trampoline_kernelINS0_14default_configENS1_22reduce_config_selectorIlEEZNS1_11reduce_implILb1ES3_N6thrust23THRUST_200600_302600_NS11hip_rocprim26transform_input_iterator_tIlNS8_12zip_iteratorINS8_5tupleINS8_6detail15normal_iteratorINS8_10device_ptrIfEEEESH_NS8_9null_typeESI_SI_SI_SI_SI_SI_SI_EEEENS9_21zip_adj_not_predicateINS8_8equal_toIfEEEEEEPllNS8_4plusIlEEEE10hipError_tPvRmT1_T2_T3_mT4_P12ihipStream_tbEUlT_E1_NS1_11comp_targetILNS1_3genE9ELNS1_11target_archE1100ELNS1_3gpuE3ELNS1_3repE0EEENS1_30default_config_static_selectorELNS0_4arch9wavefront6targetE1EEEvSW_.num_vgpr, 0
	.set _ZN7rocprim17ROCPRIM_400000_NS6detail17trampoline_kernelINS0_14default_configENS1_22reduce_config_selectorIlEEZNS1_11reduce_implILb1ES3_N6thrust23THRUST_200600_302600_NS11hip_rocprim26transform_input_iterator_tIlNS8_12zip_iteratorINS8_5tupleINS8_6detail15normal_iteratorINS8_10device_ptrIfEEEESH_NS8_9null_typeESI_SI_SI_SI_SI_SI_SI_EEEENS9_21zip_adj_not_predicateINS8_8equal_toIfEEEEEEPllNS8_4plusIlEEEE10hipError_tPvRmT1_T2_T3_mT4_P12ihipStream_tbEUlT_E1_NS1_11comp_targetILNS1_3genE9ELNS1_11target_archE1100ELNS1_3gpuE3ELNS1_3repE0EEENS1_30default_config_static_selectorELNS0_4arch9wavefront6targetE1EEEvSW_.num_agpr, 0
	.set _ZN7rocprim17ROCPRIM_400000_NS6detail17trampoline_kernelINS0_14default_configENS1_22reduce_config_selectorIlEEZNS1_11reduce_implILb1ES3_N6thrust23THRUST_200600_302600_NS11hip_rocprim26transform_input_iterator_tIlNS8_12zip_iteratorINS8_5tupleINS8_6detail15normal_iteratorINS8_10device_ptrIfEEEESH_NS8_9null_typeESI_SI_SI_SI_SI_SI_SI_EEEENS9_21zip_adj_not_predicateINS8_8equal_toIfEEEEEEPllNS8_4plusIlEEEE10hipError_tPvRmT1_T2_T3_mT4_P12ihipStream_tbEUlT_E1_NS1_11comp_targetILNS1_3genE9ELNS1_11target_archE1100ELNS1_3gpuE3ELNS1_3repE0EEENS1_30default_config_static_selectorELNS0_4arch9wavefront6targetE1EEEvSW_.numbered_sgpr, 0
	.set _ZN7rocprim17ROCPRIM_400000_NS6detail17trampoline_kernelINS0_14default_configENS1_22reduce_config_selectorIlEEZNS1_11reduce_implILb1ES3_N6thrust23THRUST_200600_302600_NS11hip_rocprim26transform_input_iterator_tIlNS8_12zip_iteratorINS8_5tupleINS8_6detail15normal_iteratorINS8_10device_ptrIfEEEESH_NS8_9null_typeESI_SI_SI_SI_SI_SI_SI_EEEENS9_21zip_adj_not_predicateINS8_8equal_toIfEEEEEEPllNS8_4plusIlEEEE10hipError_tPvRmT1_T2_T3_mT4_P12ihipStream_tbEUlT_E1_NS1_11comp_targetILNS1_3genE9ELNS1_11target_archE1100ELNS1_3gpuE3ELNS1_3repE0EEENS1_30default_config_static_selectorELNS0_4arch9wavefront6targetE1EEEvSW_.num_named_barrier, 0
	.set _ZN7rocprim17ROCPRIM_400000_NS6detail17trampoline_kernelINS0_14default_configENS1_22reduce_config_selectorIlEEZNS1_11reduce_implILb1ES3_N6thrust23THRUST_200600_302600_NS11hip_rocprim26transform_input_iterator_tIlNS8_12zip_iteratorINS8_5tupleINS8_6detail15normal_iteratorINS8_10device_ptrIfEEEESH_NS8_9null_typeESI_SI_SI_SI_SI_SI_SI_EEEENS9_21zip_adj_not_predicateINS8_8equal_toIfEEEEEEPllNS8_4plusIlEEEE10hipError_tPvRmT1_T2_T3_mT4_P12ihipStream_tbEUlT_E1_NS1_11comp_targetILNS1_3genE9ELNS1_11target_archE1100ELNS1_3gpuE3ELNS1_3repE0EEENS1_30default_config_static_selectorELNS0_4arch9wavefront6targetE1EEEvSW_.private_seg_size, 0
	.set _ZN7rocprim17ROCPRIM_400000_NS6detail17trampoline_kernelINS0_14default_configENS1_22reduce_config_selectorIlEEZNS1_11reduce_implILb1ES3_N6thrust23THRUST_200600_302600_NS11hip_rocprim26transform_input_iterator_tIlNS8_12zip_iteratorINS8_5tupleINS8_6detail15normal_iteratorINS8_10device_ptrIfEEEESH_NS8_9null_typeESI_SI_SI_SI_SI_SI_SI_EEEENS9_21zip_adj_not_predicateINS8_8equal_toIfEEEEEEPllNS8_4plusIlEEEE10hipError_tPvRmT1_T2_T3_mT4_P12ihipStream_tbEUlT_E1_NS1_11comp_targetILNS1_3genE9ELNS1_11target_archE1100ELNS1_3gpuE3ELNS1_3repE0EEENS1_30default_config_static_selectorELNS0_4arch9wavefront6targetE1EEEvSW_.uses_vcc, 0
	.set _ZN7rocprim17ROCPRIM_400000_NS6detail17trampoline_kernelINS0_14default_configENS1_22reduce_config_selectorIlEEZNS1_11reduce_implILb1ES3_N6thrust23THRUST_200600_302600_NS11hip_rocprim26transform_input_iterator_tIlNS8_12zip_iteratorINS8_5tupleINS8_6detail15normal_iteratorINS8_10device_ptrIfEEEESH_NS8_9null_typeESI_SI_SI_SI_SI_SI_SI_EEEENS9_21zip_adj_not_predicateINS8_8equal_toIfEEEEEEPllNS8_4plusIlEEEE10hipError_tPvRmT1_T2_T3_mT4_P12ihipStream_tbEUlT_E1_NS1_11comp_targetILNS1_3genE9ELNS1_11target_archE1100ELNS1_3gpuE3ELNS1_3repE0EEENS1_30default_config_static_selectorELNS0_4arch9wavefront6targetE1EEEvSW_.uses_flat_scratch, 0
	.set _ZN7rocprim17ROCPRIM_400000_NS6detail17trampoline_kernelINS0_14default_configENS1_22reduce_config_selectorIlEEZNS1_11reduce_implILb1ES3_N6thrust23THRUST_200600_302600_NS11hip_rocprim26transform_input_iterator_tIlNS8_12zip_iteratorINS8_5tupleINS8_6detail15normal_iteratorINS8_10device_ptrIfEEEESH_NS8_9null_typeESI_SI_SI_SI_SI_SI_SI_EEEENS9_21zip_adj_not_predicateINS8_8equal_toIfEEEEEEPllNS8_4plusIlEEEE10hipError_tPvRmT1_T2_T3_mT4_P12ihipStream_tbEUlT_E1_NS1_11comp_targetILNS1_3genE9ELNS1_11target_archE1100ELNS1_3gpuE3ELNS1_3repE0EEENS1_30default_config_static_selectorELNS0_4arch9wavefront6targetE1EEEvSW_.has_dyn_sized_stack, 0
	.set _ZN7rocprim17ROCPRIM_400000_NS6detail17trampoline_kernelINS0_14default_configENS1_22reduce_config_selectorIlEEZNS1_11reduce_implILb1ES3_N6thrust23THRUST_200600_302600_NS11hip_rocprim26transform_input_iterator_tIlNS8_12zip_iteratorINS8_5tupleINS8_6detail15normal_iteratorINS8_10device_ptrIfEEEESH_NS8_9null_typeESI_SI_SI_SI_SI_SI_SI_EEEENS9_21zip_adj_not_predicateINS8_8equal_toIfEEEEEEPllNS8_4plusIlEEEE10hipError_tPvRmT1_T2_T3_mT4_P12ihipStream_tbEUlT_E1_NS1_11comp_targetILNS1_3genE9ELNS1_11target_archE1100ELNS1_3gpuE3ELNS1_3repE0EEENS1_30default_config_static_selectorELNS0_4arch9wavefront6targetE1EEEvSW_.has_recursion, 0
	.set _ZN7rocprim17ROCPRIM_400000_NS6detail17trampoline_kernelINS0_14default_configENS1_22reduce_config_selectorIlEEZNS1_11reduce_implILb1ES3_N6thrust23THRUST_200600_302600_NS11hip_rocprim26transform_input_iterator_tIlNS8_12zip_iteratorINS8_5tupleINS8_6detail15normal_iteratorINS8_10device_ptrIfEEEESH_NS8_9null_typeESI_SI_SI_SI_SI_SI_SI_EEEENS9_21zip_adj_not_predicateINS8_8equal_toIfEEEEEEPllNS8_4plusIlEEEE10hipError_tPvRmT1_T2_T3_mT4_P12ihipStream_tbEUlT_E1_NS1_11comp_targetILNS1_3genE9ELNS1_11target_archE1100ELNS1_3gpuE3ELNS1_3repE0EEENS1_30default_config_static_selectorELNS0_4arch9wavefront6targetE1EEEvSW_.has_indirect_call, 0
	.section	.AMDGPU.csdata,"",@progbits
; Kernel info:
; codeLenInByte = 0
; TotalNumSgprs: 4
; NumVgprs: 0
; ScratchSize: 0
; MemoryBound: 0
; FloatMode: 240
; IeeeMode: 1
; LDSByteSize: 0 bytes/workgroup (compile time only)
; SGPRBlocks: 0
; VGPRBlocks: 0
; NumSGPRsForWavesPerEU: 4
; NumVGPRsForWavesPerEU: 1
; Occupancy: 10
; WaveLimiterHint : 0
; COMPUTE_PGM_RSRC2:SCRATCH_EN: 0
; COMPUTE_PGM_RSRC2:USER_SGPR: 6
; COMPUTE_PGM_RSRC2:TRAP_HANDLER: 0
; COMPUTE_PGM_RSRC2:TGID_X_EN: 1
; COMPUTE_PGM_RSRC2:TGID_Y_EN: 0
; COMPUTE_PGM_RSRC2:TGID_Z_EN: 0
; COMPUTE_PGM_RSRC2:TIDIG_COMP_CNT: 0
	.section	.text._ZN7rocprim17ROCPRIM_400000_NS6detail17trampoline_kernelINS0_14default_configENS1_22reduce_config_selectorIlEEZNS1_11reduce_implILb1ES3_N6thrust23THRUST_200600_302600_NS11hip_rocprim26transform_input_iterator_tIlNS8_12zip_iteratorINS8_5tupleINS8_6detail15normal_iteratorINS8_10device_ptrIfEEEESH_NS8_9null_typeESI_SI_SI_SI_SI_SI_SI_EEEENS9_21zip_adj_not_predicateINS8_8equal_toIfEEEEEEPllNS8_4plusIlEEEE10hipError_tPvRmT1_T2_T3_mT4_P12ihipStream_tbEUlT_E1_NS1_11comp_targetILNS1_3genE8ELNS1_11target_archE1030ELNS1_3gpuE2ELNS1_3repE0EEENS1_30default_config_static_selectorELNS0_4arch9wavefront6targetE1EEEvSW_,"axG",@progbits,_ZN7rocprim17ROCPRIM_400000_NS6detail17trampoline_kernelINS0_14default_configENS1_22reduce_config_selectorIlEEZNS1_11reduce_implILb1ES3_N6thrust23THRUST_200600_302600_NS11hip_rocprim26transform_input_iterator_tIlNS8_12zip_iteratorINS8_5tupleINS8_6detail15normal_iteratorINS8_10device_ptrIfEEEESH_NS8_9null_typeESI_SI_SI_SI_SI_SI_SI_EEEENS9_21zip_adj_not_predicateINS8_8equal_toIfEEEEEEPllNS8_4plusIlEEEE10hipError_tPvRmT1_T2_T3_mT4_P12ihipStream_tbEUlT_E1_NS1_11comp_targetILNS1_3genE8ELNS1_11target_archE1030ELNS1_3gpuE2ELNS1_3repE0EEENS1_30default_config_static_selectorELNS0_4arch9wavefront6targetE1EEEvSW_,comdat
	.protected	_ZN7rocprim17ROCPRIM_400000_NS6detail17trampoline_kernelINS0_14default_configENS1_22reduce_config_selectorIlEEZNS1_11reduce_implILb1ES3_N6thrust23THRUST_200600_302600_NS11hip_rocprim26transform_input_iterator_tIlNS8_12zip_iteratorINS8_5tupleINS8_6detail15normal_iteratorINS8_10device_ptrIfEEEESH_NS8_9null_typeESI_SI_SI_SI_SI_SI_SI_EEEENS9_21zip_adj_not_predicateINS8_8equal_toIfEEEEEEPllNS8_4plusIlEEEE10hipError_tPvRmT1_T2_T3_mT4_P12ihipStream_tbEUlT_E1_NS1_11comp_targetILNS1_3genE8ELNS1_11target_archE1030ELNS1_3gpuE2ELNS1_3repE0EEENS1_30default_config_static_selectorELNS0_4arch9wavefront6targetE1EEEvSW_ ; -- Begin function _ZN7rocprim17ROCPRIM_400000_NS6detail17trampoline_kernelINS0_14default_configENS1_22reduce_config_selectorIlEEZNS1_11reduce_implILb1ES3_N6thrust23THRUST_200600_302600_NS11hip_rocprim26transform_input_iterator_tIlNS8_12zip_iteratorINS8_5tupleINS8_6detail15normal_iteratorINS8_10device_ptrIfEEEESH_NS8_9null_typeESI_SI_SI_SI_SI_SI_SI_EEEENS9_21zip_adj_not_predicateINS8_8equal_toIfEEEEEEPllNS8_4plusIlEEEE10hipError_tPvRmT1_T2_T3_mT4_P12ihipStream_tbEUlT_E1_NS1_11comp_targetILNS1_3genE8ELNS1_11target_archE1030ELNS1_3gpuE2ELNS1_3repE0EEENS1_30default_config_static_selectorELNS0_4arch9wavefront6targetE1EEEvSW_
	.globl	_ZN7rocprim17ROCPRIM_400000_NS6detail17trampoline_kernelINS0_14default_configENS1_22reduce_config_selectorIlEEZNS1_11reduce_implILb1ES3_N6thrust23THRUST_200600_302600_NS11hip_rocprim26transform_input_iterator_tIlNS8_12zip_iteratorINS8_5tupleINS8_6detail15normal_iteratorINS8_10device_ptrIfEEEESH_NS8_9null_typeESI_SI_SI_SI_SI_SI_SI_EEEENS9_21zip_adj_not_predicateINS8_8equal_toIfEEEEEEPllNS8_4plusIlEEEE10hipError_tPvRmT1_T2_T3_mT4_P12ihipStream_tbEUlT_E1_NS1_11comp_targetILNS1_3genE8ELNS1_11target_archE1030ELNS1_3gpuE2ELNS1_3repE0EEENS1_30default_config_static_selectorELNS0_4arch9wavefront6targetE1EEEvSW_
	.p2align	8
	.type	_ZN7rocprim17ROCPRIM_400000_NS6detail17trampoline_kernelINS0_14default_configENS1_22reduce_config_selectorIlEEZNS1_11reduce_implILb1ES3_N6thrust23THRUST_200600_302600_NS11hip_rocprim26transform_input_iterator_tIlNS8_12zip_iteratorINS8_5tupleINS8_6detail15normal_iteratorINS8_10device_ptrIfEEEESH_NS8_9null_typeESI_SI_SI_SI_SI_SI_SI_EEEENS9_21zip_adj_not_predicateINS8_8equal_toIfEEEEEEPllNS8_4plusIlEEEE10hipError_tPvRmT1_T2_T3_mT4_P12ihipStream_tbEUlT_E1_NS1_11comp_targetILNS1_3genE8ELNS1_11target_archE1030ELNS1_3gpuE2ELNS1_3repE0EEENS1_30default_config_static_selectorELNS0_4arch9wavefront6targetE1EEEvSW_,@function
_ZN7rocprim17ROCPRIM_400000_NS6detail17trampoline_kernelINS0_14default_configENS1_22reduce_config_selectorIlEEZNS1_11reduce_implILb1ES3_N6thrust23THRUST_200600_302600_NS11hip_rocprim26transform_input_iterator_tIlNS8_12zip_iteratorINS8_5tupleINS8_6detail15normal_iteratorINS8_10device_ptrIfEEEESH_NS8_9null_typeESI_SI_SI_SI_SI_SI_SI_EEEENS9_21zip_adj_not_predicateINS8_8equal_toIfEEEEEEPllNS8_4plusIlEEEE10hipError_tPvRmT1_T2_T3_mT4_P12ihipStream_tbEUlT_E1_NS1_11comp_targetILNS1_3genE8ELNS1_11target_archE1030ELNS1_3gpuE2ELNS1_3repE0EEENS1_30default_config_static_selectorELNS0_4arch9wavefront6targetE1EEEvSW_: ; @_ZN7rocprim17ROCPRIM_400000_NS6detail17trampoline_kernelINS0_14default_configENS1_22reduce_config_selectorIlEEZNS1_11reduce_implILb1ES3_N6thrust23THRUST_200600_302600_NS11hip_rocprim26transform_input_iterator_tIlNS8_12zip_iteratorINS8_5tupleINS8_6detail15normal_iteratorINS8_10device_ptrIfEEEESH_NS8_9null_typeESI_SI_SI_SI_SI_SI_SI_EEEENS9_21zip_adj_not_predicateINS8_8equal_toIfEEEEEEPllNS8_4plusIlEEEE10hipError_tPvRmT1_T2_T3_mT4_P12ihipStream_tbEUlT_E1_NS1_11comp_targetILNS1_3genE8ELNS1_11target_archE1030ELNS1_3gpuE2ELNS1_3repE0EEENS1_30default_config_static_selectorELNS0_4arch9wavefront6targetE1EEEvSW_
; %bb.0:
	.section	.rodata,"a",@progbits
	.p2align	6, 0x0
	.amdhsa_kernel _ZN7rocprim17ROCPRIM_400000_NS6detail17trampoline_kernelINS0_14default_configENS1_22reduce_config_selectorIlEEZNS1_11reduce_implILb1ES3_N6thrust23THRUST_200600_302600_NS11hip_rocprim26transform_input_iterator_tIlNS8_12zip_iteratorINS8_5tupleINS8_6detail15normal_iteratorINS8_10device_ptrIfEEEESH_NS8_9null_typeESI_SI_SI_SI_SI_SI_SI_EEEENS9_21zip_adj_not_predicateINS8_8equal_toIfEEEEEEPllNS8_4plusIlEEEE10hipError_tPvRmT1_T2_T3_mT4_P12ihipStream_tbEUlT_E1_NS1_11comp_targetILNS1_3genE8ELNS1_11target_archE1030ELNS1_3gpuE2ELNS1_3repE0EEENS1_30default_config_static_selectorELNS0_4arch9wavefront6targetE1EEEvSW_
		.amdhsa_group_segment_fixed_size 0
		.amdhsa_private_segment_fixed_size 0
		.amdhsa_kernarg_size 64
		.amdhsa_user_sgpr_count 6
		.amdhsa_user_sgpr_private_segment_buffer 1
		.amdhsa_user_sgpr_dispatch_ptr 0
		.amdhsa_user_sgpr_queue_ptr 0
		.amdhsa_user_sgpr_kernarg_segment_ptr 1
		.amdhsa_user_sgpr_dispatch_id 0
		.amdhsa_user_sgpr_flat_scratch_init 0
		.amdhsa_user_sgpr_private_segment_size 0
		.amdhsa_uses_dynamic_stack 0
		.amdhsa_system_sgpr_private_segment_wavefront_offset 0
		.amdhsa_system_sgpr_workgroup_id_x 1
		.amdhsa_system_sgpr_workgroup_id_y 0
		.amdhsa_system_sgpr_workgroup_id_z 0
		.amdhsa_system_sgpr_workgroup_info 0
		.amdhsa_system_vgpr_workitem_id 0
		.amdhsa_next_free_vgpr 1
		.amdhsa_next_free_sgpr 0
		.amdhsa_reserve_vcc 0
		.amdhsa_reserve_flat_scratch 0
		.amdhsa_float_round_mode_32 0
		.amdhsa_float_round_mode_16_64 0
		.amdhsa_float_denorm_mode_32 3
		.amdhsa_float_denorm_mode_16_64 3
		.amdhsa_dx10_clamp 1
		.amdhsa_ieee_mode 1
		.amdhsa_fp16_overflow 0
		.amdhsa_exception_fp_ieee_invalid_op 0
		.amdhsa_exception_fp_denorm_src 0
		.amdhsa_exception_fp_ieee_div_zero 0
		.amdhsa_exception_fp_ieee_overflow 0
		.amdhsa_exception_fp_ieee_underflow 0
		.amdhsa_exception_fp_ieee_inexact 0
		.amdhsa_exception_int_div_zero 0
	.end_amdhsa_kernel
	.section	.text._ZN7rocprim17ROCPRIM_400000_NS6detail17trampoline_kernelINS0_14default_configENS1_22reduce_config_selectorIlEEZNS1_11reduce_implILb1ES3_N6thrust23THRUST_200600_302600_NS11hip_rocprim26transform_input_iterator_tIlNS8_12zip_iteratorINS8_5tupleINS8_6detail15normal_iteratorINS8_10device_ptrIfEEEESH_NS8_9null_typeESI_SI_SI_SI_SI_SI_SI_EEEENS9_21zip_adj_not_predicateINS8_8equal_toIfEEEEEEPllNS8_4plusIlEEEE10hipError_tPvRmT1_T2_T3_mT4_P12ihipStream_tbEUlT_E1_NS1_11comp_targetILNS1_3genE8ELNS1_11target_archE1030ELNS1_3gpuE2ELNS1_3repE0EEENS1_30default_config_static_selectorELNS0_4arch9wavefront6targetE1EEEvSW_,"axG",@progbits,_ZN7rocprim17ROCPRIM_400000_NS6detail17trampoline_kernelINS0_14default_configENS1_22reduce_config_selectorIlEEZNS1_11reduce_implILb1ES3_N6thrust23THRUST_200600_302600_NS11hip_rocprim26transform_input_iterator_tIlNS8_12zip_iteratorINS8_5tupleINS8_6detail15normal_iteratorINS8_10device_ptrIfEEEESH_NS8_9null_typeESI_SI_SI_SI_SI_SI_SI_EEEENS9_21zip_adj_not_predicateINS8_8equal_toIfEEEEEEPllNS8_4plusIlEEEE10hipError_tPvRmT1_T2_T3_mT4_P12ihipStream_tbEUlT_E1_NS1_11comp_targetILNS1_3genE8ELNS1_11target_archE1030ELNS1_3gpuE2ELNS1_3repE0EEENS1_30default_config_static_selectorELNS0_4arch9wavefront6targetE1EEEvSW_,comdat
.Lfunc_end796:
	.size	_ZN7rocprim17ROCPRIM_400000_NS6detail17trampoline_kernelINS0_14default_configENS1_22reduce_config_selectorIlEEZNS1_11reduce_implILb1ES3_N6thrust23THRUST_200600_302600_NS11hip_rocprim26transform_input_iterator_tIlNS8_12zip_iteratorINS8_5tupleINS8_6detail15normal_iteratorINS8_10device_ptrIfEEEESH_NS8_9null_typeESI_SI_SI_SI_SI_SI_SI_EEEENS9_21zip_adj_not_predicateINS8_8equal_toIfEEEEEEPllNS8_4plusIlEEEE10hipError_tPvRmT1_T2_T3_mT4_P12ihipStream_tbEUlT_E1_NS1_11comp_targetILNS1_3genE8ELNS1_11target_archE1030ELNS1_3gpuE2ELNS1_3repE0EEENS1_30default_config_static_selectorELNS0_4arch9wavefront6targetE1EEEvSW_, .Lfunc_end796-_ZN7rocprim17ROCPRIM_400000_NS6detail17trampoline_kernelINS0_14default_configENS1_22reduce_config_selectorIlEEZNS1_11reduce_implILb1ES3_N6thrust23THRUST_200600_302600_NS11hip_rocprim26transform_input_iterator_tIlNS8_12zip_iteratorINS8_5tupleINS8_6detail15normal_iteratorINS8_10device_ptrIfEEEESH_NS8_9null_typeESI_SI_SI_SI_SI_SI_SI_EEEENS9_21zip_adj_not_predicateINS8_8equal_toIfEEEEEEPllNS8_4plusIlEEEE10hipError_tPvRmT1_T2_T3_mT4_P12ihipStream_tbEUlT_E1_NS1_11comp_targetILNS1_3genE8ELNS1_11target_archE1030ELNS1_3gpuE2ELNS1_3repE0EEENS1_30default_config_static_selectorELNS0_4arch9wavefront6targetE1EEEvSW_
                                        ; -- End function
	.set _ZN7rocprim17ROCPRIM_400000_NS6detail17trampoline_kernelINS0_14default_configENS1_22reduce_config_selectorIlEEZNS1_11reduce_implILb1ES3_N6thrust23THRUST_200600_302600_NS11hip_rocprim26transform_input_iterator_tIlNS8_12zip_iteratorINS8_5tupleINS8_6detail15normal_iteratorINS8_10device_ptrIfEEEESH_NS8_9null_typeESI_SI_SI_SI_SI_SI_SI_EEEENS9_21zip_adj_not_predicateINS8_8equal_toIfEEEEEEPllNS8_4plusIlEEEE10hipError_tPvRmT1_T2_T3_mT4_P12ihipStream_tbEUlT_E1_NS1_11comp_targetILNS1_3genE8ELNS1_11target_archE1030ELNS1_3gpuE2ELNS1_3repE0EEENS1_30default_config_static_selectorELNS0_4arch9wavefront6targetE1EEEvSW_.num_vgpr, 0
	.set _ZN7rocprim17ROCPRIM_400000_NS6detail17trampoline_kernelINS0_14default_configENS1_22reduce_config_selectorIlEEZNS1_11reduce_implILb1ES3_N6thrust23THRUST_200600_302600_NS11hip_rocprim26transform_input_iterator_tIlNS8_12zip_iteratorINS8_5tupleINS8_6detail15normal_iteratorINS8_10device_ptrIfEEEESH_NS8_9null_typeESI_SI_SI_SI_SI_SI_SI_EEEENS9_21zip_adj_not_predicateINS8_8equal_toIfEEEEEEPllNS8_4plusIlEEEE10hipError_tPvRmT1_T2_T3_mT4_P12ihipStream_tbEUlT_E1_NS1_11comp_targetILNS1_3genE8ELNS1_11target_archE1030ELNS1_3gpuE2ELNS1_3repE0EEENS1_30default_config_static_selectorELNS0_4arch9wavefront6targetE1EEEvSW_.num_agpr, 0
	.set _ZN7rocprim17ROCPRIM_400000_NS6detail17trampoline_kernelINS0_14default_configENS1_22reduce_config_selectorIlEEZNS1_11reduce_implILb1ES3_N6thrust23THRUST_200600_302600_NS11hip_rocprim26transform_input_iterator_tIlNS8_12zip_iteratorINS8_5tupleINS8_6detail15normal_iteratorINS8_10device_ptrIfEEEESH_NS8_9null_typeESI_SI_SI_SI_SI_SI_SI_EEEENS9_21zip_adj_not_predicateINS8_8equal_toIfEEEEEEPllNS8_4plusIlEEEE10hipError_tPvRmT1_T2_T3_mT4_P12ihipStream_tbEUlT_E1_NS1_11comp_targetILNS1_3genE8ELNS1_11target_archE1030ELNS1_3gpuE2ELNS1_3repE0EEENS1_30default_config_static_selectorELNS0_4arch9wavefront6targetE1EEEvSW_.numbered_sgpr, 0
	.set _ZN7rocprim17ROCPRIM_400000_NS6detail17trampoline_kernelINS0_14default_configENS1_22reduce_config_selectorIlEEZNS1_11reduce_implILb1ES3_N6thrust23THRUST_200600_302600_NS11hip_rocprim26transform_input_iterator_tIlNS8_12zip_iteratorINS8_5tupleINS8_6detail15normal_iteratorINS8_10device_ptrIfEEEESH_NS8_9null_typeESI_SI_SI_SI_SI_SI_SI_EEEENS9_21zip_adj_not_predicateINS8_8equal_toIfEEEEEEPllNS8_4plusIlEEEE10hipError_tPvRmT1_T2_T3_mT4_P12ihipStream_tbEUlT_E1_NS1_11comp_targetILNS1_3genE8ELNS1_11target_archE1030ELNS1_3gpuE2ELNS1_3repE0EEENS1_30default_config_static_selectorELNS0_4arch9wavefront6targetE1EEEvSW_.num_named_barrier, 0
	.set _ZN7rocprim17ROCPRIM_400000_NS6detail17trampoline_kernelINS0_14default_configENS1_22reduce_config_selectorIlEEZNS1_11reduce_implILb1ES3_N6thrust23THRUST_200600_302600_NS11hip_rocprim26transform_input_iterator_tIlNS8_12zip_iteratorINS8_5tupleINS8_6detail15normal_iteratorINS8_10device_ptrIfEEEESH_NS8_9null_typeESI_SI_SI_SI_SI_SI_SI_EEEENS9_21zip_adj_not_predicateINS8_8equal_toIfEEEEEEPllNS8_4plusIlEEEE10hipError_tPvRmT1_T2_T3_mT4_P12ihipStream_tbEUlT_E1_NS1_11comp_targetILNS1_3genE8ELNS1_11target_archE1030ELNS1_3gpuE2ELNS1_3repE0EEENS1_30default_config_static_selectorELNS0_4arch9wavefront6targetE1EEEvSW_.private_seg_size, 0
	.set _ZN7rocprim17ROCPRIM_400000_NS6detail17trampoline_kernelINS0_14default_configENS1_22reduce_config_selectorIlEEZNS1_11reduce_implILb1ES3_N6thrust23THRUST_200600_302600_NS11hip_rocprim26transform_input_iterator_tIlNS8_12zip_iteratorINS8_5tupleINS8_6detail15normal_iteratorINS8_10device_ptrIfEEEESH_NS8_9null_typeESI_SI_SI_SI_SI_SI_SI_EEEENS9_21zip_adj_not_predicateINS8_8equal_toIfEEEEEEPllNS8_4plusIlEEEE10hipError_tPvRmT1_T2_T3_mT4_P12ihipStream_tbEUlT_E1_NS1_11comp_targetILNS1_3genE8ELNS1_11target_archE1030ELNS1_3gpuE2ELNS1_3repE0EEENS1_30default_config_static_selectorELNS0_4arch9wavefront6targetE1EEEvSW_.uses_vcc, 0
	.set _ZN7rocprim17ROCPRIM_400000_NS6detail17trampoline_kernelINS0_14default_configENS1_22reduce_config_selectorIlEEZNS1_11reduce_implILb1ES3_N6thrust23THRUST_200600_302600_NS11hip_rocprim26transform_input_iterator_tIlNS8_12zip_iteratorINS8_5tupleINS8_6detail15normal_iteratorINS8_10device_ptrIfEEEESH_NS8_9null_typeESI_SI_SI_SI_SI_SI_SI_EEEENS9_21zip_adj_not_predicateINS8_8equal_toIfEEEEEEPllNS8_4plusIlEEEE10hipError_tPvRmT1_T2_T3_mT4_P12ihipStream_tbEUlT_E1_NS1_11comp_targetILNS1_3genE8ELNS1_11target_archE1030ELNS1_3gpuE2ELNS1_3repE0EEENS1_30default_config_static_selectorELNS0_4arch9wavefront6targetE1EEEvSW_.uses_flat_scratch, 0
	.set _ZN7rocprim17ROCPRIM_400000_NS6detail17trampoline_kernelINS0_14default_configENS1_22reduce_config_selectorIlEEZNS1_11reduce_implILb1ES3_N6thrust23THRUST_200600_302600_NS11hip_rocprim26transform_input_iterator_tIlNS8_12zip_iteratorINS8_5tupleINS8_6detail15normal_iteratorINS8_10device_ptrIfEEEESH_NS8_9null_typeESI_SI_SI_SI_SI_SI_SI_EEEENS9_21zip_adj_not_predicateINS8_8equal_toIfEEEEEEPllNS8_4plusIlEEEE10hipError_tPvRmT1_T2_T3_mT4_P12ihipStream_tbEUlT_E1_NS1_11comp_targetILNS1_3genE8ELNS1_11target_archE1030ELNS1_3gpuE2ELNS1_3repE0EEENS1_30default_config_static_selectorELNS0_4arch9wavefront6targetE1EEEvSW_.has_dyn_sized_stack, 0
	.set _ZN7rocprim17ROCPRIM_400000_NS6detail17trampoline_kernelINS0_14default_configENS1_22reduce_config_selectorIlEEZNS1_11reduce_implILb1ES3_N6thrust23THRUST_200600_302600_NS11hip_rocprim26transform_input_iterator_tIlNS8_12zip_iteratorINS8_5tupleINS8_6detail15normal_iteratorINS8_10device_ptrIfEEEESH_NS8_9null_typeESI_SI_SI_SI_SI_SI_SI_EEEENS9_21zip_adj_not_predicateINS8_8equal_toIfEEEEEEPllNS8_4plusIlEEEE10hipError_tPvRmT1_T2_T3_mT4_P12ihipStream_tbEUlT_E1_NS1_11comp_targetILNS1_3genE8ELNS1_11target_archE1030ELNS1_3gpuE2ELNS1_3repE0EEENS1_30default_config_static_selectorELNS0_4arch9wavefront6targetE1EEEvSW_.has_recursion, 0
	.set _ZN7rocprim17ROCPRIM_400000_NS6detail17trampoline_kernelINS0_14default_configENS1_22reduce_config_selectorIlEEZNS1_11reduce_implILb1ES3_N6thrust23THRUST_200600_302600_NS11hip_rocprim26transform_input_iterator_tIlNS8_12zip_iteratorINS8_5tupleINS8_6detail15normal_iteratorINS8_10device_ptrIfEEEESH_NS8_9null_typeESI_SI_SI_SI_SI_SI_SI_EEEENS9_21zip_adj_not_predicateINS8_8equal_toIfEEEEEEPllNS8_4plusIlEEEE10hipError_tPvRmT1_T2_T3_mT4_P12ihipStream_tbEUlT_E1_NS1_11comp_targetILNS1_3genE8ELNS1_11target_archE1030ELNS1_3gpuE2ELNS1_3repE0EEENS1_30default_config_static_selectorELNS0_4arch9wavefront6targetE1EEEvSW_.has_indirect_call, 0
	.section	.AMDGPU.csdata,"",@progbits
; Kernel info:
; codeLenInByte = 0
; TotalNumSgprs: 4
; NumVgprs: 0
; ScratchSize: 0
; MemoryBound: 0
; FloatMode: 240
; IeeeMode: 1
; LDSByteSize: 0 bytes/workgroup (compile time only)
; SGPRBlocks: 0
; VGPRBlocks: 0
; NumSGPRsForWavesPerEU: 4
; NumVGPRsForWavesPerEU: 1
; Occupancy: 10
; WaveLimiterHint : 0
; COMPUTE_PGM_RSRC2:SCRATCH_EN: 0
; COMPUTE_PGM_RSRC2:USER_SGPR: 6
; COMPUTE_PGM_RSRC2:TRAP_HANDLER: 0
; COMPUTE_PGM_RSRC2:TGID_X_EN: 1
; COMPUTE_PGM_RSRC2:TGID_Y_EN: 0
; COMPUTE_PGM_RSRC2:TGID_Z_EN: 0
; COMPUTE_PGM_RSRC2:TIDIG_COMP_CNT: 0
	.section	.text._ZN7rocprim17ROCPRIM_400000_NS6detail17trampoline_kernelINS0_14default_configENS1_22reduce_config_selectorIlEEZNS1_11reduce_implILb1ES3_N6thrust23THRUST_200600_302600_NS11hip_rocprim26transform_input_iterator_tIlNS8_12zip_iteratorINS8_5tupleINS8_6detail15normal_iteratorINS8_10device_ptrIfEEEESH_NS8_9null_typeESI_SI_SI_SI_SI_SI_SI_EEEENS9_21zip_adj_not_predicateI22is_equal_div_10_uniqueIfEEEEEPllNS8_4plusIlEEEE10hipError_tPvRmT1_T2_T3_mT4_P12ihipStream_tbEUlT_E0_NS1_11comp_targetILNS1_3genE0ELNS1_11target_archE4294967295ELNS1_3gpuE0ELNS1_3repE0EEENS1_30default_config_static_selectorELNS0_4arch9wavefront6targetE1EEEvSW_,"axG",@progbits,_ZN7rocprim17ROCPRIM_400000_NS6detail17trampoline_kernelINS0_14default_configENS1_22reduce_config_selectorIlEEZNS1_11reduce_implILb1ES3_N6thrust23THRUST_200600_302600_NS11hip_rocprim26transform_input_iterator_tIlNS8_12zip_iteratorINS8_5tupleINS8_6detail15normal_iteratorINS8_10device_ptrIfEEEESH_NS8_9null_typeESI_SI_SI_SI_SI_SI_SI_EEEENS9_21zip_adj_not_predicateI22is_equal_div_10_uniqueIfEEEEEPllNS8_4plusIlEEEE10hipError_tPvRmT1_T2_T3_mT4_P12ihipStream_tbEUlT_E0_NS1_11comp_targetILNS1_3genE0ELNS1_11target_archE4294967295ELNS1_3gpuE0ELNS1_3repE0EEENS1_30default_config_static_selectorELNS0_4arch9wavefront6targetE1EEEvSW_,comdat
	.protected	_ZN7rocprim17ROCPRIM_400000_NS6detail17trampoline_kernelINS0_14default_configENS1_22reduce_config_selectorIlEEZNS1_11reduce_implILb1ES3_N6thrust23THRUST_200600_302600_NS11hip_rocprim26transform_input_iterator_tIlNS8_12zip_iteratorINS8_5tupleINS8_6detail15normal_iteratorINS8_10device_ptrIfEEEESH_NS8_9null_typeESI_SI_SI_SI_SI_SI_SI_EEEENS9_21zip_adj_not_predicateI22is_equal_div_10_uniqueIfEEEEEPllNS8_4plusIlEEEE10hipError_tPvRmT1_T2_T3_mT4_P12ihipStream_tbEUlT_E0_NS1_11comp_targetILNS1_3genE0ELNS1_11target_archE4294967295ELNS1_3gpuE0ELNS1_3repE0EEENS1_30default_config_static_selectorELNS0_4arch9wavefront6targetE1EEEvSW_ ; -- Begin function _ZN7rocprim17ROCPRIM_400000_NS6detail17trampoline_kernelINS0_14default_configENS1_22reduce_config_selectorIlEEZNS1_11reduce_implILb1ES3_N6thrust23THRUST_200600_302600_NS11hip_rocprim26transform_input_iterator_tIlNS8_12zip_iteratorINS8_5tupleINS8_6detail15normal_iteratorINS8_10device_ptrIfEEEESH_NS8_9null_typeESI_SI_SI_SI_SI_SI_SI_EEEENS9_21zip_adj_not_predicateI22is_equal_div_10_uniqueIfEEEEEPllNS8_4plusIlEEEE10hipError_tPvRmT1_T2_T3_mT4_P12ihipStream_tbEUlT_E0_NS1_11comp_targetILNS1_3genE0ELNS1_11target_archE4294967295ELNS1_3gpuE0ELNS1_3repE0EEENS1_30default_config_static_selectorELNS0_4arch9wavefront6targetE1EEEvSW_
	.globl	_ZN7rocprim17ROCPRIM_400000_NS6detail17trampoline_kernelINS0_14default_configENS1_22reduce_config_selectorIlEEZNS1_11reduce_implILb1ES3_N6thrust23THRUST_200600_302600_NS11hip_rocprim26transform_input_iterator_tIlNS8_12zip_iteratorINS8_5tupleINS8_6detail15normal_iteratorINS8_10device_ptrIfEEEESH_NS8_9null_typeESI_SI_SI_SI_SI_SI_SI_EEEENS9_21zip_adj_not_predicateI22is_equal_div_10_uniqueIfEEEEEPllNS8_4plusIlEEEE10hipError_tPvRmT1_T2_T3_mT4_P12ihipStream_tbEUlT_E0_NS1_11comp_targetILNS1_3genE0ELNS1_11target_archE4294967295ELNS1_3gpuE0ELNS1_3repE0EEENS1_30default_config_static_selectorELNS0_4arch9wavefront6targetE1EEEvSW_
	.p2align	8
	.type	_ZN7rocprim17ROCPRIM_400000_NS6detail17trampoline_kernelINS0_14default_configENS1_22reduce_config_selectorIlEEZNS1_11reduce_implILb1ES3_N6thrust23THRUST_200600_302600_NS11hip_rocprim26transform_input_iterator_tIlNS8_12zip_iteratorINS8_5tupleINS8_6detail15normal_iteratorINS8_10device_ptrIfEEEESH_NS8_9null_typeESI_SI_SI_SI_SI_SI_SI_EEEENS9_21zip_adj_not_predicateI22is_equal_div_10_uniqueIfEEEEEPllNS8_4plusIlEEEE10hipError_tPvRmT1_T2_T3_mT4_P12ihipStream_tbEUlT_E0_NS1_11comp_targetILNS1_3genE0ELNS1_11target_archE4294967295ELNS1_3gpuE0ELNS1_3repE0EEENS1_30default_config_static_selectorELNS0_4arch9wavefront6targetE1EEEvSW_,@function
_ZN7rocprim17ROCPRIM_400000_NS6detail17trampoline_kernelINS0_14default_configENS1_22reduce_config_selectorIlEEZNS1_11reduce_implILb1ES3_N6thrust23THRUST_200600_302600_NS11hip_rocprim26transform_input_iterator_tIlNS8_12zip_iteratorINS8_5tupleINS8_6detail15normal_iteratorINS8_10device_ptrIfEEEESH_NS8_9null_typeESI_SI_SI_SI_SI_SI_SI_EEEENS9_21zip_adj_not_predicateI22is_equal_div_10_uniqueIfEEEEEPllNS8_4plusIlEEEE10hipError_tPvRmT1_T2_T3_mT4_P12ihipStream_tbEUlT_E0_NS1_11comp_targetILNS1_3genE0ELNS1_11target_archE4294967295ELNS1_3gpuE0ELNS1_3repE0EEENS1_30default_config_static_selectorELNS0_4arch9wavefront6targetE1EEEvSW_: ; @_ZN7rocprim17ROCPRIM_400000_NS6detail17trampoline_kernelINS0_14default_configENS1_22reduce_config_selectorIlEEZNS1_11reduce_implILb1ES3_N6thrust23THRUST_200600_302600_NS11hip_rocprim26transform_input_iterator_tIlNS8_12zip_iteratorINS8_5tupleINS8_6detail15normal_iteratorINS8_10device_ptrIfEEEESH_NS8_9null_typeESI_SI_SI_SI_SI_SI_SI_EEEENS9_21zip_adj_not_predicateI22is_equal_div_10_uniqueIfEEEEEPllNS8_4plusIlEEEE10hipError_tPvRmT1_T2_T3_mT4_P12ihipStream_tbEUlT_E0_NS1_11comp_targetILNS1_3genE0ELNS1_11target_archE4294967295ELNS1_3gpuE0ELNS1_3repE0EEENS1_30default_config_static_selectorELNS0_4arch9wavefront6targetE1EEEvSW_
; %bb.0:
	.section	.rodata,"a",@progbits
	.p2align	6, 0x0
	.amdhsa_kernel _ZN7rocprim17ROCPRIM_400000_NS6detail17trampoline_kernelINS0_14default_configENS1_22reduce_config_selectorIlEEZNS1_11reduce_implILb1ES3_N6thrust23THRUST_200600_302600_NS11hip_rocprim26transform_input_iterator_tIlNS8_12zip_iteratorINS8_5tupleINS8_6detail15normal_iteratorINS8_10device_ptrIfEEEESH_NS8_9null_typeESI_SI_SI_SI_SI_SI_SI_EEEENS9_21zip_adj_not_predicateI22is_equal_div_10_uniqueIfEEEEEPllNS8_4plusIlEEEE10hipError_tPvRmT1_T2_T3_mT4_P12ihipStream_tbEUlT_E0_NS1_11comp_targetILNS1_3genE0ELNS1_11target_archE4294967295ELNS1_3gpuE0ELNS1_3repE0EEENS1_30default_config_static_selectorELNS0_4arch9wavefront6targetE1EEEvSW_
		.amdhsa_group_segment_fixed_size 0
		.amdhsa_private_segment_fixed_size 0
		.amdhsa_kernarg_size 80
		.amdhsa_user_sgpr_count 6
		.amdhsa_user_sgpr_private_segment_buffer 1
		.amdhsa_user_sgpr_dispatch_ptr 0
		.amdhsa_user_sgpr_queue_ptr 0
		.amdhsa_user_sgpr_kernarg_segment_ptr 1
		.amdhsa_user_sgpr_dispatch_id 0
		.amdhsa_user_sgpr_flat_scratch_init 0
		.amdhsa_user_sgpr_private_segment_size 0
		.amdhsa_uses_dynamic_stack 0
		.amdhsa_system_sgpr_private_segment_wavefront_offset 0
		.amdhsa_system_sgpr_workgroup_id_x 1
		.amdhsa_system_sgpr_workgroup_id_y 0
		.amdhsa_system_sgpr_workgroup_id_z 0
		.amdhsa_system_sgpr_workgroup_info 0
		.amdhsa_system_vgpr_workitem_id 0
		.amdhsa_next_free_vgpr 1
		.amdhsa_next_free_sgpr 0
		.amdhsa_reserve_vcc 0
		.amdhsa_reserve_flat_scratch 0
		.amdhsa_float_round_mode_32 0
		.amdhsa_float_round_mode_16_64 0
		.amdhsa_float_denorm_mode_32 3
		.amdhsa_float_denorm_mode_16_64 3
		.amdhsa_dx10_clamp 1
		.amdhsa_ieee_mode 1
		.amdhsa_fp16_overflow 0
		.amdhsa_exception_fp_ieee_invalid_op 0
		.amdhsa_exception_fp_denorm_src 0
		.amdhsa_exception_fp_ieee_div_zero 0
		.amdhsa_exception_fp_ieee_overflow 0
		.amdhsa_exception_fp_ieee_underflow 0
		.amdhsa_exception_fp_ieee_inexact 0
		.amdhsa_exception_int_div_zero 0
	.end_amdhsa_kernel
	.section	.text._ZN7rocprim17ROCPRIM_400000_NS6detail17trampoline_kernelINS0_14default_configENS1_22reduce_config_selectorIlEEZNS1_11reduce_implILb1ES3_N6thrust23THRUST_200600_302600_NS11hip_rocprim26transform_input_iterator_tIlNS8_12zip_iteratorINS8_5tupleINS8_6detail15normal_iteratorINS8_10device_ptrIfEEEESH_NS8_9null_typeESI_SI_SI_SI_SI_SI_SI_EEEENS9_21zip_adj_not_predicateI22is_equal_div_10_uniqueIfEEEEEPllNS8_4plusIlEEEE10hipError_tPvRmT1_T2_T3_mT4_P12ihipStream_tbEUlT_E0_NS1_11comp_targetILNS1_3genE0ELNS1_11target_archE4294967295ELNS1_3gpuE0ELNS1_3repE0EEENS1_30default_config_static_selectorELNS0_4arch9wavefront6targetE1EEEvSW_,"axG",@progbits,_ZN7rocprim17ROCPRIM_400000_NS6detail17trampoline_kernelINS0_14default_configENS1_22reduce_config_selectorIlEEZNS1_11reduce_implILb1ES3_N6thrust23THRUST_200600_302600_NS11hip_rocprim26transform_input_iterator_tIlNS8_12zip_iteratorINS8_5tupleINS8_6detail15normal_iteratorINS8_10device_ptrIfEEEESH_NS8_9null_typeESI_SI_SI_SI_SI_SI_SI_EEEENS9_21zip_adj_not_predicateI22is_equal_div_10_uniqueIfEEEEEPllNS8_4plusIlEEEE10hipError_tPvRmT1_T2_T3_mT4_P12ihipStream_tbEUlT_E0_NS1_11comp_targetILNS1_3genE0ELNS1_11target_archE4294967295ELNS1_3gpuE0ELNS1_3repE0EEENS1_30default_config_static_selectorELNS0_4arch9wavefront6targetE1EEEvSW_,comdat
.Lfunc_end797:
	.size	_ZN7rocprim17ROCPRIM_400000_NS6detail17trampoline_kernelINS0_14default_configENS1_22reduce_config_selectorIlEEZNS1_11reduce_implILb1ES3_N6thrust23THRUST_200600_302600_NS11hip_rocprim26transform_input_iterator_tIlNS8_12zip_iteratorINS8_5tupleINS8_6detail15normal_iteratorINS8_10device_ptrIfEEEESH_NS8_9null_typeESI_SI_SI_SI_SI_SI_SI_EEEENS9_21zip_adj_not_predicateI22is_equal_div_10_uniqueIfEEEEEPllNS8_4plusIlEEEE10hipError_tPvRmT1_T2_T3_mT4_P12ihipStream_tbEUlT_E0_NS1_11comp_targetILNS1_3genE0ELNS1_11target_archE4294967295ELNS1_3gpuE0ELNS1_3repE0EEENS1_30default_config_static_selectorELNS0_4arch9wavefront6targetE1EEEvSW_, .Lfunc_end797-_ZN7rocprim17ROCPRIM_400000_NS6detail17trampoline_kernelINS0_14default_configENS1_22reduce_config_selectorIlEEZNS1_11reduce_implILb1ES3_N6thrust23THRUST_200600_302600_NS11hip_rocprim26transform_input_iterator_tIlNS8_12zip_iteratorINS8_5tupleINS8_6detail15normal_iteratorINS8_10device_ptrIfEEEESH_NS8_9null_typeESI_SI_SI_SI_SI_SI_SI_EEEENS9_21zip_adj_not_predicateI22is_equal_div_10_uniqueIfEEEEEPllNS8_4plusIlEEEE10hipError_tPvRmT1_T2_T3_mT4_P12ihipStream_tbEUlT_E0_NS1_11comp_targetILNS1_3genE0ELNS1_11target_archE4294967295ELNS1_3gpuE0ELNS1_3repE0EEENS1_30default_config_static_selectorELNS0_4arch9wavefront6targetE1EEEvSW_
                                        ; -- End function
	.set _ZN7rocprim17ROCPRIM_400000_NS6detail17trampoline_kernelINS0_14default_configENS1_22reduce_config_selectorIlEEZNS1_11reduce_implILb1ES3_N6thrust23THRUST_200600_302600_NS11hip_rocprim26transform_input_iterator_tIlNS8_12zip_iteratorINS8_5tupleINS8_6detail15normal_iteratorINS8_10device_ptrIfEEEESH_NS8_9null_typeESI_SI_SI_SI_SI_SI_SI_EEEENS9_21zip_adj_not_predicateI22is_equal_div_10_uniqueIfEEEEEPllNS8_4plusIlEEEE10hipError_tPvRmT1_T2_T3_mT4_P12ihipStream_tbEUlT_E0_NS1_11comp_targetILNS1_3genE0ELNS1_11target_archE4294967295ELNS1_3gpuE0ELNS1_3repE0EEENS1_30default_config_static_selectorELNS0_4arch9wavefront6targetE1EEEvSW_.num_vgpr, 0
	.set _ZN7rocprim17ROCPRIM_400000_NS6detail17trampoline_kernelINS0_14default_configENS1_22reduce_config_selectorIlEEZNS1_11reduce_implILb1ES3_N6thrust23THRUST_200600_302600_NS11hip_rocprim26transform_input_iterator_tIlNS8_12zip_iteratorINS8_5tupleINS8_6detail15normal_iteratorINS8_10device_ptrIfEEEESH_NS8_9null_typeESI_SI_SI_SI_SI_SI_SI_EEEENS9_21zip_adj_not_predicateI22is_equal_div_10_uniqueIfEEEEEPllNS8_4plusIlEEEE10hipError_tPvRmT1_T2_T3_mT4_P12ihipStream_tbEUlT_E0_NS1_11comp_targetILNS1_3genE0ELNS1_11target_archE4294967295ELNS1_3gpuE0ELNS1_3repE0EEENS1_30default_config_static_selectorELNS0_4arch9wavefront6targetE1EEEvSW_.num_agpr, 0
	.set _ZN7rocprim17ROCPRIM_400000_NS6detail17trampoline_kernelINS0_14default_configENS1_22reduce_config_selectorIlEEZNS1_11reduce_implILb1ES3_N6thrust23THRUST_200600_302600_NS11hip_rocprim26transform_input_iterator_tIlNS8_12zip_iteratorINS8_5tupleINS8_6detail15normal_iteratorINS8_10device_ptrIfEEEESH_NS8_9null_typeESI_SI_SI_SI_SI_SI_SI_EEEENS9_21zip_adj_not_predicateI22is_equal_div_10_uniqueIfEEEEEPllNS8_4plusIlEEEE10hipError_tPvRmT1_T2_T3_mT4_P12ihipStream_tbEUlT_E0_NS1_11comp_targetILNS1_3genE0ELNS1_11target_archE4294967295ELNS1_3gpuE0ELNS1_3repE0EEENS1_30default_config_static_selectorELNS0_4arch9wavefront6targetE1EEEvSW_.numbered_sgpr, 0
	.set _ZN7rocprim17ROCPRIM_400000_NS6detail17trampoline_kernelINS0_14default_configENS1_22reduce_config_selectorIlEEZNS1_11reduce_implILb1ES3_N6thrust23THRUST_200600_302600_NS11hip_rocprim26transform_input_iterator_tIlNS8_12zip_iteratorINS8_5tupleINS8_6detail15normal_iteratorINS8_10device_ptrIfEEEESH_NS8_9null_typeESI_SI_SI_SI_SI_SI_SI_EEEENS9_21zip_adj_not_predicateI22is_equal_div_10_uniqueIfEEEEEPllNS8_4plusIlEEEE10hipError_tPvRmT1_T2_T3_mT4_P12ihipStream_tbEUlT_E0_NS1_11comp_targetILNS1_3genE0ELNS1_11target_archE4294967295ELNS1_3gpuE0ELNS1_3repE0EEENS1_30default_config_static_selectorELNS0_4arch9wavefront6targetE1EEEvSW_.num_named_barrier, 0
	.set _ZN7rocprim17ROCPRIM_400000_NS6detail17trampoline_kernelINS0_14default_configENS1_22reduce_config_selectorIlEEZNS1_11reduce_implILb1ES3_N6thrust23THRUST_200600_302600_NS11hip_rocprim26transform_input_iterator_tIlNS8_12zip_iteratorINS8_5tupleINS8_6detail15normal_iteratorINS8_10device_ptrIfEEEESH_NS8_9null_typeESI_SI_SI_SI_SI_SI_SI_EEEENS9_21zip_adj_not_predicateI22is_equal_div_10_uniqueIfEEEEEPllNS8_4plusIlEEEE10hipError_tPvRmT1_T2_T3_mT4_P12ihipStream_tbEUlT_E0_NS1_11comp_targetILNS1_3genE0ELNS1_11target_archE4294967295ELNS1_3gpuE0ELNS1_3repE0EEENS1_30default_config_static_selectorELNS0_4arch9wavefront6targetE1EEEvSW_.private_seg_size, 0
	.set _ZN7rocprim17ROCPRIM_400000_NS6detail17trampoline_kernelINS0_14default_configENS1_22reduce_config_selectorIlEEZNS1_11reduce_implILb1ES3_N6thrust23THRUST_200600_302600_NS11hip_rocprim26transform_input_iterator_tIlNS8_12zip_iteratorINS8_5tupleINS8_6detail15normal_iteratorINS8_10device_ptrIfEEEESH_NS8_9null_typeESI_SI_SI_SI_SI_SI_SI_EEEENS9_21zip_adj_not_predicateI22is_equal_div_10_uniqueIfEEEEEPllNS8_4plusIlEEEE10hipError_tPvRmT1_T2_T3_mT4_P12ihipStream_tbEUlT_E0_NS1_11comp_targetILNS1_3genE0ELNS1_11target_archE4294967295ELNS1_3gpuE0ELNS1_3repE0EEENS1_30default_config_static_selectorELNS0_4arch9wavefront6targetE1EEEvSW_.uses_vcc, 0
	.set _ZN7rocprim17ROCPRIM_400000_NS6detail17trampoline_kernelINS0_14default_configENS1_22reduce_config_selectorIlEEZNS1_11reduce_implILb1ES3_N6thrust23THRUST_200600_302600_NS11hip_rocprim26transform_input_iterator_tIlNS8_12zip_iteratorINS8_5tupleINS8_6detail15normal_iteratorINS8_10device_ptrIfEEEESH_NS8_9null_typeESI_SI_SI_SI_SI_SI_SI_EEEENS9_21zip_adj_not_predicateI22is_equal_div_10_uniqueIfEEEEEPllNS8_4plusIlEEEE10hipError_tPvRmT1_T2_T3_mT4_P12ihipStream_tbEUlT_E0_NS1_11comp_targetILNS1_3genE0ELNS1_11target_archE4294967295ELNS1_3gpuE0ELNS1_3repE0EEENS1_30default_config_static_selectorELNS0_4arch9wavefront6targetE1EEEvSW_.uses_flat_scratch, 0
	.set _ZN7rocprim17ROCPRIM_400000_NS6detail17trampoline_kernelINS0_14default_configENS1_22reduce_config_selectorIlEEZNS1_11reduce_implILb1ES3_N6thrust23THRUST_200600_302600_NS11hip_rocprim26transform_input_iterator_tIlNS8_12zip_iteratorINS8_5tupleINS8_6detail15normal_iteratorINS8_10device_ptrIfEEEESH_NS8_9null_typeESI_SI_SI_SI_SI_SI_SI_EEEENS9_21zip_adj_not_predicateI22is_equal_div_10_uniqueIfEEEEEPllNS8_4plusIlEEEE10hipError_tPvRmT1_T2_T3_mT4_P12ihipStream_tbEUlT_E0_NS1_11comp_targetILNS1_3genE0ELNS1_11target_archE4294967295ELNS1_3gpuE0ELNS1_3repE0EEENS1_30default_config_static_selectorELNS0_4arch9wavefront6targetE1EEEvSW_.has_dyn_sized_stack, 0
	.set _ZN7rocprim17ROCPRIM_400000_NS6detail17trampoline_kernelINS0_14default_configENS1_22reduce_config_selectorIlEEZNS1_11reduce_implILb1ES3_N6thrust23THRUST_200600_302600_NS11hip_rocprim26transform_input_iterator_tIlNS8_12zip_iteratorINS8_5tupleINS8_6detail15normal_iteratorINS8_10device_ptrIfEEEESH_NS8_9null_typeESI_SI_SI_SI_SI_SI_SI_EEEENS9_21zip_adj_not_predicateI22is_equal_div_10_uniqueIfEEEEEPllNS8_4plusIlEEEE10hipError_tPvRmT1_T2_T3_mT4_P12ihipStream_tbEUlT_E0_NS1_11comp_targetILNS1_3genE0ELNS1_11target_archE4294967295ELNS1_3gpuE0ELNS1_3repE0EEENS1_30default_config_static_selectorELNS0_4arch9wavefront6targetE1EEEvSW_.has_recursion, 0
	.set _ZN7rocprim17ROCPRIM_400000_NS6detail17trampoline_kernelINS0_14default_configENS1_22reduce_config_selectorIlEEZNS1_11reduce_implILb1ES3_N6thrust23THRUST_200600_302600_NS11hip_rocprim26transform_input_iterator_tIlNS8_12zip_iteratorINS8_5tupleINS8_6detail15normal_iteratorINS8_10device_ptrIfEEEESH_NS8_9null_typeESI_SI_SI_SI_SI_SI_SI_EEEENS9_21zip_adj_not_predicateI22is_equal_div_10_uniqueIfEEEEEPllNS8_4plusIlEEEE10hipError_tPvRmT1_T2_T3_mT4_P12ihipStream_tbEUlT_E0_NS1_11comp_targetILNS1_3genE0ELNS1_11target_archE4294967295ELNS1_3gpuE0ELNS1_3repE0EEENS1_30default_config_static_selectorELNS0_4arch9wavefront6targetE1EEEvSW_.has_indirect_call, 0
	.section	.AMDGPU.csdata,"",@progbits
; Kernel info:
; codeLenInByte = 0
; TotalNumSgprs: 4
; NumVgprs: 0
; ScratchSize: 0
; MemoryBound: 0
; FloatMode: 240
; IeeeMode: 1
; LDSByteSize: 0 bytes/workgroup (compile time only)
; SGPRBlocks: 0
; VGPRBlocks: 0
; NumSGPRsForWavesPerEU: 4
; NumVGPRsForWavesPerEU: 1
; Occupancy: 10
; WaveLimiterHint : 0
; COMPUTE_PGM_RSRC2:SCRATCH_EN: 0
; COMPUTE_PGM_RSRC2:USER_SGPR: 6
; COMPUTE_PGM_RSRC2:TRAP_HANDLER: 0
; COMPUTE_PGM_RSRC2:TGID_X_EN: 1
; COMPUTE_PGM_RSRC2:TGID_Y_EN: 0
; COMPUTE_PGM_RSRC2:TGID_Z_EN: 0
; COMPUTE_PGM_RSRC2:TIDIG_COMP_CNT: 0
	.section	.text._ZN7rocprim17ROCPRIM_400000_NS6detail17trampoline_kernelINS0_14default_configENS1_22reduce_config_selectorIlEEZNS1_11reduce_implILb1ES3_N6thrust23THRUST_200600_302600_NS11hip_rocprim26transform_input_iterator_tIlNS8_12zip_iteratorINS8_5tupleINS8_6detail15normal_iteratorINS8_10device_ptrIfEEEESH_NS8_9null_typeESI_SI_SI_SI_SI_SI_SI_EEEENS9_21zip_adj_not_predicateI22is_equal_div_10_uniqueIfEEEEEPllNS8_4plusIlEEEE10hipError_tPvRmT1_T2_T3_mT4_P12ihipStream_tbEUlT_E0_NS1_11comp_targetILNS1_3genE5ELNS1_11target_archE942ELNS1_3gpuE9ELNS1_3repE0EEENS1_30default_config_static_selectorELNS0_4arch9wavefront6targetE1EEEvSW_,"axG",@progbits,_ZN7rocprim17ROCPRIM_400000_NS6detail17trampoline_kernelINS0_14default_configENS1_22reduce_config_selectorIlEEZNS1_11reduce_implILb1ES3_N6thrust23THRUST_200600_302600_NS11hip_rocprim26transform_input_iterator_tIlNS8_12zip_iteratorINS8_5tupleINS8_6detail15normal_iteratorINS8_10device_ptrIfEEEESH_NS8_9null_typeESI_SI_SI_SI_SI_SI_SI_EEEENS9_21zip_adj_not_predicateI22is_equal_div_10_uniqueIfEEEEEPllNS8_4plusIlEEEE10hipError_tPvRmT1_T2_T3_mT4_P12ihipStream_tbEUlT_E0_NS1_11comp_targetILNS1_3genE5ELNS1_11target_archE942ELNS1_3gpuE9ELNS1_3repE0EEENS1_30default_config_static_selectorELNS0_4arch9wavefront6targetE1EEEvSW_,comdat
	.protected	_ZN7rocprim17ROCPRIM_400000_NS6detail17trampoline_kernelINS0_14default_configENS1_22reduce_config_selectorIlEEZNS1_11reduce_implILb1ES3_N6thrust23THRUST_200600_302600_NS11hip_rocprim26transform_input_iterator_tIlNS8_12zip_iteratorINS8_5tupleINS8_6detail15normal_iteratorINS8_10device_ptrIfEEEESH_NS8_9null_typeESI_SI_SI_SI_SI_SI_SI_EEEENS9_21zip_adj_not_predicateI22is_equal_div_10_uniqueIfEEEEEPllNS8_4plusIlEEEE10hipError_tPvRmT1_T2_T3_mT4_P12ihipStream_tbEUlT_E0_NS1_11comp_targetILNS1_3genE5ELNS1_11target_archE942ELNS1_3gpuE9ELNS1_3repE0EEENS1_30default_config_static_selectorELNS0_4arch9wavefront6targetE1EEEvSW_ ; -- Begin function _ZN7rocprim17ROCPRIM_400000_NS6detail17trampoline_kernelINS0_14default_configENS1_22reduce_config_selectorIlEEZNS1_11reduce_implILb1ES3_N6thrust23THRUST_200600_302600_NS11hip_rocprim26transform_input_iterator_tIlNS8_12zip_iteratorINS8_5tupleINS8_6detail15normal_iteratorINS8_10device_ptrIfEEEESH_NS8_9null_typeESI_SI_SI_SI_SI_SI_SI_EEEENS9_21zip_adj_not_predicateI22is_equal_div_10_uniqueIfEEEEEPllNS8_4plusIlEEEE10hipError_tPvRmT1_T2_T3_mT4_P12ihipStream_tbEUlT_E0_NS1_11comp_targetILNS1_3genE5ELNS1_11target_archE942ELNS1_3gpuE9ELNS1_3repE0EEENS1_30default_config_static_selectorELNS0_4arch9wavefront6targetE1EEEvSW_
	.globl	_ZN7rocprim17ROCPRIM_400000_NS6detail17trampoline_kernelINS0_14default_configENS1_22reduce_config_selectorIlEEZNS1_11reduce_implILb1ES3_N6thrust23THRUST_200600_302600_NS11hip_rocprim26transform_input_iterator_tIlNS8_12zip_iteratorINS8_5tupleINS8_6detail15normal_iteratorINS8_10device_ptrIfEEEESH_NS8_9null_typeESI_SI_SI_SI_SI_SI_SI_EEEENS9_21zip_adj_not_predicateI22is_equal_div_10_uniqueIfEEEEEPllNS8_4plusIlEEEE10hipError_tPvRmT1_T2_T3_mT4_P12ihipStream_tbEUlT_E0_NS1_11comp_targetILNS1_3genE5ELNS1_11target_archE942ELNS1_3gpuE9ELNS1_3repE0EEENS1_30default_config_static_selectorELNS0_4arch9wavefront6targetE1EEEvSW_
	.p2align	8
	.type	_ZN7rocprim17ROCPRIM_400000_NS6detail17trampoline_kernelINS0_14default_configENS1_22reduce_config_selectorIlEEZNS1_11reduce_implILb1ES3_N6thrust23THRUST_200600_302600_NS11hip_rocprim26transform_input_iterator_tIlNS8_12zip_iteratorINS8_5tupleINS8_6detail15normal_iteratorINS8_10device_ptrIfEEEESH_NS8_9null_typeESI_SI_SI_SI_SI_SI_SI_EEEENS9_21zip_adj_not_predicateI22is_equal_div_10_uniqueIfEEEEEPllNS8_4plusIlEEEE10hipError_tPvRmT1_T2_T3_mT4_P12ihipStream_tbEUlT_E0_NS1_11comp_targetILNS1_3genE5ELNS1_11target_archE942ELNS1_3gpuE9ELNS1_3repE0EEENS1_30default_config_static_selectorELNS0_4arch9wavefront6targetE1EEEvSW_,@function
_ZN7rocprim17ROCPRIM_400000_NS6detail17trampoline_kernelINS0_14default_configENS1_22reduce_config_selectorIlEEZNS1_11reduce_implILb1ES3_N6thrust23THRUST_200600_302600_NS11hip_rocprim26transform_input_iterator_tIlNS8_12zip_iteratorINS8_5tupleINS8_6detail15normal_iteratorINS8_10device_ptrIfEEEESH_NS8_9null_typeESI_SI_SI_SI_SI_SI_SI_EEEENS9_21zip_adj_not_predicateI22is_equal_div_10_uniqueIfEEEEEPllNS8_4plusIlEEEE10hipError_tPvRmT1_T2_T3_mT4_P12ihipStream_tbEUlT_E0_NS1_11comp_targetILNS1_3genE5ELNS1_11target_archE942ELNS1_3gpuE9ELNS1_3repE0EEENS1_30default_config_static_selectorELNS0_4arch9wavefront6targetE1EEEvSW_: ; @_ZN7rocprim17ROCPRIM_400000_NS6detail17trampoline_kernelINS0_14default_configENS1_22reduce_config_selectorIlEEZNS1_11reduce_implILb1ES3_N6thrust23THRUST_200600_302600_NS11hip_rocprim26transform_input_iterator_tIlNS8_12zip_iteratorINS8_5tupleINS8_6detail15normal_iteratorINS8_10device_ptrIfEEEESH_NS8_9null_typeESI_SI_SI_SI_SI_SI_SI_EEEENS9_21zip_adj_not_predicateI22is_equal_div_10_uniqueIfEEEEEPllNS8_4plusIlEEEE10hipError_tPvRmT1_T2_T3_mT4_P12ihipStream_tbEUlT_E0_NS1_11comp_targetILNS1_3genE5ELNS1_11target_archE942ELNS1_3gpuE9ELNS1_3repE0EEENS1_30default_config_static_selectorELNS0_4arch9wavefront6targetE1EEEvSW_
; %bb.0:
	.section	.rodata,"a",@progbits
	.p2align	6, 0x0
	.amdhsa_kernel _ZN7rocprim17ROCPRIM_400000_NS6detail17trampoline_kernelINS0_14default_configENS1_22reduce_config_selectorIlEEZNS1_11reduce_implILb1ES3_N6thrust23THRUST_200600_302600_NS11hip_rocprim26transform_input_iterator_tIlNS8_12zip_iteratorINS8_5tupleINS8_6detail15normal_iteratorINS8_10device_ptrIfEEEESH_NS8_9null_typeESI_SI_SI_SI_SI_SI_SI_EEEENS9_21zip_adj_not_predicateI22is_equal_div_10_uniqueIfEEEEEPllNS8_4plusIlEEEE10hipError_tPvRmT1_T2_T3_mT4_P12ihipStream_tbEUlT_E0_NS1_11comp_targetILNS1_3genE5ELNS1_11target_archE942ELNS1_3gpuE9ELNS1_3repE0EEENS1_30default_config_static_selectorELNS0_4arch9wavefront6targetE1EEEvSW_
		.amdhsa_group_segment_fixed_size 0
		.amdhsa_private_segment_fixed_size 0
		.amdhsa_kernarg_size 80
		.amdhsa_user_sgpr_count 6
		.amdhsa_user_sgpr_private_segment_buffer 1
		.amdhsa_user_sgpr_dispatch_ptr 0
		.amdhsa_user_sgpr_queue_ptr 0
		.amdhsa_user_sgpr_kernarg_segment_ptr 1
		.amdhsa_user_sgpr_dispatch_id 0
		.amdhsa_user_sgpr_flat_scratch_init 0
		.amdhsa_user_sgpr_private_segment_size 0
		.amdhsa_uses_dynamic_stack 0
		.amdhsa_system_sgpr_private_segment_wavefront_offset 0
		.amdhsa_system_sgpr_workgroup_id_x 1
		.amdhsa_system_sgpr_workgroup_id_y 0
		.amdhsa_system_sgpr_workgroup_id_z 0
		.amdhsa_system_sgpr_workgroup_info 0
		.amdhsa_system_vgpr_workitem_id 0
		.amdhsa_next_free_vgpr 1
		.amdhsa_next_free_sgpr 0
		.amdhsa_reserve_vcc 0
		.amdhsa_reserve_flat_scratch 0
		.amdhsa_float_round_mode_32 0
		.amdhsa_float_round_mode_16_64 0
		.amdhsa_float_denorm_mode_32 3
		.amdhsa_float_denorm_mode_16_64 3
		.amdhsa_dx10_clamp 1
		.amdhsa_ieee_mode 1
		.amdhsa_fp16_overflow 0
		.amdhsa_exception_fp_ieee_invalid_op 0
		.amdhsa_exception_fp_denorm_src 0
		.amdhsa_exception_fp_ieee_div_zero 0
		.amdhsa_exception_fp_ieee_overflow 0
		.amdhsa_exception_fp_ieee_underflow 0
		.amdhsa_exception_fp_ieee_inexact 0
		.amdhsa_exception_int_div_zero 0
	.end_amdhsa_kernel
	.section	.text._ZN7rocprim17ROCPRIM_400000_NS6detail17trampoline_kernelINS0_14default_configENS1_22reduce_config_selectorIlEEZNS1_11reduce_implILb1ES3_N6thrust23THRUST_200600_302600_NS11hip_rocprim26transform_input_iterator_tIlNS8_12zip_iteratorINS8_5tupleINS8_6detail15normal_iteratorINS8_10device_ptrIfEEEESH_NS8_9null_typeESI_SI_SI_SI_SI_SI_SI_EEEENS9_21zip_adj_not_predicateI22is_equal_div_10_uniqueIfEEEEEPllNS8_4plusIlEEEE10hipError_tPvRmT1_T2_T3_mT4_P12ihipStream_tbEUlT_E0_NS1_11comp_targetILNS1_3genE5ELNS1_11target_archE942ELNS1_3gpuE9ELNS1_3repE0EEENS1_30default_config_static_selectorELNS0_4arch9wavefront6targetE1EEEvSW_,"axG",@progbits,_ZN7rocprim17ROCPRIM_400000_NS6detail17trampoline_kernelINS0_14default_configENS1_22reduce_config_selectorIlEEZNS1_11reduce_implILb1ES3_N6thrust23THRUST_200600_302600_NS11hip_rocprim26transform_input_iterator_tIlNS8_12zip_iteratorINS8_5tupleINS8_6detail15normal_iteratorINS8_10device_ptrIfEEEESH_NS8_9null_typeESI_SI_SI_SI_SI_SI_SI_EEEENS9_21zip_adj_not_predicateI22is_equal_div_10_uniqueIfEEEEEPllNS8_4plusIlEEEE10hipError_tPvRmT1_T2_T3_mT4_P12ihipStream_tbEUlT_E0_NS1_11comp_targetILNS1_3genE5ELNS1_11target_archE942ELNS1_3gpuE9ELNS1_3repE0EEENS1_30default_config_static_selectorELNS0_4arch9wavefront6targetE1EEEvSW_,comdat
.Lfunc_end798:
	.size	_ZN7rocprim17ROCPRIM_400000_NS6detail17trampoline_kernelINS0_14default_configENS1_22reduce_config_selectorIlEEZNS1_11reduce_implILb1ES3_N6thrust23THRUST_200600_302600_NS11hip_rocprim26transform_input_iterator_tIlNS8_12zip_iteratorINS8_5tupleINS8_6detail15normal_iteratorINS8_10device_ptrIfEEEESH_NS8_9null_typeESI_SI_SI_SI_SI_SI_SI_EEEENS9_21zip_adj_not_predicateI22is_equal_div_10_uniqueIfEEEEEPllNS8_4plusIlEEEE10hipError_tPvRmT1_T2_T3_mT4_P12ihipStream_tbEUlT_E0_NS1_11comp_targetILNS1_3genE5ELNS1_11target_archE942ELNS1_3gpuE9ELNS1_3repE0EEENS1_30default_config_static_selectorELNS0_4arch9wavefront6targetE1EEEvSW_, .Lfunc_end798-_ZN7rocprim17ROCPRIM_400000_NS6detail17trampoline_kernelINS0_14default_configENS1_22reduce_config_selectorIlEEZNS1_11reduce_implILb1ES3_N6thrust23THRUST_200600_302600_NS11hip_rocprim26transform_input_iterator_tIlNS8_12zip_iteratorINS8_5tupleINS8_6detail15normal_iteratorINS8_10device_ptrIfEEEESH_NS8_9null_typeESI_SI_SI_SI_SI_SI_SI_EEEENS9_21zip_adj_not_predicateI22is_equal_div_10_uniqueIfEEEEEPllNS8_4plusIlEEEE10hipError_tPvRmT1_T2_T3_mT4_P12ihipStream_tbEUlT_E0_NS1_11comp_targetILNS1_3genE5ELNS1_11target_archE942ELNS1_3gpuE9ELNS1_3repE0EEENS1_30default_config_static_selectorELNS0_4arch9wavefront6targetE1EEEvSW_
                                        ; -- End function
	.set _ZN7rocprim17ROCPRIM_400000_NS6detail17trampoline_kernelINS0_14default_configENS1_22reduce_config_selectorIlEEZNS1_11reduce_implILb1ES3_N6thrust23THRUST_200600_302600_NS11hip_rocprim26transform_input_iterator_tIlNS8_12zip_iteratorINS8_5tupleINS8_6detail15normal_iteratorINS8_10device_ptrIfEEEESH_NS8_9null_typeESI_SI_SI_SI_SI_SI_SI_EEEENS9_21zip_adj_not_predicateI22is_equal_div_10_uniqueIfEEEEEPllNS8_4plusIlEEEE10hipError_tPvRmT1_T2_T3_mT4_P12ihipStream_tbEUlT_E0_NS1_11comp_targetILNS1_3genE5ELNS1_11target_archE942ELNS1_3gpuE9ELNS1_3repE0EEENS1_30default_config_static_selectorELNS0_4arch9wavefront6targetE1EEEvSW_.num_vgpr, 0
	.set _ZN7rocprim17ROCPRIM_400000_NS6detail17trampoline_kernelINS0_14default_configENS1_22reduce_config_selectorIlEEZNS1_11reduce_implILb1ES3_N6thrust23THRUST_200600_302600_NS11hip_rocprim26transform_input_iterator_tIlNS8_12zip_iteratorINS8_5tupleINS8_6detail15normal_iteratorINS8_10device_ptrIfEEEESH_NS8_9null_typeESI_SI_SI_SI_SI_SI_SI_EEEENS9_21zip_adj_not_predicateI22is_equal_div_10_uniqueIfEEEEEPllNS8_4plusIlEEEE10hipError_tPvRmT1_T2_T3_mT4_P12ihipStream_tbEUlT_E0_NS1_11comp_targetILNS1_3genE5ELNS1_11target_archE942ELNS1_3gpuE9ELNS1_3repE0EEENS1_30default_config_static_selectorELNS0_4arch9wavefront6targetE1EEEvSW_.num_agpr, 0
	.set _ZN7rocprim17ROCPRIM_400000_NS6detail17trampoline_kernelINS0_14default_configENS1_22reduce_config_selectorIlEEZNS1_11reduce_implILb1ES3_N6thrust23THRUST_200600_302600_NS11hip_rocprim26transform_input_iterator_tIlNS8_12zip_iteratorINS8_5tupleINS8_6detail15normal_iteratorINS8_10device_ptrIfEEEESH_NS8_9null_typeESI_SI_SI_SI_SI_SI_SI_EEEENS9_21zip_adj_not_predicateI22is_equal_div_10_uniqueIfEEEEEPllNS8_4plusIlEEEE10hipError_tPvRmT1_T2_T3_mT4_P12ihipStream_tbEUlT_E0_NS1_11comp_targetILNS1_3genE5ELNS1_11target_archE942ELNS1_3gpuE9ELNS1_3repE0EEENS1_30default_config_static_selectorELNS0_4arch9wavefront6targetE1EEEvSW_.numbered_sgpr, 0
	.set _ZN7rocprim17ROCPRIM_400000_NS6detail17trampoline_kernelINS0_14default_configENS1_22reduce_config_selectorIlEEZNS1_11reduce_implILb1ES3_N6thrust23THRUST_200600_302600_NS11hip_rocprim26transform_input_iterator_tIlNS8_12zip_iteratorINS8_5tupleINS8_6detail15normal_iteratorINS8_10device_ptrIfEEEESH_NS8_9null_typeESI_SI_SI_SI_SI_SI_SI_EEEENS9_21zip_adj_not_predicateI22is_equal_div_10_uniqueIfEEEEEPllNS8_4plusIlEEEE10hipError_tPvRmT1_T2_T3_mT4_P12ihipStream_tbEUlT_E0_NS1_11comp_targetILNS1_3genE5ELNS1_11target_archE942ELNS1_3gpuE9ELNS1_3repE0EEENS1_30default_config_static_selectorELNS0_4arch9wavefront6targetE1EEEvSW_.num_named_barrier, 0
	.set _ZN7rocprim17ROCPRIM_400000_NS6detail17trampoline_kernelINS0_14default_configENS1_22reduce_config_selectorIlEEZNS1_11reduce_implILb1ES3_N6thrust23THRUST_200600_302600_NS11hip_rocprim26transform_input_iterator_tIlNS8_12zip_iteratorINS8_5tupleINS8_6detail15normal_iteratorINS8_10device_ptrIfEEEESH_NS8_9null_typeESI_SI_SI_SI_SI_SI_SI_EEEENS9_21zip_adj_not_predicateI22is_equal_div_10_uniqueIfEEEEEPllNS8_4plusIlEEEE10hipError_tPvRmT1_T2_T3_mT4_P12ihipStream_tbEUlT_E0_NS1_11comp_targetILNS1_3genE5ELNS1_11target_archE942ELNS1_3gpuE9ELNS1_3repE0EEENS1_30default_config_static_selectorELNS0_4arch9wavefront6targetE1EEEvSW_.private_seg_size, 0
	.set _ZN7rocprim17ROCPRIM_400000_NS6detail17trampoline_kernelINS0_14default_configENS1_22reduce_config_selectorIlEEZNS1_11reduce_implILb1ES3_N6thrust23THRUST_200600_302600_NS11hip_rocprim26transform_input_iterator_tIlNS8_12zip_iteratorINS8_5tupleINS8_6detail15normal_iteratorINS8_10device_ptrIfEEEESH_NS8_9null_typeESI_SI_SI_SI_SI_SI_SI_EEEENS9_21zip_adj_not_predicateI22is_equal_div_10_uniqueIfEEEEEPllNS8_4plusIlEEEE10hipError_tPvRmT1_T2_T3_mT4_P12ihipStream_tbEUlT_E0_NS1_11comp_targetILNS1_3genE5ELNS1_11target_archE942ELNS1_3gpuE9ELNS1_3repE0EEENS1_30default_config_static_selectorELNS0_4arch9wavefront6targetE1EEEvSW_.uses_vcc, 0
	.set _ZN7rocprim17ROCPRIM_400000_NS6detail17trampoline_kernelINS0_14default_configENS1_22reduce_config_selectorIlEEZNS1_11reduce_implILb1ES3_N6thrust23THRUST_200600_302600_NS11hip_rocprim26transform_input_iterator_tIlNS8_12zip_iteratorINS8_5tupleINS8_6detail15normal_iteratorINS8_10device_ptrIfEEEESH_NS8_9null_typeESI_SI_SI_SI_SI_SI_SI_EEEENS9_21zip_adj_not_predicateI22is_equal_div_10_uniqueIfEEEEEPllNS8_4plusIlEEEE10hipError_tPvRmT1_T2_T3_mT4_P12ihipStream_tbEUlT_E0_NS1_11comp_targetILNS1_3genE5ELNS1_11target_archE942ELNS1_3gpuE9ELNS1_3repE0EEENS1_30default_config_static_selectorELNS0_4arch9wavefront6targetE1EEEvSW_.uses_flat_scratch, 0
	.set _ZN7rocprim17ROCPRIM_400000_NS6detail17trampoline_kernelINS0_14default_configENS1_22reduce_config_selectorIlEEZNS1_11reduce_implILb1ES3_N6thrust23THRUST_200600_302600_NS11hip_rocprim26transform_input_iterator_tIlNS8_12zip_iteratorINS8_5tupleINS8_6detail15normal_iteratorINS8_10device_ptrIfEEEESH_NS8_9null_typeESI_SI_SI_SI_SI_SI_SI_EEEENS9_21zip_adj_not_predicateI22is_equal_div_10_uniqueIfEEEEEPllNS8_4plusIlEEEE10hipError_tPvRmT1_T2_T3_mT4_P12ihipStream_tbEUlT_E0_NS1_11comp_targetILNS1_3genE5ELNS1_11target_archE942ELNS1_3gpuE9ELNS1_3repE0EEENS1_30default_config_static_selectorELNS0_4arch9wavefront6targetE1EEEvSW_.has_dyn_sized_stack, 0
	.set _ZN7rocprim17ROCPRIM_400000_NS6detail17trampoline_kernelINS0_14default_configENS1_22reduce_config_selectorIlEEZNS1_11reduce_implILb1ES3_N6thrust23THRUST_200600_302600_NS11hip_rocprim26transform_input_iterator_tIlNS8_12zip_iteratorINS8_5tupleINS8_6detail15normal_iteratorINS8_10device_ptrIfEEEESH_NS8_9null_typeESI_SI_SI_SI_SI_SI_SI_EEEENS9_21zip_adj_not_predicateI22is_equal_div_10_uniqueIfEEEEEPllNS8_4plusIlEEEE10hipError_tPvRmT1_T2_T3_mT4_P12ihipStream_tbEUlT_E0_NS1_11comp_targetILNS1_3genE5ELNS1_11target_archE942ELNS1_3gpuE9ELNS1_3repE0EEENS1_30default_config_static_selectorELNS0_4arch9wavefront6targetE1EEEvSW_.has_recursion, 0
	.set _ZN7rocprim17ROCPRIM_400000_NS6detail17trampoline_kernelINS0_14default_configENS1_22reduce_config_selectorIlEEZNS1_11reduce_implILb1ES3_N6thrust23THRUST_200600_302600_NS11hip_rocprim26transform_input_iterator_tIlNS8_12zip_iteratorINS8_5tupleINS8_6detail15normal_iteratorINS8_10device_ptrIfEEEESH_NS8_9null_typeESI_SI_SI_SI_SI_SI_SI_EEEENS9_21zip_adj_not_predicateI22is_equal_div_10_uniqueIfEEEEEPllNS8_4plusIlEEEE10hipError_tPvRmT1_T2_T3_mT4_P12ihipStream_tbEUlT_E0_NS1_11comp_targetILNS1_3genE5ELNS1_11target_archE942ELNS1_3gpuE9ELNS1_3repE0EEENS1_30default_config_static_selectorELNS0_4arch9wavefront6targetE1EEEvSW_.has_indirect_call, 0
	.section	.AMDGPU.csdata,"",@progbits
; Kernel info:
; codeLenInByte = 0
; TotalNumSgprs: 4
; NumVgprs: 0
; ScratchSize: 0
; MemoryBound: 0
; FloatMode: 240
; IeeeMode: 1
; LDSByteSize: 0 bytes/workgroup (compile time only)
; SGPRBlocks: 0
; VGPRBlocks: 0
; NumSGPRsForWavesPerEU: 4
; NumVGPRsForWavesPerEU: 1
; Occupancy: 10
; WaveLimiterHint : 0
; COMPUTE_PGM_RSRC2:SCRATCH_EN: 0
; COMPUTE_PGM_RSRC2:USER_SGPR: 6
; COMPUTE_PGM_RSRC2:TRAP_HANDLER: 0
; COMPUTE_PGM_RSRC2:TGID_X_EN: 1
; COMPUTE_PGM_RSRC2:TGID_Y_EN: 0
; COMPUTE_PGM_RSRC2:TGID_Z_EN: 0
; COMPUTE_PGM_RSRC2:TIDIG_COMP_CNT: 0
	.section	.text._ZN7rocprim17ROCPRIM_400000_NS6detail17trampoline_kernelINS0_14default_configENS1_22reduce_config_selectorIlEEZNS1_11reduce_implILb1ES3_N6thrust23THRUST_200600_302600_NS11hip_rocprim26transform_input_iterator_tIlNS8_12zip_iteratorINS8_5tupleINS8_6detail15normal_iteratorINS8_10device_ptrIfEEEESH_NS8_9null_typeESI_SI_SI_SI_SI_SI_SI_EEEENS9_21zip_adj_not_predicateI22is_equal_div_10_uniqueIfEEEEEPllNS8_4plusIlEEEE10hipError_tPvRmT1_T2_T3_mT4_P12ihipStream_tbEUlT_E0_NS1_11comp_targetILNS1_3genE4ELNS1_11target_archE910ELNS1_3gpuE8ELNS1_3repE0EEENS1_30default_config_static_selectorELNS0_4arch9wavefront6targetE1EEEvSW_,"axG",@progbits,_ZN7rocprim17ROCPRIM_400000_NS6detail17trampoline_kernelINS0_14default_configENS1_22reduce_config_selectorIlEEZNS1_11reduce_implILb1ES3_N6thrust23THRUST_200600_302600_NS11hip_rocprim26transform_input_iterator_tIlNS8_12zip_iteratorINS8_5tupleINS8_6detail15normal_iteratorINS8_10device_ptrIfEEEESH_NS8_9null_typeESI_SI_SI_SI_SI_SI_SI_EEEENS9_21zip_adj_not_predicateI22is_equal_div_10_uniqueIfEEEEEPllNS8_4plusIlEEEE10hipError_tPvRmT1_T2_T3_mT4_P12ihipStream_tbEUlT_E0_NS1_11comp_targetILNS1_3genE4ELNS1_11target_archE910ELNS1_3gpuE8ELNS1_3repE0EEENS1_30default_config_static_selectorELNS0_4arch9wavefront6targetE1EEEvSW_,comdat
	.protected	_ZN7rocprim17ROCPRIM_400000_NS6detail17trampoline_kernelINS0_14default_configENS1_22reduce_config_selectorIlEEZNS1_11reduce_implILb1ES3_N6thrust23THRUST_200600_302600_NS11hip_rocprim26transform_input_iterator_tIlNS8_12zip_iteratorINS8_5tupleINS8_6detail15normal_iteratorINS8_10device_ptrIfEEEESH_NS8_9null_typeESI_SI_SI_SI_SI_SI_SI_EEEENS9_21zip_adj_not_predicateI22is_equal_div_10_uniqueIfEEEEEPllNS8_4plusIlEEEE10hipError_tPvRmT1_T2_T3_mT4_P12ihipStream_tbEUlT_E0_NS1_11comp_targetILNS1_3genE4ELNS1_11target_archE910ELNS1_3gpuE8ELNS1_3repE0EEENS1_30default_config_static_selectorELNS0_4arch9wavefront6targetE1EEEvSW_ ; -- Begin function _ZN7rocprim17ROCPRIM_400000_NS6detail17trampoline_kernelINS0_14default_configENS1_22reduce_config_selectorIlEEZNS1_11reduce_implILb1ES3_N6thrust23THRUST_200600_302600_NS11hip_rocprim26transform_input_iterator_tIlNS8_12zip_iteratorINS8_5tupleINS8_6detail15normal_iteratorINS8_10device_ptrIfEEEESH_NS8_9null_typeESI_SI_SI_SI_SI_SI_SI_EEEENS9_21zip_adj_not_predicateI22is_equal_div_10_uniqueIfEEEEEPllNS8_4plusIlEEEE10hipError_tPvRmT1_T2_T3_mT4_P12ihipStream_tbEUlT_E0_NS1_11comp_targetILNS1_3genE4ELNS1_11target_archE910ELNS1_3gpuE8ELNS1_3repE0EEENS1_30default_config_static_selectorELNS0_4arch9wavefront6targetE1EEEvSW_
	.globl	_ZN7rocprim17ROCPRIM_400000_NS6detail17trampoline_kernelINS0_14default_configENS1_22reduce_config_selectorIlEEZNS1_11reduce_implILb1ES3_N6thrust23THRUST_200600_302600_NS11hip_rocprim26transform_input_iterator_tIlNS8_12zip_iteratorINS8_5tupleINS8_6detail15normal_iteratorINS8_10device_ptrIfEEEESH_NS8_9null_typeESI_SI_SI_SI_SI_SI_SI_EEEENS9_21zip_adj_not_predicateI22is_equal_div_10_uniqueIfEEEEEPllNS8_4plusIlEEEE10hipError_tPvRmT1_T2_T3_mT4_P12ihipStream_tbEUlT_E0_NS1_11comp_targetILNS1_3genE4ELNS1_11target_archE910ELNS1_3gpuE8ELNS1_3repE0EEENS1_30default_config_static_selectorELNS0_4arch9wavefront6targetE1EEEvSW_
	.p2align	8
	.type	_ZN7rocprim17ROCPRIM_400000_NS6detail17trampoline_kernelINS0_14default_configENS1_22reduce_config_selectorIlEEZNS1_11reduce_implILb1ES3_N6thrust23THRUST_200600_302600_NS11hip_rocprim26transform_input_iterator_tIlNS8_12zip_iteratorINS8_5tupleINS8_6detail15normal_iteratorINS8_10device_ptrIfEEEESH_NS8_9null_typeESI_SI_SI_SI_SI_SI_SI_EEEENS9_21zip_adj_not_predicateI22is_equal_div_10_uniqueIfEEEEEPllNS8_4plusIlEEEE10hipError_tPvRmT1_T2_T3_mT4_P12ihipStream_tbEUlT_E0_NS1_11comp_targetILNS1_3genE4ELNS1_11target_archE910ELNS1_3gpuE8ELNS1_3repE0EEENS1_30default_config_static_selectorELNS0_4arch9wavefront6targetE1EEEvSW_,@function
_ZN7rocprim17ROCPRIM_400000_NS6detail17trampoline_kernelINS0_14default_configENS1_22reduce_config_selectorIlEEZNS1_11reduce_implILb1ES3_N6thrust23THRUST_200600_302600_NS11hip_rocprim26transform_input_iterator_tIlNS8_12zip_iteratorINS8_5tupleINS8_6detail15normal_iteratorINS8_10device_ptrIfEEEESH_NS8_9null_typeESI_SI_SI_SI_SI_SI_SI_EEEENS9_21zip_adj_not_predicateI22is_equal_div_10_uniqueIfEEEEEPllNS8_4plusIlEEEE10hipError_tPvRmT1_T2_T3_mT4_P12ihipStream_tbEUlT_E0_NS1_11comp_targetILNS1_3genE4ELNS1_11target_archE910ELNS1_3gpuE8ELNS1_3repE0EEENS1_30default_config_static_selectorELNS0_4arch9wavefront6targetE1EEEvSW_: ; @_ZN7rocprim17ROCPRIM_400000_NS6detail17trampoline_kernelINS0_14default_configENS1_22reduce_config_selectorIlEEZNS1_11reduce_implILb1ES3_N6thrust23THRUST_200600_302600_NS11hip_rocprim26transform_input_iterator_tIlNS8_12zip_iteratorINS8_5tupleINS8_6detail15normal_iteratorINS8_10device_ptrIfEEEESH_NS8_9null_typeESI_SI_SI_SI_SI_SI_SI_EEEENS9_21zip_adj_not_predicateI22is_equal_div_10_uniqueIfEEEEEPllNS8_4plusIlEEEE10hipError_tPvRmT1_T2_T3_mT4_P12ihipStream_tbEUlT_E0_NS1_11comp_targetILNS1_3genE4ELNS1_11target_archE910ELNS1_3gpuE8ELNS1_3repE0EEENS1_30default_config_static_selectorELNS0_4arch9wavefront6targetE1EEEvSW_
; %bb.0:
	.section	.rodata,"a",@progbits
	.p2align	6, 0x0
	.amdhsa_kernel _ZN7rocprim17ROCPRIM_400000_NS6detail17trampoline_kernelINS0_14default_configENS1_22reduce_config_selectorIlEEZNS1_11reduce_implILb1ES3_N6thrust23THRUST_200600_302600_NS11hip_rocprim26transform_input_iterator_tIlNS8_12zip_iteratorINS8_5tupleINS8_6detail15normal_iteratorINS8_10device_ptrIfEEEESH_NS8_9null_typeESI_SI_SI_SI_SI_SI_SI_EEEENS9_21zip_adj_not_predicateI22is_equal_div_10_uniqueIfEEEEEPllNS8_4plusIlEEEE10hipError_tPvRmT1_T2_T3_mT4_P12ihipStream_tbEUlT_E0_NS1_11comp_targetILNS1_3genE4ELNS1_11target_archE910ELNS1_3gpuE8ELNS1_3repE0EEENS1_30default_config_static_selectorELNS0_4arch9wavefront6targetE1EEEvSW_
		.amdhsa_group_segment_fixed_size 0
		.amdhsa_private_segment_fixed_size 0
		.amdhsa_kernarg_size 80
		.amdhsa_user_sgpr_count 6
		.amdhsa_user_sgpr_private_segment_buffer 1
		.amdhsa_user_sgpr_dispatch_ptr 0
		.amdhsa_user_sgpr_queue_ptr 0
		.amdhsa_user_sgpr_kernarg_segment_ptr 1
		.amdhsa_user_sgpr_dispatch_id 0
		.amdhsa_user_sgpr_flat_scratch_init 0
		.amdhsa_user_sgpr_private_segment_size 0
		.amdhsa_uses_dynamic_stack 0
		.amdhsa_system_sgpr_private_segment_wavefront_offset 0
		.amdhsa_system_sgpr_workgroup_id_x 1
		.amdhsa_system_sgpr_workgroup_id_y 0
		.amdhsa_system_sgpr_workgroup_id_z 0
		.amdhsa_system_sgpr_workgroup_info 0
		.amdhsa_system_vgpr_workitem_id 0
		.amdhsa_next_free_vgpr 1
		.amdhsa_next_free_sgpr 0
		.amdhsa_reserve_vcc 0
		.amdhsa_reserve_flat_scratch 0
		.amdhsa_float_round_mode_32 0
		.amdhsa_float_round_mode_16_64 0
		.amdhsa_float_denorm_mode_32 3
		.amdhsa_float_denorm_mode_16_64 3
		.amdhsa_dx10_clamp 1
		.amdhsa_ieee_mode 1
		.amdhsa_fp16_overflow 0
		.amdhsa_exception_fp_ieee_invalid_op 0
		.amdhsa_exception_fp_denorm_src 0
		.amdhsa_exception_fp_ieee_div_zero 0
		.amdhsa_exception_fp_ieee_overflow 0
		.amdhsa_exception_fp_ieee_underflow 0
		.amdhsa_exception_fp_ieee_inexact 0
		.amdhsa_exception_int_div_zero 0
	.end_amdhsa_kernel
	.section	.text._ZN7rocprim17ROCPRIM_400000_NS6detail17trampoline_kernelINS0_14default_configENS1_22reduce_config_selectorIlEEZNS1_11reduce_implILb1ES3_N6thrust23THRUST_200600_302600_NS11hip_rocprim26transform_input_iterator_tIlNS8_12zip_iteratorINS8_5tupleINS8_6detail15normal_iteratorINS8_10device_ptrIfEEEESH_NS8_9null_typeESI_SI_SI_SI_SI_SI_SI_EEEENS9_21zip_adj_not_predicateI22is_equal_div_10_uniqueIfEEEEEPllNS8_4plusIlEEEE10hipError_tPvRmT1_T2_T3_mT4_P12ihipStream_tbEUlT_E0_NS1_11comp_targetILNS1_3genE4ELNS1_11target_archE910ELNS1_3gpuE8ELNS1_3repE0EEENS1_30default_config_static_selectorELNS0_4arch9wavefront6targetE1EEEvSW_,"axG",@progbits,_ZN7rocprim17ROCPRIM_400000_NS6detail17trampoline_kernelINS0_14default_configENS1_22reduce_config_selectorIlEEZNS1_11reduce_implILb1ES3_N6thrust23THRUST_200600_302600_NS11hip_rocprim26transform_input_iterator_tIlNS8_12zip_iteratorINS8_5tupleINS8_6detail15normal_iteratorINS8_10device_ptrIfEEEESH_NS8_9null_typeESI_SI_SI_SI_SI_SI_SI_EEEENS9_21zip_adj_not_predicateI22is_equal_div_10_uniqueIfEEEEEPllNS8_4plusIlEEEE10hipError_tPvRmT1_T2_T3_mT4_P12ihipStream_tbEUlT_E0_NS1_11comp_targetILNS1_3genE4ELNS1_11target_archE910ELNS1_3gpuE8ELNS1_3repE0EEENS1_30default_config_static_selectorELNS0_4arch9wavefront6targetE1EEEvSW_,comdat
.Lfunc_end799:
	.size	_ZN7rocprim17ROCPRIM_400000_NS6detail17trampoline_kernelINS0_14default_configENS1_22reduce_config_selectorIlEEZNS1_11reduce_implILb1ES3_N6thrust23THRUST_200600_302600_NS11hip_rocprim26transform_input_iterator_tIlNS8_12zip_iteratorINS8_5tupleINS8_6detail15normal_iteratorINS8_10device_ptrIfEEEESH_NS8_9null_typeESI_SI_SI_SI_SI_SI_SI_EEEENS9_21zip_adj_not_predicateI22is_equal_div_10_uniqueIfEEEEEPllNS8_4plusIlEEEE10hipError_tPvRmT1_T2_T3_mT4_P12ihipStream_tbEUlT_E0_NS1_11comp_targetILNS1_3genE4ELNS1_11target_archE910ELNS1_3gpuE8ELNS1_3repE0EEENS1_30default_config_static_selectorELNS0_4arch9wavefront6targetE1EEEvSW_, .Lfunc_end799-_ZN7rocprim17ROCPRIM_400000_NS6detail17trampoline_kernelINS0_14default_configENS1_22reduce_config_selectorIlEEZNS1_11reduce_implILb1ES3_N6thrust23THRUST_200600_302600_NS11hip_rocprim26transform_input_iterator_tIlNS8_12zip_iteratorINS8_5tupleINS8_6detail15normal_iteratorINS8_10device_ptrIfEEEESH_NS8_9null_typeESI_SI_SI_SI_SI_SI_SI_EEEENS9_21zip_adj_not_predicateI22is_equal_div_10_uniqueIfEEEEEPllNS8_4plusIlEEEE10hipError_tPvRmT1_T2_T3_mT4_P12ihipStream_tbEUlT_E0_NS1_11comp_targetILNS1_3genE4ELNS1_11target_archE910ELNS1_3gpuE8ELNS1_3repE0EEENS1_30default_config_static_selectorELNS0_4arch9wavefront6targetE1EEEvSW_
                                        ; -- End function
	.set _ZN7rocprim17ROCPRIM_400000_NS6detail17trampoline_kernelINS0_14default_configENS1_22reduce_config_selectorIlEEZNS1_11reduce_implILb1ES3_N6thrust23THRUST_200600_302600_NS11hip_rocprim26transform_input_iterator_tIlNS8_12zip_iteratorINS8_5tupleINS8_6detail15normal_iteratorINS8_10device_ptrIfEEEESH_NS8_9null_typeESI_SI_SI_SI_SI_SI_SI_EEEENS9_21zip_adj_not_predicateI22is_equal_div_10_uniqueIfEEEEEPllNS8_4plusIlEEEE10hipError_tPvRmT1_T2_T3_mT4_P12ihipStream_tbEUlT_E0_NS1_11comp_targetILNS1_3genE4ELNS1_11target_archE910ELNS1_3gpuE8ELNS1_3repE0EEENS1_30default_config_static_selectorELNS0_4arch9wavefront6targetE1EEEvSW_.num_vgpr, 0
	.set _ZN7rocprim17ROCPRIM_400000_NS6detail17trampoline_kernelINS0_14default_configENS1_22reduce_config_selectorIlEEZNS1_11reduce_implILb1ES3_N6thrust23THRUST_200600_302600_NS11hip_rocprim26transform_input_iterator_tIlNS8_12zip_iteratorINS8_5tupleINS8_6detail15normal_iteratorINS8_10device_ptrIfEEEESH_NS8_9null_typeESI_SI_SI_SI_SI_SI_SI_EEEENS9_21zip_adj_not_predicateI22is_equal_div_10_uniqueIfEEEEEPllNS8_4plusIlEEEE10hipError_tPvRmT1_T2_T3_mT4_P12ihipStream_tbEUlT_E0_NS1_11comp_targetILNS1_3genE4ELNS1_11target_archE910ELNS1_3gpuE8ELNS1_3repE0EEENS1_30default_config_static_selectorELNS0_4arch9wavefront6targetE1EEEvSW_.num_agpr, 0
	.set _ZN7rocprim17ROCPRIM_400000_NS6detail17trampoline_kernelINS0_14default_configENS1_22reduce_config_selectorIlEEZNS1_11reduce_implILb1ES3_N6thrust23THRUST_200600_302600_NS11hip_rocprim26transform_input_iterator_tIlNS8_12zip_iteratorINS8_5tupleINS8_6detail15normal_iteratorINS8_10device_ptrIfEEEESH_NS8_9null_typeESI_SI_SI_SI_SI_SI_SI_EEEENS9_21zip_adj_not_predicateI22is_equal_div_10_uniqueIfEEEEEPllNS8_4plusIlEEEE10hipError_tPvRmT1_T2_T3_mT4_P12ihipStream_tbEUlT_E0_NS1_11comp_targetILNS1_3genE4ELNS1_11target_archE910ELNS1_3gpuE8ELNS1_3repE0EEENS1_30default_config_static_selectorELNS0_4arch9wavefront6targetE1EEEvSW_.numbered_sgpr, 0
	.set _ZN7rocprim17ROCPRIM_400000_NS6detail17trampoline_kernelINS0_14default_configENS1_22reduce_config_selectorIlEEZNS1_11reduce_implILb1ES3_N6thrust23THRUST_200600_302600_NS11hip_rocprim26transform_input_iterator_tIlNS8_12zip_iteratorINS8_5tupleINS8_6detail15normal_iteratorINS8_10device_ptrIfEEEESH_NS8_9null_typeESI_SI_SI_SI_SI_SI_SI_EEEENS9_21zip_adj_not_predicateI22is_equal_div_10_uniqueIfEEEEEPllNS8_4plusIlEEEE10hipError_tPvRmT1_T2_T3_mT4_P12ihipStream_tbEUlT_E0_NS1_11comp_targetILNS1_3genE4ELNS1_11target_archE910ELNS1_3gpuE8ELNS1_3repE0EEENS1_30default_config_static_selectorELNS0_4arch9wavefront6targetE1EEEvSW_.num_named_barrier, 0
	.set _ZN7rocprim17ROCPRIM_400000_NS6detail17trampoline_kernelINS0_14default_configENS1_22reduce_config_selectorIlEEZNS1_11reduce_implILb1ES3_N6thrust23THRUST_200600_302600_NS11hip_rocprim26transform_input_iterator_tIlNS8_12zip_iteratorINS8_5tupleINS8_6detail15normal_iteratorINS8_10device_ptrIfEEEESH_NS8_9null_typeESI_SI_SI_SI_SI_SI_SI_EEEENS9_21zip_adj_not_predicateI22is_equal_div_10_uniqueIfEEEEEPllNS8_4plusIlEEEE10hipError_tPvRmT1_T2_T3_mT4_P12ihipStream_tbEUlT_E0_NS1_11comp_targetILNS1_3genE4ELNS1_11target_archE910ELNS1_3gpuE8ELNS1_3repE0EEENS1_30default_config_static_selectorELNS0_4arch9wavefront6targetE1EEEvSW_.private_seg_size, 0
	.set _ZN7rocprim17ROCPRIM_400000_NS6detail17trampoline_kernelINS0_14default_configENS1_22reduce_config_selectorIlEEZNS1_11reduce_implILb1ES3_N6thrust23THRUST_200600_302600_NS11hip_rocprim26transform_input_iterator_tIlNS8_12zip_iteratorINS8_5tupleINS8_6detail15normal_iteratorINS8_10device_ptrIfEEEESH_NS8_9null_typeESI_SI_SI_SI_SI_SI_SI_EEEENS9_21zip_adj_not_predicateI22is_equal_div_10_uniqueIfEEEEEPllNS8_4plusIlEEEE10hipError_tPvRmT1_T2_T3_mT4_P12ihipStream_tbEUlT_E0_NS1_11comp_targetILNS1_3genE4ELNS1_11target_archE910ELNS1_3gpuE8ELNS1_3repE0EEENS1_30default_config_static_selectorELNS0_4arch9wavefront6targetE1EEEvSW_.uses_vcc, 0
	.set _ZN7rocprim17ROCPRIM_400000_NS6detail17trampoline_kernelINS0_14default_configENS1_22reduce_config_selectorIlEEZNS1_11reduce_implILb1ES3_N6thrust23THRUST_200600_302600_NS11hip_rocprim26transform_input_iterator_tIlNS8_12zip_iteratorINS8_5tupleINS8_6detail15normal_iteratorINS8_10device_ptrIfEEEESH_NS8_9null_typeESI_SI_SI_SI_SI_SI_SI_EEEENS9_21zip_adj_not_predicateI22is_equal_div_10_uniqueIfEEEEEPllNS8_4plusIlEEEE10hipError_tPvRmT1_T2_T3_mT4_P12ihipStream_tbEUlT_E0_NS1_11comp_targetILNS1_3genE4ELNS1_11target_archE910ELNS1_3gpuE8ELNS1_3repE0EEENS1_30default_config_static_selectorELNS0_4arch9wavefront6targetE1EEEvSW_.uses_flat_scratch, 0
	.set _ZN7rocprim17ROCPRIM_400000_NS6detail17trampoline_kernelINS0_14default_configENS1_22reduce_config_selectorIlEEZNS1_11reduce_implILb1ES3_N6thrust23THRUST_200600_302600_NS11hip_rocprim26transform_input_iterator_tIlNS8_12zip_iteratorINS8_5tupleINS8_6detail15normal_iteratorINS8_10device_ptrIfEEEESH_NS8_9null_typeESI_SI_SI_SI_SI_SI_SI_EEEENS9_21zip_adj_not_predicateI22is_equal_div_10_uniqueIfEEEEEPllNS8_4plusIlEEEE10hipError_tPvRmT1_T2_T3_mT4_P12ihipStream_tbEUlT_E0_NS1_11comp_targetILNS1_3genE4ELNS1_11target_archE910ELNS1_3gpuE8ELNS1_3repE0EEENS1_30default_config_static_selectorELNS0_4arch9wavefront6targetE1EEEvSW_.has_dyn_sized_stack, 0
	.set _ZN7rocprim17ROCPRIM_400000_NS6detail17trampoline_kernelINS0_14default_configENS1_22reduce_config_selectorIlEEZNS1_11reduce_implILb1ES3_N6thrust23THRUST_200600_302600_NS11hip_rocprim26transform_input_iterator_tIlNS8_12zip_iteratorINS8_5tupleINS8_6detail15normal_iteratorINS8_10device_ptrIfEEEESH_NS8_9null_typeESI_SI_SI_SI_SI_SI_SI_EEEENS9_21zip_adj_not_predicateI22is_equal_div_10_uniqueIfEEEEEPllNS8_4plusIlEEEE10hipError_tPvRmT1_T2_T3_mT4_P12ihipStream_tbEUlT_E0_NS1_11comp_targetILNS1_3genE4ELNS1_11target_archE910ELNS1_3gpuE8ELNS1_3repE0EEENS1_30default_config_static_selectorELNS0_4arch9wavefront6targetE1EEEvSW_.has_recursion, 0
	.set _ZN7rocprim17ROCPRIM_400000_NS6detail17trampoline_kernelINS0_14default_configENS1_22reduce_config_selectorIlEEZNS1_11reduce_implILb1ES3_N6thrust23THRUST_200600_302600_NS11hip_rocprim26transform_input_iterator_tIlNS8_12zip_iteratorINS8_5tupleINS8_6detail15normal_iteratorINS8_10device_ptrIfEEEESH_NS8_9null_typeESI_SI_SI_SI_SI_SI_SI_EEEENS9_21zip_adj_not_predicateI22is_equal_div_10_uniqueIfEEEEEPllNS8_4plusIlEEEE10hipError_tPvRmT1_T2_T3_mT4_P12ihipStream_tbEUlT_E0_NS1_11comp_targetILNS1_3genE4ELNS1_11target_archE910ELNS1_3gpuE8ELNS1_3repE0EEENS1_30default_config_static_selectorELNS0_4arch9wavefront6targetE1EEEvSW_.has_indirect_call, 0
	.section	.AMDGPU.csdata,"",@progbits
; Kernel info:
; codeLenInByte = 0
; TotalNumSgprs: 4
; NumVgprs: 0
; ScratchSize: 0
; MemoryBound: 0
; FloatMode: 240
; IeeeMode: 1
; LDSByteSize: 0 bytes/workgroup (compile time only)
; SGPRBlocks: 0
; VGPRBlocks: 0
; NumSGPRsForWavesPerEU: 4
; NumVGPRsForWavesPerEU: 1
; Occupancy: 10
; WaveLimiterHint : 0
; COMPUTE_PGM_RSRC2:SCRATCH_EN: 0
; COMPUTE_PGM_RSRC2:USER_SGPR: 6
; COMPUTE_PGM_RSRC2:TRAP_HANDLER: 0
; COMPUTE_PGM_RSRC2:TGID_X_EN: 1
; COMPUTE_PGM_RSRC2:TGID_Y_EN: 0
; COMPUTE_PGM_RSRC2:TGID_Z_EN: 0
; COMPUTE_PGM_RSRC2:TIDIG_COMP_CNT: 0
	.section	.text._ZN7rocprim17ROCPRIM_400000_NS6detail17trampoline_kernelINS0_14default_configENS1_22reduce_config_selectorIlEEZNS1_11reduce_implILb1ES3_N6thrust23THRUST_200600_302600_NS11hip_rocprim26transform_input_iterator_tIlNS8_12zip_iteratorINS8_5tupleINS8_6detail15normal_iteratorINS8_10device_ptrIfEEEESH_NS8_9null_typeESI_SI_SI_SI_SI_SI_SI_EEEENS9_21zip_adj_not_predicateI22is_equal_div_10_uniqueIfEEEEEPllNS8_4plusIlEEEE10hipError_tPvRmT1_T2_T3_mT4_P12ihipStream_tbEUlT_E0_NS1_11comp_targetILNS1_3genE3ELNS1_11target_archE908ELNS1_3gpuE7ELNS1_3repE0EEENS1_30default_config_static_selectorELNS0_4arch9wavefront6targetE1EEEvSW_,"axG",@progbits,_ZN7rocprim17ROCPRIM_400000_NS6detail17trampoline_kernelINS0_14default_configENS1_22reduce_config_selectorIlEEZNS1_11reduce_implILb1ES3_N6thrust23THRUST_200600_302600_NS11hip_rocprim26transform_input_iterator_tIlNS8_12zip_iteratorINS8_5tupleINS8_6detail15normal_iteratorINS8_10device_ptrIfEEEESH_NS8_9null_typeESI_SI_SI_SI_SI_SI_SI_EEEENS9_21zip_adj_not_predicateI22is_equal_div_10_uniqueIfEEEEEPllNS8_4plusIlEEEE10hipError_tPvRmT1_T2_T3_mT4_P12ihipStream_tbEUlT_E0_NS1_11comp_targetILNS1_3genE3ELNS1_11target_archE908ELNS1_3gpuE7ELNS1_3repE0EEENS1_30default_config_static_selectorELNS0_4arch9wavefront6targetE1EEEvSW_,comdat
	.protected	_ZN7rocprim17ROCPRIM_400000_NS6detail17trampoline_kernelINS0_14default_configENS1_22reduce_config_selectorIlEEZNS1_11reduce_implILb1ES3_N6thrust23THRUST_200600_302600_NS11hip_rocprim26transform_input_iterator_tIlNS8_12zip_iteratorINS8_5tupleINS8_6detail15normal_iteratorINS8_10device_ptrIfEEEESH_NS8_9null_typeESI_SI_SI_SI_SI_SI_SI_EEEENS9_21zip_adj_not_predicateI22is_equal_div_10_uniqueIfEEEEEPllNS8_4plusIlEEEE10hipError_tPvRmT1_T2_T3_mT4_P12ihipStream_tbEUlT_E0_NS1_11comp_targetILNS1_3genE3ELNS1_11target_archE908ELNS1_3gpuE7ELNS1_3repE0EEENS1_30default_config_static_selectorELNS0_4arch9wavefront6targetE1EEEvSW_ ; -- Begin function _ZN7rocprim17ROCPRIM_400000_NS6detail17trampoline_kernelINS0_14default_configENS1_22reduce_config_selectorIlEEZNS1_11reduce_implILb1ES3_N6thrust23THRUST_200600_302600_NS11hip_rocprim26transform_input_iterator_tIlNS8_12zip_iteratorINS8_5tupleINS8_6detail15normal_iteratorINS8_10device_ptrIfEEEESH_NS8_9null_typeESI_SI_SI_SI_SI_SI_SI_EEEENS9_21zip_adj_not_predicateI22is_equal_div_10_uniqueIfEEEEEPllNS8_4plusIlEEEE10hipError_tPvRmT1_T2_T3_mT4_P12ihipStream_tbEUlT_E0_NS1_11comp_targetILNS1_3genE3ELNS1_11target_archE908ELNS1_3gpuE7ELNS1_3repE0EEENS1_30default_config_static_selectorELNS0_4arch9wavefront6targetE1EEEvSW_
	.globl	_ZN7rocprim17ROCPRIM_400000_NS6detail17trampoline_kernelINS0_14default_configENS1_22reduce_config_selectorIlEEZNS1_11reduce_implILb1ES3_N6thrust23THRUST_200600_302600_NS11hip_rocprim26transform_input_iterator_tIlNS8_12zip_iteratorINS8_5tupleINS8_6detail15normal_iteratorINS8_10device_ptrIfEEEESH_NS8_9null_typeESI_SI_SI_SI_SI_SI_SI_EEEENS9_21zip_adj_not_predicateI22is_equal_div_10_uniqueIfEEEEEPllNS8_4plusIlEEEE10hipError_tPvRmT1_T2_T3_mT4_P12ihipStream_tbEUlT_E0_NS1_11comp_targetILNS1_3genE3ELNS1_11target_archE908ELNS1_3gpuE7ELNS1_3repE0EEENS1_30default_config_static_selectorELNS0_4arch9wavefront6targetE1EEEvSW_
	.p2align	8
	.type	_ZN7rocprim17ROCPRIM_400000_NS6detail17trampoline_kernelINS0_14default_configENS1_22reduce_config_selectorIlEEZNS1_11reduce_implILb1ES3_N6thrust23THRUST_200600_302600_NS11hip_rocprim26transform_input_iterator_tIlNS8_12zip_iteratorINS8_5tupleINS8_6detail15normal_iteratorINS8_10device_ptrIfEEEESH_NS8_9null_typeESI_SI_SI_SI_SI_SI_SI_EEEENS9_21zip_adj_not_predicateI22is_equal_div_10_uniqueIfEEEEEPllNS8_4plusIlEEEE10hipError_tPvRmT1_T2_T3_mT4_P12ihipStream_tbEUlT_E0_NS1_11comp_targetILNS1_3genE3ELNS1_11target_archE908ELNS1_3gpuE7ELNS1_3repE0EEENS1_30default_config_static_selectorELNS0_4arch9wavefront6targetE1EEEvSW_,@function
_ZN7rocprim17ROCPRIM_400000_NS6detail17trampoline_kernelINS0_14default_configENS1_22reduce_config_selectorIlEEZNS1_11reduce_implILb1ES3_N6thrust23THRUST_200600_302600_NS11hip_rocprim26transform_input_iterator_tIlNS8_12zip_iteratorINS8_5tupleINS8_6detail15normal_iteratorINS8_10device_ptrIfEEEESH_NS8_9null_typeESI_SI_SI_SI_SI_SI_SI_EEEENS9_21zip_adj_not_predicateI22is_equal_div_10_uniqueIfEEEEEPllNS8_4plusIlEEEE10hipError_tPvRmT1_T2_T3_mT4_P12ihipStream_tbEUlT_E0_NS1_11comp_targetILNS1_3genE3ELNS1_11target_archE908ELNS1_3gpuE7ELNS1_3repE0EEENS1_30default_config_static_selectorELNS0_4arch9wavefront6targetE1EEEvSW_: ; @_ZN7rocprim17ROCPRIM_400000_NS6detail17trampoline_kernelINS0_14default_configENS1_22reduce_config_selectorIlEEZNS1_11reduce_implILb1ES3_N6thrust23THRUST_200600_302600_NS11hip_rocprim26transform_input_iterator_tIlNS8_12zip_iteratorINS8_5tupleINS8_6detail15normal_iteratorINS8_10device_ptrIfEEEESH_NS8_9null_typeESI_SI_SI_SI_SI_SI_SI_EEEENS9_21zip_adj_not_predicateI22is_equal_div_10_uniqueIfEEEEEPllNS8_4plusIlEEEE10hipError_tPvRmT1_T2_T3_mT4_P12ihipStream_tbEUlT_E0_NS1_11comp_targetILNS1_3genE3ELNS1_11target_archE908ELNS1_3gpuE7ELNS1_3repE0EEENS1_30default_config_static_selectorELNS0_4arch9wavefront6targetE1EEEvSW_
; %bb.0:
	.section	.rodata,"a",@progbits
	.p2align	6, 0x0
	.amdhsa_kernel _ZN7rocprim17ROCPRIM_400000_NS6detail17trampoline_kernelINS0_14default_configENS1_22reduce_config_selectorIlEEZNS1_11reduce_implILb1ES3_N6thrust23THRUST_200600_302600_NS11hip_rocprim26transform_input_iterator_tIlNS8_12zip_iteratorINS8_5tupleINS8_6detail15normal_iteratorINS8_10device_ptrIfEEEESH_NS8_9null_typeESI_SI_SI_SI_SI_SI_SI_EEEENS9_21zip_adj_not_predicateI22is_equal_div_10_uniqueIfEEEEEPllNS8_4plusIlEEEE10hipError_tPvRmT1_T2_T3_mT4_P12ihipStream_tbEUlT_E0_NS1_11comp_targetILNS1_3genE3ELNS1_11target_archE908ELNS1_3gpuE7ELNS1_3repE0EEENS1_30default_config_static_selectorELNS0_4arch9wavefront6targetE1EEEvSW_
		.amdhsa_group_segment_fixed_size 0
		.amdhsa_private_segment_fixed_size 0
		.amdhsa_kernarg_size 80
		.amdhsa_user_sgpr_count 6
		.amdhsa_user_sgpr_private_segment_buffer 1
		.amdhsa_user_sgpr_dispatch_ptr 0
		.amdhsa_user_sgpr_queue_ptr 0
		.amdhsa_user_sgpr_kernarg_segment_ptr 1
		.amdhsa_user_sgpr_dispatch_id 0
		.amdhsa_user_sgpr_flat_scratch_init 0
		.amdhsa_user_sgpr_private_segment_size 0
		.amdhsa_uses_dynamic_stack 0
		.amdhsa_system_sgpr_private_segment_wavefront_offset 0
		.amdhsa_system_sgpr_workgroup_id_x 1
		.amdhsa_system_sgpr_workgroup_id_y 0
		.amdhsa_system_sgpr_workgroup_id_z 0
		.amdhsa_system_sgpr_workgroup_info 0
		.amdhsa_system_vgpr_workitem_id 0
		.amdhsa_next_free_vgpr 1
		.amdhsa_next_free_sgpr 0
		.amdhsa_reserve_vcc 0
		.amdhsa_reserve_flat_scratch 0
		.amdhsa_float_round_mode_32 0
		.amdhsa_float_round_mode_16_64 0
		.amdhsa_float_denorm_mode_32 3
		.amdhsa_float_denorm_mode_16_64 3
		.amdhsa_dx10_clamp 1
		.amdhsa_ieee_mode 1
		.amdhsa_fp16_overflow 0
		.amdhsa_exception_fp_ieee_invalid_op 0
		.amdhsa_exception_fp_denorm_src 0
		.amdhsa_exception_fp_ieee_div_zero 0
		.amdhsa_exception_fp_ieee_overflow 0
		.amdhsa_exception_fp_ieee_underflow 0
		.amdhsa_exception_fp_ieee_inexact 0
		.amdhsa_exception_int_div_zero 0
	.end_amdhsa_kernel
	.section	.text._ZN7rocprim17ROCPRIM_400000_NS6detail17trampoline_kernelINS0_14default_configENS1_22reduce_config_selectorIlEEZNS1_11reduce_implILb1ES3_N6thrust23THRUST_200600_302600_NS11hip_rocprim26transform_input_iterator_tIlNS8_12zip_iteratorINS8_5tupleINS8_6detail15normal_iteratorINS8_10device_ptrIfEEEESH_NS8_9null_typeESI_SI_SI_SI_SI_SI_SI_EEEENS9_21zip_adj_not_predicateI22is_equal_div_10_uniqueIfEEEEEPllNS8_4plusIlEEEE10hipError_tPvRmT1_T2_T3_mT4_P12ihipStream_tbEUlT_E0_NS1_11comp_targetILNS1_3genE3ELNS1_11target_archE908ELNS1_3gpuE7ELNS1_3repE0EEENS1_30default_config_static_selectorELNS0_4arch9wavefront6targetE1EEEvSW_,"axG",@progbits,_ZN7rocprim17ROCPRIM_400000_NS6detail17trampoline_kernelINS0_14default_configENS1_22reduce_config_selectorIlEEZNS1_11reduce_implILb1ES3_N6thrust23THRUST_200600_302600_NS11hip_rocprim26transform_input_iterator_tIlNS8_12zip_iteratorINS8_5tupleINS8_6detail15normal_iteratorINS8_10device_ptrIfEEEESH_NS8_9null_typeESI_SI_SI_SI_SI_SI_SI_EEEENS9_21zip_adj_not_predicateI22is_equal_div_10_uniqueIfEEEEEPllNS8_4plusIlEEEE10hipError_tPvRmT1_T2_T3_mT4_P12ihipStream_tbEUlT_E0_NS1_11comp_targetILNS1_3genE3ELNS1_11target_archE908ELNS1_3gpuE7ELNS1_3repE0EEENS1_30default_config_static_selectorELNS0_4arch9wavefront6targetE1EEEvSW_,comdat
.Lfunc_end800:
	.size	_ZN7rocprim17ROCPRIM_400000_NS6detail17trampoline_kernelINS0_14default_configENS1_22reduce_config_selectorIlEEZNS1_11reduce_implILb1ES3_N6thrust23THRUST_200600_302600_NS11hip_rocprim26transform_input_iterator_tIlNS8_12zip_iteratorINS8_5tupleINS8_6detail15normal_iteratorINS8_10device_ptrIfEEEESH_NS8_9null_typeESI_SI_SI_SI_SI_SI_SI_EEEENS9_21zip_adj_not_predicateI22is_equal_div_10_uniqueIfEEEEEPllNS8_4plusIlEEEE10hipError_tPvRmT1_T2_T3_mT4_P12ihipStream_tbEUlT_E0_NS1_11comp_targetILNS1_3genE3ELNS1_11target_archE908ELNS1_3gpuE7ELNS1_3repE0EEENS1_30default_config_static_selectorELNS0_4arch9wavefront6targetE1EEEvSW_, .Lfunc_end800-_ZN7rocprim17ROCPRIM_400000_NS6detail17trampoline_kernelINS0_14default_configENS1_22reduce_config_selectorIlEEZNS1_11reduce_implILb1ES3_N6thrust23THRUST_200600_302600_NS11hip_rocprim26transform_input_iterator_tIlNS8_12zip_iteratorINS8_5tupleINS8_6detail15normal_iteratorINS8_10device_ptrIfEEEESH_NS8_9null_typeESI_SI_SI_SI_SI_SI_SI_EEEENS9_21zip_adj_not_predicateI22is_equal_div_10_uniqueIfEEEEEPllNS8_4plusIlEEEE10hipError_tPvRmT1_T2_T3_mT4_P12ihipStream_tbEUlT_E0_NS1_11comp_targetILNS1_3genE3ELNS1_11target_archE908ELNS1_3gpuE7ELNS1_3repE0EEENS1_30default_config_static_selectorELNS0_4arch9wavefront6targetE1EEEvSW_
                                        ; -- End function
	.set _ZN7rocprim17ROCPRIM_400000_NS6detail17trampoline_kernelINS0_14default_configENS1_22reduce_config_selectorIlEEZNS1_11reduce_implILb1ES3_N6thrust23THRUST_200600_302600_NS11hip_rocprim26transform_input_iterator_tIlNS8_12zip_iteratorINS8_5tupleINS8_6detail15normal_iteratorINS8_10device_ptrIfEEEESH_NS8_9null_typeESI_SI_SI_SI_SI_SI_SI_EEEENS9_21zip_adj_not_predicateI22is_equal_div_10_uniqueIfEEEEEPllNS8_4plusIlEEEE10hipError_tPvRmT1_T2_T3_mT4_P12ihipStream_tbEUlT_E0_NS1_11comp_targetILNS1_3genE3ELNS1_11target_archE908ELNS1_3gpuE7ELNS1_3repE0EEENS1_30default_config_static_selectorELNS0_4arch9wavefront6targetE1EEEvSW_.num_vgpr, 0
	.set _ZN7rocprim17ROCPRIM_400000_NS6detail17trampoline_kernelINS0_14default_configENS1_22reduce_config_selectorIlEEZNS1_11reduce_implILb1ES3_N6thrust23THRUST_200600_302600_NS11hip_rocprim26transform_input_iterator_tIlNS8_12zip_iteratorINS8_5tupleINS8_6detail15normal_iteratorINS8_10device_ptrIfEEEESH_NS8_9null_typeESI_SI_SI_SI_SI_SI_SI_EEEENS9_21zip_adj_not_predicateI22is_equal_div_10_uniqueIfEEEEEPllNS8_4plusIlEEEE10hipError_tPvRmT1_T2_T3_mT4_P12ihipStream_tbEUlT_E0_NS1_11comp_targetILNS1_3genE3ELNS1_11target_archE908ELNS1_3gpuE7ELNS1_3repE0EEENS1_30default_config_static_selectorELNS0_4arch9wavefront6targetE1EEEvSW_.num_agpr, 0
	.set _ZN7rocprim17ROCPRIM_400000_NS6detail17trampoline_kernelINS0_14default_configENS1_22reduce_config_selectorIlEEZNS1_11reduce_implILb1ES3_N6thrust23THRUST_200600_302600_NS11hip_rocprim26transform_input_iterator_tIlNS8_12zip_iteratorINS8_5tupleINS8_6detail15normal_iteratorINS8_10device_ptrIfEEEESH_NS8_9null_typeESI_SI_SI_SI_SI_SI_SI_EEEENS9_21zip_adj_not_predicateI22is_equal_div_10_uniqueIfEEEEEPllNS8_4plusIlEEEE10hipError_tPvRmT1_T2_T3_mT4_P12ihipStream_tbEUlT_E0_NS1_11comp_targetILNS1_3genE3ELNS1_11target_archE908ELNS1_3gpuE7ELNS1_3repE0EEENS1_30default_config_static_selectorELNS0_4arch9wavefront6targetE1EEEvSW_.numbered_sgpr, 0
	.set _ZN7rocprim17ROCPRIM_400000_NS6detail17trampoline_kernelINS0_14default_configENS1_22reduce_config_selectorIlEEZNS1_11reduce_implILb1ES3_N6thrust23THRUST_200600_302600_NS11hip_rocprim26transform_input_iterator_tIlNS8_12zip_iteratorINS8_5tupleINS8_6detail15normal_iteratorINS8_10device_ptrIfEEEESH_NS8_9null_typeESI_SI_SI_SI_SI_SI_SI_EEEENS9_21zip_adj_not_predicateI22is_equal_div_10_uniqueIfEEEEEPllNS8_4plusIlEEEE10hipError_tPvRmT1_T2_T3_mT4_P12ihipStream_tbEUlT_E0_NS1_11comp_targetILNS1_3genE3ELNS1_11target_archE908ELNS1_3gpuE7ELNS1_3repE0EEENS1_30default_config_static_selectorELNS0_4arch9wavefront6targetE1EEEvSW_.num_named_barrier, 0
	.set _ZN7rocprim17ROCPRIM_400000_NS6detail17trampoline_kernelINS0_14default_configENS1_22reduce_config_selectorIlEEZNS1_11reduce_implILb1ES3_N6thrust23THRUST_200600_302600_NS11hip_rocprim26transform_input_iterator_tIlNS8_12zip_iteratorINS8_5tupleINS8_6detail15normal_iteratorINS8_10device_ptrIfEEEESH_NS8_9null_typeESI_SI_SI_SI_SI_SI_SI_EEEENS9_21zip_adj_not_predicateI22is_equal_div_10_uniqueIfEEEEEPllNS8_4plusIlEEEE10hipError_tPvRmT1_T2_T3_mT4_P12ihipStream_tbEUlT_E0_NS1_11comp_targetILNS1_3genE3ELNS1_11target_archE908ELNS1_3gpuE7ELNS1_3repE0EEENS1_30default_config_static_selectorELNS0_4arch9wavefront6targetE1EEEvSW_.private_seg_size, 0
	.set _ZN7rocprim17ROCPRIM_400000_NS6detail17trampoline_kernelINS0_14default_configENS1_22reduce_config_selectorIlEEZNS1_11reduce_implILb1ES3_N6thrust23THRUST_200600_302600_NS11hip_rocprim26transform_input_iterator_tIlNS8_12zip_iteratorINS8_5tupleINS8_6detail15normal_iteratorINS8_10device_ptrIfEEEESH_NS8_9null_typeESI_SI_SI_SI_SI_SI_SI_EEEENS9_21zip_adj_not_predicateI22is_equal_div_10_uniqueIfEEEEEPllNS8_4plusIlEEEE10hipError_tPvRmT1_T2_T3_mT4_P12ihipStream_tbEUlT_E0_NS1_11comp_targetILNS1_3genE3ELNS1_11target_archE908ELNS1_3gpuE7ELNS1_3repE0EEENS1_30default_config_static_selectorELNS0_4arch9wavefront6targetE1EEEvSW_.uses_vcc, 0
	.set _ZN7rocprim17ROCPRIM_400000_NS6detail17trampoline_kernelINS0_14default_configENS1_22reduce_config_selectorIlEEZNS1_11reduce_implILb1ES3_N6thrust23THRUST_200600_302600_NS11hip_rocprim26transform_input_iterator_tIlNS8_12zip_iteratorINS8_5tupleINS8_6detail15normal_iteratorINS8_10device_ptrIfEEEESH_NS8_9null_typeESI_SI_SI_SI_SI_SI_SI_EEEENS9_21zip_adj_not_predicateI22is_equal_div_10_uniqueIfEEEEEPllNS8_4plusIlEEEE10hipError_tPvRmT1_T2_T3_mT4_P12ihipStream_tbEUlT_E0_NS1_11comp_targetILNS1_3genE3ELNS1_11target_archE908ELNS1_3gpuE7ELNS1_3repE0EEENS1_30default_config_static_selectorELNS0_4arch9wavefront6targetE1EEEvSW_.uses_flat_scratch, 0
	.set _ZN7rocprim17ROCPRIM_400000_NS6detail17trampoline_kernelINS0_14default_configENS1_22reduce_config_selectorIlEEZNS1_11reduce_implILb1ES3_N6thrust23THRUST_200600_302600_NS11hip_rocprim26transform_input_iterator_tIlNS8_12zip_iteratorINS8_5tupleINS8_6detail15normal_iteratorINS8_10device_ptrIfEEEESH_NS8_9null_typeESI_SI_SI_SI_SI_SI_SI_EEEENS9_21zip_adj_not_predicateI22is_equal_div_10_uniqueIfEEEEEPllNS8_4plusIlEEEE10hipError_tPvRmT1_T2_T3_mT4_P12ihipStream_tbEUlT_E0_NS1_11comp_targetILNS1_3genE3ELNS1_11target_archE908ELNS1_3gpuE7ELNS1_3repE0EEENS1_30default_config_static_selectorELNS0_4arch9wavefront6targetE1EEEvSW_.has_dyn_sized_stack, 0
	.set _ZN7rocprim17ROCPRIM_400000_NS6detail17trampoline_kernelINS0_14default_configENS1_22reduce_config_selectorIlEEZNS1_11reduce_implILb1ES3_N6thrust23THRUST_200600_302600_NS11hip_rocprim26transform_input_iterator_tIlNS8_12zip_iteratorINS8_5tupleINS8_6detail15normal_iteratorINS8_10device_ptrIfEEEESH_NS8_9null_typeESI_SI_SI_SI_SI_SI_SI_EEEENS9_21zip_adj_not_predicateI22is_equal_div_10_uniqueIfEEEEEPllNS8_4plusIlEEEE10hipError_tPvRmT1_T2_T3_mT4_P12ihipStream_tbEUlT_E0_NS1_11comp_targetILNS1_3genE3ELNS1_11target_archE908ELNS1_3gpuE7ELNS1_3repE0EEENS1_30default_config_static_selectorELNS0_4arch9wavefront6targetE1EEEvSW_.has_recursion, 0
	.set _ZN7rocprim17ROCPRIM_400000_NS6detail17trampoline_kernelINS0_14default_configENS1_22reduce_config_selectorIlEEZNS1_11reduce_implILb1ES3_N6thrust23THRUST_200600_302600_NS11hip_rocprim26transform_input_iterator_tIlNS8_12zip_iteratorINS8_5tupleINS8_6detail15normal_iteratorINS8_10device_ptrIfEEEESH_NS8_9null_typeESI_SI_SI_SI_SI_SI_SI_EEEENS9_21zip_adj_not_predicateI22is_equal_div_10_uniqueIfEEEEEPllNS8_4plusIlEEEE10hipError_tPvRmT1_T2_T3_mT4_P12ihipStream_tbEUlT_E0_NS1_11comp_targetILNS1_3genE3ELNS1_11target_archE908ELNS1_3gpuE7ELNS1_3repE0EEENS1_30default_config_static_selectorELNS0_4arch9wavefront6targetE1EEEvSW_.has_indirect_call, 0
	.section	.AMDGPU.csdata,"",@progbits
; Kernel info:
; codeLenInByte = 0
; TotalNumSgprs: 4
; NumVgprs: 0
; ScratchSize: 0
; MemoryBound: 0
; FloatMode: 240
; IeeeMode: 1
; LDSByteSize: 0 bytes/workgroup (compile time only)
; SGPRBlocks: 0
; VGPRBlocks: 0
; NumSGPRsForWavesPerEU: 4
; NumVGPRsForWavesPerEU: 1
; Occupancy: 10
; WaveLimiterHint : 0
; COMPUTE_PGM_RSRC2:SCRATCH_EN: 0
; COMPUTE_PGM_RSRC2:USER_SGPR: 6
; COMPUTE_PGM_RSRC2:TRAP_HANDLER: 0
; COMPUTE_PGM_RSRC2:TGID_X_EN: 1
; COMPUTE_PGM_RSRC2:TGID_Y_EN: 0
; COMPUTE_PGM_RSRC2:TGID_Z_EN: 0
; COMPUTE_PGM_RSRC2:TIDIG_COMP_CNT: 0
	.section	.text._ZN7rocprim17ROCPRIM_400000_NS6detail17trampoline_kernelINS0_14default_configENS1_22reduce_config_selectorIlEEZNS1_11reduce_implILb1ES3_N6thrust23THRUST_200600_302600_NS11hip_rocprim26transform_input_iterator_tIlNS8_12zip_iteratorINS8_5tupleINS8_6detail15normal_iteratorINS8_10device_ptrIfEEEESH_NS8_9null_typeESI_SI_SI_SI_SI_SI_SI_EEEENS9_21zip_adj_not_predicateI22is_equal_div_10_uniqueIfEEEEEPllNS8_4plusIlEEEE10hipError_tPvRmT1_T2_T3_mT4_P12ihipStream_tbEUlT_E0_NS1_11comp_targetILNS1_3genE2ELNS1_11target_archE906ELNS1_3gpuE6ELNS1_3repE0EEENS1_30default_config_static_selectorELNS0_4arch9wavefront6targetE1EEEvSW_,"axG",@progbits,_ZN7rocprim17ROCPRIM_400000_NS6detail17trampoline_kernelINS0_14default_configENS1_22reduce_config_selectorIlEEZNS1_11reduce_implILb1ES3_N6thrust23THRUST_200600_302600_NS11hip_rocprim26transform_input_iterator_tIlNS8_12zip_iteratorINS8_5tupleINS8_6detail15normal_iteratorINS8_10device_ptrIfEEEESH_NS8_9null_typeESI_SI_SI_SI_SI_SI_SI_EEEENS9_21zip_adj_not_predicateI22is_equal_div_10_uniqueIfEEEEEPllNS8_4plusIlEEEE10hipError_tPvRmT1_T2_T3_mT4_P12ihipStream_tbEUlT_E0_NS1_11comp_targetILNS1_3genE2ELNS1_11target_archE906ELNS1_3gpuE6ELNS1_3repE0EEENS1_30default_config_static_selectorELNS0_4arch9wavefront6targetE1EEEvSW_,comdat
	.protected	_ZN7rocprim17ROCPRIM_400000_NS6detail17trampoline_kernelINS0_14default_configENS1_22reduce_config_selectorIlEEZNS1_11reduce_implILb1ES3_N6thrust23THRUST_200600_302600_NS11hip_rocprim26transform_input_iterator_tIlNS8_12zip_iteratorINS8_5tupleINS8_6detail15normal_iteratorINS8_10device_ptrIfEEEESH_NS8_9null_typeESI_SI_SI_SI_SI_SI_SI_EEEENS9_21zip_adj_not_predicateI22is_equal_div_10_uniqueIfEEEEEPllNS8_4plusIlEEEE10hipError_tPvRmT1_T2_T3_mT4_P12ihipStream_tbEUlT_E0_NS1_11comp_targetILNS1_3genE2ELNS1_11target_archE906ELNS1_3gpuE6ELNS1_3repE0EEENS1_30default_config_static_selectorELNS0_4arch9wavefront6targetE1EEEvSW_ ; -- Begin function _ZN7rocprim17ROCPRIM_400000_NS6detail17trampoline_kernelINS0_14default_configENS1_22reduce_config_selectorIlEEZNS1_11reduce_implILb1ES3_N6thrust23THRUST_200600_302600_NS11hip_rocprim26transform_input_iterator_tIlNS8_12zip_iteratorINS8_5tupleINS8_6detail15normal_iteratorINS8_10device_ptrIfEEEESH_NS8_9null_typeESI_SI_SI_SI_SI_SI_SI_EEEENS9_21zip_adj_not_predicateI22is_equal_div_10_uniqueIfEEEEEPllNS8_4plusIlEEEE10hipError_tPvRmT1_T2_T3_mT4_P12ihipStream_tbEUlT_E0_NS1_11comp_targetILNS1_3genE2ELNS1_11target_archE906ELNS1_3gpuE6ELNS1_3repE0EEENS1_30default_config_static_selectorELNS0_4arch9wavefront6targetE1EEEvSW_
	.globl	_ZN7rocprim17ROCPRIM_400000_NS6detail17trampoline_kernelINS0_14default_configENS1_22reduce_config_selectorIlEEZNS1_11reduce_implILb1ES3_N6thrust23THRUST_200600_302600_NS11hip_rocprim26transform_input_iterator_tIlNS8_12zip_iteratorINS8_5tupleINS8_6detail15normal_iteratorINS8_10device_ptrIfEEEESH_NS8_9null_typeESI_SI_SI_SI_SI_SI_SI_EEEENS9_21zip_adj_not_predicateI22is_equal_div_10_uniqueIfEEEEEPllNS8_4plusIlEEEE10hipError_tPvRmT1_T2_T3_mT4_P12ihipStream_tbEUlT_E0_NS1_11comp_targetILNS1_3genE2ELNS1_11target_archE906ELNS1_3gpuE6ELNS1_3repE0EEENS1_30default_config_static_selectorELNS0_4arch9wavefront6targetE1EEEvSW_
	.p2align	8
	.type	_ZN7rocprim17ROCPRIM_400000_NS6detail17trampoline_kernelINS0_14default_configENS1_22reduce_config_selectorIlEEZNS1_11reduce_implILb1ES3_N6thrust23THRUST_200600_302600_NS11hip_rocprim26transform_input_iterator_tIlNS8_12zip_iteratorINS8_5tupleINS8_6detail15normal_iteratorINS8_10device_ptrIfEEEESH_NS8_9null_typeESI_SI_SI_SI_SI_SI_SI_EEEENS9_21zip_adj_not_predicateI22is_equal_div_10_uniqueIfEEEEEPllNS8_4plusIlEEEE10hipError_tPvRmT1_T2_T3_mT4_P12ihipStream_tbEUlT_E0_NS1_11comp_targetILNS1_3genE2ELNS1_11target_archE906ELNS1_3gpuE6ELNS1_3repE0EEENS1_30default_config_static_selectorELNS0_4arch9wavefront6targetE1EEEvSW_,@function
_ZN7rocprim17ROCPRIM_400000_NS6detail17trampoline_kernelINS0_14default_configENS1_22reduce_config_selectorIlEEZNS1_11reduce_implILb1ES3_N6thrust23THRUST_200600_302600_NS11hip_rocprim26transform_input_iterator_tIlNS8_12zip_iteratorINS8_5tupleINS8_6detail15normal_iteratorINS8_10device_ptrIfEEEESH_NS8_9null_typeESI_SI_SI_SI_SI_SI_SI_EEEENS9_21zip_adj_not_predicateI22is_equal_div_10_uniqueIfEEEEEPllNS8_4plusIlEEEE10hipError_tPvRmT1_T2_T3_mT4_P12ihipStream_tbEUlT_E0_NS1_11comp_targetILNS1_3genE2ELNS1_11target_archE906ELNS1_3gpuE6ELNS1_3repE0EEENS1_30default_config_static_selectorELNS0_4arch9wavefront6targetE1EEEvSW_: ; @_ZN7rocprim17ROCPRIM_400000_NS6detail17trampoline_kernelINS0_14default_configENS1_22reduce_config_selectorIlEEZNS1_11reduce_implILb1ES3_N6thrust23THRUST_200600_302600_NS11hip_rocprim26transform_input_iterator_tIlNS8_12zip_iteratorINS8_5tupleINS8_6detail15normal_iteratorINS8_10device_ptrIfEEEESH_NS8_9null_typeESI_SI_SI_SI_SI_SI_SI_EEEENS9_21zip_adj_not_predicateI22is_equal_div_10_uniqueIfEEEEEPllNS8_4plusIlEEEE10hipError_tPvRmT1_T2_T3_mT4_P12ihipStream_tbEUlT_E0_NS1_11comp_targetILNS1_3genE2ELNS1_11target_archE906ELNS1_3gpuE6ELNS1_3repE0EEENS1_30default_config_static_selectorELNS0_4arch9wavefront6targetE1EEEvSW_
; %bb.0:
	s_load_dwordx8 s[8:15], s[4:5], 0x18
	s_load_dwordx4 s[0:3], s[4:5], 0x0
	s_load_dwordx4 s[16:19], s[4:5], 0x38
	v_lshlrev_b32_e32 v6, 2, v0
	v_mbcnt_lo_u32_b32 v5, -1, 0
	s_waitcnt lgkmcnt(0)
	s_lshl_b64 s[4:5], s[8:9], 2
	s_add_u32 s0, s0, s4
	s_addc_u32 s1, s1, s5
	s_add_u32 s20, s2, s4
	s_addc_u32 s21, s3, s5
	s_lshl_b32 s4, s6, 9
	s_mov_b32 s5, 0
	s_lshr_b64 s[8:9], s[10:11], 9
	s_lshl_b64 s[2:3], s[4:5], 2
	s_add_u32 s0, s0, s2
	s_addc_u32 s1, s1, s3
	s_add_u32 s2, s20, s2
	s_mov_b32 s7, s5
	s_addc_u32 s3, s21, s3
	s_cmp_lg_u64 s[8:9], s[6:7]
	s_cbranch_scc0 .LBB801_6
; %bb.1:
	global_load_dword v1, v6, s[0:1]
	global_load_dword v2, v6, s[2:3]
	global_load_dword v7, v6, s[2:3] offset:1024
	global_load_dword v8, v6, s[0:1] offset:1024
	s_mov_b32 s5, 0x66666667
	v_mov_b32_e32 v4, 0
	v_mbcnt_hi_u32_b32 v3, -1, v5
	s_waitcnt vmcnt(3)
	v_cvt_i32_f32_e32 v1, v1
	s_waitcnt vmcnt(2)
	v_cvt_i32_f32_e32 v2, v2
	;; [unrolled: 2-line block ×4, first 2 shown]
	v_mul_hi_i32 v1, v1, s5
	v_mul_hi_i32 v2, v2, s5
	;; [unrolled: 1-line block ×4, first 2 shown]
	v_lshrrev_b32_e32 v11, 31, v1
	v_ashrrev_i32_e32 v1, 2, v1
	v_lshrrev_b32_e32 v12, 31, v2
	v_ashrrev_i32_e32 v2, 2, v2
	;; [unrolled: 2-line block ×4, first 2 shown]
	v_add_u32_e32 v1, v1, v11
	v_add_u32_e32 v2, v2, v12
	v_add_u32_e32 v8, v8, v13
	v_add_u32_e32 v7, v7, v14
	v_cmp_ne_u32_e32 vcc, v1, v2
	v_cndmask_b32_e64 v1, 0, 1, vcc
	v_cmp_ne_u32_e32 vcc, v8, v7
	v_addc_co_u32_e32 v1, vcc, 0, v1, vcc
	v_mov_b32_dpp v9, v4 quad_perm:[1,0,3,2] row_mask:0xf bank_mask:0xf bound_ctrl:1
	s_nop 0
	v_mov_b32_dpp v2, v1 quad_perm:[1,0,3,2] row_mask:0xf bank_mask:0xf bound_ctrl:1
	v_add_co_u32_e32 v1, vcc, v1, v2
	v_addc_co_u32_e64 v2, s[8:9], 0, 0, vcc
	v_add_co_u32_e32 v7, vcc, 0, v1
	v_addc_co_u32_e32 v2, vcc, v9, v2, vcc
	v_mov_b32_dpp v1, v1 quad_perm:[2,3,0,1] row_mask:0xf bank_mask:0xf bound_ctrl:1
	v_add_co_u32_e32 v1, vcc, v7, v1
	v_mov_b32_dpp v8, v2 quad_perm:[2,3,0,1] row_mask:0xf bank_mask:0xf bound_ctrl:1
	v_addc_co_u32_e32 v2, vcc, 0, v2, vcc
	v_add_co_u32_e32 v7, vcc, 0, v1
	v_addc_co_u32_e32 v2, vcc, v2, v8, vcc
	v_mov_b32_dpp v1, v1 row_ror:4 row_mask:0xf bank_mask:0xf bound_ctrl:1
	v_add_co_u32_e32 v1, vcc, v7, v1
	v_mov_b32_dpp v8, v2 row_ror:4 row_mask:0xf bank_mask:0xf bound_ctrl:1
	v_addc_co_u32_e32 v2, vcc, 0, v2, vcc
	v_add_co_u32_e32 v7, vcc, 0, v1
	v_addc_co_u32_e32 v2, vcc, v2, v8, vcc
	v_mov_b32_dpp v1, v1 row_ror:8 row_mask:0xf bank_mask:0xf bound_ctrl:1
	v_add_co_u32_e32 v1, vcc, v7, v1
	v_mov_b32_dpp v8, v2 row_ror:8 row_mask:0xf bank_mask:0xf bound_ctrl:1
	v_addc_co_u32_e32 v2, vcc, 0, v2, vcc
	v_add_co_u32_e32 v7, vcc, 0, v1
	v_addc_co_u32_e32 v2, vcc, v2, v8, vcc
	v_mov_b32_dpp v1, v1 row_bcast:15 row_mask:0xf bank_mask:0xf bound_ctrl:1
	v_add_co_u32_e32 v1, vcc, v7, v1
	v_mov_b32_dpp v8, v2 row_bcast:15 row_mask:0xf bank_mask:0xf bound_ctrl:1
	v_addc_co_u32_e32 v2, vcc, 0, v2, vcc
	v_add_co_u32_e32 v7, vcc, 0, v1
	v_addc_co_u32_e32 v2, vcc, v2, v8, vcc
	v_mov_b32_dpp v1, v1 row_bcast:31 row_mask:0xf bank_mask:0xf bound_ctrl:1
	v_add_co_u32_e32 v1, vcc, v7, v1
	v_lshlrev_b32_e32 v4, 2, v3
	v_addc_co_u32_e32 v7, vcc, 0, v2, vcc
	v_or_b32_e32 v10, 0xfc, v4
	s_nop 0
	v_add_u32_dpp v2, v2, v7 row_bcast:31 row_mask:0xf bank_mask:0xf bound_ctrl:1
	ds_bpermute_b32 v1, v10, v1
	ds_bpermute_b32 v2, v10, v2
	v_cmp_eq_u32_e32 vcc, 0, v3
	s_and_saveexec_b64 s[8:9], vcc
	s_cbranch_execz .LBB801_3
; %bb.2:
	v_lshrrev_b32_e32 v7, 3, v0
	v_and_b32_e32 v7, 24, v7
	s_waitcnt lgkmcnt(0)
	ds_write_b64 v7, v[1:2]
.LBB801_3:
	s_or_b64 exec, exec, s[8:9]
	v_cmp_gt_u32_e32 vcc, 64, v0
	s_waitcnt lgkmcnt(0)
	s_barrier
	s_and_saveexec_b64 s[8:9], vcc
	s_cbranch_execz .LBB801_5
; %bb.4:
	v_and_b32_e32 v7, 3, v3
	v_lshlrev_b32_e32 v1, 3, v7
	ds_read_b64 v[1:2], v1
	v_cmp_ne_u32_e32 vcc, 3, v7
	v_addc_co_u32_e32 v3, vcc, 0, v3, vcc
	v_lshlrev_b32_e32 v3, 2, v3
	s_waitcnt lgkmcnt(0)
	ds_bpermute_b32 v7, v3, v1
	ds_bpermute_b32 v3, v3, v2
	v_or_b32_e32 v4, 8, v4
	s_waitcnt lgkmcnt(1)
	v_add_co_u32_e32 v1, vcc, v1, v7
	v_addc_co_u32_e32 v2, vcc, 0, v2, vcc
	ds_bpermute_b32 v7, v4, v1
	v_add_co_u32_e32 v1, vcc, 0, v1
	s_waitcnt lgkmcnt(1)
	v_addc_co_u32_e32 v2, vcc, v3, v2, vcc
	ds_bpermute_b32 v3, v4, v2
	s_waitcnt lgkmcnt(1)
	v_add_co_u32_e32 v1, vcc, v1, v7
	v_addc_co_u32_e32 v2, vcc, 0, v2, vcc
	v_add_co_u32_e32 v1, vcc, 0, v1
	s_waitcnt lgkmcnt(0)
	v_addc_co_u32_e32 v2, vcc, v2, v3, vcc
.LBB801_5:
	s_or_b64 exec, exec, s[8:9]
	s_branch .LBB801_28
.LBB801_6:
                                        ; implicit-def: $vgpr1_vgpr2
	s_cbranch_execz .LBB801_28
; %bb.7:
	s_sub_i32 s8, s10, s4
	v_mov_b32_e32 v1, 0
	v_cmp_gt_u32_e32 vcc, s8, v0
	v_mov_b32_e32 v2, v1
	v_mov_b32_e32 v3, v1
	;; [unrolled: 1-line block ×3, first 2 shown]
	s_and_saveexec_b64 s[4:5], vcc
	s_cbranch_execz .LBB801_9
; %bb.8:
	global_load_dword v2, v6, s[0:1]
	global_load_dword v3, v6, s[2:3]
	s_mov_b32 s9, 0x66666667
	v_mov_b32_e32 v8, v1
	v_mov_b32_e32 v9, v1
	;; [unrolled: 1-line block ×3, first 2 shown]
	s_waitcnt vmcnt(1)
	v_cvt_i32_f32_e32 v2, v2
	s_waitcnt vmcnt(0)
	v_cvt_i32_f32_e32 v3, v3
	v_mul_hi_i32 v2, v2, s9
	v_mul_hi_i32 v3, v3, s9
	v_lshrrev_b32_e32 v4, 31, v2
	v_ashrrev_i32_e32 v2, 2, v2
	v_lshrrev_b32_e32 v7, 31, v3
	v_ashrrev_i32_e32 v3, 2, v3
	v_add_u32_e32 v2, v2, v4
	v_add_u32_e32 v3, v3, v7
	v_cmp_ne_u32_e32 vcc, v2, v3
	v_cndmask_b32_e64 v2, 0, 1, vcc
	v_and_b32_e32 v7, 0xffff, v2
	v_mov_b32_e32 v1, v7
	v_mov_b32_e32 v2, v8
	;; [unrolled: 1-line block ×4, first 2 shown]
.LBB801_9:
	s_or_b64 exec, exec, s[4:5]
	v_or_b32_e32 v7, 0x100, v0
	v_cmp_gt_u32_e32 vcc, s8, v7
	s_and_saveexec_b64 s[4:5], vcc
	s_cbranch_execz .LBB801_11
; %bb.10:
	global_load_dword v3, v6, s[0:1] offset:1024
	global_load_dword v4, v6, s[2:3] offset:1024
	s_mov_b32 s0, 0x66666667
	s_mov_b32 s2, 0
	s_waitcnt vmcnt(1)
	v_cvt_i32_f32_e32 v3, v3
	s_waitcnt vmcnt(0)
	v_cvt_i32_f32_e32 v4, v4
	v_mul_hi_i32 v3, v3, s0
	v_mul_hi_i32 v4, v4, s0
	v_lshrrev_b32_e32 v6, 31, v3
	v_ashrrev_i32_e32 v3, 2, v3
	v_lshrrev_b32_e32 v7, 31, v4
	v_ashrrev_i32_e32 v4, 2, v4
	v_add_u32_e32 v3, v3, v6
	v_add_u32_e32 v4, v4, v7
	v_cmp_ne_u32_e64 s[0:1], v3, v4
	v_cndmask_b32_e64 v3, 0, 1, s[0:1]
	v_mov_b32_e32 v4, s2
.LBB801_11:
	s_or_b64 exec, exec, s[4:5]
	v_cndmask_b32_e32 v3, 0, v3, vcc
	v_cndmask_b32_e32 v4, 0, v4, vcc
	v_add_co_u32_e32 v1, vcc, v3, v1
	v_mbcnt_hi_u32_b32 v3, -1, v5
	v_addc_co_u32_e32 v2, vcc, v4, v2, vcc
	v_and_b32_e32 v4, 63, v3
	v_cmp_ne_u32_e32 vcc, 63, v4
	v_addc_co_u32_e32 v6, vcc, 0, v3, vcc
	v_lshlrev_b32_e32 v6, 2, v6
	ds_bpermute_b32 v8, v6, v1
	ds_bpermute_b32 v7, v6, v2
	s_min_u32 s2, s8, 0x100
	v_and_b32_e32 v5, 0xc0, v0
	v_sub_u32_e64 v5, s2, v5 clamp
	v_add_u32_e32 v6, 1, v4
	v_cmp_lt_u32_e32 vcc, v6, v5
	v_mov_b32_e32 v6, v1
	s_and_saveexec_b64 s[0:1], vcc
	s_cbranch_execz .LBB801_13
; %bb.12:
	s_waitcnt lgkmcnt(1)
	v_add_co_u32_e32 v6, vcc, v1, v8
	v_addc_co_u32_e32 v2, vcc, 0, v2, vcc
	v_add_co_u32_e32 v1, vcc, 0, v6
	s_waitcnt lgkmcnt(0)
	v_addc_co_u32_e32 v2, vcc, v7, v2, vcc
.LBB801_13:
	s_or_b64 exec, exec, s[0:1]
	v_cmp_gt_u32_e32 vcc, 62, v4
	s_waitcnt lgkmcnt(0)
	v_cndmask_b32_e64 v7, 0, 2, vcc
	v_add_lshl_u32 v7, v7, v3, 2
	ds_bpermute_b32 v8, v7, v6
	ds_bpermute_b32 v7, v7, v2
	v_add_u32_e32 v9, 2, v4
	v_cmp_lt_u32_e32 vcc, v9, v5
	s_and_saveexec_b64 s[0:1], vcc
	s_cbranch_execz .LBB801_15
; %bb.14:
	s_waitcnt lgkmcnt(1)
	v_add_co_u32_e32 v6, vcc, v1, v8
	v_addc_co_u32_e32 v2, vcc, 0, v2, vcc
	v_add_co_u32_e32 v1, vcc, 0, v6
	s_waitcnt lgkmcnt(0)
	v_addc_co_u32_e32 v2, vcc, v7, v2, vcc
.LBB801_15:
	s_or_b64 exec, exec, s[0:1]
	v_cmp_gt_u32_e32 vcc, 60, v4
	s_waitcnt lgkmcnt(0)
	v_cndmask_b32_e64 v7, 0, 4, vcc
	v_add_lshl_u32 v7, v7, v3, 2
	ds_bpermute_b32 v8, v7, v6
	ds_bpermute_b32 v7, v7, v2
	v_add_u32_e32 v9, 4, v4
	v_cmp_lt_u32_e32 vcc, v9, v5
	;; [unrolled: 19-line block ×4, first 2 shown]
	s_and_saveexec_b64 s[0:1], vcc
	s_cbranch_execz .LBB801_21
; %bb.20:
	s_waitcnt lgkmcnt(1)
	v_add_co_u32_e32 v6, vcc, v1, v8
	v_addc_co_u32_e32 v2, vcc, 0, v2, vcc
	v_add_co_u32_e32 v1, vcc, 0, v6
	s_waitcnt lgkmcnt(0)
	v_addc_co_u32_e32 v2, vcc, v7, v2, vcc
.LBB801_21:
	s_or_b64 exec, exec, s[0:1]
	s_waitcnt lgkmcnt(0)
	v_lshlrev_b32_e32 v7, 2, v3
	v_or_b32_e32 v8, 0x80, v7
	ds_bpermute_b32 v6, v8, v6
	ds_bpermute_b32 v8, v8, v2
	v_add_u32_e32 v4, 32, v4
	s_waitcnt lgkmcnt(1)
	v_add_co_u32_e32 v6, vcc, v1, v6
	v_addc_co_u32_e32 v9, vcc, 0, v2, vcc
	v_add_co_u32_e32 v6, vcc, 0, v6
	s_waitcnt lgkmcnt(0)
	v_addc_co_u32_e32 v8, vcc, v9, v8, vcc
	v_cmp_lt_u32_e32 vcc, v4, v5
	v_cndmask_b32_e32 v2, v2, v8, vcc
	v_cndmask_b32_e32 v1, v1, v6, vcc
	v_cmp_eq_u32_e32 vcc, 0, v3
	s_and_saveexec_b64 s[0:1], vcc
; %bb.22:
	v_lshrrev_b32_e32 v4, 3, v0
	v_and_b32_e32 v4, 24, v4
	ds_write_b64 v4, v[1:2] offset:32
; %bb.23:
	s_or_b64 exec, exec, s[0:1]
	v_cmp_gt_u32_e32 vcc, 4, v0
	s_waitcnt lgkmcnt(0)
	s_barrier
	s_and_saveexec_b64 s[0:1], vcc
	s_cbranch_execz .LBB801_27
; %bb.24:
	v_lshlrev_b32_e32 v1, 3, v3
	ds_read_b64 v[1:2], v1 offset:32
	v_and_b32_e32 v4, 3, v3
	v_cmp_ne_u32_e32 vcc, 3, v4
	v_addc_co_u32_e32 v3, vcc, 0, v3, vcc
	v_lshlrev_b32_e32 v3, 2, v3
	s_waitcnt lgkmcnt(0)
	ds_bpermute_b32 v6, v3, v1
	ds_bpermute_b32 v5, v3, v2
	s_add_i32 s2, s2, 63
	s_lshr_b32 s4, s2, 6
	v_add_u32_e32 v3, 1, v4
	v_cmp_gt_u32_e32 vcc, s4, v3
	v_mov_b32_e32 v3, v1
	s_and_saveexec_b64 s[2:3], vcc
	s_cbranch_execz .LBB801_26
; %bb.25:
	s_waitcnt lgkmcnt(1)
	v_add_co_u32_e32 v3, vcc, v1, v6
	v_addc_co_u32_e32 v2, vcc, 0, v2, vcc
	v_add_co_u32_e32 v1, vcc, 0, v3
	s_waitcnt lgkmcnt(0)
	v_addc_co_u32_e32 v2, vcc, v5, v2, vcc
.LBB801_26:
	s_or_b64 exec, exec, s[2:3]
	s_waitcnt lgkmcnt(0)
	v_or_b32_e32 v5, 8, v7
	ds_bpermute_b32 v3, v5, v3
	ds_bpermute_b32 v5, v5, v2
	v_add_u32_e32 v4, 2, v4
	s_waitcnt lgkmcnt(1)
	v_add_co_u32_e32 v3, vcc, v1, v3
	v_addc_co_u32_e32 v6, vcc, 0, v2, vcc
	v_add_co_u32_e32 v3, vcc, 0, v3
	s_waitcnt lgkmcnt(0)
	v_addc_co_u32_e32 v5, vcc, v6, v5, vcc
	v_cmp_gt_u32_e32 vcc, s4, v4
	v_cndmask_b32_e32 v2, v2, v5, vcc
	v_cndmask_b32_e32 v1, v1, v3, vcc
.LBB801_27:
	s_or_b64 exec, exec, s[0:1]
.LBB801_28:
	v_cmp_eq_u32_e32 vcc, 0, v0
	s_and_saveexec_b64 s[0:1], vcc
	s_cbranch_execnz .LBB801_30
; %bb.29:
	s_endpgm
.LBB801_30:
	s_mul_i32 s0, s16, s15
	s_mul_hi_u32 s1, s16, s14
	s_add_i32 s0, s1, s0
	s_mul_i32 s1, s17, s14
	s_add_i32 s1, s0, s1
	s_mul_i32 s0, s16, s14
	s_lshl_b64 s[0:1], s[0:1], 3
	s_add_u32 s2, s12, s0
	s_addc_u32 s3, s13, s1
	s_cmp_eq_u64 s[10:11], 0
	v_mov_b32_e32 v0, s19
	s_cselect_b64 vcc, -1, 0
	s_lshl_b64 s[0:1], s[6:7], 3
	v_cndmask_b32_e32 v2, v2, v0, vcc
	v_mov_b32_e32 v0, s18
	s_add_u32 s0, s2, s0
	v_cndmask_b32_e32 v1, v1, v0, vcc
	s_addc_u32 s1, s3, s1
	v_mov_b32_e32 v0, 0
	global_store_dwordx2 v0, v[1:2], s[0:1]
	s_endpgm
	.section	.rodata,"a",@progbits
	.p2align	6, 0x0
	.amdhsa_kernel _ZN7rocprim17ROCPRIM_400000_NS6detail17trampoline_kernelINS0_14default_configENS1_22reduce_config_selectorIlEEZNS1_11reduce_implILb1ES3_N6thrust23THRUST_200600_302600_NS11hip_rocprim26transform_input_iterator_tIlNS8_12zip_iteratorINS8_5tupleINS8_6detail15normal_iteratorINS8_10device_ptrIfEEEESH_NS8_9null_typeESI_SI_SI_SI_SI_SI_SI_EEEENS9_21zip_adj_not_predicateI22is_equal_div_10_uniqueIfEEEEEPllNS8_4plusIlEEEE10hipError_tPvRmT1_T2_T3_mT4_P12ihipStream_tbEUlT_E0_NS1_11comp_targetILNS1_3genE2ELNS1_11target_archE906ELNS1_3gpuE6ELNS1_3repE0EEENS1_30default_config_static_selectorELNS0_4arch9wavefront6targetE1EEEvSW_
		.amdhsa_group_segment_fixed_size 64
		.amdhsa_private_segment_fixed_size 0
		.amdhsa_kernarg_size 80
		.amdhsa_user_sgpr_count 6
		.amdhsa_user_sgpr_private_segment_buffer 1
		.amdhsa_user_sgpr_dispatch_ptr 0
		.amdhsa_user_sgpr_queue_ptr 0
		.amdhsa_user_sgpr_kernarg_segment_ptr 1
		.amdhsa_user_sgpr_dispatch_id 0
		.amdhsa_user_sgpr_flat_scratch_init 0
		.amdhsa_user_sgpr_private_segment_size 0
		.amdhsa_uses_dynamic_stack 0
		.amdhsa_system_sgpr_private_segment_wavefront_offset 0
		.amdhsa_system_sgpr_workgroup_id_x 1
		.amdhsa_system_sgpr_workgroup_id_y 0
		.amdhsa_system_sgpr_workgroup_id_z 0
		.amdhsa_system_sgpr_workgroup_info 0
		.amdhsa_system_vgpr_workitem_id 0
		.amdhsa_next_free_vgpr 15
		.amdhsa_next_free_sgpr 22
		.amdhsa_reserve_vcc 1
		.amdhsa_reserve_flat_scratch 0
		.amdhsa_float_round_mode_32 0
		.amdhsa_float_round_mode_16_64 0
		.amdhsa_float_denorm_mode_32 3
		.amdhsa_float_denorm_mode_16_64 3
		.amdhsa_dx10_clamp 1
		.amdhsa_ieee_mode 1
		.amdhsa_fp16_overflow 0
		.amdhsa_exception_fp_ieee_invalid_op 0
		.amdhsa_exception_fp_denorm_src 0
		.amdhsa_exception_fp_ieee_div_zero 0
		.amdhsa_exception_fp_ieee_overflow 0
		.amdhsa_exception_fp_ieee_underflow 0
		.amdhsa_exception_fp_ieee_inexact 0
		.amdhsa_exception_int_div_zero 0
	.end_amdhsa_kernel
	.section	.text._ZN7rocprim17ROCPRIM_400000_NS6detail17trampoline_kernelINS0_14default_configENS1_22reduce_config_selectorIlEEZNS1_11reduce_implILb1ES3_N6thrust23THRUST_200600_302600_NS11hip_rocprim26transform_input_iterator_tIlNS8_12zip_iteratorINS8_5tupleINS8_6detail15normal_iteratorINS8_10device_ptrIfEEEESH_NS8_9null_typeESI_SI_SI_SI_SI_SI_SI_EEEENS9_21zip_adj_not_predicateI22is_equal_div_10_uniqueIfEEEEEPllNS8_4plusIlEEEE10hipError_tPvRmT1_T2_T3_mT4_P12ihipStream_tbEUlT_E0_NS1_11comp_targetILNS1_3genE2ELNS1_11target_archE906ELNS1_3gpuE6ELNS1_3repE0EEENS1_30default_config_static_selectorELNS0_4arch9wavefront6targetE1EEEvSW_,"axG",@progbits,_ZN7rocprim17ROCPRIM_400000_NS6detail17trampoline_kernelINS0_14default_configENS1_22reduce_config_selectorIlEEZNS1_11reduce_implILb1ES3_N6thrust23THRUST_200600_302600_NS11hip_rocprim26transform_input_iterator_tIlNS8_12zip_iteratorINS8_5tupleINS8_6detail15normal_iteratorINS8_10device_ptrIfEEEESH_NS8_9null_typeESI_SI_SI_SI_SI_SI_SI_EEEENS9_21zip_adj_not_predicateI22is_equal_div_10_uniqueIfEEEEEPllNS8_4plusIlEEEE10hipError_tPvRmT1_T2_T3_mT4_P12ihipStream_tbEUlT_E0_NS1_11comp_targetILNS1_3genE2ELNS1_11target_archE906ELNS1_3gpuE6ELNS1_3repE0EEENS1_30default_config_static_selectorELNS0_4arch9wavefront6targetE1EEEvSW_,comdat
.Lfunc_end801:
	.size	_ZN7rocprim17ROCPRIM_400000_NS6detail17trampoline_kernelINS0_14default_configENS1_22reduce_config_selectorIlEEZNS1_11reduce_implILb1ES3_N6thrust23THRUST_200600_302600_NS11hip_rocprim26transform_input_iterator_tIlNS8_12zip_iteratorINS8_5tupleINS8_6detail15normal_iteratorINS8_10device_ptrIfEEEESH_NS8_9null_typeESI_SI_SI_SI_SI_SI_SI_EEEENS9_21zip_adj_not_predicateI22is_equal_div_10_uniqueIfEEEEEPllNS8_4plusIlEEEE10hipError_tPvRmT1_T2_T3_mT4_P12ihipStream_tbEUlT_E0_NS1_11comp_targetILNS1_3genE2ELNS1_11target_archE906ELNS1_3gpuE6ELNS1_3repE0EEENS1_30default_config_static_selectorELNS0_4arch9wavefront6targetE1EEEvSW_, .Lfunc_end801-_ZN7rocprim17ROCPRIM_400000_NS6detail17trampoline_kernelINS0_14default_configENS1_22reduce_config_selectorIlEEZNS1_11reduce_implILb1ES3_N6thrust23THRUST_200600_302600_NS11hip_rocprim26transform_input_iterator_tIlNS8_12zip_iteratorINS8_5tupleINS8_6detail15normal_iteratorINS8_10device_ptrIfEEEESH_NS8_9null_typeESI_SI_SI_SI_SI_SI_SI_EEEENS9_21zip_adj_not_predicateI22is_equal_div_10_uniqueIfEEEEEPllNS8_4plusIlEEEE10hipError_tPvRmT1_T2_T3_mT4_P12ihipStream_tbEUlT_E0_NS1_11comp_targetILNS1_3genE2ELNS1_11target_archE906ELNS1_3gpuE6ELNS1_3repE0EEENS1_30default_config_static_selectorELNS0_4arch9wavefront6targetE1EEEvSW_
                                        ; -- End function
	.set _ZN7rocprim17ROCPRIM_400000_NS6detail17trampoline_kernelINS0_14default_configENS1_22reduce_config_selectorIlEEZNS1_11reduce_implILb1ES3_N6thrust23THRUST_200600_302600_NS11hip_rocprim26transform_input_iterator_tIlNS8_12zip_iteratorINS8_5tupleINS8_6detail15normal_iteratorINS8_10device_ptrIfEEEESH_NS8_9null_typeESI_SI_SI_SI_SI_SI_SI_EEEENS9_21zip_adj_not_predicateI22is_equal_div_10_uniqueIfEEEEEPllNS8_4plusIlEEEE10hipError_tPvRmT1_T2_T3_mT4_P12ihipStream_tbEUlT_E0_NS1_11comp_targetILNS1_3genE2ELNS1_11target_archE906ELNS1_3gpuE6ELNS1_3repE0EEENS1_30default_config_static_selectorELNS0_4arch9wavefront6targetE1EEEvSW_.num_vgpr, 15
	.set _ZN7rocprim17ROCPRIM_400000_NS6detail17trampoline_kernelINS0_14default_configENS1_22reduce_config_selectorIlEEZNS1_11reduce_implILb1ES3_N6thrust23THRUST_200600_302600_NS11hip_rocprim26transform_input_iterator_tIlNS8_12zip_iteratorINS8_5tupleINS8_6detail15normal_iteratorINS8_10device_ptrIfEEEESH_NS8_9null_typeESI_SI_SI_SI_SI_SI_SI_EEEENS9_21zip_adj_not_predicateI22is_equal_div_10_uniqueIfEEEEEPllNS8_4plusIlEEEE10hipError_tPvRmT1_T2_T3_mT4_P12ihipStream_tbEUlT_E0_NS1_11comp_targetILNS1_3genE2ELNS1_11target_archE906ELNS1_3gpuE6ELNS1_3repE0EEENS1_30default_config_static_selectorELNS0_4arch9wavefront6targetE1EEEvSW_.num_agpr, 0
	.set _ZN7rocprim17ROCPRIM_400000_NS6detail17trampoline_kernelINS0_14default_configENS1_22reduce_config_selectorIlEEZNS1_11reduce_implILb1ES3_N6thrust23THRUST_200600_302600_NS11hip_rocprim26transform_input_iterator_tIlNS8_12zip_iteratorINS8_5tupleINS8_6detail15normal_iteratorINS8_10device_ptrIfEEEESH_NS8_9null_typeESI_SI_SI_SI_SI_SI_SI_EEEENS9_21zip_adj_not_predicateI22is_equal_div_10_uniqueIfEEEEEPllNS8_4plusIlEEEE10hipError_tPvRmT1_T2_T3_mT4_P12ihipStream_tbEUlT_E0_NS1_11comp_targetILNS1_3genE2ELNS1_11target_archE906ELNS1_3gpuE6ELNS1_3repE0EEENS1_30default_config_static_selectorELNS0_4arch9wavefront6targetE1EEEvSW_.numbered_sgpr, 22
	.set _ZN7rocprim17ROCPRIM_400000_NS6detail17trampoline_kernelINS0_14default_configENS1_22reduce_config_selectorIlEEZNS1_11reduce_implILb1ES3_N6thrust23THRUST_200600_302600_NS11hip_rocprim26transform_input_iterator_tIlNS8_12zip_iteratorINS8_5tupleINS8_6detail15normal_iteratorINS8_10device_ptrIfEEEESH_NS8_9null_typeESI_SI_SI_SI_SI_SI_SI_EEEENS9_21zip_adj_not_predicateI22is_equal_div_10_uniqueIfEEEEEPllNS8_4plusIlEEEE10hipError_tPvRmT1_T2_T3_mT4_P12ihipStream_tbEUlT_E0_NS1_11comp_targetILNS1_3genE2ELNS1_11target_archE906ELNS1_3gpuE6ELNS1_3repE0EEENS1_30default_config_static_selectorELNS0_4arch9wavefront6targetE1EEEvSW_.num_named_barrier, 0
	.set _ZN7rocprim17ROCPRIM_400000_NS6detail17trampoline_kernelINS0_14default_configENS1_22reduce_config_selectorIlEEZNS1_11reduce_implILb1ES3_N6thrust23THRUST_200600_302600_NS11hip_rocprim26transform_input_iterator_tIlNS8_12zip_iteratorINS8_5tupleINS8_6detail15normal_iteratorINS8_10device_ptrIfEEEESH_NS8_9null_typeESI_SI_SI_SI_SI_SI_SI_EEEENS9_21zip_adj_not_predicateI22is_equal_div_10_uniqueIfEEEEEPllNS8_4plusIlEEEE10hipError_tPvRmT1_T2_T3_mT4_P12ihipStream_tbEUlT_E0_NS1_11comp_targetILNS1_3genE2ELNS1_11target_archE906ELNS1_3gpuE6ELNS1_3repE0EEENS1_30default_config_static_selectorELNS0_4arch9wavefront6targetE1EEEvSW_.private_seg_size, 0
	.set _ZN7rocprim17ROCPRIM_400000_NS6detail17trampoline_kernelINS0_14default_configENS1_22reduce_config_selectorIlEEZNS1_11reduce_implILb1ES3_N6thrust23THRUST_200600_302600_NS11hip_rocprim26transform_input_iterator_tIlNS8_12zip_iteratorINS8_5tupleINS8_6detail15normal_iteratorINS8_10device_ptrIfEEEESH_NS8_9null_typeESI_SI_SI_SI_SI_SI_SI_EEEENS9_21zip_adj_not_predicateI22is_equal_div_10_uniqueIfEEEEEPllNS8_4plusIlEEEE10hipError_tPvRmT1_T2_T3_mT4_P12ihipStream_tbEUlT_E0_NS1_11comp_targetILNS1_3genE2ELNS1_11target_archE906ELNS1_3gpuE6ELNS1_3repE0EEENS1_30default_config_static_selectorELNS0_4arch9wavefront6targetE1EEEvSW_.uses_vcc, 1
	.set _ZN7rocprim17ROCPRIM_400000_NS6detail17trampoline_kernelINS0_14default_configENS1_22reduce_config_selectorIlEEZNS1_11reduce_implILb1ES3_N6thrust23THRUST_200600_302600_NS11hip_rocprim26transform_input_iterator_tIlNS8_12zip_iteratorINS8_5tupleINS8_6detail15normal_iteratorINS8_10device_ptrIfEEEESH_NS8_9null_typeESI_SI_SI_SI_SI_SI_SI_EEEENS9_21zip_adj_not_predicateI22is_equal_div_10_uniqueIfEEEEEPllNS8_4plusIlEEEE10hipError_tPvRmT1_T2_T3_mT4_P12ihipStream_tbEUlT_E0_NS1_11comp_targetILNS1_3genE2ELNS1_11target_archE906ELNS1_3gpuE6ELNS1_3repE0EEENS1_30default_config_static_selectorELNS0_4arch9wavefront6targetE1EEEvSW_.uses_flat_scratch, 0
	.set _ZN7rocprim17ROCPRIM_400000_NS6detail17trampoline_kernelINS0_14default_configENS1_22reduce_config_selectorIlEEZNS1_11reduce_implILb1ES3_N6thrust23THRUST_200600_302600_NS11hip_rocprim26transform_input_iterator_tIlNS8_12zip_iteratorINS8_5tupleINS8_6detail15normal_iteratorINS8_10device_ptrIfEEEESH_NS8_9null_typeESI_SI_SI_SI_SI_SI_SI_EEEENS9_21zip_adj_not_predicateI22is_equal_div_10_uniqueIfEEEEEPllNS8_4plusIlEEEE10hipError_tPvRmT1_T2_T3_mT4_P12ihipStream_tbEUlT_E0_NS1_11comp_targetILNS1_3genE2ELNS1_11target_archE906ELNS1_3gpuE6ELNS1_3repE0EEENS1_30default_config_static_selectorELNS0_4arch9wavefront6targetE1EEEvSW_.has_dyn_sized_stack, 0
	.set _ZN7rocprim17ROCPRIM_400000_NS6detail17trampoline_kernelINS0_14default_configENS1_22reduce_config_selectorIlEEZNS1_11reduce_implILb1ES3_N6thrust23THRUST_200600_302600_NS11hip_rocprim26transform_input_iterator_tIlNS8_12zip_iteratorINS8_5tupleINS8_6detail15normal_iteratorINS8_10device_ptrIfEEEESH_NS8_9null_typeESI_SI_SI_SI_SI_SI_SI_EEEENS9_21zip_adj_not_predicateI22is_equal_div_10_uniqueIfEEEEEPllNS8_4plusIlEEEE10hipError_tPvRmT1_T2_T3_mT4_P12ihipStream_tbEUlT_E0_NS1_11comp_targetILNS1_3genE2ELNS1_11target_archE906ELNS1_3gpuE6ELNS1_3repE0EEENS1_30default_config_static_selectorELNS0_4arch9wavefront6targetE1EEEvSW_.has_recursion, 0
	.set _ZN7rocprim17ROCPRIM_400000_NS6detail17trampoline_kernelINS0_14default_configENS1_22reduce_config_selectorIlEEZNS1_11reduce_implILb1ES3_N6thrust23THRUST_200600_302600_NS11hip_rocprim26transform_input_iterator_tIlNS8_12zip_iteratorINS8_5tupleINS8_6detail15normal_iteratorINS8_10device_ptrIfEEEESH_NS8_9null_typeESI_SI_SI_SI_SI_SI_SI_EEEENS9_21zip_adj_not_predicateI22is_equal_div_10_uniqueIfEEEEEPllNS8_4plusIlEEEE10hipError_tPvRmT1_T2_T3_mT4_P12ihipStream_tbEUlT_E0_NS1_11comp_targetILNS1_3genE2ELNS1_11target_archE906ELNS1_3gpuE6ELNS1_3repE0EEENS1_30default_config_static_selectorELNS0_4arch9wavefront6targetE1EEEvSW_.has_indirect_call, 0
	.section	.AMDGPU.csdata,"",@progbits
; Kernel info:
; codeLenInByte = 1848
; TotalNumSgprs: 26
; NumVgprs: 15
; ScratchSize: 0
; MemoryBound: 0
; FloatMode: 240
; IeeeMode: 1
; LDSByteSize: 64 bytes/workgroup (compile time only)
; SGPRBlocks: 3
; VGPRBlocks: 3
; NumSGPRsForWavesPerEU: 26
; NumVGPRsForWavesPerEU: 15
; Occupancy: 10
; WaveLimiterHint : 0
; COMPUTE_PGM_RSRC2:SCRATCH_EN: 0
; COMPUTE_PGM_RSRC2:USER_SGPR: 6
; COMPUTE_PGM_RSRC2:TRAP_HANDLER: 0
; COMPUTE_PGM_RSRC2:TGID_X_EN: 1
; COMPUTE_PGM_RSRC2:TGID_Y_EN: 0
; COMPUTE_PGM_RSRC2:TGID_Z_EN: 0
; COMPUTE_PGM_RSRC2:TIDIG_COMP_CNT: 0
	.section	.text._ZN7rocprim17ROCPRIM_400000_NS6detail17trampoline_kernelINS0_14default_configENS1_22reduce_config_selectorIlEEZNS1_11reduce_implILb1ES3_N6thrust23THRUST_200600_302600_NS11hip_rocprim26transform_input_iterator_tIlNS8_12zip_iteratorINS8_5tupleINS8_6detail15normal_iteratorINS8_10device_ptrIfEEEESH_NS8_9null_typeESI_SI_SI_SI_SI_SI_SI_EEEENS9_21zip_adj_not_predicateI22is_equal_div_10_uniqueIfEEEEEPllNS8_4plusIlEEEE10hipError_tPvRmT1_T2_T3_mT4_P12ihipStream_tbEUlT_E0_NS1_11comp_targetILNS1_3genE10ELNS1_11target_archE1201ELNS1_3gpuE5ELNS1_3repE0EEENS1_30default_config_static_selectorELNS0_4arch9wavefront6targetE1EEEvSW_,"axG",@progbits,_ZN7rocprim17ROCPRIM_400000_NS6detail17trampoline_kernelINS0_14default_configENS1_22reduce_config_selectorIlEEZNS1_11reduce_implILb1ES3_N6thrust23THRUST_200600_302600_NS11hip_rocprim26transform_input_iterator_tIlNS8_12zip_iteratorINS8_5tupleINS8_6detail15normal_iteratorINS8_10device_ptrIfEEEESH_NS8_9null_typeESI_SI_SI_SI_SI_SI_SI_EEEENS9_21zip_adj_not_predicateI22is_equal_div_10_uniqueIfEEEEEPllNS8_4plusIlEEEE10hipError_tPvRmT1_T2_T3_mT4_P12ihipStream_tbEUlT_E0_NS1_11comp_targetILNS1_3genE10ELNS1_11target_archE1201ELNS1_3gpuE5ELNS1_3repE0EEENS1_30default_config_static_selectorELNS0_4arch9wavefront6targetE1EEEvSW_,comdat
	.protected	_ZN7rocprim17ROCPRIM_400000_NS6detail17trampoline_kernelINS0_14default_configENS1_22reduce_config_selectorIlEEZNS1_11reduce_implILb1ES3_N6thrust23THRUST_200600_302600_NS11hip_rocprim26transform_input_iterator_tIlNS8_12zip_iteratorINS8_5tupleINS8_6detail15normal_iteratorINS8_10device_ptrIfEEEESH_NS8_9null_typeESI_SI_SI_SI_SI_SI_SI_EEEENS9_21zip_adj_not_predicateI22is_equal_div_10_uniqueIfEEEEEPllNS8_4plusIlEEEE10hipError_tPvRmT1_T2_T3_mT4_P12ihipStream_tbEUlT_E0_NS1_11comp_targetILNS1_3genE10ELNS1_11target_archE1201ELNS1_3gpuE5ELNS1_3repE0EEENS1_30default_config_static_selectorELNS0_4arch9wavefront6targetE1EEEvSW_ ; -- Begin function _ZN7rocprim17ROCPRIM_400000_NS6detail17trampoline_kernelINS0_14default_configENS1_22reduce_config_selectorIlEEZNS1_11reduce_implILb1ES3_N6thrust23THRUST_200600_302600_NS11hip_rocprim26transform_input_iterator_tIlNS8_12zip_iteratorINS8_5tupleINS8_6detail15normal_iteratorINS8_10device_ptrIfEEEESH_NS8_9null_typeESI_SI_SI_SI_SI_SI_SI_EEEENS9_21zip_adj_not_predicateI22is_equal_div_10_uniqueIfEEEEEPllNS8_4plusIlEEEE10hipError_tPvRmT1_T2_T3_mT4_P12ihipStream_tbEUlT_E0_NS1_11comp_targetILNS1_3genE10ELNS1_11target_archE1201ELNS1_3gpuE5ELNS1_3repE0EEENS1_30default_config_static_selectorELNS0_4arch9wavefront6targetE1EEEvSW_
	.globl	_ZN7rocprim17ROCPRIM_400000_NS6detail17trampoline_kernelINS0_14default_configENS1_22reduce_config_selectorIlEEZNS1_11reduce_implILb1ES3_N6thrust23THRUST_200600_302600_NS11hip_rocprim26transform_input_iterator_tIlNS8_12zip_iteratorINS8_5tupleINS8_6detail15normal_iteratorINS8_10device_ptrIfEEEESH_NS8_9null_typeESI_SI_SI_SI_SI_SI_SI_EEEENS9_21zip_adj_not_predicateI22is_equal_div_10_uniqueIfEEEEEPllNS8_4plusIlEEEE10hipError_tPvRmT1_T2_T3_mT4_P12ihipStream_tbEUlT_E0_NS1_11comp_targetILNS1_3genE10ELNS1_11target_archE1201ELNS1_3gpuE5ELNS1_3repE0EEENS1_30default_config_static_selectorELNS0_4arch9wavefront6targetE1EEEvSW_
	.p2align	8
	.type	_ZN7rocprim17ROCPRIM_400000_NS6detail17trampoline_kernelINS0_14default_configENS1_22reduce_config_selectorIlEEZNS1_11reduce_implILb1ES3_N6thrust23THRUST_200600_302600_NS11hip_rocprim26transform_input_iterator_tIlNS8_12zip_iteratorINS8_5tupleINS8_6detail15normal_iteratorINS8_10device_ptrIfEEEESH_NS8_9null_typeESI_SI_SI_SI_SI_SI_SI_EEEENS9_21zip_adj_not_predicateI22is_equal_div_10_uniqueIfEEEEEPllNS8_4plusIlEEEE10hipError_tPvRmT1_T2_T3_mT4_P12ihipStream_tbEUlT_E0_NS1_11comp_targetILNS1_3genE10ELNS1_11target_archE1201ELNS1_3gpuE5ELNS1_3repE0EEENS1_30default_config_static_selectorELNS0_4arch9wavefront6targetE1EEEvSW_,@function
_ZN7rocprim17ROCPRIM_400000_NS6detail17trampoline_kernelINS0_14default_configENS1_22reduce_config_selectorIlEEZNS1_11reduce_implILb1ES3_N6thrust23THRUST_200600_302600_NS11hip_rocprim26transform_input_iterator_tIlNS8_12zip_iteratorINS8_5tupleINS8_6detail15normal_iteratorINS8_10device_ptrIfEEEESH_NS8_9null_typeESI_SI_SI_SI_SI_SI_SI_EEEENS9_21zip_adj_not_predicateI22is_equal_div_10_uniqueIfEEEEEPllNS8_4plusIlEEEE10hipError_tPvRmT1_T2_T3_mT4_P12ihipStream_tbEUlT_E0_NS1_11comp_targetILNS1_3genE10ELNS1_11target_archE1201ELNS1_3gpuE5ELNS1_3repE0EEENS1_30default_config_static_selectorELNS0_4arch9wavefront6targetE1EEEvSW_: ; @_ZN7rocprim17ROCPRIM_400000_NS6detail17trampoline_kernelINS0_14default_configENS1_22reduce_config_selectorIlEEZNS1_11reduce_implILb1ES3_N6thrust23THRUST_200600_302600_NS11hip_rocprim26transform_input_iterator_tIlNS8_12zip_iteratorINS8_5tupleINS8_6detail15normal_iteratorINS8_10device_ptrIfEEEESH_NS8_9null_typeESI_SI_SI_SI_SI_SI_SI_EEEENS9_21zip_adj_not_predicateI22is_equal_div_10_uniqueIfEEEEEPllNS8_4plusIlEEEE10hipError_tPvRmT1_T2_T3_mT4_P12ihipStream_tbEUlT_E0_NS1_11comp_targetILNS1_3genE10ELNS1_11target_archE1201ELNS1_3gpuE5ELNS1_3repE0EEENS1_30default_config_static_selectorELNS0_4arch9wavefront6targetE1EEEvSW_
; %bb.0:
	.section	.rodata,"a",@progbits
	.p2align	6, 0x0
	.amdhsa_kernel _ZN7rocprim17ROCPRIM_400000_NS6detail17trampoline_kernelINS0_14default_configENS1_22reduce_config_selectorIlEEZNS1_11reduce_implILb1ES3_N6thrust23THRUST_200600_302600_NS11hip_rocprim26transform_input_iterator_tIlNS8_12zip_iteratorINS8_5tupleINS8_6detail15normal_iteratorINS8_10device_ptrIfEEEESH_NS8_9null_typeESI_SI_SI_SI_SI_SI_SI_EEEENS9_21zip_adj_not_predicateI22is_equal_div_10_uniqueIfEEEEEPllNS8_4plusIlEEEE10hipError_tPvRmT1_T2_T3_mT4_P12ihipStream_tbEUlT_E0_NS1_11comp_targetILNS1_3genE10ELNS1_11target_archE1201ELNS1_3gpuE5ELNS1_3repE0EEENS1_30default_config_static_selectorELNS0_4arch9wavefront6targetE1EEEvSW_
		.amdhsa_group_segment_fixed_size 0
		.amdhsa_private_segment_fixed_size 0
		.amdhsa_kernarg_size 80
		.amdhsa_user_sgpr_count 6
		.amdhsa_user_sgpr_private_segment_buffer 1
		.amdhsa_user_sgpr_dispatch_ptr 0
		.amdhsa_user_sgpr_queue_ptr 0
		.amdhsa_user_sgpr_kernarg_segment_ptr 1
		.amdhsa_user_sgpr_dispatch_id 0
		.amdhsa_user_sgpr_flat_scratch_init 0
		.amdhsa_user_sgpr_private_segment_size 0
		.amdhsa_uses_dynamic_stack 0
		.amdhsa_system_sgpr_private_segment_wavefront_offset 0
		.amdhsa_system_sgpr_workgroup_id_x 1
		.amdhsa_system_sgpr_workgroup_id_y 0
		.amdhsa_system_sgpr_workgroup_id_z 0
		.amdhsa_system_sgpr_workgroup_info 0
		.amdhsa_system_vgpr_workitem_id 0
		.amdhsa_next_free_vgpr 1
		.amdhsa_next_free_sgpr 0
		.amdhsa_reserve_vcc 0
		.amdhsa_reserve_flat_scratch 0
		.amdhsa_float_round_mode_32 0
		.amdhsa_float_round_mode_16_64 0
		.amdhsa_float_denorm_mode_32 3
		.amdhsa_float_denorm_mode_16_64 3
		.amdhsa_dx10_clamp 1
		.amdhsa_ieee_mode 1
		.amdhsa_fp16_overflow 0
		.amdhsa_exception_fp_ieee_invalid_op 0
		.amdhsa_exception_fp_denorm_src 0
		.amdhsa_exception_fp_ieee_div_zero 0
		.amdhsa_exception_fp_ieee_overflow 0
		.amdhsa_exception_fp_ieee_underflow 0
		.amdhsa_exception_fp_ieee_inexact 0
		.amdhsa_exception_int_div_zero 0
	.end_amdhsa_kernel
	.section	.text._ZN7rocprim17ROCPRIM_400000_NS6detail17trampoline_kernelINS0_14default_configENS1_22reduce_config_selectorIlEEZNS1_11reduce_implILb1ES3_N6thrust23THRUST_200600_302600_NS11hip_rocprim26transform_input_iterator_tIlNS8_12zip_iteratorINS8_5tupleINS8_6detail15normal_iteratorINS8_10device_ptrIfEEEESH_NS8_9null_typeESI_SI_SI_SI_SI_SI_SI_EEEENS9_21zip_adj_not_predicateI22is_equal_div_10_uniqueIfEEEEEPllNS8_4plusIlEEEE10hipError_tPvRmT1_T2_T3_mT4_P12ihipStream_tbEUlT_E0_NS1_11comp_targetILNS1_3genE10ELNS1_11target_archE1201ELNS1_3gpuE5ELNS1_3repE0EEENS1_30default_config_static_selectorELNS0_4arch9wavefront6targetE1EEEvSW_,"axG",@progbits,_ZN7rocprim17ROCPRIM_400000_NS6detail17trampoline_kernelINS0_14default_configENS1_22reduce_config_selectorIlEEZNS1_11reduce_implILb1ES3_N6thrust23THRUST_200600_302600_NS11hip_rocprim26transform_input_iterator_tIlNS8_12zip_iteratorINS8_5tupleINS8_6detail15normal_iteratorINS8_10device_ptrIfEEEESH_NS8_9null_typeESI_SI_SI_SI_SI_SI_SI_EEEENS9_21zip_adj_not_predicateI22is_equal_div_10_uniqueIfEEEEEPllNS8_4plusIlEEEE10hipError_tPvRmT1_T2_T3_mT4_P12ihipStream_tbEUlT_E0_NS1_11comp_targetILNS1_3genE10ELNS1_11target_archE1201ELNS1_3gpuE5ELNS1_3repE0EEENS1_30default_config_static_selectorELNS0_4arch9wavefront6targetE1EEEvSW_,comdat
.Lfunc_end802:
	.size	_ZN7rocprim17ROCPRIM_400000_NS6detail17trampoline_kernelINS0_14default_configENS1_22reduce_config_selectorIlEEZNS1_11reduce_implILb1ES3_N6thrust23THRUST_200600_302600_NS11hip_rocprim26transform_input_iterator_tIlNS8_12zip_iteratorINS8_5tupleINS8_6detail15normal_iteratorINS8_10device_ptrIfEEEESH_NS8_9null_typeESI_SI_SI_SI_SI_SI_SI_EEEENS9_21zip_adj_not_predicateI22is_equal_div_10_uniqueIfEEEEEPllNS8_4plusIlEEEE10hipError_tPvRmT1_T2_T3_mT4_P12ihipStream_tbEUlT_E0_NS1_11comp_targetILNS1_3genE10ELNS1_11target_archE1201ELNS1_3gpuE5ELNS1_3repE0EEENS1_30default_config_static_selectorELNS0_4arch9wavefront6targetE1EEEvSW_, .Lfunc_end802-_ZN7rocprim17ROCPRIM_400000_NS6detail17trampoline_kernelINS0_14default_configENS1_22reduce_config_selectorIlEEZNS1_11reduce_implILb1ES3_N6thrust23THRUST_200600_302600_NS11hip_rocprim26transform_input_iterator_tIlNS8_12zip_iteratorINS8_5tupleINS8_6detail15normal_iteratorINS8_10device_ptrIfEEEESH_NS8_9null_typeESI_SI_SI_SI_SI_SI_SI_EEEENS9_21zip_adj_not_predicateI22is_equal_div_10_uniqueIfEEEEEPllNS8_4plusIlEEEE10hipError_tPvRmT1_T2_T3_mT4_P12ihipStream_tbEUlT_E0_NS1_11comp_targetILNS1_3genE10ELNS1_11target_archE1201ELNS1_3gpuE5ELNS1_3repE0EEENS1_30default_config_static_selectorELNS0_4arch9wavefront6targetE1EEEvSW_
                                        ; -- End function
	.set _ZN7rocprim17ROCPRIM_400000_NS6detail17trampoline_kernelINS0_14default_configENS1_22reduce_config_selectorIlEEZNS1_11reduce_implILb1ES3_N6thrust23THRUST_200600_302600_NS11hip_rocprim26transform_input_iterator_tIlNS8_12zip_iteratorINS8_5tupleINS8_6detail15normal_iteratorINS8_10device_ptrIfEEEESH_NS8_9null_typeESI_SI_SI_SI_SI_SI_SI_EEEENS9_21zip_adj_not_predicateI22is_equal_div_10_uniqueIfEEEEEPllNS8_4plusIlEEEE10hipError_tPvRmT1_T2_T3_mT4_P12ihipStream_tbEUlT_E0_NS1_11comp_targetILNS1_3genE10ELNS1_11target_archE1201ELNS1_3gpuE5ELNS1_3repE0EEENS1_30default_config_static_selectorELNS0_4arch9wavefront6targetE1EEEvSW_.num_vgpr, 0
	.set _ZN7rocprim17ROCPRIM_400000_NS6detail17trampoline_kernelINS0_14default_configENS1_22reduce_config_selectorIlEEZNS1_11reduce_implILb1ES3_N6thrust23THRUST_200600_302600_NS11hip_rocprim26transform_input_iterator_tIlNS8_12zip_iteratorINS8_5tupleINS8_6detail15normal_iteratorINS8_10device_ptrIfEEEESH_NS8_9null_typeESI_SI_SI_SI_SI_SI_SI_EEEENS9_21zip_adj_not_predicateI22is_equal_div_10_uniqueIfEEEEEPllNS8_4plusIlEEEE10hipError_tPvRmT1_T2_T3_mT4_P12ihipStream_tbEUlT_E0_NS1_11comp_targetILNS1_3genE10ELNS1_11target_archE1201ELNS1_3gpuE5ELNS1_3repE0EEENS1_30default_config_static_selectorELNS0_4arch9wavefront6targetE1EEEvSW_.num_agpr, 0
	.set _ZN7rocprim17ROCPRIM_400000_NS6detail17trampoline_kernelINS0_14default_configENS1_22reduce_config_selectorIlEEZNS1_11reduce_implILb1ES3_N6thrust23THRUST_200600_302600_NS11hip_rocprim26transform_input_iterator_tIlNS8_12zip_iteratorINS8_5tupleINS8_6detail15normal_iteratorINS8_10device_ptrIfEEEESH_NS8_9null_typeESI_SI_SI_SI_SI_SI_SI_EEEENS9_21zip_adj_not_predicateI22is_equal_div_10_uniqueIfEEEEEPllNS8_4plusIlEEEE10hipError_tPvRmT1_T2_T3_mT4_P12ihipStream_tbEUlT_E0_NS1_11comp_targetILNS1_3genE10ELNS1_11target_archE1201ELNS1_3gpuE5ELNS1_3repE0EEENS1_30default_config_static_selectorELNS0_4arch9wavefront6targetE1EEEvSW_.numbered_sgpr, 0
	.set _ZN7rocprim17ROCPRIM_400000_NS6detail17trampoline_kernelINS0_14default_configENS1_22reduce_config_selectorIlEEZNS1_11reduce_implILb1ES3_N6thrust23THRUST_200600_302600_NS11hip_rocprim26transform_input_iterator_tIlNS8_12zip_iteratorINS8_5tupleINS8_6detail15normal_iteratorINS8_10device_ptrIfEEEESH_NS8_9null_typeESI_SI_SI_SI_SI_SI_SI_EEEENS9_21zip_adj_not_predicateI22is_equal_div_10_uniqueIfEEEEEPllNS8_4plusIlEEEE10hipError_tPvRmT1_T2_T3_mT4_P12ihipStream_tbEUlT_E0_NS1_11comp_targetILNS1_3genE10ELNS1_11target_archE1201ELNS1_3gpuE5ELNS1_3repE0EEENS1_30default_config_static_selectorELNS0_4arch9wavefront6targetE1EEEvSW_.num_named_barrier, 0
	.set _ZN7rocprim17ROCPRIM_400000_NS6detail17trampoline_kernelINS0_14default_configENS1_22reduce_config_selectorIlEEZNS1_11reduce_implILb1ES3_N6thrust23THRUST_200600_302600_NS11hip_rocprim26transform_input_iterator_tIlNS8_12zip_iteratorINS8_5tupleINS8_6detail15normal_iteratorINS8_10device_ptrIfEEEESH_NS8_9null_typeESI_SI_SI_SI_SI_SI_SI_EEEENS9_21zip_adj_not_predicateI22is_equal_div_10_uniqueIfEEEEEPllNS8_4plusIlEEEE10hipError_tPvRmT1_T2_T3_mT4_P12ihipStream_tbEUlT_E0_NS1_11comp_targetILNS1_3genE10ELNS1_11target_archE1201ELNS1_3gpuE5ELNS1_3repE0EEENS1_30default_config_static_selectorELNS0_4arch9wavefront6targetE1EEEvSW_.private_seg_size, 0
	.set _ZN7rocprim17ROCPRIM_400000_NS6detail17trampoline_kernelINS0_14default_configENS1_22reduce_config_selectorIlEEZNS1_11reduce_implILb1ES3_N6thrust23THRUST_200600_302600_NS11hip_rocprim26transform_input_iterator_tIlNS8_12zip_iteratorINS8_5tupleINS8_6detail15normal_iteratorINS8_10device_ptrIfEEEESH_NS8_9null_typeESI_SI_SI_SI_SI_SI_SI_EEEENS9_21zip_adj_not_predicateI22is_equal_div_10_uniqueIfEEEEEPllNS8_4plusIlEEEE10hipError_tPvRmT1_T2_T3_mT4_P12ihipStream_tbEUlT_E0_NS1_11comp_targetILNS1_3genE10ELNS1_11target_archE1201ELNS1_3gpuE5ELNS1_3repE0EEENS1_30default_config_static_selectorELNS0_4arch9wavefront6targetE1EEEvSW_.uses_vcc, 0
	.set _ZN7rocprim17ROCPRIM_400000_NS6detail17trampoline_kernelINS0_14default_configENS1_22reduce_config_selectorIlEEZNS1_11reduce_implILb1ES3_N6thrust23THRUST_200600_302600_NS11hip_rocprim26transform_input_iterator_tIlNS8_12zip_iteratorINS8_5tupleINS8_6detail15normal_iteratorINS8_10device_ptrIfEEEESH_NS8_9null_typeESI_SI_SI_SI_SI_SI_SI_EEEENS9_21zip_adj_not_predicateI22is_equal_div_10_uniqueIfEEEEEPllNS8_4plusIlEEEE10hipError_tPvRmT1_T2_T3_mT4_P12ihipStream_tbEUlT_E0_NS1_11comp_targetILNS1_3genE10ELNS1_11target_archE1201ELNS1_3gpuE5ELNS1_3repE0EEENS1_30default_config_static_selectorELNS0_4arch9wavefront6targetE1EEEvSW_.uses_flat_scratch, 0
	.set _ZN7rocprim17ROCPRIM_400000_NS6detail17trampoline_kernelINS0_14default_configENS1_22reduce_config_selectorIlEEZNS1_11reduce_implILb1ES3_N6thrust23THRUST_200600_302600_NS11hip_rocprim26transform_input_iterator_tIlNS8_12zip_iteratorINS8_5tupleINS8_6detail15normal_iteratorINS8_10device_ptrIfEEEESH_NS8_9null_typeESI_SI_SI_SI_SI_SI_SI_EEEENS9_21zip_adj_not_predicateI22is_equal_div_10_uniqueIfEEEEEPllNS8_4plusIlEEEE10hipError_tPvRmT1_T2_T3_mT4_P12ihipStream_tbEUlT_E0_NS1_11comp_targetILNS1_3genE10ELNS1_11target_archE1201ELNS1_3gpuE5ELNS1_3repE0EEENS1_30default_config_static_selectorELNS0_4arch9wavefront6targetE1EEEvSW_.has_dyn_sized_stack, 0
	.set _ZN7rocprim17ROCPRIM_400000_NS6detail17trampoline_kernelINS0_14default_configENS1_22reduce_config_selectorIlEEZNS1_11reduce_implILb1ES3_N6thrust23THRUST_200600_302600_NS11hip_rocprim26transform_input_iterator_tIlNS8_12zip_iteratorINS8_5tupleINS8_6detail15normal_iteratorINS8_10device_ptrIfEEEESH_NS8_9null_typeESI_SI_SI_SI_SI_SI_SI_EEEENS9_21zip_adj_not_predicateI22is_equal_div_10_uniqueIfEEEEEPllNS8_4plusIlEEEE10hipError_tPvRmT1_T2_T3_mT4_P12ihipStream_tbEUlT_E0_NS1_11comp_targetILNS1_3genE10ELNS1_11target_archE1201ELNS1_3gpuE5ELNS1_3repE0EEENS1_30default_config_static_selectorELNS0_4arch9wavefront6targetE1EEEvSW_.has_recursion, 0
	.set _ZN7rocprim17ROCPRIM_400000_NS6detail17trampoline_kernelINS0_14default_configENS1_22reduce_config_selectorIlEEZNS1_11reduce_implILb1ES3_N6thrust23THRUST_200600_302600_NS11hip_rocprim26transform_input_iterator_tIlNS8_12zip_iteratorINS8_5tupleINS8_6detail15normal_iteratorINS8_10device_ptrIfEEEESH_NS8_9null_typeESI_SI_SI_SI_SI_SI_SI_EEEENS9_21zip_adj_not_predicateI22is_equal_div_10_uniqueIfEEEEEPllNS8_4plusIlEEEE10hipError_tPvRmT1_T2_T3_mT4_P12ihipStream_tbEUlT_E0_NS1_11comp_targetILNS1_3genE10ELNS1_11target_archE1201ELNS1_3gpuE5ELNS1_3repE0EEENS1_30default_config_static_selectorELNS0_4arch9wavefront6targetE1EEEvSW_.has_indirect_call, 0
	.section	.AMDGPU.csdata,"",@progbits
; Kernel info:
; codeLenInByte = 0
; TotalNumSgprs: 4
; NumVgprs: 0
; ScratchSize: 0
; MemoryBound: 0
; FloatMode: 240
; IeeeMode: 1
; LDSByteSize: 0 bytes/workgroup (compile time only)
; SGPRBlocks: 0
; VGPRBlocks: 0
; NumSGPRsForWavesPerEU: 4
; NumVGPRsForWavesPerEU: 1
; Occupancy: 10
; WaveLimiterHint : 0
; COMPUTE_PGM_RSRC2:SCRATCH_EN: 0
; COMPUTE_PGM_RSRC2:USER_SGPR: 6
; COMPUTE_PGM_RSRC2:TRAP_HANDLER: 0
; COMPUTE_PGM_RSRC2:TGID_X_EN: 1
; COMPUTE_PGM_RSRC2:TGID_Y_EN: 0
; COMPUTE_PGM_RSRC2:TGID_Z_EN: 0
; COMPUTE_PGM_RSRC2:TIDIG_COMP_CNT: 0
	.section	.text._ZN7rocprim17ROCPRIM_400000_NS6detail17trampoline_kernelINS0_14default_configENS1_22reduce_config_selectorIlEEZNS1_11reduce_implILb1ES3_N6thrust23THRUST_200600_302600_NS11hip_rocprim26transform_input_iterator_tIlNS8_12zip_iteratorINS8_5tupleINS8_6detail15normal_iteratorINS8_10device_ptrIfEEEESH_NS8_9null_typeESI_SI_SI_SI_SI_SI_SI_EEEENS9_21zip_adj_not_predicateI22is_equal_div_10_uniqueIfEEEEEPllNS8_4plusIlEEEE10hipError_tPvRmT1_T2_T3_mT4_P12ihipStream_tbEUlT_E0_NS1_11comp_targetILNS1_3genE10ELNS1_11target_archE1200ELNS1_3gpuE4ELNS1_3repE0EEENS1_30default_config_static_selectorELNS0_4arch9wavefront6targetE1EEEvSW_,"axG",@progbits,_ZN7rocprim17ROCPRIM_400000_NS6detail17trampoline_kernelINS0_14default_configENS1_22reduce_config_selectorIlEEZNS1_11reduce_implILb1ES3_N6thrust23THRUST_200600_302600_NS11hip_rocprim26transform_input_iterator_tIlNS8_12zip_iteratorINS8_5tupleINS8_6detail15normal_iteratorINS8_10device_ptrIfEEEESH_NS8_9null_typeESI_SI_SI_SI_SI_SI_SI_EEEENS9_21zip_adj_not_predicateI22is_equal_div_10_uniqueIfEEEEEPllNS8_4plusIlEEEE10hipError_tPvRmT1_T2_T3_mT4_P12ihipStream_tbEUlT_E0_NS1_11comp_targetILNS1_3genE10ELNS1_11target_archE1200ELNS1_3gpuE4ELNS1_3repE0EEENS1_30default_config_static_selectorELNS0_4arch9wavefront6targetE1EEEvSW_,comdat
	.protected	_ZN7rocprim17ROCPRIM_400000_NS6detail17trampoline_kernelINS0_14default_configENS1_22reduce_config_selectorIlEEZNS1_11reduce_implILb1ES3_N6thrust23THRUST_200600_302600_NS11hip_rocprim26transform_input_iterator_tIlNS8_12zip_iteratorINS8_5tupleINS8_6detail15normal_iteratorINS8_10device_ptrIfEEEESH_NS8_9null_typeESI_SI_SI_SI_SI_SI_SI_EEEENS9_21zip_adj_not_predicateI22is_equal_div_10_uniqueIfEEEEEPllNS8_4plusIlEEEE10hipError_tPvRmT1_T2_T3_mT4_P12ihipStream_tbEUlT_E0_NS1_11comp_targetILNS1_3genE10ELNS1_11target_archE1200ELNS1_3gpuE4ELNS1_3repE0EEENS1_30default_config_static_selectorELNS0_4arch9wavefront6targetE1EEEvSW_ ; -- Begin function _ZN7rocprim17ROCPRIM_400000_NS6detail17trampoline_kernelINS0_14default_configENS1_22reduce_config_selectorIlEEZNS1_11reduce_implILb1ES3_N6thrust23THRUST_200600_302600_NS11hip_rocprim26transform_input_iterator_tIlNS8_12zip_iteratorINS8_5tupleINS8_6detail15normal_iteratorINS8_10device_ptrIfEEEESH_NS8_9null_typeESI_SI_SI_SI_SI_SI_SI_EEEENS9_21zip_adj_not_predicateI22is_equal_div_10_uniqueIfEEEEEPllNS8_4plusIlEEEE10hipError_tPvRmT1_T2_T3_mT4_P12ihipStream_tbEUlT_E0_NS1_11comp_targetILNS1_3genE10ELNS1_11target_archE1200ELNS1_3gpuE4ELNS1_3repE0EEENS1_30default_config_static_selectorELNS0_4arch9wavefront6targetE1EEEvSW_
	.globl	_ZN7rocprim17ROCPRIM_400000_NS6detail17trampoline_kernelINS0_14default_configENS1_22reduce_config_selectorIlEEZNS1_11reduce_implILb1ES3_N6thrust23THRUST_200600_302600_NS11hip_rocprim26transform_input_iterator_tIlNS8_12zip_iteratorINS8_5tupleINS8_6detail15normal_iteratorINS8_10device_ptrIfEEEESH_NS8_9null_typeESI_SI_SI_SI_SI_SI_SI_EEEENS9_21zip_adj_not_predicateI22is_equal_div_10_uniqueIfEEEEEPllNS8_4plusIlEEEE10hipError_tPvRmT1_T2_T3_mT4_P12ihipStream_tbEUlT_E0_NS1_11comp_targetILNS1_3genE10ELNS1_11target_archE1200ELNS1_3gpuE4ELNS1_3repE0EEENS1_30default_config_static_selectorELNS0_4arch9wavefront6targetE1EEEvSW_
	.p2align	8
	.type	_ZN7rocprim17ROCPRIM_400000_NS6detail17trampoline_kernelINS0_14default_configENS1_22reduce_config_selectorIlEEZNS1_11reduce_implILb1ES3_N6thrust23THRUST_200600_302600_NS11hip_rocprim26transform_input_iterator_tIlNS8_12zip_iteratorINS8_5tupleINS8_6detail15normal_iteratorINS8_10device_ptrIfEEEESH_NS8_9null_typeESI_SI_SI_SI_SI_SI_SI_EEEENS9_21zip_adj_not_predicateI22is_equal_div_10_uniqueIfEEEEEPllNS8_4plusIlEEEE10hipError_tPvRmT1_T2_T3_mT4_P12ihipStream_tbEUlT_E0_NS1_11comp_targetILNS1_3genE10ELNS1_11target_archE1200ELNS1_3gpuE4ELNS1_3repE0EEENS1_30default_config_static_selectorELNS0_4arch9wavefront6targetE1EEEvSW_,@function
_ZN7rocprim17ROCPRIM_400000_NS6detail17trampoline_kernelINS0_14default_configENS1_22reduce_config_selectorIlEEZNS1_11reduce_implILb1ES3_N6thrust23THRUST_200600_302600_NS11hip_rocprim26transform_input_iterator_tIlNS8_12zip_iteratorINS8_5tupleINS8_6detail15normal_iteratorINS8_10device_ptrIfEEEESH_NS8_9null_typeESI_SI_SI_SI_SI_SI_SI_EEEENS9_21zip_adj_not_predicateI22is_equal_div_10_uniqueIfEEEEEPllNS8_4plusIlEEEE10hipError_tPvRmT1_T2_T3_mT4_P12ihipStream_tbEUlT_E0_NS1_11comp_targetILNS1_3genE10ELNS1_11target_archE1200ELNS1_3gpuE4ELNS1_3repE0EEENS1_30default_config_static_selectorELNS0_4arch9wavefront6targetE1EEEvSW_: ; @_ZN7rocprim17ROCPRIM_400000_NS6detail17trampoline_kernelINS0_14default_configENS1_22reduce_config_selectorIlEEZNS1_11reduce_implILb1ES3_N6thrust23THRUST_200600_302600_NS11hip_rocprim26transform_input_iterator_tIlNS8_12zip_iteratorINS8_5tupleINS8_6detail15normal_iteratorINS8_10device_ptrIfEEEESH_NS8_9null_typeESI_SI_SI_SI_SI_SI_SI_EEEENS9_21zip_adj_not_predicateI22is_equal_div_10_uniqueIfEEEEEPllNS8_4plusIlEEEE10hipError_tPvRmT1_T2_T3_mT4_P12ihipStream_tbEUlT_E0_NS1_11comp_targetILNS1_3genE10ELNS1_11target_archE1200ELNS1_3gpuE4ELNS1_3repE0EEENS1_30default_config_static_selectorELNS0_4arch9wavefront6targetE1EEEvSW_
; %bb.0:
	.section	.rodata,"a",@progbits
	.p2align	6, 0x0
	.amdhsa_kernel _ZN7rocprim17ROCPRIM_400000_NS6detail17trampoline_kernelINS0_14default_configENS1_22reduce_config_selectorIlEEZNS1_11reduce_implILb1ES3_N6thrust23THRUST_200600_302600_NS11hip_rocprim26transform_input_iterator_tIlNS8_12zip_iteratorINS8_5tupleINS8_6detail15normal_iteratorINS8_10device_ptrIfEEEESH_NS8_9null_typeESI_SI_SI_SI_SI_SI_SI_EEEENS9_21zip_adj_not_predicateI22is_equal_div_10_uniqueIfEEEEEPllNS8_4plusIlEEEE10hipError_tPvRmT1_T2_T3_mT4_P12ihipStream_tbEUlT_E0_NS1_11comp_targetILNS1_3genE10ELNS1_11target_archE1200ELNS1_3gpuE4ELNS1_3repE0EEENS1_30default_config_static_selectorELNS0_4arch9wavefront6targetE1EEEvSW_
		.amdhsa_group_segment_fixed_size 0
		.amdhsa_private_segment_fixed_size 0
		.amdhsa_kernarg_size 80
		.amdhsa_user_sgpr_count 6
		.amdhsa_user_sgpr_private_segment_buffer 1
		.amdhsa_user_sgpr_dispatch_ptr 0
		.amdhsa_user_sgpr_queue_ptr 0
		.amdhsa_user_sgpr_kernarg_segment_ptr 1
		.amdhsa_user_sgpr_dispatch_id 0
		.amdhsa_user_sgpr_flat_scratch_init 0
		.amdhsa_user_sgpr_private_segment_size 0
		.amdhsa_uses_dynamic_stack 0
		.amdhsa_system_sgpr_private_segment_wavefront_offset 0
		.amdhsa_system_sgpr_workgroup_id_x 1
		.amdhsa_system_sgpr_workgroup_id_y 0
		.amdhsa_system_sgpr_workgroup_id_z 0
		.amdhsa_system_sgpr_workgroup_info 0
		.amdhsa_system_vgpr_workitem_id 0
		.amdhsa_next_free_vgpr 1
		.amdhsa_next_free_sgpr 0
		.amdhsa_reserve_vcc 0
		.amdhsa_reserve_flat_scratch 0
		.amdhsa_float_round_mode_32 0
		.amdhsa_float_round_mode_16_64 0
		.amdhsa_float_denorm_mode_32 3
		.amdhsa_float_denorm_mode_16_64 3
		.amdhsa_dx10_clamp 1
		.amdhsa_ieee_mode 1
		.amdhsa_fp16_overflow 0
		.amdhsa_exception_fp_ieee_invalid_op 0
		.amdhsa_exception_fp_denorm_src 0
		.amdhsa_exception_fp_ieee_div_zero 0
		.amdhsa_exception_fp_ieee_overflow 0
		.amdhsa_exception_fp_ieee_underflow 0
		.amdhsa_exception_fp_ieee_inexact 0
		.amdhsa_exception_int_div_zero 0
	.end_amdhsa_kernel
	.section	.text._ZN7rocprim17ROCPRIM_400000_NS6detail17trampoline_kernelINS0_14default_configENS1_22reduce_config_selectorIlEEZNS1_11reduce_implILb1ES3_N6thrust23THRUST_200600_302600_NS11hip_rocprim26transform_input_iterator_tIlNS8_12zip_iteratorINS8_5tupleINS8_6detail15normal_iteratorINS8_10device_ptrIfEEEESH_NS8_9null_typeESI_SI_SI_SI_SI_SI_SI_EEEENS9_21zip_adj_not_predicateI22is_equal_div_10_uniqueIfEEEEEPllNS8_4plusIlEEEE10hipError_tPvRmT1_T2_T3_mT4_P12ihipStream_tbEUlT_E0_NS1_11comp_targetILNS1_3genE10ELNS1_11target_archE1200ELNS1_3gpuE4ELNS1_3repE0EEENS1_30default_config_static_selectorELNS0_4arch9wavefront6targetE1EEEvSW_,"axG",@progbits,_ZN7rocprim17ROCPRIM_400000_NS6detail17trampoline_kernelINS0_14default_configENS1_22reduce_config_selectorIlEEZNS1_11reduce_implILb1ES3_N6thrust23THRUST_200600_302600_NS11hip_rocprim26transform_input_iterator_tIlNS8_12zip_iteratorINS8_5tupleINS8_6detail15normal_iteratorINS8_10device_ptrIfEEEESH_NS8_9null_typeESI_SI_SI_SI_SI_SI_SI_EEEENS9_21zip_adj_not_predicateI22is_equal_div_10_uniqueIfEEEEEPllNS8_4plusIlEEEE10hipError_tPvRmT1_T2_T3_mT4_P12ihipStream_tbEUlT_E0_NS1_11comp_targetILNS1_3genE10ELNS1_11target_archE1200ELNS1_3gpuE4ELNS1_3repE0EEENS1_30default_config_static_selectorELNS0_4arch9wavefront6targetE1EEEvSW_,comdat
.Lfunc_end803:
	.size	_ZN7rocprim17ROCPRIM_400000_NS6detail17trampoline_kernelINS0_14default_configENS1_22reduce_config_selectorIlEEZNS1_11reduce_implILb1ES3_N6thrust23THRUST_200600_302600_NS11hip_rocprim26transform_input_iterator_tIlNS8_12zip_iteratorINS8_5tupleINS8_6detail15normal_iteratorINS8_10device_ptrIfEEEESH_NS8_9null_typeESI_SI_SI_SI_SI_SI_SI_EEEENS9_21zip_adj_not_predicateI22is_equal_div_10_uniqueIfEEEEEPllNS8_4plusIlEEEE10hipError_tPvRmT1_T2_T3_mT4_P12ihipStream_tbEUlT_E0_NS1_11comp_targetILNS1_3genE10ELNS1_11target_archE1200ELNS1_3gpuE4ELNS1_3repE0EEENS1_30default_config_static_selectorELNS0_4arch9wavefront6targetE1EEEvSW_, .Lfunc_end803-_ZN7rocprim17ROCPRIM_400000_NS6detail17trampoline_kernelINS0_14default_configENS1_22reduce_config_selectorIlEEZNS1_11reduce_implILb1ES3_N6thrust23THRUST_200600_302600_NS11hip_rocprim26transform_input_iterator_tIlNS8_12zip_iteratorINS8_5tupleINS8_6detail15normal_iteratorINS8_10device_ptrIfEEEESH_NS8_9null_typeESI_SI_SI_SI_SI_SI_SI_EEEENS9_21zip_adj_not_predicateI22is_equal_div_10_uniqueIfEEEEEPllNS8_4plusIlEEEE10hipError_tPvRmT1_T2_T3_mT4_P12ihipStream_tbEUlT_E0_NS1_11comp_targetILNS1_3genE10ELNS1_11target_archE1200ELNS1_3gpuE4ELNS1_3repE0EEENS1_30default_config_static_selectorELNS0_4arch9wavefront6targetE1EEEvSW_
                                        ; -- End function
	.set _ZN7rocprim17ROCPRIM_400000_NS6detail17trampoline_kernelINS0_14default_configENS1_22reduce_config_selectorIlEEZNS1_11reduce_implILb1ES3_N6thrust23THRUST_200600_302600_NS11hip_rocprim26transform_input_iterator_tIlNS8_12zip_iteratorINS8_5tupleINS8_6detail15normal_iteratorINS8_10device_ptrIfEEEESH_NS8_9null_typeESI_SI_SI_SI_SI_SI_SI_EEEENS9_21zip_adj_not_predicateI22is_equal_div_10_uniqueIfEEEEEPllNS8_4plusIlEEEE10hipError_tPvRmT1_T2_T3_mT4_P12ihipStream_tbEUlT_E0_NS1_11comp_targetILNS1_3genE10ELNS1_11target_archE1200ELNS1_3gpuE4ELNS1_3repE0EEENS1_30default_config_static_selectorELNS0_4arch9wavefront6targetE1EEEvSW_.num_vgpr, 0
	.set _ZN7rocprim17ROCPRIM_400000_NS6detail17trampoline_kernelINS0_14default_configENS1_22reduce_config_selectorIlEEZNS1_11reduce_implILb1ES3_N6thrust23THRUST_200600_302600_NS11hip_rocprim26transform_input_iterator_tIlNS8_12zip_iteratorINS8_5tupleINS8_6detail15normal_iteratorINS8_10device_ptrIfEEEESH_NS8_9null_typeESI_SI_SI_SI_SI_SI_SI_EEEENS9_21zip_adj_not_predicateI22is_equal_div_10_uniqueIfEEEEEPllNS8_4plusIlEEEE10hipError_tPvRmT1_T2_T3_mT4_P12ihipStream_tbEUlT_E0_NS1_11comp_targetILNS1_3genE10ELNS1_11target_archE1200ELNS1_3gpuE4ELNS1_3repE0EEENS1_30default_config_static_selectorELNS0_4arch9wavefront6targetE1EEEvSW_.num_agpr, 0
	.set _ZN7rocprim17ROCPRIM_400000_NS6detail17trampoline_kernelINS0_14default_configENS1_22reduce_config_selectorIlEEZNS1_11reduce_implILb1ES3_N6thrust23THRUST_200600_302600_NS11hip_rocprim26transform_input_iterator_tIlNS8_12zip_iteratorINS8_5tupleINS8_6detail15normal_iteratorINS8_10device_ptrIfEEEESH_NS8_9null_typeESI_SI_SI_SI_SI_SI_SI_EEEENS9_21zip_adj_not_predicateI22is_equal_div_10_uniqueIfEEEEEPllNS8_4plusIlEEEE10hipError_tPvRmT1_T2_T3_mT4_P12ihipStream_tbEUlT_E0_NS1_11comp_targetILNS1_3genE10ELNS1_11target_archE1200ELNS1_3gpuE4ELNS1_3repE0EEENS1_30default_config_static_selectorELNS0_4arch9wavefront6targetE1EEEvSW_.numbered_sgpr, 0
	.set _ZN7rocprim17ROCPRIM_400000_NS6detail17trampoline_kernelINS0_14default_configENS1_22reduce_config_selectorIlEEZNS1_11reduce_implILb1ES3_N6thrust23THRUST_200600_302600_NS11hip_rocprim26transform_input_iterator_tIlNS8_12zip_iteratorINS8_5tupleINS8_6detail15normal_iteratorINS8_10device_ptrIfEEEESH_NS8_9null_typeESI_SI_SI_SI_SI_SI_SI_EEEENS9_21zip_adj_not_predicateI22is_equal_div_10_uniqueIfEEEEEPllNS8_4plusIlEEEE10hipError_tPvRmT1_T2_T3_mT4_P12ihipStream_tbEUlT_E0_NS1_11comp_targetILNS1_3genE10ELNS1_11target_archE1200ELNS1_3gpuE4ELNS1_3repE0EEENS1_30default_config_static_selectorELNS0_4arch9wavefront6targetE1EEEvSW_.num_named_barrier, 0
	.set _ZN7rocprim17ROCPRIM_400000_NS6detail17trampoline_kernelINS0_14default_configENS1_22reduce_config_selectorIlEEZNS1_11reduce_implILb1ES3_N6thrust23THRUST_200600_302600_NS11hip_rocprim26transform_input_iterator_tIlNS8_12zip_iteratorINS8_5tupleINS8_6detail15normal_iteratorINS8_10device_ptrIfEEEESH_NS8_9null_typeESI_SI_SI_SI_SI_SI_SI_EEEENS9_21zip_adj_not_predicateI22is_equal_div_10_uniqueIfEEEEEPllNS8_4plusIlEEEE10hipError_tPvRmT1_T2_T3_mT4_P12ihipStream_tbEUlT_E0_NS1_11comp_targetILNS1_3genE10ELNS1_11target_archE1200ELNS1_3gpuE4ELNS1_3repE0EEENS1_30default_config_static_selectorELNS0_4arch9wavefront6targetE1EEEvSW_.private_seg_size, 0
	.set _ZN7rocprim17ROCPRIM_400000_NS6detail17trampoline_kernelINS0_14default_configENS1_22reduce_config_selectorIlEEZNS1_11reduce_implILb1ES3_N6thrust23THRUST_200600_302600_NS11hip_rocprim26transform_input_iterator_tIlNS8_12zip_iteratorINS8_5tupleINS8_6detail15normal_iteratorINS8_10device_ptrIfEEEESH_NS8_9null_typeESI_SI_SI_SI_SI_SI_SI_EEEENS9_21zip_adj_not_predicateI22is_equal_div_10_uniqueIfEEEEEPllNS8_4plusIlEEEE10hipError_tPvRmT1_T2_T3_mT4_P12ihipStream_tbEUlT_E0_NS1_11comp_targetILNS1_3genE10ELNS1_11target_archE1200ELNS1_3gpuE4ELNS1_3repE0EEENS1_30default_config_static_selectorELNS0_4arch9wavefront6targetE1EEEvSW_.uses_vcc, 0
	.set _ZN7rocprim17ROCPRIM_400000_NS6detail17trampoline_kernelINS0_14default_configENS1_22reduce_config_selectorIlEEZNS1_11reduce_implILb1ES3_N6thrust23THRUST_200600_302600_NS11hip_rocprim26transform_input_iterator_tIlNS8_12zip_iteratorINS8_5tupleINS8_6detail15normal_iteratorINS8_10device_ptrIfEEEESH_NS8_9null_typeESI_SI_SI_SI_SI_SI_SI_EEEENS9_21zip_adj_not_predicateI22is_equal_div_10_uniqueIfEEEEEPllNS8_4plusIlEEEE10hipError_tPvRmT1_T2_T3_mT4_P12ihipStream_tbEUlT_E0_NS1_11comp_targetILNS1_3genE10ELNS1_11target_archE1200ELNS1_3gpuE4ELNS1_3repE0EEENS1_30default_config_static_selectorELNS0_4arch9wavefront6targetE1EEEvSW_.uses_flat_scratch, 0
	.set _ZN7rocprim17ROCPRIM_400000_NS6detail17trampoline_kernelINS0_14default_configENS1_22reduce_config_selectorIlEEZNS1_11reduce_implILb1ES3_N6thrust23THRUST_200600_302600_NS11hip_rocprim26transform_input_iterator_tIlNS8_12zip_iteratorINS8_5tupleINS8_6detail15normal_iteratorINS8_10device_ptrIfEEEESH_NS8_9null_typeESI_SI_SI_SI_SI_SI_SI_EEEENS9_21zip_adj_not_predicateI22is_equal_div_10_uniqueIfEEEEEPllNS8_4plusIlEEEE10hipError_tPvRmT1_T2_T3_mT4_P12ihipStream_tbEUlT_E0_NS1_11comp_targetILNS1_3genE10ELNS1_11target_archE1200ELNS1_3gpuE4ELNS1_3repE0EEENS1_30default_config_static_selectorELNS0_4arch9wavefront6targetE1EEEvSW_.has_dyn_sized_stack, 0
	.set _ZN7rocprim17ROCPRIM_400000_NS6detail17trampoline_kernelINS0_14default_configENS1_22reduce_config_selectorIlEEZNS1_11reduce_implILb1ES3_N6thrust23THRUST_200600_302600_NS11hip_rocprim26transform_input_iterator_tIlNS8_12zip_iteratorINS8_5tupleINS8_6detail15normal_iteratorINS8_10device_ptrIfEEEESH_NS8_9null_typeESI_SI_SI_SI_SI_SI_SI_EEEENS9_21zip_adj_not_predicateI22is_equal_div_10_uniqueIfEEEEEPllNS8_4plusIlEEEE10hipError_tPvRmT1_T2_T3_mT4_P12ihipStream_tbEUlT_E0_NS1_11comp_targetILNS1_3genE10ELNS1_11target_archE1200ELNS1_3gpuE4ELNS1_3repE0EEENS1_30default_config_static_selectorELNS0_4arch9wavefront6targetE1EEEvSW_.has_recursion, 0
	.set _ZN7rocprim17ROCPRIM_400000_NS6detail17trampoline_kernelINS0_14default_configENS1_22reduce_config_selectorIlEEZNS1_11reduce_implILb1ES3_N6thrust23THRUST_200600_302600_NS11hip_rocprim26transform_input_iterator_tIlNS8_12zip_iteratorINS8_5tupleINS8_6detail15normal_iteratorINS8_10device_ptrIfEEEESH_NS8_9null_typeESI_SI_SI_SI_SI_SI_SI_EEEENS9_21zip_adj_not_predicateI22is_equal_div_10_uniqueIfEEEEEPllNS8_4plusIlEEEE10hipError_tPvRmT1_T2_T3_mT4_P12ihipStream_tbEUlT_E0_NS1_11comp_targetILNS1_3genE10ELNS1_11target_archE1200ELNS1_3gpuE4ELNS1_3repE0EEENS1_30default_config_static_selectorELNS0_4arch9wavefront6targetE1EEEvSW_.has_indirect_call, 0
	.section	.AMDGPU.csdata,"",@progbits
; Kernel info:
; codeLenInByte = 0
; TotalNumSgprs: 4
; NumVgprs: 0
; ScratchSize: 0
; MemoryBound: 0
; FloatMode: 240
; IeeeMode: 1
; LDSByteSize: 0 bytes/workgroup (compile time only)
; SGPRBlocks: 0
; VGPRBlocks: 0
; NumSGPRsForWavesPerEU: 4
; NumVGPRsForWavesPerEU: 1
; Occupancy: 10
; WaveLimiterHint : 0
; COMPUTE_PGM_RSRC2:SCRATCH_EN: 0
; COMPUTE_PGM_RSRC2:USER_SGPR: 6
; COMPUTE_PGM_RSRC2:TRAP_HANDLER: 0
; COMPUTE_PGM_RSRC2:TGID_X_EN: 1
; COMPUTE_PGM_RSRC2:TGID_Y_EN: 0
; COMPUTE_PGM_RSRC2:TGID_Z_EN: 0
; COMPUTE_PGM_RSRC2:TIDIG_COMP_CNT: 0
	.section	.text._ZN7rocprim17ROCPRIM_400000_NS6detail17trampoline_kernelINS0_14default_configENS1_22reduce_config_selectorIlEEZNS1_11reduce_implILb1ES3_N6thrust23THRUST_200600_302600_NS11hip_rocprim26transform_input_iterator_tIlNS8_12zip_iteratorINS8_5tupleINS8_6detail15normal_iteratorINS8_10device_ptrIfEEEESH_NS8_9null_typeESI_SI_SI_SI_SI_SI_SI_EEEENS9_21zip_adj_not_predicateI22is_equal_div_10_uniqueIfEEEEEPllNS8_4plusIlEEEE10hipError_tPvRmT1_T2_T3_mT4_P12ihipStream_tbEUlT_E0_NS1_11comp_targetILNS1_3genE9ELNS1_11target_archE1100ELNS1_3gpuE3ELNS1_3repE0EEENS1_30default_config_static_selectorELNS0_4arch9wavefront6targetE1EEEvSW_,"axG",@progbits,_ZN7rocprim17ROCPRIM_400000_NS6detail17trampoline_kernelINS0_14default_configENS1_22reduce_config_selectorIlEEZNS1_11reduce_implILb1ES3_N6thrust23THRUST_200600_302600_NS11hip_rocprim26transform_input_iterator_tIlNS8_12zip_iteratorINS8_5tupleINS8_6detail15normal_iteratorINS8_10device_ptrIfEEEESH_NS8_9null_typeESI_SI_SI_SI_SI_SI_SI_EEEENS9_21zip_adj_not_predicateI22is_equal_div_10_uniqueIfEEEEEPllNS8_4plusIlEEEE10hipError_tPvRmT1_T2_T3_mT4_P12ihipStream_tbEUlT_E0_NS1_11comp_targetILNS1_3genE9ELNS1_11target_archE1100ELNS1_3gpuE3ELNS1_3repE0EEENS1_30default_config_static_selectorELNS0_4arch9wavefront6targetE1EEEvSW_,comdat
	.protected	_ZN7rocprim17ROCPRIM_400000_NS6detail17trampoline_kernelINS0_14default_configENS1_22reduce_config_selectorIlEEZNS1_11reduce_implILb1ES3_N6thrust23THRUST_200600_302600_NS11hip_rocprim26transform_input_iterator_tIlNS8_12zip_iteratorINS8_5tupleINS8_6detail15normal_iteratorINS8_10device_ptrIfEEEESH_NS8_9null_typeESI_SI_SI_SI_SI_SI_SI_EEEENS9_21zip_adj_not_predicateI22is_equal_div_10_uniqueIfEEEEEPllNS8_4plusIlEEEE10hipError_tPvRmT1_T2_T3_mT4_P12ihipStream_tbEUlT_E0_NS1_11comp_targetILNS1_3genE9ELNS1_11target_archE1100ELNS1_3gpuE3ELNS1_3repE0EEENS1_30default_config_static_selectorELNS0_4arch9wavefront6targetE1EEEvSW_ ; -- Begin function _ZN7rocprim17ROCPRIM_400000_NS6detail17trampoline_kernelINS0_14default_configENS1_22reduce_config_selectorIlEEZNS1_11reduce_implILb1ES3_N6thrust23THRUST_200600_302600_NS11hip_rocprim26transform_input_iterator_tIlNS8_12zip_iteratorINS8_5tupleINS8_6detail15normal_iteratorINS8_10device_ptrIfEEEESH_NS8_9null_typeESI_SI_SI_SI_SI_SI_SI_EEEENS9_21zip_adj_not_predicateI22is_equal_div_10_uniqueIfEEEEEPllNS8_4plusIlEEEE10hipError_tPvRmT1_T2_T3_mT4_P12ihipStream_tbEUlT_E0_NS1_11comp_targetILNS1_3genE9ELNS1_11target_archE1100ELNS1_3gpuE3ELNS1_3repE0EEENS1_30default_config_static_selectorELNS0_4arch9wavefront6targetE1EEEvSW_
	.globl	_ZN7rocprim17ROCPRIM_400000_NS6detail17trampoline_kernelINS0_14default_configENS1_22reduce_config_selectorIlEEZNS1_11reduce_implILb1ES3_N6thrust23THRUST_200600_302600_NS11hip_rocprim26transform_input_iterator_tIlNS8_12zip_iteratorINS8_5tupleINS8_6detail15normal_iteratorINS8_10device_ptrIfEEEESH_NS8_9null_typeESI_SI_SI_SI_SI_SI_SI_EEEENS9_21zip_adj_not_predicateI22is_equal_div_10_uniqueIfEEEEEPllNS8_4plusIlEEEE10hipError_tPvRmT1_T2_T3_mT4_P12ihipStream_tbEUlT_E0_NS1_11comp_targetILNS1_3genE9ELNS1_11target_archE1100ELNS1_3gpuE3ELNS1_3repE0EEENS1_30default_config_static_selectorELNS0_4arch9wavefront6targetE1EEEvSW_
	.p2align	8
	.type	_ZN7rocprim17ROCPRIM_400000_NS6detail17trampoline_kernelINS0_14default_configENS1_22reduce_config_selectorIlEEZNS1_11reduce_implILb1ES3_N6thrust23THRUST_200600_302600_NS11hip_rocprim26transform_input_iterator_tIlNS8_12zip_iteratorINS8_5tupleINS8_6detail15normal_iteratorINS8_10device_ptrIfEEEESH_NS8_9null_typeESI_SI_SI_SI_SI_SI_SI_EEEENS9_21zip_adj_not_predicateI22is_equal_div_10_uniqueIfEEEEEPllNS8_4plusIlEEEE10hipError_tPvRmT1_T2_T3_mT4_P12ihipStream_tbEUlT_E0_NS1_11comp_targetILNS1_3genE9ELNS1_11target_archE1100ELNS1_3gpuE3ELNS1_3repE0EEENS1_30default_config_static_selectorELNS0_4arch9wavefront6targetE1EEEvSW_,@function
_ZN7rocprim17ROCPRIM_400000_NS6detail17trampoline_kernelINS0_14default_configENS1_22reduce_config_selectorIlEEZNS1_11reduce_implILb1ES3_N6thrust23THRUST_200600_302600_NS11hip_rocprim26transform_input_iterator_tIlNS8_12zip_iteratorINS8_5tupleINS8_6detail15normal_iteratorINS8_10device_ptrIfEEEESH_NS8_9null_typeESI_SI_SI_SI_SI_SI_SI_EEEENS9_21zip_adj_not_predicateI22is_equal_div_10_uniqueIfEEEEEPllNS8_4plusIlEEEE10hipError_tPvRmT1_T2_T3_mT4_P12ihipStream_tbEUlT_E0_NS1_11comp_targetILNS1_3genE9ELNS1_11target_archE1100ELNS1_3gpuE3ELNS1_3repE0EEENS1_30default_config_static_selectorELNS0_4arch9wavefront6targetE1EEEvSW_: ; @_ZN7rocprim17ROCPRIM_400000_NS6detail17trampoline_kernelINS0_14default_configENS1_22reduce_config_selectorIlEEZNS1_11reduce_implILb1ES3_N6thrust23THRUST_200600_302600_NS11hip_rocprim26transform_input_iterator_tIlNS8_12zip_iteratorINS8_5tupleINS8_6detail15normal_iteratorINS8_10device_ptrIfEEEESH_NS8_9null_typeESI_SI_SI_SI_SI_SI_SI_EEEENS9_21zip_adj_not_predicateI22is_equal_div_10_uniqueIfEEEEEPllNS8_4plusIlEEEE10hipError_tPvRmT1_T2_T3_mT4_P12ihipStream_tbEUlT_E0_NS1_11comp_targetILNS1_3genE9ELNS1_11target_archE1100ELNS1_3gpuE3ELNS1_3repE0EEENS1_30default_config_static_selectorELNS0_4arch9wavefront6targetE1EEEvSW_
; %bb.0:
	.section	.rodata,"a",@progbits
	.p2align	6, 0x0
	.amdhsa_kernel _ZN7rocprim17ROCPRIM_400000_NS6detail17trampoline_kernelINS0_14default_configENS1_22reduce_config_selectorIlEEZNS1_11reduce_implILb1ES3_N6thrust23THRUST_200600_302600_NS11hip_rocprim26transform_input_iterator_tIlNS8_12zip_iteratorINS8_5tupleINS8_6detail15normal_iteratorINS8_10device_ptrIfEEEESH_NS8_9null_typeESI_SI_SI_SI_SI_SI_SI_EEEENS9_21zip_adj_not_predicateI22is_equal_div_10_uniqueIfEEEEEPllNS8_4plusIlEEEE10hipError_tPvRmT1_T2_T3_mT4_P12ihipStream_tbEUlT_E0_NS1_11comp_targetILNS1_3genE9ELNS1_11target_archE1100ELNS1_3gpuE3ELNS1_3repE0EEENS1_30default_config_static_selectorELNS0_4arch9wavefront6targetE1EEEvSW_
		.amdhsa_group_segment_fixed_size 0
		.amdhsa_private_segment_fixed_size 0
		.amdhsa_kernarg_size 80
		.amdhsa_user_sgpr_count 6
		.amdhsa_user_sgpr_private_segment_buffer 1
		.amdhsa_user_sgpr_dispatch_ptr 0
		.amdhsa_user_sgpr_queue_ptr 0
		.amdhsa_user_sgpr_kernarg_segment_ptr 1
		.amdhsa_user_sgpr_dispatch_id 0
		.amdhsa_user_sgpr_flat_scratch_init 0
		.amdhsa_user_sgpr_private_segment_size 0
		.amdhsa_uses_dynamic_stack 0
		.amdhsa_system_sgpr_private_segment_wavefront_offset 0
		.amdhsa_system_sgpr_workgroup_id_x 1
		.amdhsa_system_sgpr_workgroup_id_y 0
		.amdhsa_system_sgpr_workgroup_id_z 0
		.amdhsa_system_sgpr_workgroup_info 0
		.amdhsa_system_vgpr_workitem_id 0
		.amdhsa_next_free_vgpr 1
		.amdhsa_next_free_sgpr 0
		.amdhsa_reserve_vcc 0
		.amdhsa_reserve_flat_scratch 0
		.amdhsa_float_round_mode_32 0
		.amdhsa_float_round_mode_16_64 0
		.amdhsa_float_denorm_mode_32 3
		.amdhsa_float_denorm_mode_16_64 3
		.amdhsa_dx10_clamp 1
		.amdhsa_ieee_mode 1
		.amdhsa_fp16_overflow 0
		.amdhsa_exception_fp_ieee_invalid_op 0
		.amdhsa_exception_fp_denorm_src 0
		.amdhsa_exception_fp_ieee_div_zero 0
		.amdhsa_exception_fp_ieee_overflow 0
		.amdhsa_exception_fp_ieee_underflow 0
		.amdhsa_exception_fp_ieee_inexact 0
		.amdhsa_exception_int_div_zero 0
	.end_amdhsa_kernel
	.section	.text._ZN7rocprim17ROCPRIM_400000_NS6detail17trampoline_kernelINS0_14default_configENS1_22reduce_config_selectorIlEEZNS1_11reduce_implILb1ES3_N6thrust23THRUST_200600_302600_NS11hip_rocprim26transform_input_iterator_tIlNS8_12zip_iteratorINS8_5tupleINS8_6detail15normal_iteratorINS8_10device_ptrIfEEEESH_NS8_9null_typeESI_SI_SI_SI_SI_SI_SI_EEEENS9_21zip_adj_not_predicateI22is_equal_div_10_uniqueIfEEEEEPllNS8_4plusIlEEEE10hipError_tPvRmT1_T2_T3_mT4_P12ihipStream_tbEUlT_E0_NS1_11comp_targetILNS1_3genE9ELNS1_11target_archE1100ELNS1_3gpuE3ELNS1_3repE0EEENS1_30default_config_static_selectorELNS0_4arch9wavefront6targetE1EEEvSW_,"axG",@progbits,_ZN7rocprim17ROCPRIM_400000_NS6detail17trampoline_kernelINS0_14default_configENS1_22reduce_config_selectorIlEEZNS1_11reduce_implILb1ES3_N6thrust23THRUST_200600_302600_NS11hip_rocprim26transform_input_iterator_tIlNS8_12zip_iteratorINS8_5tupleINS8_6detail15normal_iteratorINS8_10device_ptrIfEEEESH_NS8_9null_typeESI_SI_SI_SI_SI_SI_SI_EEEENS9_21zip_adj_not_predicateI22is_equal_div_10_uniqueIfEEEEEPllNS8_4plusIlEEEE10hipError_tPvRmT1_T2_T3_mT4_P12ihipStream_tbEUlT_E0_NS1_11comp_targetILNS1_3genE9ELNS1_11target_archE1100ELNS1_3gpuE3ELNS1_3repE0EEENS1_30default_config_static_selectorELNS0_4arch9wavefront6targetE1EEEvSW_,comdat
.Lfunc_end804:
	.size	_ZN7rocprim17ROCPRIM_400000_NS6detail17trampoline_kernelINS0_14default_configENS1_22reduce_config_selectorIlEEZNS1_11reduce_implILb1ES3_N6thrust23THRUST_200600_302600_NS11hip_rocprim26transform_input_iterator_tIlNS8_12zip_iteratorINS8_5tupleINS8_6detail15normal_iteratorINS8_10device_ptrIfEEEESH_NS8_9null_typeESI_SI_SI_SI_SI_SI_SI_EEEENS9_21zip_adj_not_predicateI22is_equal_div_10_uniqueIfEEEEEPllNS8_4plusIlEEEE10hipError_tPvRmT1_T2_T3_mT4_P12ihipStream_tbEUlT_E0_NS1_11comp_targetILNS1_3genE9ELNS1_11target_archE1100ELNS1_3gpuE3ELNS1_3repE0EEENS1_30default_config_static_selectorELNS0_4arch9wavefront6targetE1EEEvSW_, .Lfunc_end804-_ZN7rocprim17ROCPRIM_400000_NS6detail17trampoline_kernelINS0_14default_configENS1_22reduce_config_selectorIlEEZNS1_11reduce_implILb1ES3_N6thrust23THRUST_200600_302600_NS11hip_rocprim26transform_input_iterator_tIlNS8_12zip_iteratorINS8_5tupleINS8_6detail15normal_iteratorINS8_10device_ptrIfEEEESH_NS8_9null_typeESI_SI_SI_SI_SI_SI_SI_EEEENS9_21zip_adj_not_predicateI22is_equal_div_10_uniqueIfEEEEEPllNS8_4plusIlEEEE10hipError_tPvRmT1_T2_T3_mT4_P12ihipStream_tbEUlT_E0_NS1_11comp_targetILNS1_3genE9ELNS1_11target_archE1100ELNS1_3gpuE3ELNS1_3repE0EEENS1_30default_config_static_selectorELNS0_4arch9wavefront6targetE1EEEvSW_
                                        ; -- End function
	.set _ZN7rocprim17ROCPRIM_400000_NS6detail17trampoline_kernelINS0_14default_configENS1_22reduce_config_selectorIlEEZNS1_11reduce_implILb1ES3_N6thrust23THRUST_200600_302600_NS11hip_rocprim26transform_input_iterator_tIlNS8_12zip_iteratorINS8_5tupleINS8_6detail15normal_iteratorINS8_10device_ptrIfEEEESH_NS8_9null_typeESI_SI_SI_SI_SI_SI_SI_EEEENS9_21zip_adj_not_predicateI22is_equal_div_10_uniqueIfEEEEEPllNS8_4plusIlEEEE10hipError_tPvRmT1_T2_T3_mT4_P12ihipStream_tbEUlT_E0_NS1_11comp_targetILNS1_3genE9ELNS1_11target_archE1100ELNS1_3gpuE3ELNS1_3repE0EEENS1_30default_config_static_selectorELNS0_4arch9wavefront6targetE1EEEvSW_.num_vgpr, 0
	.set _ZN7rocprim17ROCPRIM_400000_NS6detail17trampoline_kernelINS0_14default_configENS1_22reduce_config_selectorIlEEZNS1_11reduce_implILb1ES3_N6thrust23THRUST_200600_302600_NS11hip_rocprim26transform_input_iterator_tIlNS8_12zip_iteratorINS8_5tupleINS8_6detail15normal_iteratorINS8_10device_ptrIfEEEESH_NS8_9null_typeESI_SI_SI_SI_SI_SI_SI_EEEENS9_21zip_adj_not_predicateI22is_equal_div_10_uniqueIfEEEEEPllNS8_4plusIlEEEE10hipError_tPvRmT1_T2_T3_mT4_P12ihipStream_tbEUlT_E0_NS1_11comp_targetILNS1_3genE9ELNS1_11target_archE1100ELNS1_3gpuE3ELNS1_3repE0EEENS1_30default_config_static_selectorELNS0_4arch9wavefront6targetE1EEEvSW_.num_agpr, 0
	.set _ZN7rocprim17ROCPRIM_400000_NS6detail17trampoline_kernelINS0_14default_configENS1_22reduce_config_selectorIlEEZNS1_11reduce_implILb1ES3_N6thrust23THRUST_200600_302600_NS11hip_rocprim26transform_input_iterator_tIlNS8_12zip_iteratorINS8_5tupleINS8_6detail15normal_iteratorINS8_10device_ptrIfEEEESH_NS8_9null_typeESI_SI_SI_SI_SI_SI_SI_EEEENS9_21zip_adj_not_predicateI22is_equal_div_10_uniqueIfEEEEEPllNS8_4plusIlEEEE10hipError_tPvRmT1_T2_T3_mT4_P12ihipStream_tbEUlT_E0_NS1_11comp_targetILNS1_3genE9ELNS1_11target_archE1100ELNS1_3gpuE3ELNS1_3repE0EEENS1_30default_config_static_selectorELNS0_4arch9wavefront6targetE1EEEvSW_.numbered_sgpr, 0
	.set _ZN7rocprim17ROCPRIM_400000_NS6detail17trampoline_kernelINS0_14default_configENS1_22reduce_config_selectorIlEEZNS1_11reduce_implILb1ES3_N6thrust23THRUST_200600_302600_NS11hip_rocprim26transform_input_iterator_tIlNS8_12zip_iteratorINS8_5tupleINS8_6detail15normal_iteratorINS8_10device_ptrIfEEEESH_NS8_9null_typeESI_SI_SI_SI_SI_SI_SI_EEEENS9_21zip_adj_not_predicateI22is_equal_div_10_uniqueIfEEEEEPllNS8_4plusIlEEEE10hipError_tPvRmT1_T2_T3_mT4_P12ihipStream_tbEUlT_E0_NS1_11comp_targetILNS1_3genE9ELNS1_11target_archE1100ELNS1_3gpuE3ELNS1_3repE0EEENS1_30default_config_static_selectorELNS0_4arch9wavefront6targetE1EEEvSW_.num_named_barrier, 0
	.set _ZN7rocprim17ROCPRIM_400000_NS6detail17trampoline_kernelINS0_14default_configENS1_22reduce_config_selectorIlEEZNS1_11reduce_implILb1ES3_N6thrust23THRUST_200600_302600_NS11hip_rocprim26transform_input_iterator_tIlNS8_12zip_iteratorINS8_5tupleINS8_6detail15normal_iteratorINS8_10device_ptrIfEEEESH_NS8_9null_typeESI_SI_SI_SI_SI_SI_SI_EEEENS9_21zip_adj_not_predicateI22is_equal_div_10_uniqueIfEEEEEPllNS8_4plusIlEEEE10hipError_tPvRmT1_T2_T3_mT4_P12ihipStream_tbEUlT_E0_NS1_11comp_targetILNS1_3genE9ELNS1_11target_archE1100ELNS1_3gpuE3ELNS1_3repE0EEENS1_30default_config_static_selectorELNS0_4arch9wavefront6targetE1EEEvSW_.private_seg_size, 0
	.set _ZN7rocprim17ROCPRIM_400000_NS6detail17trampoline_kernelINS0_14default_configENS1_22reduce_config_selectorIlEEZNS1_11reduce_implILb1ES3_N6thrust23THRUST_200600_302600_NS11hip_rocprim26transform_input_iterator_tIlNS8_12zip_iteratorINS8_5tupleINS8_6detail15normal_iteratorINS8_10device_ptrIfEEEESH_NS8_9null_typeESI_SI_SI_SI_SI_SI_SI_EEEENS9_21zip_adj_not_predicateI22is_equal_div_10_uniqueIfEEEEEPllNS8_4plusIlEEEE10hipError_tPvRmT1_T2_T3_mT4_P12ihipStream_tbEUlT_E0_NS1_11comp_targetILNS1_3genE9ELNS1_11target_archE1100ELNS1_3gpuE3ELNS1_3repE0EEENS1_30default_config_static_selectorELNS0_4arch9wavefront6targetE1EEEvSW_.uses_vcc, 0
	.set _ZN7rocprim17ROCPRIM_400000_NS6detail17trampoline_kernelINS0_14default_configENS1_22reduce_config_selectorIlEEZNS1_11reduce_implILb1ES3_N6thrust23THRUST_200600_302600_NS11hip_rocprim26transform_input_iterator_tIlNS8_12zip_iteratorINS8_5tupleINS8_6detail15normal_iteratorINS8_10device_ptrIfEEEESH_NS8_9null_typeESI_SI_SI_SI_SI_SI_SI_EEEENS9_21zip_adj_not_predicateI22is_equal_div_10_uniqueIfEEEEEPllNS8_4plusIlEEEE10hipError_tPvRmT1_T2_T3_mT4_P12ihipStream_tbEUlT_E0_NS1_11comp_targetILNS1_3genE9ELNS1_11target_archE1100ELNS1_3gpuE3ELNS1_3repE0EEENS1_30default_config_static_selectorELNS0_4arch9wavefront6targetE1EEEvSW_.uses_flat_scratch, 0
	.set _ZN7rocprim17ROCPRIM_400000_NS6detail17trampoline_kernelINS0_14default_configENS1_22reduce_config_selectorIlEEZNS1_11reduce_implILb1ES3_N6thrust23THRUST_200600_302600_NS11hip_rocprim26transform_input_iterator_tIlNS8_12zip_iteratorINS8_5tupleINS8_6detail15normal_iteratorINS8_10device_ptrIfEEEESH_NS8_9null_typeESI_SI_SI_SI_SI_SI_SI_EEEENS9_21zip_adj_not_predicateI22is_equal_div_10_uniqueIfEEEEEPllNS8_4plusIlEEEE10hipError_tPvRmT1_T2_T3_mT4_P12ihipStream_tbEUlT_E0_NS1_11comp_targetILNS1_3genE9ELNS1_11target_archE1100ELNS1_3gpuE3ELNS1_3repE0EEENS1_30default_config_static_selectorELNS0_4arch9wavefront6targetE1EEEvSW_.has_dyn_sized_stack, 0
	.set _ZN7rocprim17ROCPRIM_400000_NS6detail17trampoline_kernelINS0_14default_configENS1_22reduce_config_selectorIlEEZNS1_11reduce_implILb1ES3_N6thrust23THRUST_200600_302600_NS11hip_rocprim26transform_input_iterator_tIlNS8_12zip_iteratorINS8_5tupleINS8_6detail15normal_iteratorINS8_10device_ptrIfEEEESH_NS8_9null_typeESI_SI_SI_SI_SI_SI_SI_EEEENS9_21zip_adj_not_predicateI22is_equal_div_10_uniqueIfEEEEEPllNS8_4plusIlEEEE10hipError_tPvRmT1_T2_T3_mT4_P12ihipStream_tbEUlT_E0_NS1_11comp_targetILNS1_3genE9ELNS1_11target_archE1100ELNS1_3gpuE3ELNS1_3repE0EEENS1_30default_config_static_selectorELNS0_4arch9wavefront6targetE1EEEvSW_.has_recursion, 0
	.set _ZN7rocprim17ROCPRIM_400000_NS6detail17trampoline_kernelINS0_14default_configENS1_22reduce_config_selectorIlEEZNS1_11reduce_implILb1ES3_N6thrust23THRUST_200600_302600_NS11hip_rocprim26transform_input_iterator_tIlNS8_12zip_iteratorINS8_5tupleINS8_6detail15normal_iteratorINS8_10device_ptrIfEEEESH_NS8_9null_typeESI_SI_SI_SI_SI_SI_SI_EEEENS9_21zip_adj_not_predicateI22is_equal_div_10_uniqueIfEEEEEPllNS8_4plusIlEEEE10hipError_tPvRmT1_T2_T3_mT4_P12ihipStream_tbEUlT_E0_NS1_11comp_targetILNS1_3genE9ELNS1_11target_archE1100ELNS1_3gpuE3ELNS1_3repE0EEENS1_30default_config_static_selectorELNS0_4arch9wavefront6targetE1EEEvSW_.has_indirect_call, 0
	.section	.AMDGPU.csdata,"",@progbits
; Kernel info:
; codeLenInByte = 0
; TotalNumSgprs: 4
; NumVgprs: 0
; ScratchSize: 0
; MemoryBound: 0
; FloatMode: 240
; IeeeMode: 1
; LDSByteSize: 0 bytes/workgroup (compile time only)
; SGPRBlocks: 0
; VGPRBlocks: 0
; NumSGPRsForWavesPerEU: 4
; NumVGPRsForWavesPerEU: 1
; Occupancy: 10
; WaveLimiterHint : 0
; COMPUTE_PGM_RSRC2:SCRATCH_EN: 0
; COMPUTE_PGM_RSRC2:USER_SGPR: 6
; COMPUTE_PGM_RSRC2:TRAP_HANDLER: 0
; COMPUTE_PGM_RSRC2:TGID_X_EN: 1
; COMPUTE_PGM_RSRC2:TGID_Y_EN: 0
; COMPUTE_PGM_RSRC2:TGID_Z_EN: 0
; COMPUTE_PGM_RSRC2:TIDIG_COMP_CNT: 0
	.section	.text._ZN7rocprim17ROCPRIM_400000_NS6detail17trampoline_kernelINS0_14default_configENS1_22reduce_config_selectorIlEEZNS1_11reduce_implILb1ES3_N6thrust23THRUST_200600_302600_NS11hip_rocprim26transform_input_iterator_tIlNS8_12zip_iteratorINS8_5tupleINS8_6detail15normal_iteratorINS8_10device_ptrIfEEEESH_NS8_9null_typeESI_SI_SI_SI_SI_SI_SI_EEEENS9_21zip_adj_not_predicateI22is_equal_div_10_uniqueIfEEEEEPllNS8_4plusIlEEEE10hipError_tPvRmT1_T2_T3_mT4_P12ihipStream_tbEUlT_E0_NS1_11comp_targetILNS1_3genE8ELNS1_11target_archE1030ELNS1_3gpuE2ELNS1_3repE0EEENS1_30default_config_static_selectorELNS0_4arch9wavefront6targetE1EEEvSW_,"axG",@progbits,_ZN7rocprim17ROCPRIM_400000_NS6detail17trampoline_kernelINS0_14default_configENS1_22reduce_config_selectorIlEEZNS1_11reduce_implILb1ES3_N6thrust23THRUST_200600_302600_NS11hip_rocprim26transform_input_iterator_tIlNS8_12zip_iteratorINS8_5tupleINS8_6detail15normal_iteratorINS8_10device_ptrIfEEEESH_NS8_9null_typeESI_SI_SI_SI_SI_SI_SI_EEEENS9_21zip_adj_not_predicateI22is_equal_div_10_uniqueIfEEEEEPllNS8_4plusIlEEEE10hipError_tPvRmT1_T2_T3_mT4_P12ihipStream_tbEUlT_E0_NS1_11comp_targetILNS1_3genE8ELNS1_11target_archE1030ELNS1_3gpuE2ELNS1_3repE0EEENS1_30default_config_static_selectorELNS0_4arch9wavefront6targetE1EEEvSW_,comdat
	.protected	_ZN7rocprim17ROCPRIM_400000_NS6detail17trampoline_kernelINS0_14default_configENS1_22reduce_config_selectorIlEEZNS1_11reduce_implILb1ES3_N6thrust23THRUST_200600_302600_NS11hip_rocprim26transform_input_iterator_tIlNS8_12zip_iteratorINS8_5tupleINS8_6detail15normal_iteratorINS8_10device_ptrIfEEEESH_NS8_9null_typeESI_SI_SI_SI_SI_SI_SI_EEEENS9_21zip_adj_not_predicateI22is_equal_div_10_uniqueIfEEEEEPllNS8_4plusIlEEEE10hipError_tPvRmT1_T2_T3_mT4_P12ihipStream_tbEUlT_E0_NS1_11comp_targetILNS1_3genE8ELNS1_11target_archE1030ELNS1_3gpuE2ELNS1_3repE0EEENS1_30default_config_static_selectorELNS0_4arch9wavefront6targetE1EEEvSW_ ; -- Begin function _ZN7rocprim17ROCPRIM_400000_NS6detail17trampoline_kernelINS0_14default_configENS1_22reduce_config_selectorIlEEZNS1_11reduce_implILb1ES3_N6thrust23THRUST_200600_302600_NS11hip_rocprim26transform_input_iterator_tIlNS8_12zip_iteratorINS8_5tupleINS8_6detail15normal_iteratorINS8_10device_ptrIfEEEESH_NS8_9null_typeESI_SI_SI_SI_SI_SI_SI_EEEENS9_21zip_adj_not_predicateI22is_equal_div_10_uniqueIfEEEEEPllNS8_4plusIlEEEE10hipError_tPvRmT1_T2_T3_mT4_P12ihipStream_tbEUlT_E0_NS1_11comp_targetILNS1_3genE8ELNS1_11target_archE1030ELNS1_3gpuE2ELNS1_3repE0EEENS1_30default_config_static_selectorELNS0_4arch9wavefront6targetE1EEEvSW_
	.globl	_ZN7rocprim17ROCPRIM_400000_NS6detail17trampoline_kernelINS0_14default_configENS1_22reduce_config_selectorIlEEZNS1_11reduce_implILb1ES3_N6thrust23THRUST_200600_302600_NS11hip_rocprim26transform_input_iterator_tIlNS8_12zip_iteratorINS8_5tupleINS8_6detail15normal_iteratorINS8_10device_ptrIfEEEESH_NS8_9null_typeESI_SI_SI_SI_SI_SI_SI_EEEENS9_21zip_adj_not_predicateI22is_equal_div_10_uniqueIfEEEEEPllNS8_4plusIlEEEE10hipError_tPvRmT1_T2_T3_mT4_P12ihipStream_tbEUlT_E0_NS1_11comp_targetILNS1_3genE8ELNS1_11target_archE1030ELNS1_3gpuE2ELNS1_3repE0EEENS1_30default_config_static_selectorELNS0_4arch9wavefront6targetE1EEEvSW_
	.p2align	8
	.type	_ZN7rocprim17ROCPRIM_400000_NS6detail17trampoline_kernelINS0_14default_configENS1_22reduce_config_selectorIlEEZNS1_11reduce_implILb1ES3_N6thrust23THRUST_200600_302600_NS11hip_rocprim26transform_input_iterator_tIlNS8_12zip_iteratorINS8_5tupleINS8_6detail15normal_iteratorINS8_10device_ptrIfEEEESH_NS8_9null_typeESI_SI_SI_SI_SI_SI_SI_EEEENS9_21zip_adj_not_predicateI22is_equal_div_10_uniqueIfEEEEEPllNS8_4plusIlEEEE10hipError_tPvRmT1_T2_T3_mT4_P12ihipStream_tbEUlT_E0_NS1_11comp_targetILNS1_3genE8ELNS1_11target_archE1030ELNS1_3gpuE2ELNS1_3repE0EEENS1_30default_config_static_selectorELNS0_4arch9wavefront6targetE1EEEvSW_,@function
_ZN7rocprim17ROCPRIM_400000_NS6detail17trampoline_kernelINS0_14default_configENS1_22reduce_config_selectorIlEEZNS1_11reduce_implILb1ES3_N6thrust23THRUST_200600_302600_NS11hip_rocprim26transform_input_iterator_tIlNS8_12zip_iteratorINS8_5tupleINS8_6detail15normal_iteratorINS8_10device_ptrIfEEEESH_NS8_9null_typeESI_SI_SI_SI_SI_SI_SI_EEEENS9_21zip_adj_not_predicateI22is_equal_div_10_uniqueIfEEEEEPllNS8_4plusIlEEEE10hipError_tPvRmT1_T2_T3_mT4_P12ihipStream_tbEUlT_E0_NS1_11comp_targetILNS1_3genE8ELNS1_11target_archE1030ELNS1_3gpuE2ELNS1_3repE0EEENS1_30default_config_static_selectorELNS0_4arch9wavefront6targetE1EEEvSW_: ; @_ZN7rocprim17ROCPRIM_400000_NS6detail17trampoline_kernelINS0_14default_configENS1_22reduce_config_selectorIlEEZNS1_11reduce_implILb1ES3_N6thrust23THRUST_200600_302600_NS11hip_rocprim26transform_input_iterator_tIlNS8_12zip_iteratorINS8_5tupleINS8_6detail15normal_iteratorINS8_10device_ptrIfEEEESH_NS8_9null_typeESI_SI_SI_SI_SI_SI_SI_EEEENS9_21zip_adj_not_predicateI22is_equal_div_10_uniqueIfEEEEEPllNS8_4plusIlEEEE10hipError_tPvRmT1_T2_T3_mT4_P12ihipStream_tbEUlT_E0_NS1_11comp_targetILNS1_3genE8ELNS1_11target_archE1030ELNS1_3gpuE2ELNS1_3repE0EEENS1_30default_config_static_selectorELNS0_4arch9wavefront6targetE1EEEvSW_
; %bb.0:
	.section	.rodata,"a",@progbits
	.p2align	6, 0x0
	.amdhsa_kernel _ZN7rocprim17ROCPRIM_400000_NS6detail17trampoline_kernelINS0_14default_configENS1_22reduce_config_selectorIlEEZNS1_11reduce_implILb1ES3_N6thrust23THRUST_200600_302600_NS11hip_rocprim26transform_input_iterator_tIlNS8_12zip_iteratorINS8_5tupleINS8_6detail15normal_iteratorINS8_10device_ptrIfEEEESH_NS8_9null_typeESI_SI_SI_SI_SI_SI_SI_EEEENS9_21zip_adj_not_predicateI22is_equal_div_10_uniqueIfEEEEEPllNS8_4plusIlEEEE10hipError_tPvRmT1_T2_T3_mT4_P12ihipStream_tbEUlT_E0_NS1_11comp_targetILNS1_3genE8ELNS1_11target_archE1030ELNS1_3gpuE2ELNS1_3repE0EEENS1_30default_config_static_selectorELNS0_4arch9wavefront6targetE1EEEvSW_
		.amdhsa_group_segment_fixed_size 0
		.amdhsa_private_segment_fixed_size 0
		.amdhsa_kernarg_size 80
		.amdhsa_user_sgpr_count 6
		.amdhsa_user_sgpr_private_segment_buffer 1
		.amdhsa_user_sgpr_dispatch_ptr 0
		.amdhsa_user_sgpr_queue_ptr 0
		.amdhsa_user_sgpr_kernarg_segment_ptr 1
		.amdhsa_user_sgpr_dispatch_id 0
		.amdhsa_user_sgpr_flat_scratch_init 0
		.amdhsa_user_sgpr_private_segment_size 0
		.amdhsa_uses_dynamic_stack 0
		.amdhsa_system_sgpr_private_segment_wavefront_offset 0
		.amdhsa_system_sgpr_workgroup_id_x 1
		.amdhsa_system_sgpr_workgroup_id_y 0
		.amdhsa_system_sgpr_workgroup_id_z 0
		.amdhsa_system_sgpr_workgroup_info 0
		.amdhsa_system_vgpr_workitem_id 0
		.amdhsa_next_free_vgpr 1
		.amdhsa_next_free_sgpr 0
		.amdhsa_reserve_vcc 0
		.amdhsa_reserve_flat_scratch 0
		.amdhsa_float_round_mode_32 0
		.amdhsa_float_round_mode_16_64 0
		.amdhsa_float_denorm_mode_32 3
		.amdhsa_float_denorm_mode_16_64 3
		.amdhsa_dx10_clamp 1
		.amdhsa_ieee_mode 1
		.amdhsa_fp16_overflow 0
		.amdhsa_exception_fp_ieee_invalid_op 0
		.amdhsa_exception_fp_denorm_src 0
		.amdhsa_exception_fp_ieee_div_zero 0
		.amdhsa_exception_fp_ieee_overflow 0
		.amdhsa_exception_fp_ieee_underflow 0
		.amdhsa_exception_fp_ieee_inexact 0
		.amdhsa_exception_int_div_zero 0
	.end_amdhsa_kernel
	.section	.text._ZN7rocprim17ROCPRIM_400000_NS6detail17trampoline_kernelINS0_14default_configENS1_22reduce_config_selectorIlEEZNS1_11reduce_implILb1ES3_N6thrust23THRUST_200600_302600_NS11hip_rocprim26transform_input_iterator_tIlNS8_12zip_iteratorINS8_5tupleINS8_6detail15normal_iteratorINS8_10device_ptrIfEEEESH_NS8_9null_typeESI_SI_SI_SI_SI_SI_SI_EEEENS9_21zip_adj_not_predicateI22is_equal_div_10_uniqueIfEEEEEPllNS8_4plusIlEEEE10hipError_tPvRmT1_T2_T3_mT4_P12ihipStream_tbEUlT_E0_NS1_11comp_targetILNS1_3genE8ELNS1_11target_archE1030ELNS1_3gpuE2ELNS1_3repE0EEENS1_30default_config_static_selectorELNS0_4arch9wavefront6targetE1EEEvSW_,"axG",@progbits,_ZN7rocprim17ROCPRIM_400000_NS6detail17trampoline_kernelINS0_14default_configENS1_22reduce_config_selectorIlEEZNS1_11reduce_implILb1ES3_N6thrust23THRUST_200600_302600_NS11hip_rocprim26transform_input_iterator_tIlNS8_12zip_iteratorINS8_5tupleINS8_6detail15normal_iteratorINS8_10device_ptrIfEEEESH_NS8_9null_typeESI_SI_SI_SI_SI_SI_SI_EEEENS9_21zip_adj_not_predicateI22is_equal_div_10_uniqueIfEEEEEPllNS8_4plusIlEEEE10hipError_tPvRmT1_T2_T3_mT4_P12ihipStream_tbEUlT_E0_NS1_11comp_targetILNS1_3genE8ELNS1_11target_archE1030ELNS1_3gpuE2ELNS1_3repE0EEENS1_30default_config_static_selectorELNS0_4arch9wavefront6targetE1EEEvSW_,comdat
.Lfunc_end805:
	.size	_ZN7rocprim17ROCPRIM_400000_NS6detail17trampoline_kernelINS0_14default_configENS1_22reduce_config_selectorIlEEZNS1_11reduce_implILb1ES3_N6thrust23THRUST_200600_302600_NS11hip_rocprim26transform_input_iterator_tIlNS8_12zip_iteratorINS8_5tupleINS8_6detail15normal_iteratorINS8_10device_ptrIfEEEESH_NS8_9null_typeESI_SI_SI_SI_SI_SI_SI_EEEENS9_21zip_adj_not_predicateI22is_equal_div_10_uniqueIfEEEEEPllNS8_4plusIlEEEE10hipError_tPvRmT1_T2_T3_mT4_P12ihipStream_tbEUlT_E0_NS1_11comp_targetILNS1_3genE8ELNS1_11target_archE1030ELNS1_3gpuE2ELNS1_3repE0EEENS1_30default_config_static_selectorELNS0_4arch9wavefront6targetE1EEEvSW_, .Lfunc_end805-_ZN7rocprim17ROCPRIM_400000_NS6detail17trampoline_kernelINS0_14default_configENS1_22reduce_config_selectorIlEEZNS1_11reduce_implILb1ES3_N6thrust23THRUST_200600_302600_NS11hip_rocprim26transform_input_iterator_tIlNS8_12zip_iteratorINS8_5tupleINS8_6detail15normal_iteratorINS8_10device_ptrIfEEEESH_NS8_9null_typeESI_SI_SI_SI_SI_SI_SI_EEEENS9_21zip_adj_not_predicateI22is_equal_div_10_uniqueIfEEEEEPllNS8_4plusIlEEEE10hipError_tPvRmT1_T2_T3_mT4_P12ihipStream_tbEUlT_E0_NS1_11comp_targetILNS1_3genE8ELNS1_11target_archE1030ELNS1_3gpuE2ELNS1_3repE0EEENS1_30default_config_static_selectorELNS0_4arch9wavefront6targetE1EEEvSW_
                                        ; -- End function
	.set _ZN7rocprim17ROCPRIM_400000_NS6detail17trampoline_kernelINS0_14default_configENS1_22reduce_config_selectorIlEEZNS1_11reduce_implILb1ES3_N6thrust23THRUST_200600_302600_NS11hip_rocprim26transform_input_iterator_tIlNS8_12zip_iteratorINS8_5tupleINS8_6detail15normal_iteratorINS8_10device_ptrIfEEEESH_NS8_9null_typeESI_SI_SI_SI_SI_SI_SI_EEEENS9_21zip_adj_not_predicateI22is_equal_div_10_uniqueIfEEEEEPllNS8_4plusIlEEEE10hipError_tPvRmT1_T2_T3_mT4_P12ihipStream_tbEUlT_E0_NS1_11comp_targetILNS1_3genE8ELNS1_11target_archE1030ELNS1_3gpuE2ELNS1_3repE0EEENS1_30default_config_static_selectorELNS0_4arch9wavefront6targetE1EEEvSW_.num_vgpr, 0
	.set _ZN7rocprim17ROCPRIM_400000_NS6detail17trampoline_kernelINS0_14default_configENS1_22reduce_config_selectorIlEEZNS1_11reduce_implILb1ES3_N6thrust23THRUST_200600_302600_NS11hip_rocprim26transform_input_iterator_tIlNS8_12zip_iteratorINS8_5tupleINS8_6detail15normal_iteratorINS8_10device_ptrIfEEEESH_NS8_9null_typeESI_SI_SI_SI_SI_SI_SI_EEEENS9_21zip_adj_not_predicateI22is_equal_div_10_uniqueIfEEEEEPllNS8_4plusIlEEEE10hipError_tPvRmT1_T2_T3_mT4_P12ihipStream_tbEUlT_E0_NS1_11comp_targetILNS1_3genE8ELNS1_11target_archE1030ELNS1_3gpuE2ELNS1_3repE0EEENS1_30default_config_static_selectorELNS0_4arch9wavefront6targetE1EEEvSW_.num_agpr, 0
	.set _ZN7rocprim17ROCPRIM_400000_NS6detail17trampoline_kernelINS0_14default_configENS1_22reduce_config_selectorIlEEZNS1_11reduce_implILb1ES3_N6thrust23THRUST_200600_302600_NS11hip_rocprim26transform_input_iterator_tIlNS8_12zip_iteratorINS8_5tupleINS8_6detail15normal_iteratorINS8_10device_ptrIfEEEESH_NS8_9null_typeESI_SI_SI_SI_SI_SI_SI_EEEENS9_21zip_adj_not_predicateI22is_equal_div_10_uniqueIfEEEEEPllNS8_4plusIlEEEE10hipError_tPvRmT1_T2_T3_mT4_P12ihipStream_tbEUlT_E0_NS1_11comp_targetILNS1_3genE8ELNS1_11target_archE1030ELNS1_3gpuE2ELNS1_3repE0EEENS1_30default_config_static_selectorELNS0_4arch9wavefront6targetE1EEEvSW_.numbered_sgpr, 0
	.set _ZN7rocprim17ROCPRIM_400000_NS6detail17trampoline_kernelINS0_14default_configENS1_22reduce_config_selectorIlEEZNS1_11reduce_implILb1ES3_N6thrust23THRUST_200600_302600_NS11hip_rocprim26transform_input_iterator_tIlNS8_12zip_iteratorINS8_5tupleINS8_6detail15normal_iteratorINS8_10device_ptrIfEEEESH_NS8_9null_typeESI_SI_SI_SI_SI_SI_SI_EEEENS9_21zip_adj_not_predicateI22is_equal_div_10_uniqueIfEEEEEPllNS8_4plusIlEEEE10hipError_tPvRmT1_T2_T3_mT4_P12ihipStream_tbEUlT_E0_NS1_11comp_targetILNS1_3genE8ELNS1_11target_archE1030ELNS1_3gpuE2ELNS1_3repE0EEENS1_30default_config_static_selectorELNS0_4arch9wavefront6targetE1EEEvSW_.num_named_barrier, 0
	.set _ZN7rocprim17ROCPRIM_400000_NS6detail17trampoline_kernelINS0_14default_configENS1_22reduce_config_selectorIlEEZNS1_11reduce_implILb1ES3_N6thrust23THRUST_200600_302600_NS11hip_rocprim26transform_input_iterator_tIlNS8_12zip_iteratorINS8_5tupleINS8_6detail15normal_iteratorINS8_10device_ptrIfEEEESH_NS8_9null_typeESI_SI_SI_SI_SI_SI_SI_EEEENS9_21zip_adj_not_predicateI22is_equal_div_10_uniqueIfEEEEEPllNS8_4plusIlEEEE10hipError_tPvRmT1_T2_T3_mT4_P12ihipStream_tbEUlT_E0_NS1_11comp_targetILNS1_3genE8ELNS1_11target_archE1030ELNS1_3gpuE2ELNS1_3repE0EEENS1_30default_config_static_selectorELNS0_4arch9wavefront6targetE1EEEvSW_.private_seg_size, 0
	.set _ZN7rocprim17ROCPRIM_400000_NS6detail17trampoline_kernelINS0_14default_configENS1_22reduce_config_selectorIlEEZNS1_11reduce_implILb1ES3_N6thrust23THRUST_200600_302600_NS11hip_rocprim26transform_input_iterator_tIlNS8_12zip_iteratorINS8_5tupleINS8_6detail15normal_iteratorINS8_10device_ptrIfEEEESH_NS8_9null_typeESI_SI_SI_SI_SI_SI_SI_EEEENS9_21zip_adj_not_predicateI22is_equal_div_10_uniqueIfEEEEEPllNS8_4plusIlEEEE10hipError_tPvRmT1_T2_T3_mT4_P12ihipStream_tbEUlT_E0_NS1_11comp_targetILNS1_3genE8ELNS1_11target_archE1030ELNS1_3gpuE2ELNS1_3repE0EEENS1_30default_config_static_selectorELNS0_4arch9wavefront6targetE1EEEvSW_.uses_vcc, 0
	.set _ZN7rocprim17ROCPRIM_400000_NS6detail17trampoline_kernelINS0_14default_configENS1_22reduce_config_selectorIlEEZNS1_11reduce_implILb1ES3_N6thrust23THRUST_200600_302600_NS11hip_rocprim26transform_input_iterator_tIlNS8_12zip_iteratorINS8_5tupleINS8_6detail15normal_iteratorINS8_10device_ptrIfEEEESH_NS8_9null_typeESI_SI_SI_SI_SI_SI_SI_EEEENS9_21zip_adj_not_predicateI22is_equal_div_10_uniqueIfEEEEEPllNS8_4plusIlEEEE10hipError_tPvRmT1_T2_T3_mT4_P12ihipStream_tbEUlT_E0_NS1_11comp_targetILNS1_3genE8ELNS1_11target_archE1030ELNS1_3gpuE2ELNS1_3repE0EEENS1_30default_config_static_selectorELNS0_4arch9wavefront6targetE1EEEvSW_.uses_flat_scratch, 0
	.set _ZN7rocprim17ROCPRIM_400000_NS6detail17trampoline_kernelINS0_14default_configENS1_22reduce_config_selectorIlEEZNS1_11reduce_implILb1ES3_N6thrust23THRUST_200600_302600_NS11hip_rocprim26transform_input_iterator_tIlNS8_12zip_iteratorINS8_5tupleINS8_6detail15normal_iteratorINS8_10device_ptrIfEEEESH_NS8_9null_typeESI_SI_SI_SI_SI_SI_SI_EEEENS9_21zip_adj_not_predicateI22is_equal_div_10_uniqueIfEEEEEPllNS8_4plusIlEEEE10hipError_tPvRmT1_T2_T3_mT4_P12ihipStream_tbEUlT_E0_NS1_11comp_targetILNS1_3genE8ELNS1_11target_archE1030ELNS1_3gpuE2ELNS1_3repE0EEENS1_30default_config_static_selectorELNS0_4arch9wavefront6targetE1EEEvSW_.has_dyn_sized_stack, 0
	.set _ZN7rocprim17ROCPRIM_400000_NS6detail17trampoline_kernelINS0_14default_configENS1_22reduce_config_selectorIlEEZNS1_11reduce_implILb1ES3_N6thrust23THRUST_200600_302600_NS11hip_rocprim26transform_input_iterator_tIlNS8_12zip_iteratorINS8_5tupleINS8_6detail15normal_iteratorINS8_10device_ptrIfEEEESH_NS8_9null_typeESI_SI_SI_SI_SI_SI_SI_EEEENS9_21zip_adj_not_predicateI22is_equal_div_10_uniqueIfEEEEEPllNS8_4plusIlEEEE10hipError_tPvRmT1_T2_T3_mT4_P12ihipStream_tbEUlT_E0_NS1_11comp_targetILNS1_3genE8ELNS1_11target_archE1030ELNS1_3gpuE2ELNS1_3repE0EEENS1_30default_config_static_selectorELNS0_4arch9wavefront6targetE1EEEvSW_.has_recursion, 0
	.set _ZN7rocprim17ROCPRIM_400000_NS6detail17trampoline_kernelINS0_14default_configENS1_22reduce_config_selectorIlEEZNS1_11reduce_implILb1ES3_N6thrust23THRUST_200600_302600_NS11hip_rocprim26transform_input_iterator_tIlNS8_12zip_iteratorINS8_5tupleINS8_6detail15normal_iteratorINS8_10device_ptrIfEEEESH_NS8_9null_typeESI_SI_SI_SI_SI_SI_SI_EEEENS9_21zip_adj_not_predicateI22is_equal_div_10_uniqueIfEEEEEPllNS8_4plusIlEEEE10hipError_tPvRmT1_T2_T3_mT4_P12ihipStream_tbEUlT_E0_NS1_11comp_targetILNS1_3genE8ELNS1_11target_archE1030ELNS1_3gpuE2ELNS1_3repE0EEENS1_30default_config_static_selectorELNS0_4arch9wavefront6targetE1EEEvSW_.has_indirect_call, 0
	.section	.AMDGPU.csdata,"",@progbits
; Kernel info:
; codeLenInByte = 0
; TotalNumSgprs: 4
; NumVgprs: 0
; ScratchSize: 0
; MemoryBound: 0
; FloatMode: 240
; IeeeMode: 1
; LDSByteSize: 0 bytes/workgroup (compile time only)
; SGPRBlocks: 0
; VGPRBlocks: 0
; NumSGPRsForWavesPerEU: 4
; NumVGPRsForWavesPerEU: 1
; Occupancy: 10
; WaveLimiterHint : 0
; COMPUTE_PGM_RSRC2:SCRATCH_EN: 0
; COMPUTE_PGM_RSRC2:USER_SGPR: 6
; COMPUTE_PGM_RSRC2:TRAP_HANDLER: 0
; COMPUTE_PGM_RSRC2:TGID_X_EN: 1
; COMPUTE_PGM_RSRC2:TGID_Y_EN: 0
; COMPUTE_PGM_RSRC2:TGID_Z_EN: 0
; COMPUTE_PGM_RSRC2:TIDIG_COMP_CNT: 0
	.section	.text._ZN7rocprim17ROCPRIM_400000_NS6detail17trampoline_kernelINS0_14default_configENS1_22reduce_config_selectorIlEEZNS1_11reduce_implILb1ES3_N6thrust23THRUST_200600_302600_NS11hip_rocprim26transform_input_iterator_tIlNS8_12zip_iteratorINS8_5tupleINS8_6detail15normal_iteratorINS8_10device_ptrIfEEEESH_NS8_9null_typeESI_SI_SI_SI_SI_SI_SI_EEEENS9_21zip_adj_not_predicateI22is_equal_div_10_uniqueIfEEEEEPllNS8_4plusIlEEEE10hipError_tPvRmT1_T2_T3_mT4_P12ihipStream_tbEUlT_E1_NS1_11comp_targetILNS1_3genE0ELNS1_11target_archE4294967295ELNS1_3gpuE0ELNS1_3repE0EEENS1_30default_config_static_selectorELNS0_4arch9wavefront6targetE1EEEvSW_,"axG",@progbits,_ZN7rocprim17ROCPRIM_400000_NS6detail17trampoline_kernelINS0_14default_configENS1_22reduce_config_selectorIlEEZNS1_11reduce_implILb1ES3_N6thrust23THRUST_200600_302600_NS11hip_rocprim26transform_input_iterator_tIlNS8_12zip_iteratorINS8_5tupleINS8_6detail15normal_iteratorINS8_10device_ptrIfEEEESH_NS8_9null_typeESI_SI_SI_SI_SI_SI_SI_EEEENS9_21zip_adj_not_predicateI22is_equal_div_10_uniqueIfEEEEEPllNS8_4plusIlEEEE10hipError_tPvRmT1_T2_T3_mT4_P12ihipStream_tbEUlT_E1_NS1_11comp_targetILNS1_3genE0ELNS1_11target_archE4294967295ELNS1_3gpuE0ELNS1_3repE0EEENS1_30default_config_static_selectorELNS0_4arch9wavefront6targetE1EEEvSW_,comdat
	.protected	_ZN7rocprim17ROCPRIM_400000_NS6detail17trampoline_kernelINS0_14default_configENS1_22reduce_config_selectorIlEEZNS1_11reduce_implILb1ES3_N6thrust23THRUST_200600_302600_NS11hip_rocprim26transform_input_iterator_tIlNS8_12zip_iteratorINS8_5tupleINS8_6detail15normal_iteratorINS8_10device_ptrIfEEEESH_NS8_9null_typeESI_SI_SI_SI_SI_SI_SI_EEEENS9_21zip_adj_not_predicateI22is_equal_div_10_uniqueIfEEEEEPllNS8_4plusIlEEEE10hipError_tPvRmT1_T2_T3_mT4_P12ihipStream_tbEUlT_E1_NS1_11comp_targetILNS1_3genE0ELNS1_11target_archE4294967295ELNS1_3gpuE0ELNS1_3repE0EEENS1_30default_config_static_selectorELNS0_4arch9wavefront6targetE1EEEvSW_ ; -- Begin function _ZN7rocprim17ROCPRIM_400000_NS6detail17trampoline_kernelINS0_14default_configENS1_22reduce_config_selectorIlEEZNS1_11reduce_implILb1ES3_N6thrust23THRUST_200600_302600_NS11hip_rocprim26transform_input_iterator_tIlNS8_12zip_iteratorINS8_5tupleINS8_6detail15normal_iteratorINS8_10device_ptrIfEEEESH_NS8_9null_typeESI_SI_SI_SI_SI_SI_SI_EEEENS9_21zip_adj_not_predicateI22is_equal_div_10_uniqueIfEEEEEPllNS8_4plusIlEEEE10hipError_tPvRmT1_T2_T3_mT4_P12ihipStream_tbEUlT_E1_NS1_11comp_targetILNS1_3genE0ELNS1_11target_archE4294967295ELNS1_3gpuE0ELNS1_3repE0EEENS1_30default_config_static_selectorELNS0_4arch9wavefront6targetE1EEEvSW_
	.globl	_ZN7rocprim17ROCPRIM_400000_NS6detail17trampoline_kernelINS0_14default_configENS1_22reduce_config_selectorIlEEZNS1_11reduce_implILb1ES3_N6thrust23THRUST_200600_302600_NS11hip_rocprim26transform_input_iterator_tIlNS8_12zip_iteratorINS8_5tupleINS8_6detail15normal_iteratorINS8_10device_ptrIfEEEESH_NS8_9null_typeESI_SI_SI_SI_SI_SI_SI_EEEENS9_21zip_adj_not_predicateI22is_equal_div_10_uniqueIfEEEEEPllNS8_4plusIlEEEE10hipError_tPvRmT1_T2_T3_mT4_P12ihipStream_tbEUlT_E1_NS1_11comp_targetILNS1_3genE0ELNS1_11target_archE4294967295ELNS1_3gpuE0ELNS1_3repE0EEENS1_30default_config_static_selectorELNS0_4arch9wavefront6targetE1EEEvSW_
	.p2align	8
	.type	_ZN7rocprim17ROCPRIM_400000_NS6detail17trampoline_kernelINS0_14default_configENS1_22reduce_config_selectorIlEEZNS1_11reduce_implILb1ES3_N6thrust23THRUST_200600_302600_NS11hip_rocprim26transform_input_iterator_tIlNS8_12zip_iteratorINS8_5tupleINS8_6detail15normal_iteratorINS8_10device_ptrIfEEEESH_NS8_9null_typeESI_SI_SI_SI_SI_SI_SI_EEEENS9_21zip_adj_not_predicateI22is_equal_div_10_uniqueIfEEEEEPllNS8_4plusIlEEEE10hipError_tPvRmT1_T2_T3_mT4_P12ihipStream_tbEUlT_E1_NS1_11comp_targetILNS1_3genE0ELNS1_11target_archE4294967295ELNS1_3gpuE0ELNS1_3repE0EEENS1_30default_config_static_selectorELNS0_4arch9wavefront6targetE1EEEvSW_,@function
_ZN7rocprim17ROCPRIM_400000_NS6detail17trampoline_kernelINS0_14default_configENS1_22reduce_config_selectorIlEEZNS1_11reduce_implILb1ES3_N6thrust23THRUST_200600_302600_NS11hip_rocprim26transform_input_iterator_tIlNS8_12zip_iteratorINS8_5tupleINS8_6detail15normal_iteratorINS8_10device_ptrIfEEEESH_NS8_9null_typeESI_SI_SI_SI_SI_SI_SI_EEEENS9_21zip_adj_not_predicateI22is_equal_div_10_uniqueIfEEEEEPllNS8_4plusIlEEEE10hipError_tPvRmT1_T2_T3_mT4_P12ihipStream_tbEUlT_E1_NS1_11comp_targetILNS1_3genE0ELNS1_11target_archE4294967295ELNS1_3gpuE0ELNS1_3repE0EEENS1_30default_config_static_selectorELNS0_4arch9wavefront6targetE1EEEvSW_: ; @_ZN7rocprim17ROCPRIM_400000_NS6detail17trampoline_kernelINS0_14default_configENS1_22reduce_config_selectorIlEEZNS1_11reduce_implILb1ES3_N6thrust23THRUST_200600_302600_NS11hip_rocprim26transform_input_iterator_tIlNS8_12zip_iteratorINS8_5tupleINS8_6detail15normal_iteratorINS8_10device_ptrIfEEEESH_NS8_9null_typeESI_SI_SI_SI_SI_SI_SI_EEEENS9_21zip_adj_not_predicateI22is_equal_div_10_uniqueIfEEEEEPllNS8_4plusIlEEEE10hipError_tPvRmT1_T2_T3_mT4_P12ihipStream_tbEUlT_E1_NS1_11comp_targetILNS1_3genE0ELNS1_11target_archE4294967295ELNS1_3gpuE0ELNS1_3repE0EEENS1_30default_config_static_selectorELNS0_4arch9wavefront6targetE1EEEvSW_
; %bb.0:
	.section	.rodata,"a",@progbits
	.p2align	6, 0x0
	.amdhsa_kernel _ZN7rocprim17ROCPRIM_400000_NS6detail17trampoline_kernelINS0_14default_configENS1_22reduce_config_selectorIlEEZNS1_11reduce_implILb1ES3_N6thrust23THRUST_200600_302600_NS11hip_rocprim26transform_input_iterator_tIlNS8_12zip_iteratorINS8_5tupleINS8_6detail15normal_iteratorINS8_10device_ptrIfEEEESH_NS8_9null_typeESI_SI_SI_SI_SI_SI_SI_EEEENS9_21zip_adj_not_predicateI22is_equal_div_10_uniqueIfEEEEEPllNS8_4plusIlEEEE10hipError_tPvRmT1_T2_T3_mT4_P12ihipStream_tbEUlT_E1_NS1_11comp_targetILNS1_3genE0ELNS1_11target_archE4294967295ELNS1_3gpuE0ELNS1_3repE0EEENS1_30default_config_static_selectorELNS0_4arch9wavefront6targetE1EEEvSW_
		.amdhsa_group_segment_fixed_size 0
		.amdhsa_private_segment_fixed_size 0
		.amdhsa_kernarg_size 64
		.amdhsa_user_sgpr_count 6
		.amdhsa_user_sgpr_private_segment_buffer 1
		.amdhsa_user_sgpr_dispatch_ptr 0
		.amdhsa_user_sgpr_queue_ptr 0
		.amdhsa_user_sgpr_kernarg_segment_ptr 1
		.amdhsa_user_sgpr_dispatch_id 0
		.amdhsa_user_sgpr_flat_scratch_init 0
		.amdhsa_user_sgpr_private_segment_size 0
		.amdhsa_uses_dynamic_stack 0
		.amdhsa_system_sgpr_private_segment_wavefront_offset 0
		.amdhsa_system_sgpr_workgroup_id_x 1
		.amdhsa_system_sgpr_workgroup_id_y 0
		.amdhsa_system_sgpr_workgroup_id_z 0
		.amdhsa_system_sgpr_workgroup_info 0
		.amdhsa_system_vgpr_workitem_id 0
		.amdhsa_next_free_vgpr 1
		.amdhsa_next_free_sgpr 0
		.amdhsa_reserve_vcc 0
		.amdhsa_reserve_flat_scratch 0
		.amdhsa_float_round_mode_32 0
		.amdhsa_float_round_mode_16_64 0
		.amdhsa_float_denorm_mode_32 3
		.amdhsa_float_denorm_mode_16_64 3
		.amdhsa_dx10_clamp 1
		.amdhsa_ieee_mode 1
		.amdhsa_fp16_overflow 0
		.amdhsa_exception_fp_ieee_invalid_op 0
		.amdhsa_exception_fp_denorm_src 0
		.amdhsa_exception_fp_ieee_div_zero 0
		.amdhsa_exception_fp_ieee_overflow 0
		.amdhsa_exception_fp_ieee_underflow 0
		.amdhsa_exception_fp_ieee_inexact 0
		.amdhsa_exception_int_div_zero 0
	.end_amdhsa_kernel
	.section	.text._ZN7rocprim17ROCPRIM_400000_NS6detail17trampoline_kernelINS0_14default_configENS1_22reduce_config_selectorIlEEZNS1_11reduce_implILb1ES3_N6thrust23THRUST_200600_302600_NS11hip_rocprim26transform_input_iterator_tIlNS8_12zip_iteratorINS8_5tupleINS8_6detail15normal_iteratorINS8_10device_ptrIfEEEESH_NS8_9null_typeESI_SI_SI_SI_SI_SI_SI_EEEENS9_21zip_adj_not_predicateI22is_equal_div_10_uniqueIfEEEEEPllNS8_4plusIlEEEE10hipError_tPvRmT1_T2_T3_mT4_P12ihipStream_tbEUlT_E1_NS1_11comp_targetILNS1_3genE0ELNS1_11target_archE4294967295ELNS1_3gpuE0ELNS1_3repE0EEENS1_30default_config_static_selectorELNS0_4arch9wavefront6targetE1EEEvSW_,"axG",@progbits,_ZN7rocprim17ROCPRIM_400000_NS6detail17trampoline_kernelINS0_14default_configENS1_22reduce_config_selectorIlEEZNS1_11reduce_implILb1ES3_N6thrust23THRUST_200600_302600_NS11hip_rocprim26transform_input_iterator_tIlNS8_12zip_iteratorINS8_5tupleINS8_6detail15normal_iteratorINS8_10device_ptrIfEEEESH_NS8_9null_typeESI_SI_SI_SI_SI_SI_SI_EEEENS9_21zip_adj_not_predicateI22is_equal_div_10_uniqueIfEEEEEPllNS8_4plusIlEEEE10hipError_tPvRmT1_T2_T3_mT4_P12ihipStream_tbEUlT_E1_NS1_11comp_targetILNS1_3genE0ELNS1_11target_archE4294967295ELNS1_3gpuE0ELNS1_3repE0EEENS1_30default_config_static_selectorELNS0_4arch9wavefront6targetE1EEEvSW_,comdat
.Lfunc_end806:
	.size	_ZN7rocprim17ROCPRIM_400000_NS6detail17trampoline_kernelINS0_14default_configENS1_22reduce_config_selectorIlEEZNS1_11reduce_implILb1ES3_N6thrust23THRUST_200600_302600_NS11hip_rocprim26transform_input_iterator_tIlNS8_12zip_iteratorINS8_5tupleINS8_6detail15normal_iteratorINS8_10device_ptrIfEEEESH_NS8_9null_typeESI_SI_SI_SI_SI_SI_SI_EEEENS9_21zip_adj_not_predicateI22is_equal_div_10_uniqueIfEEEEEPllNS8_4plusIlEEEE10hipError_tPvRmT1_T2_T3_mT4_P12ihipStream_tbEUlT_E1_NS1_11comp_targetILNS1_3genE0ELNS1_11target_archE4294967295ELNS1_3gpuE0ELNS1_3repE0EEENS1_30default_config_static_selectorELNS0_4arch9wavefront6targetE1EEEvSW_, .Lfunc_end806-_ZN7rocprim17ROCPRIM_400000_NS6detail17trampoline_kernelINS0_14default_configENS1_22reduce_config_selectorIlEEZNS1_11reduce_implILb1ES3_N6thrust23THRUST_200600_302600_NS11hip_rocprim26transform_input_iterator_tIlNS8_12zip_iteratorINS8_5tupleINS8_6detail15normal_iteratorINS8_10device_ptrIfEEEESH_NS8_9null_typeESI_SI_SI_SI_SI_SI_SI_EEEENS9_21zip_adj_not_predicateI22is_equal_div_10_uniqueIfEEEEEPllNS8_4plusIlEEEE10hipError_tPvRmT1_T2_T3_mT4_P12ihipStream_tbEUlT_E1_NS1_11comp_targetILNS1_3genE0ELNS1_11target_archE4294967295ELNS1_3gpuE0ELNS1_3repE0EEENS1_30default_config_static_selectorELNS0_4arch9wavefront6targetE1EEEvSW_
                                        ; -- End function
	.set _ZN7rocprim17ROCPRIM_400000_NS6detail17trampoline_kernelINS0_14default_configENS1_22reduce_config_selectorIlEEZNS1_11reduce_implILb1ES3_N6thrust23THRUST_200600_302600_NS11hip_rocprim26transform_input_iterator_tIlNS8_12zip_iteratorINS8_5tupleINS8_6detail15normal_iteratorINS8_10device_ptrIfEEEESH_NS8_9null_typeESI_SI_SI_SI_SI_SI_SI_EEEENS9_21zip_adj_not_predicateI22is_equal_div_10_uniqueIfEEEEEPllNS8_4plusIlEEEE10hipError_tPvRmT1_T2_T3_mT4_P12ihipStream_tbEUlT_E1_NS1_11comp_targetILNS1_3genE0ELNS1_11target_archE4294967295ELNS1_3gpuE0ELNS1_3repE0EEENS1_30default_config_static_selectorELNS0_4arch9wavefront6targetE1EEEvSW_.num_vgpr, 0
	.set _ZN7rocprim17ROCPRIM_400000_NS6detail17trampoline_kernelINS0_14default_configENS1_22reduce_config_selectorIlEEZNS1_11reduce_implILb1ES3_N6thrust23THRUST_200600_302600_NS11hip_rocprim26transform_input_iterator_tIlNS8_12zip_iteratorINS8_5tupleINS8_6detail15normal_iteratorINS8_10device_ptrIfEEEESH_NS8_9null_typeESI_SI_SI_SI_SI_SI_SI_EEEENS9_21zip_adj_not_predicateI22is_equal_div_10_uniqueIfEEEEEPllNS8_4plusIlEEEE10hipError_tPvRmT1_T2_T3_mT4_P12ihipStream_tbEUlT_E1_NS1_11comp_targetILNS1_3genE0ELNS1_11target_archE4294967295ELNS1_3gpuE0ELNS1_3repE0EEENS1_30default_config_static_selectorELNS0_4arch9wavefront6targetE1EEEvSW_.num_agpr, 0
	.set _ZN7rocprim17ROCPRIM_400000_NS6detail17trampoline_kernelINS0_14default_configENS1_22reduce_config_selectorIlEEZNS1_11reduce_implILb1ES3_N6thrust23THRUST_200600_302600_NS11hip_rocprim26transform_input_iterator_tIlNS8_12zip_iteratorINS8_5tupleINS8_6detail15normal_iteratorINS8_10device_ptrIfEEEESH_NS8_9null_typeESI_SI_SI_SI_SI_SI_SI_EEEENS9_21zip_adj_not_predicateI22is_equal_div_10_uniqueIfEEEEEPllNS8_4plusIlEEEE10hipError_tPvRmT1_T2_T3_mT4_P12ihipStream_tbEUlT_E1_NS1_11comp_targetILNS1_3genE0ELNS1_11target_archE4294967295ELNS1_3gpuE0ELNS1_3repE0EEENS1_30default_config_static_selectorELNS0_4arch9wavefront6targetE1EEEvSW_.numbered_sgpr, 0
	.set _ZN7rocprim17ROCPRIM_400000_NS6detail17trampoline_kernelINS0_14default_configENS1_22reduce_config_selectorIlEEZNS1_11reduce_implILb1ES3_N6thrust23THRUST_200600_302600_NS11hip_rocprim26transform_input_iterator_tIlNS8_12zip_iteratorINS8_5tupleINS8_6detail15normal_iteratorINS8_10device_ptrIfEEEESH_NS8_9null_typeESI_SI_SI_SI_SI_SI_SI_EEEENS9_21zip_adj_not_predicateI22is_equal_div_10_uniqueIfEEEEEPllNS8_4plusIlEEEE10hipError_tPvRmT1_T2_T3_mT4_P12ihipStream_tbEUlT_E1_NS1_11comp_targetILNS1_3genE0ELNS1_11target_archE4294967295ELNS1_3gpuE0ELNS1_3repE0EEENS1_30default_config_static_selectorELNS0_4arch9wavefront6targetE1EEEvSW_.num_named_barrier, 0
	.set _ZN7rocprim17ROCPRIM_400000_NS6detail17trampoline_kernelINS0_14default_configENS1_22reduce_config_selectorIlEEZNS1_11reduce_implILb1ES3_N6thrust23THRUST_200600_302600_NS11hip_rocprim26transform_input_iterator_tIlNS8_12zip_iteratorINS8_5tupleINS8_6detail15normal_iteratorINS8_10device_ptrIfEEEESH_NS8_9null_typeESI_SI_SI_SI_SI_SI_SI_EEEENS9_21zip_adj_not_predicateI22is_equal_div_10_uniqueIfEEEEEPllNS8_4plusIlEEEE10hipError_tPvRmT1_T2_T3_mT4_P12ihipStream_tbEUlT_E1_NS1_11comp_targetILNS1_3genE0ELNS1_11target_archE4294967295ELNS1_3gpuE0ELNS1_3repE0EEENS1_30default_config_static_selectorELNS0_4arch9wavefront6targetE1EEEvSW_.private_seg_size, 0
	.set _ZN7rocprim17ROCPRIM_400000_NS6detail17trampoline_kernelINS0_14default_configENS1_22reduce_config_selectorIlEEZNS1_11reduce_implILb1ES3_N6thrust23THRUST_200600_302600_NS11hip_rocprim26transform_input_iterator_tIlNS8_12zip_iteratorINS8_5tupleINS8_6detail15normal_iteratorINS8_10device_ptrIfEEEESH_NS8_9null_typeESI_SI_SI_SI_SI_SI_SI_EEEENS9_21zip_adj_not_predicateI22is_equal_div_10_uniqueIfEEEEEPllNS8_4plusIlEEEE10hipError_tPvRmT1_T2_T3_mT4_P12ihipStream_tbEUlT_E1_NS1_11comp_targetILNS1_3genE0ELNS1_11target_archE4294967295ELNS1_3gpuE0ELNS1_3repE0EEENS1_30default_config_static_selectorELNS0_4arch9wavefront6targetE1EEEvSW_.uses_vcc, 0
	.set _ZN7rocprim17ROCPRIM_400000_NS6detail17trampoline_kernelINS0_14default_configENS1_22reduce_config_selectorIlEEZNS1_11reduce_implILb1ES3_N6thrust23THRUST_200600_302600_NS11hip_rocprim26transform_input_iterator_tIlNS8_12zip_iteratorINS8_5tupleINS8_6detail15normal_iteratorINS8_10device_ptrIfEEEESH_NS8_9null_typeESI_SI_SI_SI_SI_SI_SI_EEEENS9_21zip_adj_not_predicateI22is_equal_div_10_uniqueIfEEEEEPllNS8_4plusIlEEEE10hipError_tPvRmT1_T2_T3_mT4_P12ihipStream_tbEUlT_E1_NS1_11comp_targetILNS1_3genE0ELNS1_11target_archE4294967295ELNS1_3gpuE0ELNS1_3repE0EEENS1_30default_config_static_selectorELNS0_4arch9wavefront6targetE1EEEvSW_.uses_flat_scratch, 0
	.set _ZN7rocprim17ROCPRIM_400000_NS6detail17trampoline_kernelINS0_14default_configENS1_22reduce_config_selectorIlEEZNS1_11reduce_implILb1ES3_N6thrust23THRUST_200600_302600_NS11hip_rocprim26transform_input_iterator_tIlNS8_12zip_iteratorINS8_5tupleINS8_6detail15normal_iteratorINS8_10device_ptrIfEEEESH_NS8_9null_typeESI_SI_SI_SI_SI_SI_SI_EEEENS9_21zip_adj_not_predicateI22is_equal_div_10_uniqueIfEEEEEPllNS8_4plusIlEEEE10hipError_tPvRmT1_T2_T3_mT4_P12ihipStream_tbEUlT_E1_NS1_11comp_targetILNS1_3genE0ELNS1_11target_archE4294967295ELNS1_3gpuE0ELNS1_3repE0EEENS1_30default_config_static_selectorELNS0_4arch9wavefront6targetE1EEEvSW_.has_dyn_sized_stack, 0
	.set _ZN7rocprim17ROCPRIM_400000_NS6detail17trampoline_kernelINS0_14default_configENS1_22reduce_config_selectorIlEEZNS1_11reduce_implILb1ES3_N6thrust23THRUST_200600_302600_NS11hip_rocprim26transform_input_iterator_tIlNS8_12zip_iteratorINS8_5tupleINS8_6detail15normal_iteratorINS8_10device_ptrIfEEEESH_NS8_9null_typeESI_SI_SI_SI_SI_SI_SI_EEEENS9_21zip_adj_not_predicateI22is_equal_div_10_uniqueIfEEEEEPllNS8_4plusIlEEEE10hipError_tPvRmT1_T2_T3_mT4_P12ihipStream_tbEUlT_E1_NS1_11comp_targetILNS1_3genE0ELNS1_11target_archE4294967295ELNS1_3gpuE0ELNS1_3repE0EEENS1_30default_config_static_selectorELNS0_4arch9wavefront6targetE1EEEvSW_.has_recursion, 0
	.set _ZN7rocprim17ROCPRIM_400000_NS6detail17trampoline_kernelINS0_14default_configENS1_22reduce_config_selectorIlEEZNS1_11reduce_implILb1ES3_N6thrust23THRUST_200600_302600_NS11hip_rocprim26transform_input_iterator_tIlNS8_12zip_iteratorINS8_5tupleINS8_6detail15normal_iteratorINS8_10device_ptrIfEEEESH_NS8_9null_typeESI_SI_SI_SI_SI_SI_SI_EEEENS9_21zip_adj_not_predicateI22is_equal_div_10_uniqueIfEEEEEPllNS8_4plusIlEEEE10hipError_tPvRmT1_T2_T3_mT4_P12ihipStream_tbEUlT_E1_NS1_11comp_targetILNS1_3genE0ELNS1_11target_archE4294967295ELNS1_3gpuE0ELNS1_3repE0EEENS1_30default_config_static_selectorELNS0_4arch9wavefront6targetE1EEEvSW_.has_indirect_call, 0
	.section	.AMDGPU.csdata,"",@progbits
; Kernel info:
; codeLenInByte = 0
; TotalNumSgprs: 4
; NumVgprs: 0
; ScratchSize: 0
; MemoryBound: 0
; FloatMode: 240
; IeeeMode: 1
; LDSByteSize: 0 bytes/workgroup (compile time only)
; SGPRBlocks: 0
; VGPRBlocks: 0
; NumSGPRsForWavesPerEU: 4
; NumVGPRsForWavesPerEU: 1
; Occupancy: 10
; WaveLimiterHint : 0
; COMPUTE_PGM_RSRC2:SCRATCH_EN: 0
; COMPUTE_PGM_RSRC2:USER_SGPR: 6
; COMPUTE_PGM_RSRC2:TRAP_HANDLER: 0
; COMPUTE_PGM_RSRC2:TGID_X_EN: 1
; COMPUTE_PGM_RSRC2:TGID_Y_EN: 0
; COMPUTE_PGM_RSRC2:TGID_Z_EN: 0
; COMPUTE_PGM_RSRC2:TIDIG_COMP_CNT: 0
	.section	.text._ZN7rocprim17ROCPRIM_400000_NS6detail17trampoline_kernelINS0_14default_configENS1_22reduce_config_selectorIlEEZNS1_11reduce_implILb1ES3_N6thrust23THRUST_200600_302600_NS11hip_rocprim26transform_input_iterator_tIlNS8_12zip_iteratorINS8_5tupleINS8_6detail15normal_iteratorINS8_10device_ptrIfEEEESH_NS8_9null_typeESI_SI_SI_SI_SI_SI_SI_EEEENS9_21zip_adj_not_predicateI22is_equal_div_10_uniqueIfEEEEEPllNS8_4plusIlEEEE10hipError_tPvRmT1_T2_T3_mT4_P12ihipStream_tbEUlT_E1_NS1_11comp_targetILNS1_3genE5ELNS1_11target_archE942ELNS1_3gpuE9ELNS1_3repE0EEENS1_30default_config_static_selectorELNS0_4arch9wavefront6targetE1EEEvSW_,"axG",@progbits,_ZN7rocprim17ROCPRIM_400000_NS6detail17trampoline_kernelINS0_14default_configENS1_22reduce_config_selectorIlEEZNS1_11reduce_implILb1ES3_N6thrust23THRUST_200600_302600_NS11hip_rocprim26transform_input_iterator_tIlNS8_12zip_iteratorINS8_5tupleINS8_6detail15normal_iteratorINS8_10device_ptrIfEEEESH_NS8_9null_typeESI_SI_SI_SI_SI_SI_SI_EEEENS9_21zip_adj_not_predicateI22is_equal_div_10_uniqueIfEEEEEPllNS8_4plusIlEEEE10hipError_tPvRmT1_T2_T3_mT4_P12ihipStream_tbEUlT_E1_NS1_11comp_targetILNS1_3genE5ELNS1_11target_archE942ELNS1_3gpuE9ELNS1_3repE0EEENS1_30default_config_static_selectorELNS0_4arch9wavefront6targetE1EEEvSW_,comdat
	.protected	_ZN7rocprim17ROCPRIM_400000_NS6detail17trampoline_kernelINS0_14default_configENS1_22reduce_config_selectorIlEEZNS1_11reduce_implILb1ES3_N6thrust23THRUST_200600_302600_NS11hip_rocprim26transform_input_iterator_tIlNS8_12zip_iteratorINS8_5tupleINS8_6detail15normal_iteratorINS8_10device_ptrIfEEEESH_NS8_9null_typeESI_SI_SI_SI_SI_SI_SI_EEEENS9_21zip_adj_not_predicateI22is_equal_div_10_uniqueIfEEEEEPllNS8_4plusIlEEEE10hipError_tPvRmT1_T2_T3_mT4_P12ihipStream_tbEUlT_E1_NS1_11comp_targetILNS1_3genE5ELNS1_11target_archE942ELNS1_3gpuE9ELNS1_3repE0EEENS1_30default_config_static_selectorELNS0_4arch9wavefront6targetE1EEEvSW_ ; -- Begin function _ZN7rocprim17ROCPRIM_400000_NS6detail17trampoline_kernelINS0_14default_configENS1_22reduce_config_selectorIlEEZNS1_11reduce_implILb1ES3_N6thrust23THRUST_200600_302600_NS11hip_rocprim26transform_input_iterator_tIlNS8_12zip_iteratorINS8_5tupleINS8_6detail15normal_iteratorINS8_10device_ptrIfEEEESH_NS8_9null_typeESI_SI_SI_SI_SI_SI_SI_EEEENS9_21zip_adj_not_predicateI22is_equal_div_10_uniqueIfEEEEEPllNS8_4plusIlEEEE10hipError_tPvRmT1_T2_T3_mT4_P12ihipStream_tbEUlT_E1_NS1_11comp_targetILNS1_3genE5ELNS1_11target_archE942ELNS1_3gpuE9ELNS1_3repE0EEENS1_30default_config_static_selectorELNS0_4arch9wavefront6targetE1EEEvSW_
	.globl	_ZN7rocprim17ROCPRIM_400000_NS6detail17trampoline_kernelINS0_14default_configENS1_22reduce_config_selectorIlEEZNS1_11reduce_implILb1ES3_N6thrust23THRUST_200600_302600_NS11hip_rocprim26transform_input_iterator_tIlNS8_12zip_iteratorINS8_5tupleINS8_6detail15normal_iteratorINS8_10device_ptrIfEEEESH_NS8_9null_typeESI_SI_SI_SI_SI_SI_SI_EEEENS9_21zip_adj_not_predicateI22is_equal_div_10_uniqueIfEEEEEPllNS8_4plusIlEEEE10hipError_tPvRmT1_T2_T3_mT4_P12ihipStream_tbEUlT_E1_NS1_11comp_targetILNS1_3genE5ELNS1_11target_archE942ELNS1_3gpuE9ELNS1_3repE0EEENS1_30default_config_static_selectorELNS0_4arch9wavefront6targetE1EEEvSW_
	.p2align	8
	.type	_ZN7rocprim17ROCPRIM_400000_NS6detail17trampoline_kernelINS0_14default_configENS1_22reduce_config_selectorIlEEZNS1_11reduce_implILb1ES3_N6thrust23THRUST_200600_302600_NS11hip_rocprim26transform_input_iterator_tIlNS8_12zip_iteratorINS8_5tupleINS8_6detail15normal_iteratorINS8_10device_ptrIfEEEESH_NS8_9null_typeESI_SI_SI_SI_SI_SI_SI_EEEENS9_21zip_adj_not_predicateI22is_equal_div_10_uniqueIfEEEEEPllNS8_4plusIlEEEE10hipError_tPvRmT1_T2_T3_mT4_P12ihipStream_tbEUlT_E1_NS1_11comp_targetILNS1_3genE5ELNS1_11target_archE942ELNS1_3gpuE9ELNS1_3repE0EEENS1_30default_config_static_selectorELNS0_4arch9wavefront6targetE1EEEvSW_,@function
_ZN7rocprim17ROCPRIM_400000_NS6detail17trampoline_kernelINS0_14default_configENS1_22reduce_config_selectorIlEEZNS1_11reduce_implILb1ES3_N6thrust23THRUST_200600_302600_NS11hip_rocprim26transform_input_iterator_tIlNS8_12zip_iteratorINS8_5tupleINS8_6detail15normal_iteratorINS8_10device_ptrIfEEEESH_NS8_9null_typeESI_SI_SI_SI_SI_SI_SI_EEEENS9_21zip_adj_not_predicateI22is_equal_div_10_uniqueIfEEEEEPllNS8_4plusIlEEEE10hipError_tPvRmT1_T2_T3_mT4_P12ihipStream_tbEUlT_E1_NS1_11comp_targetILNS1_3genE5ELNS1_11target_archE942ELNS1_3gpuE9ELNS1_3repE0EEENS1_30default_config_static_selectorELNS0_4arch9wavefront6targetE1EEEvSW_: ; @_ZN7rocprim17ROCPRIM_400000_NS6detail17trampoline_kernelINS0_14default_configENS1_22reduce_config_selectorIlEEZNS1_11reduce_implILb1ES3_N6thrust23THRUST_200600_302600_NS11hip_rocprim26transform_input_iterator_tIlNS8_12zip_iteratorINS8_5tupleINS8_6detail15normal_iteratorINS8_10device_ptrIfEEEESH_NS8_9null_typeESI_SI_SI_SI_SI_SI_SI_EEEENS9_21zip_adj_not_predicateI22is_equal_div_10_uniqueIfEEEEEPllNS8_4plusIlEEEE10hipError_tPvRmT1_T2_T3_mT4_P12ihipStream_tbEUlT_E1_NS1_11comp_targetILNS1_3genE5ELNS1_11target_archE942ELNS1_3gpuE9ELNS1_3repE0EEENS1_30default_config_static_selectorELNS0_4arch9wavefront6targetE1EEEvSW_
; %bb.0:
	.section	.rodata,"a",@progbits
	.p2align	6, 0x0
	.amdhsa_kernel _ZN7rocprim17ROCPRIM_400000_NS6detail17trampoline_kernelINS0_14default_configENS1_22reduce_config_selectorIlEEZNS1_11reduce_implILb1ES3_N6thrust23THRUST_200600_302600_NS11hip_rocprim26transform_input_iterator_tIlNS8_12zip_iteratorINS8_5tupleINS8_6detail15normal_iteratorINS8_10device_ptrIfEEEESH_NS8_9null_typeESI_SI_SI_SI_SI_SI_SI_EEEENS9_21zip_adj_not_predicateI22is_equal_div_10_uniqueIfEEEEEPllNS8_4plusIlEEEE10hipError_tPvRmT1_T2_T3_mT4_P12ihipStream_tbEUlT_E1_NS1_11comp_targetILNS1_3genE5ELNS1_11target_archE942ELNS1_3gpuE9ELNS1_3repE0EEENS1_30default_config_static_selectorELNS0_4arch9wavefront6targetE1EEEvSW_
		.amdhsa_group_segment_fixed_size 0
		.amdhsa_private_segment_fixed_size 0
		.amdhsa_kernarg_size 64
		.amdhsa_user_sgpr_count 6
		.amdhsa_user_sgpr_private_segment_buffer 1
		.amdhsa_user_sgpr_dispatch_ptr 0
		.amdhsa_user_sgpr_queue_ptr 0
		.amdhsa_user_sgpr_kernarg_segment_ptr 1
		.amdhsa_user_sgpr_dispatch_id 0
		.amdhsa_user_sgpr_flat_scratch_init 0
		.amdhsa_user_sgpr_private_segment_size 0
		.amdhsa_uses_dynamic_stack 0
		.amdhsa_system_sgpr_private_segment_wavefront_offset 0
		.amdhsa_system_sgpr_workgroup_id_x 1
		.amdhsa_system_sgpr_workgroup_id_y 0
		.amdhsa_system_sgpr_workgroup_id_z 0
		.amdhsa_system_sgpr_workgroup_info 0
		.amdhsa_system_vgpr_workitem_id 0
		.amdhsa_next_free_vgpr 1
		.amdhsa_next_free_sgpr 0
		.amdhsa_reserve_vcc 0
		.amdhsa_reserve_flat_scratch 0
		.amdhsa_float_round_mode_32 0
		.amdhsa_float_round_mode_16_64 0
		.amdhsa_float_denorm_mode_32 3
		.amdhsa_float_denorm_mode_16_64 3
		.amdhsa_dx10_clamp 1
		.amdhsa_ieee_mode 1
		.amdhsa_fp16_overflow 0
		.amdhsa_exception_fp_ieee_invalid_op 0
		.amdhsa_exception_fp_denorm_src 0
		.amdhsa_exception_fp_ieee_div_zero 0
		.amdhsa_exception_fp_ieee_overflow 0
		.amdhsa_exception_fp_ieee_underflow 0
		.amdhsa_exception_fp_ieee_inexact 0
		.amdhsa_exception_int_div_zero 0
	.end_amdhsa_kernel
	.section	.text._ZN7rocprim17ROCPRIM_400000_NS6detail17trampoline_kernelINS0_14default_configENS1_22reduce_config_selectorIlEEZNS1_11reduce_implILb1ES3_N6thrust23THRUST_200600_302600_NS11hip_rocprim26transform_input_iterator_tIlNS8_12zip_iteratorINS8_5tupleINS8_6detail15normal_iteratorINS8_10device_ptrIfEEEESH_NS8_9null_typeESI_SI_SI_SI_SI_SI_SI_EEEENS9_21zip_adj_not_predicateI22is_equal_div_10_uniqueIfEEEEEPllNS8_4plusIlEEEE10hipError_tPvRmT1_T2_T3_mT4_P12ihipStream_tbEUlT_E1_NS1_11comp_targetILNS1_3genE5ELNS1_11target_archE942ELNS1_3gpuE9ELNS1_3repE0EEENS1_30default_config_static_selectorELNS0_4arch9wavefront6targetE1EEEvSW_,"axG",@progbits,_ZN7rocprim17ROCPRIM_400000_NS6detail17trampoline_kernelINS0_14default_configENS1_22reduce_config_selectorIlEEZNS1_11reduce_implILb1ES3_N6thrust23THRUST_200600_302600_NS11hip_rocprim26transform_input_iterator_tIlNS8_12zip_iteratorINS8_5tupleINS8_6detail15normal_iteratorINS8_10device_ptrIfEEEESH_NS8_9null_typeESI_SI_SI_SI_SI_SI_SI_EEEENS9_21zip_adj_not_predicateI22is_equal_div_10_uniqueIfEEEEEPllNS8_4plusIlEEEE10hipError_tPvRmT1_T2_T3_mT4_P12ihipStream_tbEUlT_E1_NS1_11comp_targetILNS1_3genE5ELNS1_11target_archE942ELNS1_3gpuE9ELNS1_3repE0EEENS1_30default_config_static_selectorELNS0_4arch9wavefront6targetE1EEEvSW_,comdat
.Lfunc_end807:
	.size	_ZN7rocprim17ROCPRIM_400000_NS6detail17trampoline_kernelINS0_14default_configENS1_22reduce_config_selectorIlEEZNS1_11reduce_implILb1ES3_N6thrust23THRUST_200600_302600_NS11hip_rocprim26transform_input_iterator_tIlNS8_12zip_iteratorINS8_5tupleINS8_6detail15normal_iteratorINS8_10device_ptrIfEEEESH_NS8_9null_typeESI_SI_SI_SI_SI_SI_SI_EEEENS9_21zip_adj_not_predicateI22is_equal_div_10_uniqueIfEEEEEPllNS8_4plusIlEEEE10hipError_tPvRmT1_T2_T3_mT4_P12ihipStream_tbEUlT_E1_NS1_11comp_targetILNS1_3genE5ELNS1_11target_archE942ELNS1_3gpuE9ELNS1_3repE0EEENS1_30default_config_static_selectorELNS0_4arch9wavefront6targetE1EEEvSW_, .Lfunc_end807-_ZN7rocprim17ROCPRIM_400000_NS6detail17trampoline_kernelINS0_14default_configENS1_22reduce_config_selectorIlEEZNS1_11reduce_implILb1ES3_N6thrust23THRUST_200600_302600_NS11hip_rocprim26transform_input_iterator_tIlNS8_12zip_iteratorINS8_5tupleINS8_6detail15normal_iteratorINS8_10device_ptrIfEEEESH_NS8_9null_typeESI_SI_SI_SI_SI_SI_SI_EEEENS9_21zip_adj_not_predicateI22is_equal_div_10_uniqueIfEEEEEPllNS8_4plusIlEEEE10hipError_tPvRmT1_T2_T3_mT4_P12ihipStream_tbEUlT_E1_NS1_11comp_targetILNS1_3genE5ELNS1_11target_archE942ELNS1_3gpuE9ELNS1_3repE0EEENS1_30default_config_static_selectorELNS0_4arch9wavefront6targetE1EEEvSW_
                                        ; -- End function
	.set _ZN7rocprim17ROCPRIM_400000_NS6detail17trampoline_kernelINS0_14default_configENS1_22reduce_config_selectorIlEEZNS1_11reduce_implILb1ES3_N6thrust23THRUST_200600_302600_NS11hip_rocprim26transform_input_iterator_tIlNS8_12zip_iteratorINS8_5tupleINS8_6detail15normal_iteratorINS8_10device_ptrIfEEEESH_NS8_9null_typeESI_SI_SI_SI_SI_SI_SI_EEEENS9_21zip_adj_not_predicateI22is_equal_div_10_uniqueIfEEEEEPllNS8_4plusIlEEEE10hipError_tPvRmT1_T2_T3_mT4_P12ihipStream_tbEUlT_E1_NS1_11comp_targetILNS1_3genE5ELNS1_11target_archE942ELNS1_3gpuE9ELNS1_3repE0EEENS1_30default_config_static_selectorELNS0_4arch9wavefront6targetE1EEEvSW_.num_vgpr, 0
	.set _ZN7rocprim17ROCPRIM_400000_NS6detail17trampoline_kernelINS0_14default_configENS1_22reduce_config_selectorIlEEZNS1_11reduce_implILb1ES3_N6thrust23THRUST_200600_302600_NS11hip_rocprim26transform_input_iterator_tIlNS8_12zip_iteratorINS8_5tupleINS8_6detail15normal_iteratorINS8_10device_ptrIfEEEESH_NS8_9null_typeESI_SI_SI_SI_SI_SI_SI_EEEENS9_21zip_adj_not_predicateI22is_equal_div_10_uniqueIfEEEEEPllNS8_4plusIlEEEE10hipError_tPvRmT1_T2_T3_mT4_P12ihipStream_tbEUlT_E1_NS1_11comp_targetILNS1_3genE5ELNS1_11target_archE942ELNS1_3gpuE9ELNS1_3repE0EEENS1_30default_config_static_selectorELNS0_4arch9wavefront6targetE1EEEvSW_.num_agpr, 0
	.set _ZN7rocprim17ROCPRIM_400000_NS6detail17trampoline_kernelINS0_14default_configENS1_22reduce_config_selectorIlEEZNS1_11reduce_implILb1ES3_N6thrust23THRUST_200600_302600_NS11hip_rocprim26transform_input_iterator_tIlNS8_12zip_iteratorINS8_5tupleINS8_6detail15normal_iteratorINS8_10device_ptrIfEEEESH_NS8_9null_typeESI_SI_SI_SI_SI_SI_SI_EEEENS9_21zip_adj_not_predicateI22is_equal_div_10_uniqueIfEEEEEPllNS8_4plusIlEEEE10hipError_tPvRmT1_T2_T3_mT4_P12ihipStream_tbEUlT_E1_NS1_11comp_targetILNS1_3genE5ELNS1_11target_archE942ELNS1_3gpuE9ELNS1_3repE0EEENS1_30default_config_static_selectorELNS0_4arch9wavefront6targetE1EEEvSW_.numbered_sgpr, 0
	.set _ZN7rocprim17ROCPRIM_400000_NS6detail17trampoline_kernelINS0_14default_configENS1_22reduce_config_selectorIlEEZNS1_11reduce_implILb1ES3_N6thrust23THRUST_200600_302600_NS11hip_rocprim26transform_input_iterator_tIlNS8_12zip_iteratorINS8_5tupleINS8_6detail15normal_iteratorINS8_10device_ptrIfEEEESH_NS8_9null_typeESI_SI_SI_SI_SI_SI_SI_EEEENS9_21zip_adj_not_predicateI22is_equal_div_10_uniqueIfEEEEEPllNS8_4plusIlEEEE10hipError_tPvRmT1_T2_T3_mT4_P12ihipStream_tbEUlT_E1_NS1_11comp_targetILNS1_3genE5ELNS1_11target_archE942ELNS1_3gpuE9ELNS1_3repE0EEENS1_30default_config_static_selectorELNS0_4arch9wavefront6targetE1EEEvSW_.num_named_barrier, 0
	.set _ZN7rocprim17ROCPRIM_400000_NS6detail17trampoline_kernelINS0_14default_configENS1_22reduce_config_selectorIlEEZNS1_11reduce_implILb1ES3_N6thrust23THRUST_200600_302600_NS11hip_rocprim26transform_input_iterator_tIlNS8_12zip_iteratorINS8_5tupleINS8_6detail15normal_iteratorINS8_10device_ptrIfEEEESH_NS8_9null_typeESI_SI_SI_SI_SI_SI_SI_EEEENS9_21zip_adj_not_predicateI22is_equal_div_10_uniqueIfEEEEEPllNS8_4plusIlEEEE10hipError_tPvRmT1_T2_T3_mT4_P12ihipStream_tbEUlT_E1_NS1_11comp_targetILNS1_3genE5ELNS1_11target_archE942ELNS1_3gpuE9ELNS1_3repE0EEENS1_30default_config_static_selectorELNS0_4arch9wavefront6targetE1EEEvSW_.private_seg_size, 0
	.set _ZN7rocprim17ROCPRIM_400000_NS6detail17trampoline_kernelINS0_14default_configENS1_22reduce_config_selectorIlEEZNS1_11reduce_implILb1ES3_N6thrust23THRUST_200600_302600_NS11hip_rocprim26transform_input_iterator_tIlNS8_12zip_iteratorINS8_5tupleINS8_6detail15normal_iteratorINS8_10device_ptrIfEEEESH_NS8_9null_typeESI_SI_SI_SI_SI_SI_SI_EEEENS9_21zip_adj_not_predicateI22is_equal_div_10_uniqueIfEEEEEPllNS8_4plusIlEEEE10hipError_tPvRmT1_T2_T3_mT4_P12ihipStream_tbEUlT_E1_NS1_11comp_targetILNS1_3genE5ELNS1_11target_archE942ELNS1_3gpuE9ELNS1_3repE0EEENS1_30default_config_static_selectorELNS0_4arch9wavefront6targetE1EEEvSW_.uses_vcc, 0
	.set _ZN7rocprim17ROCPRIM_400000_NS6detail17trampoline_kernelINS0_14default_configENS1_22reduce_config_selectorIlEEZNS1_11reduce_implILb1ES3_N6thrust23THRUST_200600_302600_NS11hip_rocprim26transform_input_iterator_tIlNS8_12zip_iteratorINS8_5tupleINS8_6detail15normal_iteratorINS8_10device_ptrIfEEEESH_NS8_9null_typeESI_SI_SI_SI_SI_SI_SI_EEEENS9_21zip_adj_not_predicateI22is_equal_div_10_uniqueIfEEEEEPllNS8_4plusIlEEEE10hipError_tPvRmT1_T2_T3_mT4_P12ihipStream_tbEUlT_E1_NS1_11comp_targetILNS1_3genE5ELNS1_11target_archE942ELNS1_3gpuE9ELNS1_3repE0EEENS1_30default_config_static_selectorELNS0_4arch9wavefront6targetE1EEEvSW_.uses_flat_scratch, 0
	.set _ZN7rocprim17ROCPRIM_400000_NS6detail17trampoline_kernelINS0_14default_configENS1_22reduce_config_selectorIlEEZNS1_11reduce_implILb1ES3_N6thrust23THRUST_200600_302600_NS11hip_rocprim26transform_input_iterator_tIlNS8_12zip_iteratorINS8_5tupleINS8_6detail15normal_iteratorINS8_10device_ptrIfEEEESH_NS8_9null_typeESI_SI_SI_SI_SI_SI_SI_EEEENS9_21zip_adj_not_predicateI22is_equal_div_10_uniqueIfEEEEEPllNS8_4plusIlEEEE10hipError_tPvRmT1_T2_T3_mT4_P12ihipStream_tbEUlT_E1_NS1_11comp_targetILNS1_3genE5ELNS1_11target_archE942ELNS1_3gpuE9ELNS1_3repE0EEENS1_30default_config_static_selectorELNS0_4arch9wavefront6targetE1EEEvSW_.has_dyn_sized_stack, 0
	.set _ZN7rocprim17ROCPRIM_400000_NS6detail17trampoline_kernelINS0_14default_configENS1_22reduce_config_selectorIlEEZNS1_11reduce_implILb1ES3_N6thrust23THRUST_200600_302600_NS11hip_rocprim26transform_input_iterator_tIlNS8_12zip_iteratorINS8_5tupleINS8_6detail15normal_iteratorINS8_10device_ptrIfEEEESH_NS8_9null_typeESI_SI_SI_SI_SI_SI_SI_EEEENS9_21zip_adj_not_predicateI22is_equal_div_10_uniqueIfEEEEEPllNS8_4plusIlEEEE10hipError_tPvRmT1_T2_T3_mT4_P12ihipStream_tbEUlT_E1_NS1_11comp_targetILNS1_3genE5ELNS1_11target_archE942ELNS1_3gpuE9ELNS1_3repE0EEENS1_30default_config_static_selectorELNS0_4arch9wavefront6targetE1EEEvSW_.has_recursion, 0
	.set _ZN7rocprim17ROCPRIM_400000_NS6detail17trampoline_kernelINS0_14default_configENS1_22reduce_config_selectorIlEEZNS1_11reduce_implILb1ES3_N6thrust23THRUST_200600_302600_NS11hip_rocprim26transform_input_iterator_tIlNS8_12zip_iteratorINS8_5tupleINS8_6detail15normal_iteratorINS8_10device_ptrIfEEEESH_NS8_9null_typeESI_SI_SI_SI_SI_SI_SI_EEEENS9_21zip_adj_not_predicateI22is_equal_div_10_uniqueIfEEEEEPllNS8_4plusIlEEEE10hipError_tPvRmT1_T2_T3_mT4_P12ihipStream_tbEUlT_E1_NS1_11comp_targetILNS1_3genE5ELNS1_11target_archE942ELNS1_3gpuE9ELNS1_3repE0EEENS1_30default_config_static_selectorELNS0_4arch9wavefront6targetE1EEEvSW_.has_indirect_call, 0
	.section	.AMDGPU.csdata,"",@progbits
; Kernel info:
; codeLenInByte = 0
; TotalNumSgprs: 4
; NumVgprs: 0
; ScratchSize: 0
; MemoryBound: 0
; FloatMode: 240
; IeeeMode: 1
; LDSByteSize: 0 bytes/workgroup (compile time only)
; SGPRBlocks: 0
; VGPRBlocks: 0
; NumSGPRsForWavesPerEU: 4
; NumVGPRsForWavesPerEU: 1
; Occupancy: 10
; WaveLimiterHint : 0
; COMPUTE_PGM_RSRC2:SCRATCH_EN: 0
; COMPUTE_PGM_RSRC2:USER_SGPR: 6
; COMPUTE_PGM_RSRC2:TRAP_HANDLER: 0
; COMPUTE_PGM_RSRC2:TGID_X_EN: 1
; COMPUTE_PGM_RSRC2:TGID_Y_EN: 0
; COMPUTE_PGM_RSRC2:TGID_Z_EN: 0
; COMPUTE_PGM_RSRC2:TIDIG_COMP_CNT: 0
	.section	.text._ZN7rocprim17ROCPRIM_400000_NS6detail17trampoline_kernelINS0_14default_configENS1_22reduce_config_selectorIlEEZNS1_11reduce_implILb1ES3_N6thrust23THRUST_200600_302600_NS11hip_rocprim26transform_input_iterator_tIlNS8_12zip_iteratorINS8_5tupleINS8_6detail15normal_iteratorINS8_10device_ptrIfEEEESH_NS8_9null_typeESI_SI_SI_SI_SI_SI_SI_EEEENS9_21zip_adj_not_predicateI22is_equal_div_10_uniqueIfEEEEEPllNS8_4plusIlEEEE10hipError_tPvRmT1_T2_T3_mT4_P12ihipStream_tbEUlT_E1_NS1_11comp_targetILNS1_3genE4ELNS1_11target_archE910ELNS1_3gpuE8ELNS1_3repE0EEENS1_30default_config_static_selectorELNS0_4arch9wavefront6targetE1EEEvSW_,"axG",@progbits,_ZN7rocprim17ROCPRIM_400000_NS6detail17trampoline_kernelINS0_14default_configENS1_22reduce_config_selectorIlEEZNS1_11reduce_implILb1ES3_N6thrust23THRUST_200600_302600_NS11hip_rocprim26transform_input_iterator_tIlNS8_12zip_iteratorINS8_5tupleINS8_6detail15normal_iteratorINS8_10device_ptrIfEEEESH_NS8_9null_typeESI_SI_SI_SI_SI_SI_SI_EEEENS9_21zip_adj_not_predicateI22is_equal_div_10_uniqueIfEEEEEPllNS8_4plusIlEEEE10hipError_tPvRmT1_T2_T3_mT4_P12ihipStream_tbEUlT_E1_NS1_11comp_targetILNS1_3genE4ELNS1_11target_archE910ELNS1_3gpuE8ELNS1_3repE0EEENS1_30default_config_static_selectorELNS0_4arch9wavefront6targetE1EEEvSW_,comdat
	.protected	_ZN7rocprim17ROCPRIM_400000_NS6detail17trampoline_kernelINS0_14default_configENS1_22reduce_config_selectorIlEEZNS1_11reduce_implILb1ES3_N6thrust23THRUST_200600_302600_NS11hip_rocprim26transform_input_iterator_tIlNS8_12zip_iteratorINS8_5tupleINS8_6detail15normal_iteratorINS8_10device_ptrIfEEEESH_NS8_9null_typeESI_SI_SI_SI_SI_SI_SI_EEEENS9_21zip_adj_not_predicateI22is_equal_div_10_uniqueIfEEEEEPllNS8_4plusIlEEEE10hipError_tPvRmT1_T2_T3_mT4_P12ihipStream_tbEUlT_E1_NS1_11comp_targetILNS1_3genE4ELNS1_11target_archE910ELNS1_3gpuE8ELNS1_3repE0EEENS1_30default_config_static_selectorELNS0_4arch9wavefront6targetE1EEEvSW_ ; -- Begin function _ZN7rocprim17ROCPRIM_400000_NS6detail17trampoline_kernelINS0_14default_configENS1_22reduce_config_selectorIlEEZNS1_11reduce_implILb1ES3_N6thrust23THRUST_200600_302600_NS11hip_rocprim26transform_input_iterator_tIlNS8_12zip_iteratorINS8_5tupleINS8_6detail15normal_iteratorINS8_10device_ptrIfEEEESH_NS8_9null_typeESI_SI_SI_SI_SI_SI_SI_EEEENS9_21zip_adj_not_predicateI22is_equal_div_10_uniqueIfEEEEEPllNS8_4plusIlEEEE10hipError_tPvRmT1_T2_T3_mT4_P12ihipStream_tbEUlT_E1_NS1_11comp_targetILNS1_3genE4ELNS1_11target_archE910ELNS1_3gpuE8ELNS1_3repE0EEENS1_30default_config_static_selectorELNS0_4arch9wavefront6targetE1EEEvSW_
	.globl	_ZN7rocprim17ROCPRIM_400000_NS6detail17trampoline_kernelINS0_14default_configENS1_22reduce_config_selectorIlEEZNS1_11reduce_implILb1ES3_N6thrust23THRUST_200600_302600_NS11hip_rocprim26transform_input_iterator_tIlNS8_12zip_iteratorINS8_5tupleINS8_6detail15normal_iteratorINS8_10device_ptrIfEEEESH_NS8_9null_typeESI_SI_SI_SI_SI_SI_SI_EEEENS9_21zip_adj_not_predicateI22is_equal_div_10_uniqueIfEEEEEPllNS8_4plusIlEEEE10hipError_tPvRmT1_T2_T3_mT4_P12ihipStream_tbEUlT_E1_NS1_11comp_targetILNS1_3genE4ELNS1_11target_archE910ELNS1_3gpuE8ELNS1_3repE0EEENS1_30default_config_static_selectorELNS0_4arch9wavefront6targetE1EEEvSW_
	.p2align	8
	.type	_ZN7rocprim17ROCPRIM_400000_NS6detail17trampoline_kernelINS0_14default_configENS1_22reduce_config_selectorIlEEZNS1_11reduce_implILb1ES3_N6thrust23THRUST_200600_302600_NS11hip_rocprim26transform_input_iterator_tIlNS8_12zip_iteratorINS8_5tupleINS8_6detail15normal_iteratorINS8_10device_ptrIfEEEESH_NS8_9null_typeESI_SI_SI_SI_SI_SI_SI_EEEENS9_21zip_adj_not_predicateI22is_equal_div_10_uniqueIfEEEEEPllNS8_4plusIlEEEE10hipError_tPvRmT1_T2_T3_mT4_P12ihipStream_tbEUlT_E1_NS1_11comp_targetILNS1_3genE4ELNS1_11target_archE910ELNS1_3gpuE8ELNS1_3repE0EEENS1_30default_config_static_selectorELNS0_4arch9wavefront6targetE1EEEvSW_,@function
_ZN7rocprim17ROCPRIM_400000_NS6detail17trampoline_kernelINS0_14default_configENS1_22reduce_config_selectorIlEEZNS1_11reduce_implILb1ES3_N6thrust23THRUST_200600_302600_NS11hip_rocprim26transform_input_iterator_tIlNS8_12zip_iteratorINS8_5tupleINS8_6detail15normal_iteratorINS8_10device_ptrIfEEEESH_NS8_9null_typeESI_SI_SI_SI_SI_SI_SI_EEEENS9_21zip_adj_not_predicateI22is_equal_div_10_uniqueIfEEEEEPllNS8_4plusIlEEEE10hipError_tPvRmT1_T2_T3_mT4_P12ihipStream_tbEUlT_E1_NS1_11comp_targetILNS1_3genE4ELNS1_11target_archE910ELNS1_3gpuE8ELNS1_3repE0EEENS1_30default_config_static_selectorELNS0_4arch9wavefront6targetE1EEEvSW_: ; @_ZN7rocprim17ROCPRIM_400000_NS6detail17trampoline_kernelINS0_14default_configENS1_22reduce_config_selectorIlEEZNS1_11reduce_implILb1ES3_N6thrust23THRUST_200600_302600_NS11hip_rocprim26transform_input_iterator_tIlNS8_12zip_iteratorINS8_5tupleINS8_6detail15normal_iteratorINS8_10device_ptrIfEEEESH_NS8_9null_typeESI_SI_SI_SI_SI_SI_SI_EEEENS9_21zip_adj_not_predicateI22is_equal_div_10_uniqueIfEEEEEPllNS8_4plusIlEEEE10hipError_tPvRmT1_T2_T3_mT4_P12ihipStream_tbEUlT_E1_NS1_11comp_targetILNS1_3genE4ELNS1_11target_archE910ELNS1_3gpuE8ELNS1_3repE0EEENS1_30default_config_static_selectorELNS0_4arch9wavefront6targetE1EEEvSW_
; %bb.0:
	.section	.rodata,"a",@progbits
	.p2align	6, 0x0
	.amdhsa_kernel _ZN7rocprim17ROCPRIM_400000_NS6detail17trampoline_kernelINS0_14default_configENS1_22reduce_config_selectorIlEEZNS1_11reduce_implILb1ES3_N6thrust23THRUST_200600_302600_NS11hip_rocprim26transform_input_iterator_tIlNS8_12zip_iteratorINS8_5tupleINS8_6detail15normal_iteratorINS8_10device_ptrIfEEEESH_NS8_9null_typeESI_SI_SI_SI_SI_SI_SI_EEEENS9_21zip_adj_not_predicateI22is_equal_div_10_uniqueIfEEEEEPllNS8_4plusIlEEEE10hipError_tPvRmT1_T2_T3_mT4_P12ihipStream_tbEUlT_E1_NS1_11comp_targetILNS1_3genE4ELNS1_11target_archE910ELNS1_3gpuE8ELNS1_3repE0EEENS1_30default_config_static_selectorELNS0_4arch9wavefront6targetE1EEEvSW_
		.amdhsa_group_segment_fixed_size 0
		.amdhsa_private_segment_fixed_size 0
		.amdhsa_kernarg_size 64
		.amdhsa_user_sgpr_count 6
		.amdhsa_user_sgpr_private_segment_buffer 1
		.amdhsa_user_sgpr_dispatch_ptr 0
		.amdhsa_user_sgpr_queue_ptr 0
		.amdhsa_user_sgpr_kernarg_segment_ptr 1
		.amdhsa_user_sgpr_dispatch_id 0
		.amdhsa_user_sgpr_flat_scratch_init 0
		.amdhsa_user_sgpr_private_segment_size 0
		.amdhsa_uses_dynamic_stack 0
		.amdhsa_system_sgpr_private_segment_wavefront_offset 0
		.amdhsa_system_sgpr_workgroup_id_x 1
		.amdhsa_system_sgpr_workgroup_id_y 0
		.amdhsa_system_sgpr_workgroup_id_z 0
		.amdhsa_system_sgpr_workgroup_info 0
		.amdhsa_system_vgpr_workitem_id 0
		.amdhsa_next_free_vgpr 1
		.amdhsa_next_free_sgpr 0
		.amdhsa_reserve_vcc 0
		.amdhsa_reserve_flat_scratch 0
		.amdhsa_float_round_mode_32 0
		.amdhsa_float_round_mode_16_64 0
		.amdhsa_float_denorm_mode_32 3
		.amdhsa_float_denorm_mode_16_64 3
		.amdhsa_dx10_clamp 1
		.amdhsa_ieee_mode 1
		.amdhsa_fp16_overflow 0
		.amdhsa_exception_fp_ieee_invalid_op 0
		.amdhsa_exception_fp_denorm_src 0
		.amdhsa_exception_fp_ieee_div_zero 0
		.amdhsa_exception_fp_ieee_overflow 0
		.amdhsa_exception_fp_ieee_underflow 0
		.amdhsa_exception_fp_ieee_inexact 0
		.amdhsa_exception_int_div_zero 0
	.end_amdhsa_kernel
	.section	.text._ZN7rocprim17ROCPRIM_400000_NS6detail17trampoline_kernelINS0_14default_configENS1_22reduce_config_selectorIlEEZNS1_11reduce_implILb1ES3_N6thrust23THRUST_200600_302600_NS11hip_rocprim26transform_input_iterator_tIlNS8_12zip_iteratorINS8_5tupleINS8_6detail15normal_iteratorINS8_10device_ptrIfEEEESH_NS8_9null_typeESI_SI_SI_SI_SI_SI_SI_EEEENS9_21zip_adj_not_predicateI22is_equal_div_10_uniqueIfEEEEEPllNS8_4plusIlEEEE10hipError_tPvRmT1_T2_T3_mT4_P12ihipStream_tbEUlT_E1_NS1_11comp_targetILNS1_3genE4ELNS1_11target_archE910ELNS1_3gpuE8ELNS1_3repE0EEENS1_30default_config_static_selectorELNS0_4arch9wavefront6targetE1EEEvSW_,"axG",@progbits,_ZN7rocprim17ROCPRIM_400000_NS6detail17trampoline_kernelINS0_14default_configENS1_22reduce_config_selectorIlEEZNS1_11reduce_implILb1ES3_N6thrust23THRUST_200600_302600_NS11hip_rocprim26transform_input_iterator_tIlNS8_12zip_iteratorINS8_5tupleINS8_6detail15normal_iteratorINS8_10device_ptrIfEEEESH_NS8_9null_typeESI_SI_SI_SI_SI_SI_SI_EEEENS9_21zip_adj_not_predicateI22is_equal_div_10_uniqueIfEEEEEPllNS8_4plusIlEEEE10hipError_tPvRmT1_T2_T3_mT4_P12ihipStream_tbEUlT_E1_NS1_11comp_targetILNS1_3genE4ELNS1_11target_archE910ELNS1_3gpuE8ELNS1_3repE0EEENS1_30default_config_static_selectorELNS0_4arch9wavefront6targetE1EEEvSW_,comdat
.Lfunc_end808:
	.size	_ZN7rocprim17ROCPRIM_400000_NS6detail17trampoline_kernelINS0_14default_configENS1_22reduce_config_selectorIlEEZNS1_11reduce_implILb1ES3_N6thrust23THRUST_200600_302600_NS11hip_rocprim26transform_input_iterator_tIlNS8_12zip_iteratorINS8_5tupleINS8_6detail15normal_iteratorINS8_10device_ptrIfEEEESH_NS8_9null_typeESI_SI_SI_SI_SI_SI_SI_EEEENS9_21zip_adj_not_predicateI22is_equal_div_10_uniqueIfEEEEEPllNS8_4plusIlEEEE10hipError_tPvRmT1_T2_T3_mT4_P12ihipStream_tbEUlT_E1_NS1_11comp_targetILNS1_3genE4ELNS1_11target_archE910ELNS1_3gpuE8ELNS1_3repE0EEENS1_30default_config_static_selectorELNS0_4arch9wavefront6targetE1EEEvSW_, .Lfunc_end808-_ZN7rocprim17ROCPRIM_400000_NS6detail17trampoline_kernelINS0_14default_configENS1_22reduce_config_selectorIlEEZNS1_11reduce_implILb1ES3_N6thrust23THRUST_200600_302600_NS11hip_rocprim26transform_input_iterator_tIlNS8_12zip_iteratorINS8_5tupleINS8_6detail15normal_iteratorINS8_10device_ptrIfEEEESH_NS8_9null_typeESI_SI_SI_SI_SI_SI_SI_EEEENS9_21zip_adj_not_predicateI22is_equal_div_10_uniqueIfEEEEEPllNS8_4plusIlEEEE10hipError_tPvRmT1_T2_T3_mT4_P12ihipStream_tbEUlT_E1_NS1_11comp_targetILNS1_3genE4ELNS1_11target_archE910ELNS1_3gpuE8ELNS1_3repE0EEENS1_30default_config_static_selectorELNS0_4arch9wavefront6targetE1EEEvSW_
                                        ; -- End function
	.set _ZN7rocprim17ROCPRIM_400000_NS6detail17trampoline_kernelINS0_14default_configENS1_22reduce_config_selectorIlEEZNS1_11reduce_implILb1ES3_N6thrust23THRUST_200600_302600_NS11hip_rocprim26transform_input_iterator_tIlNS8_12zip_iteratorINS8_5tupleINS8_6detail15normal_iteratorINS8_10device_ptrIfEEEESH_NS8_9null_typeESI_SI_SI_SI_SI_SI_SI_EEEENS9_21zip_adj_not_predicateI22is_equal_div_10_uniqueIfEEEEEPllNS8_4plusIlEEEE10hipError_tPvRmT1_T2_T3_mT4_P12ihipStream_tbEUlT_E1_NS1_11comp_targetILNS1_3genE4ELNS1_11target_archE910ELNS1_3gpuE8ELNS1_3repE0EEENS1_30default_config_static_selectorELNS0_4arch9wavefront6targetE1EEEvSW_.num_vgpr, 0
	.set _ZN7rocprim17ROCPRIM_400000_NS6detail17trampoline_kernelINS0_14default_configENS1_22reduce_config_selectorIlEEZNS1_11reduce_implILb1ES3_N6thrust23THRUST_200600_302600_NS11hip_rocprim26transform_input_iterator_tIlNS8_12zip_iteratorINS8_5tupleINS8_6detail15normal_iteratorINS8_10device_ptrIfEEEESH_NS8_9null_typeESI_SI_SI_SI_SI_SI_SI_EEEENS9_21zip_adj_not_predicateI22is_equal_div_10_uniqueIfEEEEEPllNS8_4plusIlEEEE10hipError_tPvRmT1_T2_T3_mT4_P12ihipStream_tbEUlT_E1_NS1_11comp_targetILNS1_3genE4ELNS1_11target_archE910ELNS1_3gpuE8ELNS1_3repE0EEENS1_30default_config_static_selectorELNS0_4arch9wavefront6targetE1EEEvSW_.num_agpr, 0
	.set _ZN7rocprim17ROCPRIM_400000_NS6detail17trampoline_kernelINS0_14default_configENS1_22reduce_config_selectorIlEEZNS1_11reduce_implILb1ES3_N6thrust23THRUST_200600_302600_NS11hip_rocprim26transform_input_iterator_tIlNS8_12zip_iteratorINS8_5tupleINS8_6detail15normal_iteratorINS8_10device_ptrIfEEEESH_NS8_9null_typeESI_SI_SI_SI_SI_SI_SI_EEEENS9_21zip_adj_not_predicateI22is_equal_div_10_uniqueIfEEEEEPllNS8_4plusIlEEEE10hipError_tPvRmT1_T2_T3_mT4_P12ihipStream_tbEUlT_E1_NS1_11comp_targetILNS1_3genE4ELNS1_11target_archE910ELNS1_3gpuE8ELNS1_3repE0EEENS1_30default_config_static_selectorELNS0_4arch9wavefront6targetE1EEEvSW_.numbered_sgpr, 0
	.set _ZN7rocprim17ROCPRIM_400000_NS6detail17trampoline_kernelINS0_14default_configENS1_22reduce_config_selectorIlEEZNS1_11reduce_implILb1ES3_N6thrust23THRUST_200600_302600_NS11hip_rocprim26transform_input_iterator_tIlNS8_12zip_iteratorINS8_5tupleINS8_6detail15normal_iteratorINS8_10device_ptrIfEEEESH_NS8_9null_typeESI_SI_SI_SI_SI_SI_SI_EEEENS9_21zip_adj_not_predicateI22is_equal_div_10_uniqueIfEEEEEPllNS8_4plusIlEEEE10hipError_tPvRmT1_T2_T3_mT4_P12ihipStream_tbEUlT_E1_NS1_11comp_targetILNS1_3genE4ELNS1_11target_archE910ELNS1_3gpuE8ELNS1_3repE0EEENS1_30default_config_static_selectorELNS0_4arch9wavefront6targetE1EEEvSW_.num_named_barrier, 0
	.set _ZN7rocprim17ROCPRIM_400000_NS6detail17trampoline_kernelINS0_14default_configENS1_22reduce_config_selectorIlEEZNS1_11reduce_implILb1ES3_N6thrust23THRUST_200600_302600_NS11hip_rocprim26transform_input_iterator_tIlNS8_12zip_iteratorINS8_5tupleINS8_6detail15normal_iteratorINS8_10device_ptrIfEEEESH_NS8_9null_typeESI_SI_SI_SI_SI_SI_SI_EEEENS9_21zip_adj_not_predicateI22is_equal_div_10_uniqueIfEEEEEPllNS8_4plusIlEEEE10hipError_tPvRmT1_T2_T3_mT4_P12ihipStream_tbEUlT_E1_NS1_11comp_targetILNS1_3genE4ELNS1_11target_archE910ELNS1_3gpuE8ELNS1_3repE0EEENS1_30default_config_static_selectorELNS0_4arch9wavefront6targetE1EEEvSW_.private_seg_size, 0
	.set _ZN7rocprim17ROCPRIM_400000_NS6detail17trampoline_kernelINS0_14default_configENS1_22reduce_config_selectorIlEEZNS1_11reduce_implILb1ES3_N6thrust23THRUST_200600_302600_NS11hip_rocprim26transform_input_iterator_tIlNS8_12zip_iteratorINS8_5tupleINS8_6detail15normal_iteratorINS8_10device_ptrIfEEEESH_NS8_9null_typeESI_SI_SI_SI_SI_SI_SI_EEEENS9_21zip_adj_not_predicateI22is_equal_div_10_uniqueIfEEEEEPllNS8_4plusIlEEEE10hipError_tPvRmT1_T2_T3_mT4_P12ihipStream_tbEUlT_E1_NS1_11comp_targetILNS1_3genE4ELNS1_11target_archE910ELNS1_3gpuE8ELNS1_3repE0EEENS1_30default_config_static_selectorELNS0_4arch9wavefront6targetE1EEEvSW_.uses_vcc, 0
	.set _ZN7rocprim17ROCPRIM_400000_NS6detail17trampoline_kernelINS0_14default_configENS1_22reduce_config_selectorIlEEZNS1_11reduce_implILb1ES3_N6thrust23THRUST_200600_302600_NS11hip_rocprim26transform_input_iterator_tIlNS8_12zip_iteratorINS8_5tupleINS8_6detail15normal_iteratorINS8_10device_ptrIfEEEESH_NS8_9null_typeESI_SI_SI_SI_SI_SI_SI_EEEENS9_21zip_adj_not_predicateI22is_equal_div_10_uniqueIfEEEEEPllNS8_4plusIlEEEE10hipError_tPvRmT1_T2_T3_mT4_P12ihipStream_tbEUlT_E1_NS1_11comp_targetILNS1_3genE4ELNS1_11target_archE910ELNS1_3gpuE8ELNS1_3repE0EEENS1_30default_config_static_selectorELNS0_4arch9wavefront6targetE1EEEvSW_.uses_flat_scratch, 0
	.set _ZN7rocprim17ROCPRIM_400000_NS6detail17trampoline_kernelINS0_14default_configENS1_22reduce_config_selectorIlEEZNS1_11reduce_implILb1ES3_N6thrust23THRUST_200600_302600_NS11hip_rocprim26transform_input_iterator_tIlNS8_12zip_iteratorINS8_5tupleINS8_6detail15normal_iteratorINS8_10device_ptrIfEEEESH_NS8_9null_typeESI_SI_SI_SI_SI_SI_SI_EEEENS9_21zip_adj_not_predicateI22is_equal_div_10_uniqueIfEEEEEPllNS8_4plusIlEEEE10hipError_tPvRmT1_T2_T3_mT4_P12ihipStream_tbEUlT_E1_NS1_11comp_targetILNS1_3genE4ELNS1_11target_archE910ELNS1_3gpuE8ELNS1_3repE0EEENS1_30default_config_static_selectorELNS0_4arch9wavefront6targetE1EEEvSW_.has_dyn_sized_stack, 0
	.set _ZN7rocprim17ROCPRIM_400000_NS6detail17trampoline_kernelINS0_14default_configENS1_22reduce_config_selectorIlEEZNS1_11reduce_implILb1ES3_N6thrust23THRUST_200600_302600_NS11hip_rocprim26transform_input_iterator_tIlNS8_12zip_iteratorINS8_5tupleINS8_6detail15normal_iteratorINS8_10device_ptrIfEEEESH_NS8_9null_typeESI_SI_SI_SI_SI_SI_SI_EEEENS9_21zip_adj_not_predicateI22is_equal_div_10_uniqueIfEEEEEPllNS8_4plusIlEEEE10hipError_tPvRmT1_T2_T3_mT4_P12ihipStream_tbEUlT_E1_NS1_11comp_targetILNS1_3genE4ELNS1_11target_archE910ELNS1_3gpuE8ELNS1_3repE0EEENS1_30default_config_static_selectorELNS0_4arch9wavefront6targetE1EEEvSW_.has_recursion, 0
	.set _ZN7rocprim17ROCPRIM_400000_NS6detail17trampoline_kernelINS0_14default_configENS1_22reduce_config_selectorIlEEZNS1_11reduce_implILb1ES3_N6thrust23THRUST_200600_302600_NS11hip_rocprim26transform_input_iterator_tIlNS8_12zip_iteratorINS8_5tupleINS8_6detail15normal_iteratorINS8_10device_ptrIfEEEESH_NS8_9null_typeESI_SI_SI_SI_SI_SI_SI_EEEENS9_21zip_adj_not_predicateI22is_equal_div_10_uniqueIfEEEEEPllNS8_4plusIlEEEE10hipError_tPvRmT1_T2_T3_mT4_P12ihipStream_tbEUlT_E1_NS1_11comp_targetILNS1_3genE4ELNS1_11target_archE910ELNS1_3gpuE8ELNS1_3repE0EEENS1_30default_config_static_selectorELNS0_4arch9wavefront6targetE1EEEvSW_.has_indirect_call, 0
	.section	.AMDGPU.csdata,"",@progbits
; Kernel info:
; codeLenInByte = 0
; TotalNumSgprs: 4
; NumVgprs: 0
; ScratchSize: 0
; MemoryBound: 0
; FloatMode: 240
; IeeeMode: 1
; LDSByteSize: 0 bytes/workgroup (compile time only)
; SGPRBlocks: 0
; VGPRBlocks: 0
; NumSGPRsForWavesPerEU: 4
; NumVGPRsForWavesPerEU: 1
; Occupancy: 10
; WaveLimiterHint : 0
; COMPUTE_PGM_RSRC2:SCRATCH_EN: 0
; COMPUTE_PGM_RSRC2:USER_SGPR: 6
; COMPUTE_PGM_RSRC2:TRAP_HANDLER: 0
; COMPUTE_PGM_RSRC2:TGID_X_EN: 1
; COMPUTE_PGM_RSRC2:TGID_Y_EN: 0
; COMPUTE_PGM_RSRC2:TGID_Z_EN: 0
; COMPUTE_PGM_RSRC2:TIDIG_COMP_CNT: 0
	.section	.text._ZN7rocprim17ROCPRIM_400000_NS6detail17trampoline_kernelINS0_14default_configENS1_22reduce_config_selectorIlEEZNS1_11reduce_implILb1ES3_N6thrust23THRUST_200600_302600_NS11hip_rocprim26transform_input_iterator_tIlNS8_12zip_iteratorINS8_5tupleINS8_6detail15normal_iteratorINS8_10device_ptrIfEEEESH_NS8_9null_typeESI_SI_SI_SI_SI_SI_SI_EEEENS9_21zip_adj_not_predicateI22is_equal_div_10_uniqueIfEEEEEPllNS8_4plusIlEEEE10hipError_tPvRmT1_T2_T3_mT4_P12ihipStream_tbEUlT_E1_NS1_11comp_targetILNS1_3genE3ELNS1_11target_archE908ELNS1_3gpuE7ELNS1_3repE0EEENS1_30default_config_static_selectorELNS0_4arch9wavefront6targetE1EEEvSW_,"axG",@progbits,_ZN7rocprim17ROCPRIM_400000_NS6detail17trampoline_kernelINS0_14default_configENS1_22reduce_config_selectorIlEEZNS1_11reduce_implILb1ES3_N6thrust23THRUST_200600_302600_NS11hip_rocprim26transform_input_iterator_tIlNS8_12zip_iteratorINS8_5tupleINS8_6detail15normal_iteratorINS8_10device_ptrIfEEEESH_NS8_9null_typeESI_SI_SI_SI_SI_SI_SI_EEEENS9_21zip_adj_not_predicateI22is_equal_div_10_uniqueIfEEEEEPllNS8_4plusIlEEEE10hipError_tPvRmT1_T2_T3_mT4_P12ihipStream_tbEUlT_E1_NS1_11comp_targetILNS1_3genE3ELNS1_11target_archE908ELNS1_3gpuE7ELNS1_3repE0EEENS1_30default_config_static_selectorELNS0_4arch9wavefront6targetE1EEEvSW_,comdat
	.protected	_ZN7rocprim17ROCPRIM_400000_NS6detail17trampoline_kernelINS0_14default_configENS1_22reduce_config_selectorIlEEZNS1_11reduce_implILb1ES3_N6thrust23THRUST_200600_302600_NS11hip_rocprim26transform_input_iterator_tIlNS8_12zip_iteratorINS8_5tupleINS8_6detail15normal_iteratorINS8_10device_ptrIfEEEESH_NS8_9null_typeESI_SI_SI_SI_SI_SI_SI_EEEENS9_21zip_adj_not_predicateI22is_equal_div_10_uniqueIfEEEEEPllNS8_4plusIlEEEE10hipError_tPvRmT1_T2_T3_mT4_P12ihipStream_tbEUlT_E1_NS1_11comp_targetILNS1_3genE3ELNS1_11target_archE908ELNS1_3gpuE7ELNS1_3repE0EEENS1_30default_config_static_selectorELNS0_4arch9wavefront6targetE1EEEvSW_ ; -- Begin function _ZN7rocprim17ROCPRIM_400000_NS6detail17trampoline_kernelINS0_14default_configENS1_22reduce_config_selectorIlEEZNS1_11reduce_implILb1ES3_N6thrust23THRUST_200600_302600_NS11hip_rocprim26transform_input_iterator_tIlNS8_12zip_iteratorINS8_5tupleINS8_6detail15normal_iteratorINS8_10device_ptrIfEEEESH_NS8_9null_typeESI_SI_SI_SI_SI_SI_SI_EEEENS9_21zip_adj_not_predicateI22is_equal_div_10_uniqueIfEEEEEPllNS8_4plusIlEEEE10hipError_tPvRmT1_T2_T3_mT4_P12ihipStream_tbEUlT_E1_NS1_11comp_targetILNS1_3genE3ELNS1_11target_archE908ELNS1_3gpuE7ELNS1_3repE0EEENS1_30default_config_static_selectorELNS0_4arch9wavefront6targetE1EEEvSW_
	.globl	_ZN7rocprim17ROCPRIM_400000_NS6detail17trampoline_kernelINS0_14default_configENS1_22reduce_config_selectorIlEEZNS1_11reduce_implILb1ES3_N6thrust23THRUST_200600_302600_NS11hip_rocprim26transform_input_iterator_tIlNS8_12zip_iteratorINS8_5tupleINS8_6detail15normal_iteratorINS8_10device_ptrIfEEEESH_NS8_9null_typeESI_SI_SI_SI_SI_SI_SI_EEEENS9_21zip_adj_not_predicateI22is_equal_div_10_uniqueIfEEEEEPllNS8_4plusIlEEEE10hipError_tPvRmT1_T2_T3_mT4_P12ihipStream_tbEUlT_E1_NS1_11comp_targetILNS1_3genE3ELNS1_11target_archE908ELNS1_3gpuE7ELNS1_3repE0EEENS1_30default_config_static_selectorELNS0_4arch9wavefront6targetE1EEEvSW_
	.p2align	8
	.type	_ZN7rocprim17ROCPRIM_400000_NS6detail17trampoline_kernelINS0_14default_configENS1_22reduce_config_selectorIlEEZNS1_11reduce_implILb1ES3_N6thrust23THRUST_200600_302600_NS11hip_rocprim26transform_input_iterator_tIlNS8_12zip_iteratorINS8_5tupleINS8_6detail15normal_iteratorINS8_10device_ptrIfEEEESH_NS8_9null_typeESI_SI_SI_SI_SI_SI_SI_EEEENS9_21zip_adj_not_predicateI22is_equal_div_10_uniqueIfEEEEEPllNS8_4plusIlEEEE10hipError_tPvRmT1_T2_T3_mT4_P12ihipStream_tbEUlT_E1_NS1_11comp_targetILNS1_3genE3ELNS1_11target_archE908ELNS1_3gpuE7ELNS1_3repE0EEENS1_30default_config_static_selectorELNS0_4arch9wavefront6targetE1EEEvSW_,@function
_ZN7rocprim17ROCPRIM_400000_NS6detail17trampoline_kernelINS0_14default_configENS1_22reduce_config_selectorIlEEZNS1_11reduce_implILb1ES3_N6thrust23THRUST_200600_302600_NS11hip_rocprim26transform_input_iterator_tIlNS8_12zip_iteratorINS8_5tupleINS8_6detail15normal_iteratorINS8_10device_ptrIfEEEESH_NS8_9null_typeESI_SI_SI_SI_SI_SI_SI_EEEENS9_21zip_adj_not_predicateI22is_equal_div_10_uniqueIfEEEEEPllNS8_4plusIlEEEE10hipError_tPvRmT1_T2_T3_mT4_P12ihipStream_tbEUlT_E1_NS1_11comp_targetILNS1_3genE3ELNS1_11target_archE908ELNS1_3gpuE7ELNS1_3repE0EEENS1_30default_config_static_selectorELNS0_4arch9wavefront6targetE1EEEvSW_: ; @_ZN7rocprim17ROCPRIM_400000_NS6detail17trampoline_kernelINS0_14default_configENS1_22reduce_config_selectorIlEEZNS1_11reduce_implILb1ES3_N6thrust23THRUST_200600_302600_NS11hip_rocprim26transform_input_iterator_tIlNS8_12zip_iteratorINS8_5tupleINS8_6detail15normal_iteratorINS8_10device_ptrIfEEEESH_NS8_9null_typeESI_SI_SI_SI_SI_SI_SI_EEEENS9_21zip_adj_not_predicateI22is_equal_div_10_uniqueIfEEEEEPllNS8_4plusIlEEEE10hipError_tPvRmT1_T2_T3_mT4_P12ihipStream_tbEUlT_E1_NS1_11comp_targetILNS1_3genE3ELNS1_11target_archE908ELNS1_3gpuE7ELNS1_3repE0EEENS1_30default_config_static_selectorELNS0_4arch9wavefront6targetE1EEEvSW_
; %bb.0:
	.section	.rodata,"a",@progbits
	.p2align	6, 0x0
	.amdhsa_kernel _ZN7rocprim17ROCPRIM_400000_NS6detail17trampoline_kernelINS0_14default_configENS1_22reduce_config_selectorIlEEZNS1_11reduce_implILb1ES3_N6thrust23THRUST_200600_302600_NS11hip_rocprim26transform_input_iterator_tIlNS8_12zip_iteratorINS8_5tupleINS8_6detail15normal_iteratorINS8_10device_ptrIfEEEESH_NS8_9null_typeESI_SI_SI_SI_SI_SI_SI_EEEENS9_21zip_adj_not_predicateI22is_equal_div_10_uniqueIfEEEEEPllNS8_4plusIlEEEE10hipError_tPvRmT1_T2_T3_mT4_P12ihipStream_tbEUlT_E1_NS1_11comp_targetILNS1_3genE3ELNS1_11target_archE908ELNS1_3gpuE7ELNS1_3repE0EEENS1_30default_config_static_selectorELNS0_4arch9wavefront6targetE1EEEvSW_
		.amdhsa_group_segment_fixed_size 0
		.amdhsa_private_segment_fixed_size 0
		.amdhsa_kernarg_size 64
		.amdhsa_user_sgpr_count 6
		.amdhsa_user_sgpr_private_segment_buffer 1
		.amdhsa_user_sgpr_dispatch_ptr 0
		.amdhsa_user_sgpr_queue_ptr 0
		.amdhsa_user_sgpr_kernarg_segment_ptr 1
		.amdhsa_user_sgpr_dispatch_id 0
		.amdhsa_user_sgpr_flat_scratch_init 0
		.amdhsa_user_sgpr_private_segment_size 0
		.amdhsa_uses_dynamic_stack 0
		.amdhsa_system_sgpr_private_segment_wavefront_offset 0
		.amdhsa_system_sgpr_workgroup_id_x 1
		.amdhsa_system_sgpr_workgroup_id_y 0
		.amdhsa_system_sgpr_workgroup_id_z 0
		.amdhsa_system_sgpr_workgroup_info 0
		.amdhsa_system_vgpr_workitem_id 0
		.amdhsa_next_free_vgpr 1
		.amdhsa_next_free_sgpr 0
		.amdhsa_reserve_vcc 0
		.amdhsa_reserve_flat_scratch 0
		.amdhsa_float_round_mode_32 0
		.amdhsa_float_round_mode_16_64 0
		.amdhsa_float_denorm_mode_32 3
		.amdhsa_float_denorm_mode_16_64 3
		.amdhsa_dx10_clamp 1
		.amdhsa_ieee_mode 1
		.amdhsa_fp16_overflow 0
		.amdhsa_exception_fp_ieee_invalid_op 0
		.amdhsa_exception_fp_denorm_src 0
		.amdhsa_exception_fp_ieee_div_zero 0
		.amdhsa_exception_fp_ieee_overflow 0
		.amdhsa_exception_fp_ieee_underflow 0
		.amdhsa_exception_fp_ieee_inexact 0
		.amdhsa_exception_int_div_zero 0
	.end_amdhsa_kernel
	.section	.text._ZN7rocprim17ROCPRIM_400000_NS6detail17trampoline_kernelINS0_14default_configENS1_22reduce_config_selectorIlEEZNS1_11reduce_implILb1ES3_N6thrust23THRUST_200600_302600_NS11hip_rocprim26transform_input_iterator_tIlNS8_12zip_iteratorINS8_5tupleINS8_6detail15normal_iteratorINS8_10device_ptrIfEEEESH_NS8_9null_typeESI_SI_SI_SI_SI_SI_SI_EEEENS9_21zip_adj_not_predicateI22is_equal_div_10_uniqueIfEEEEEPllNS8_4plusIlEEEE10hipError_tPvRmT1_T2_T3_mT4_P12ihipStream_tbEUlT_E1_NS1_11comp_targetILNS1_3genE3ELNS1_11target_archE908ELNS1_3gpuE7ELNS1_3repE0EEENS1_30default_config_static_selectorELNS0_4arch9wavefront6targetE1EEEvSW_,"axG",@progbits,_ZN7rocprim17ROCPRIM_400000_NS6detail17trampoline_kernelINS0_14default_configENS1_22reduce_config_selectorIlEEZNS1_11reduce_implILb1ES3_N6thrust23THRUST_200600_302600_NS11hip_rocprim26transform_input_iterator_tIlNS8_12zip_iteratorINS8_5tupleINS8_6detail15normal_iteratorINS8_10device_ptrIfEEEESH_NS8_9null_typeESI_SI_SI_SI_SI_SI_SI_EEEENS9_21zip_adj_not_predicateI22is_equal_div_10_uniqueIfEEEEEPllNS8_4plusIlEEEE10hipError_tPvRmT1_T2_T3_mT4_P12ihipStream_tbEUlT_E1_NS1_11comp_targetILNS1_3genE3ELNS1_11target_archE908ELNS1_3gpuE7ELNS1_3repE0EEENS1_30default_config_static_selectorELNS0_4arch9wavefront6targetE1EEEvSW_,comdat
.Lfunc_end809:
	.size	_ZN7rocprim17ROCPRIM_400000_NS6detail17trampoline_kernelINS0_14default_configENS1_22reduce_config_selectorIlEEZNS1_11reduce_implILb1ES3_N6thrust23THRUST_200600_302600_NS11hip_rocprim26transform_input_iterator_tIlNS8_12zip_iteratorINS8_5tupleINS8_6detail15normal_iteratorINS8_10device_ptrIfEEEESH_NS8_9null_typeESI_SI_SI_SI_SI_SI_SI_EEEENS9_21zip_adj_not_predicateI22is_equal_div_10_uniqueIfEEEEEPllNS8_4plusIlEEEE10hipError_tPvRmT1_T2_T3_mT4_P12ihipStream_tbEUlT_E1_NS1_11comp_targetILNS1_3genE3ELNS1_11target_archE908ELNS1_3gpuE7ELNS1_3repE0EEENS1_30default_config_static_selectorELNS0_4arch9wavefront6targetE1EEEvSW_, .Lfunc_end809-_ZN7rocprim17ROCPRIM_400000_NS6detail17trampoline_kernelINS0_14default_configENS1_22reduce_config_selectorIlEEZNS1_11reduce_implILb1ES3_N6thrust23THRUST_200600_302600_NS11hip_rocprim26transform_input_iterator_tIlNS8_12zip_iteratorINS8_5tupleINS8_6detail15normal_iteratorINS8_10device_ptrIfEEEESH_NS8_9null_typeESI_SI_SI_SI_SI_SI_SI_EEEENS9_21zip_adj_not_predicateI22is_equal_div_10_uniqueIfEEEEEPllNS8_4plusIlEEEE10hipError_tPvRmT1_T2_T3_mT4_P12ihipStream_tbEUlT_E1_NS1_11comp_targetILNS1_3genE3ELNS1_11target_archE908ELNS1_3gpuE7ELNS1_3repE0EEENS1_30default_config_static_selectorELNS0_4arch9wavefront6targetE1EEEvSW_
                                        ; -- End function
	.set _ZN7rocprim17ROCPRIM_400000_NS6detail17trampoline_kernelINS0_14default_configENS1_22reduce_config_selectorIlEEZNS1_11reduce_implILb1ES3_N6thrust23THRUST_200600_302600_NS11hip_rocprim26transform_input_iterator_tIlNS8_12zip_iteratorINS8_5tupleINS8_6detail15normal_iteratorINS8_10device_ptrIfEEEESH_NS8_9null_typeESI_SI_SI_SI_SI_SI_SI_EEEENS9_21zip_adj_not_predicateI22is_equal_div_10_uniqueIfEEEEEPllNS8_4plusIlEEEE10hipError_tPvRmT1_T2_T3_mT4_P12ihipStream_tbEUlT_E1_NS1_11comp_targetILNS1_3genE3ELNS1_11target_archE908ELNS1_3gpuE7ELNS1_3repE0EEENS1_30default_config_static_selectorELNS0_4arch9wavefront6targetE1EEEvSW_.num_vgpr, 0
	.set _ZN7rocprim17ROCPRIM_400000_NS6detail17trampoline_kernelINS0_14default_configENS1_22reduce_config_selectorIlEEZNS1_11reduce_implILb1ES3_N6thrust23THRUST_200600_302600_NS11hip_rocprim26transform_input_iterator_tIlNS8_12zip_iteratorINS8_5tupleINS8_6detail15normal_iteratorINS8_10device_ptrIfEEEESH_NS8_9null_typeESI_SI_SI_SI_SI_SI_SI_EEEENS9_21zip_adj_not_predicateI22is_equal_div_10_uniqueIfEEEEEPllNS8_4plusIlEEEE10hipError_tPvRmT1_T2_T3_mT4_P12ihipStream_tbEUlT_E1_NS1_11comp_targetILNS1_3genE3ELNS1_11target_archE908ELNS1_3gpuE7ELNS1_3repE0EEENS1_30default_config_static_selectorELNS0_4arch9wavefront6targetE1EEEvSW_.num_agpr, 0
	.set _ZN7rocprim17ROCPRIM_400000_NS6detail17trampoline_kernelINS0_14default_configENS1_22reduce_config_selectorIlEEZNS1_11reduce_implILb1ES3_N6thrust23THRUST_200600_302600_NS11hip_rocprim26transform_input_iterator_tIlNS8_12zip_iteratorINS8_5tupleINS8_6detail15normal_iteratorINS8_10device_ptrIfEEEESH_NS8_9null_typeESI_SI_SI_SI_SI_SI_SI_EEEENS9_21zip_adj_not_predicateI22is_equal_div_10_uniqueIfEEEEEPllNS8_4plusIlEEEE10hipError_tPvRmT1_T2_T3_mT4_P12ihipStream_tbEUlT_E1_NS1_11comp_targetILNS1_3genE3ELNS1_11target_archE908ELNS1_3gpuE7ELNS1_3repE0EEENS1_30default_config_static_selectorELNS0_4arch9wavefront6targetE1EEEvSW_.numbered_sgpr, 0
	.set _ZN7rocprim17ROCPRIM_400000_NS6detail17trampoline_kernelINS0_14default_configENS1_22reduce_config_selectorIlEEZNS1_11reduce_implILb1ES3_N6thrust23THRUST_200600_302600_NS11hip_rocprim26transform_input_iterator_tIlNS8_12zip_iteratorINS8_5tupleINS8_6detail15normal_iteratorINS8_10device_ptrIfEEEESH_NS8_9null_typeESI_SI_SI_SI_SI_SI_SI_EEEENS9_21zip_adj_not_predicateI22is_equal_div_10_uniqueIfEEEEEPllNS8_4plusIlEEEE10hipError_tPvRmT1_T2_T3_mT4_P12ihipStream_tbEUlT_E1_NS1_11comp_targetILNS1_3genE3ELNS1_11target_archE908ELNS1_3gpuE7ELNS1_3repE0EEENS1_30default_config_static_selectorELNS0_4arch9wavefront6targetE1EEEvSW_.num_named_barrier, 0
	.set _ZN7rocprim17ROCPRIM_400000_NS6detail17trampoline_kernelINS0_14default_configENS1_22reduce_config_selectorIlEEZNS1_11reduce_implILb1ES3_N6thrust23THRUST_200600_302600_NS11hip_rocprim26transform_input_iterator_tIlNS8_12zip_iteratorINS8_5tupleINS8_6detail15normal_iteratorINS8_10device_ptrIfEEEESH_NS8_9null_typeESI_SI_SI_SI_SI_SI_SI_EEEENS9_21zip_adj_not_predicateI22is_equal_div_10_uniqueIfEEEEEPllNS8_4plusIlEEEE10hipError_tPvRmT1_T2_T3_mT4_P12ihipStream_tbEUlT_E1_NS1_11comp_targetILNS1_3genE3ELNS1_11target_archE908ELNS1_3gpuE7ELNS1_3repE0EEENS1_30default_config_static_selectorELNS0_4arch9wavefront6targetE1EEEvSW_.private_seg_size, 0
	.set _ZN7rocprim17ROCPRIM_400000_NS6detail17trampoline_kernelINS0_14default_configENS1_22reduce_config_selectorIlEEZNS1_11reduce_implILb1ES3_N6thrust23THRUST_200600_302600_NS11hip_rocprim26transform_input_iterator_tIlNS8_12zip_iteratorINS8_5tupleINS8_6detail15normal_iteratorINS8_10device_ptrIfEEEESH_NS8_9null_typeESI_SI_SI_SI_SI_SI_SI_EEEENS9_21zip_adj_not_predicateI22is_equal_div_10_uniqueIfEEEEEPllNS8_4plusIlEEEE10hipError_tPvRmT1_T2_T3_mT4_P12ihipStream_tbEUlT_E1_NS1_11comp_targetILNS1_3genE3ELNS1_11target_archE908ELNS1_3gpuE7ELNS1_3repE0EEENS1_30default_config_static_selectorELNS0_4arch9wavefront6targetE1EEEvSW_.uses_vcc, 0
	.set _ZN7rocprim17ROCPRIM_400000_NS6detail17trampoline_kernelINS0_14default_configENS1_22reduce_config_selectorIlEEZNS1_11reduce_implILb1ES3_N6thrust23THRUST_200600_302600_NS11hip_rocprim26transform_input_iterator_tIlNS8_12zip_iteratorINS8_5tupleINS8_6detail15normal_iteratorINS8_10device_ptrIfEEEESH_NS8_9null_typeESI_SI_SI_SI_SI_SI_SI_EEEENS9_21zip_adj_not_predicateI22is_equal_div_10_uniqueIfEEEEEPllNS8_4plusIlEEEE10hipError_tPvRmT1_T2_T3_mT4_P12ihipStream_tbEUlT_E1_NS1_11comp_targetILNS1_3genE3ELNS1_11target_archE908ELNS1_3gpuE7ELNS1_3repE0EEENS1_30default_config_static_selectorELNS0_4arch9wavefront6targetE1EEEvSW_.uses_flat_scratch, 0
	.set _ZN7rocprim17ROCPRIM_400000_NS6detail17trampoline_kernelINS0_14default_configENS1_22reduce_config_selectorIlEEZNS1_11reduce_implILb1ES3_N6thrust23THRUST_200600_302600_NS11hip_rocprim26transform_input_iterator_tIlNS8_12zip_iteratorINS8_5tupleINS8_6detail15normal_iteratorINS8_10device_ptrIfEEEESH_NS8_9null_typeESI_SI_SI_SI_SI_SI_SI_EEEENS9_21zip_adj_not_predicateI22is_equal_div_10_uniqueIfEEEEEPllNS8_4plusIlEEEE10hipError_tPvRmT1_T2_T3_mT4_P12ihipStream_tbEUlT_E1_NS1_11comp_targetILNS1_3genE3ELNS1_11target_archE908ELNS1_3gpuE7ELNS1_3repE0EEENS1_30default_config_static_selectorELNS0_4arch9wavefront6targetE1EEEvSW_.has_dyn_sized_stack, 0
	.set _ZN7rocprim17ROCPRIM_400000_NS6detail17trampoline_kernelINS0_14default_configENS1_22reduce_config_selectorIlEEZNS1_11reduce_implILb1ES3_N6thrust23THRUST_200600_302600_NS11hip_rocprim26transform_input_iterator_tIlNS8_12zip_iteratorINS8_5tupleINS8_6detail15normal_iteratorINS8_10device_ptrIfEEEESH_NS8_9null_typeESI_SI_SI_SI_SI_SI_SI_EEEENS9_21zip_adj_not_predicateI22is_equal_div_10_uniqueIfEEEEEPllNS8_4plusIlEEEE10hipError_tPvRmT1_T2_T3_mT4_P12ihipStream_tbEUlT_E1_NS1_11comp_targetILNS1_3genE3ELNS1_11target_archE908ELNS1_3gpuE7ELNS1_3repE0EEENS1_30default_config_static_selectorELNS0_4arch9wavefront6targetE1EEEvSW_.has_recursion, 0
	.set _ZN7rocprim17ROCPRIM_400000_NS6detail17trampoline_kernelINS0_14default_configENS1_22reduce_config_selectorIlEEZNS1_11reduce_implILb1ES3_N6thrust23THRUST_200600_302600_NS11hip_rocprim26transform_input_iterator_tIlNS8_12zip_iteratorINS8_5tupleINS8_6detail15normal_iteratorINS8_10device_ptrIfEEEESH_NS8_9null_typeESI_SI_SI_SI_SI_SI_SI_EEEENS9_21zip_adj_not_predicateI22is_equal_div_10_uniqueIfEEEEEPllNS8_4plusIlEEEE10hipError_tPvRmT1_T2_T3_mT4_P12ihipStream_tbEUlT_E1_NS1_11comp_targetILNS1_3genE3ELNS1_11target_archE908ELNS1_3gpuE7ELNS1_3repE0EEENS1_30default_config_static_selectorELNS0_4arch9wavefront6targetE1EEEvSW_.has_indirect_call, 0
	.section	.AMDGPU.csdata,"",@progbits
; Kernel info:
; codeLenInByte = 0
; TotalNumSgprs: 4
; NumVgprs: 0
; ScratchSize: 0
; MemoryBound: 0
; FloatMode: 240
; IeeeMode: 1
; LDSByteSize: 0 bytes/workgroup (compile time only)
; SGPRBlocks: 0
; VGPRBlocks: 0
; NumSGPRsForWavesPerEU: 4
; NumVGPRsForWavesPerEU: 1
; Occupancy: 10
; WaveLimiterHint : 0
; COMPUTE_PGM_RSRC2:SCRATCH_EN: 0
; COMPUTE_PGM_RSRC2:USER_SGPR: 6
; COMPUTE_PGM_RSRC2:TRAP_HANDLER: 0
; COMPUTE_PGM_RSRC2:TGID_X_EN: 1
; COMPUTE_PGM_RSRC2:TGID_Y_EN: 0
; COMPUTE_PGM_RSRC2:TGID_Z_EN: 0
; COMPUTE_PGM_RSRC2:TIDIG_COMP_CNT: 0
	.section	.text._ZN7rocprim17ROCPRIM_400000_NS6detail17trampoline_kernelINS0_14default_configENS1_22reduce_config_selectorIlEEZNS1_11reduce_implILb1ES3_N6thrust23THRUST_200600_302600_NS11hip_rocprim26transform_input_iterator_tIlNS8_12zip_iteratorINS8_5tupleINS8_6detail15normal_iteratorINS8_10device_ptrIfEEEESH_NS8_9null_typeESI_SI_SI_SI_SI_SI_SI_EEEENS9_21zip_adj_not_predicateI22is_equal_div_10_uniqueIfEEEEEPllNS8_4plusIlEEEE10hipError_tPvRmT1_T2_T3_mT4_P12ihipStream_tbEUlT_E1_NS1_11comp_targetILNS1_3genE2ELNS1_11target_archE906ELNS1_3gpuE6ELNS1_3repE0EEENS1_30default_config_static_selectorELNS0_4arch9wavefront6targetE1EEEvSW_,"axG",@progbits,_ZN7rocprim17ROCPRIM_400000_NS6detail17trampoline_kernelINS0_14default_configENS1_22reduce_config_selectorIlEEZNS1_11reduce_implILb1ES3_N6thrust23THRUST_200600_302600_NS11hip_rocprim26transform_input_iterator_tIlNS8_12zip_iteratorINS8_5tupleINS8_6detail15normal_iteratorINS8_10device_ptrIfEEEESH_NS8_9null_typeESI_SI_SI_SI_SI_SI_SI_EEEENS9_21zip_adj_not_predicateI22is_equal_div_10_uniqueIfEEEEEPllNS8_4plusIlEEEE10hipError_tPvRmT1_T2_T3_mT4_P12ihipStream_tbEUlT_E1_NS1_11comp_targetILNS1_3genE2ELNS1_11target_archE906ELNS1_3gpuE6ELNS1_3repE0EEENS1_30default_config_static_selectorELNS0_4arch9wavefront6targetE1EEEvSW_,comdat
	.protected	_ZN7rocprim17ROCPRIM_400000_NS6detail17trampoline_kernelINS0_14default_configENS1_22reduce_config_selectorIlEEZNS1_11reduce_implILb1ES3_N6thrust23THRUST_200600_302600_NS11hip_rocprim26transform_input_iterator_tIlNS8_12zip_iteratorINS8_5tupleINS8_6detail15normal_iteratorINS8_10device_ptrIfEEEESH_NS8_9null_typeESI_SI_SI_SI_SI_SI_SI_EEEENS9_21zip_adj_not_predicateI22is_equal_div_10_uniqueIfEEEEEPllNS8_4plusIlEEEE10hipError_tPvRmT1_T2_T3_mT4_P12ihipStream_tbEUlT_E1_NS1_11comp_targetILNS1_3genE2ELNS1_11target_archE906ELNS1_3gpuE6ELNS1_3repE0EEENS1_30default_config_static_selectorELNS0_4arch9wavefront6targetE1EEEvSW_ ; -- Begin function _ZN7rocprim17ROCPRIM_400000_NS6detail17trampoline_kernelINS0_14default_configENS1_22reduce_config_selectorIlEEZNS1_11reduce_implILb1ES3_N6thrust23THRUST_200600_302600_NS11hip_rocprim26transform_input_iterator_tIlNS8_12zip_iteratorINS8_5tupleINS8_6detail15normal_iteratorINS8_10device_ptrIfEEEESH_NS8_9null_typeESI_SI_SI_SI_SI_SI_SI_EEEENS9_21zip_adj_not_predicateI22is_equal_div_10_uniqueIfEEEEEPllNS8_4plusIlEEEE10hipError_tPvRmT1_T2_T3_mT4_P12ihipStream_tbEUlT_E1_NS1_11comp_targetILNS1_3genE2ELNS1_11target_archE906ELNS1_3gpuE6ELNS1_3repE0EEENS1_30default_config_static_selectorELNS0_4arch9wavefront6targetE1EEEvSW_
	.globl	_ZN7rocprim17ROCPRIM_400000_NS6detail17trampoline_kernelINS0_14default_configENS1_22reduce_config_selectorIlEEZNS1_11reduce_implILb1ES3_N6thrust23THRUST_200600_302600_NS11hip_rocprim26transform_input_iterator_tIlNS8_12zip_iteratorINS8_5tupleINS8_6detail15normal_iteratorINS8_10device_ptrIfEEEESH_NS8_9null_typeESI_SI_SI_SI_SI_SI_SI_EEEENS9_21zip_adj_not_predicateI22is_equal_div_10_uniqueIfEEEEEPllNS8_4plusIlEEEE10hipError_tPvRmT1_T2_T3_mT4_P12ihipStream_tbEUlT_E1_NS1_11comp_targetILNS1_3genE2ELNS1_11target_archE906ELNS1_3gpuE6ELNS1_3repE0EEENS1_30default_config_static_selectorELNS0_4arch9wavefront6targetE1EEEvSW_
	.p2align	8
	.type	_ZN7rocprim17ROCPRIM_400000_NS6detail17trampoline_kernelINS0_14default_configENS1_22reduce_config_selectorIlEEZNS1_11reduce_implILb1ES3_N6thrust23THRUST_200600_302600_NS11hip_rocprim26transform_input_iterator_tIlNS8_12zip_iteratorINS8_5tupleINS8_6detail15normal_iteratorINS8_10device_ptrIfEEEESH_NS8_9null_typeESI_SI_SI_SI_SI_SI_SI_EEEENS9_21zip_adj_not_predicateI22is_equal_div_10_uniqueIfEEEEEPllNS8_4plusIlEEEE10hipError_tPvRmT1_T2_T3_mT4_P12ihipStream_tbEUlT_E1_NS1_11comp_targetILNS1_3genE2ELNS1_11target_archE906ELNS1_3gpuE6ELNS1_3repE0EEENS1_30default_config_static_selectorELNS0_4arch9wavefront6targetE1EEEvSW_,@function
_ZN7rocprim17ROCPRIM_400000_NS6detail17trampoline_kernelINS0_14default_configENS1_22reduce_config_selectorIlEEZNS1_11reduce_implILb1ES3_N6thrust23THRUST_200600_302600_NS11hip_rocprim26transform_input_iterator_tIlNS8_12zip_iteratorINS8_5tupleINS8_6detail15normal_iteratorINS8_10device_ptrIfEEEESH_NS8_9null_typeESI_SI_SI_SI_SI_SI_SI_EEEENS9_21zip_adj_not_predicateI22is_equal_div_10_uniqueIfEEEEEPllNS8_4plusIlEEEE10hipError_tPvRmT1_T2_T3_mT4_P12ihipStream_tbEUlT_E1_NS1_11comp_targetILNS1_3genE2ELNS1_11target_archE906ELNS1_3gpuE6ELNS1_3repE0EEENS1_30default_config_static_selectorELNS0_4arch9wavefront6targetE1EEEvSW_: ; @_ZN7rocprim17ROCPRIM_400000_NS6detail17trampoline_kernelINS0_14default_configENS1_22reduce_config_selectorIlEEZNS1_11reduce_implILb1ES3_N6thrust23THRUST_200600_302600_NS11hip_rocprim26transform_input_iterator_tIlNS8_12zip_iteratorINS8_5tupleINS8_6detail15normal_iteratorINS8_10device_ptrIfEEEESH_NS8_9null_typeESI_SI_SI_SI_SI_SI_SI_EEEENS9_21zip_adj_not_predicateI22is_equal_div_10_uniqueIfEEEEEPllNS8_4plusIlEEEE10hipError_tPvRmT1_T2_T3_mT4_P12ihipStream_tbEUlT_E1_NS1_11comp_targetILNS1_3genE2ELNS1_11target_archE906ELNS1_3gpuE6ELNS1_3repE0EEENS1_30default_config_static_selectorELNS0_4arch9wavefront6targetE1EEEvSW_
; %bb.0:
	s_load_dword s30, s[4:5], 0x4
	s_load_dwordx4 s[24:27], s[4:5], 0x8
	s_load_dwordx4 s[20:23], s[4:5], 0x20
	s_waitcnt lgkmcnt(0)
	s_cmp_lt_i32 s30, 4
	s_cbranch_scc1 .LBB810_10
; %bb.1:
	s_cmp_gt_i32 s30, 7
	s_cbranch_scc0 .LBB810_11
; %bb.2:
	s_cmp_gt_i32 s30, 15
	s_cbranch_scc0 .LBB810_12
; %bb.3:
	s_mov_b64 s[0:1], 0
	s_cmp_eq_u32 s30, 16
	s_mov_b64 s[2:3], 0
                                        ; implicit-def: $vgpr1_vgpr2
                                        ; implicit-def: $vgpr3_vgpr4
	s_cbranch_scc0 .LBB810_13
; %bb.4:
	s_mov_b32 s7, 0
	s_lshl_b32 s10, s6, 12
	s_mov_b32 s11, s7
	s_lshr_b64 s[12:13], s[20:21], 12
	s_lshl_b64 s[8:9], s[10:11], 2
	s_add_u32 s2, s24, s8
	s_addc_u32 s3, s25, s9
	s_add_u32 s8, s26, s8
	s_addc_u32 s9, s27, s9
	s_cmp_lg_u64 s[12:13], s[6:7]
	s_cbranch_scc0 .LBB810_21
; %bb.5:
	v_lshlrev_b32_e32 v1, 2, v0
	global_load_dword v9, v1, s[2:3]
	global_load_dword v10, v1, s[8:9]
	global_load_dword v11, v1, s[2:3] offset:1024
	global_load_dword v12, v1, s[8:9] offset:1024
	;; [unrolled: 1-line block ×6, first 2 shown]
	v_mov_b32_e32 v2, s3
	v_add_co_u32_e32 v17, vcc, s2, v1
	v_addc_co_u32_e32 v18, vcc, 0, v2, vcc
	v_mov_b32_e32 v3, s9
	v_add_co_u32_e32 v19, vcc, s8, v1
	s_movk_i32 s11, 0x2000
	v_addc_co_u32_e32 v20, vcc, 0, v3, vcc
	v_add_co_u32_e32 v1, vcc, s11, v17
	v_addc_co_u32_e32 v2, vcc, 0, v18, vcc
	v_add_co_u32_e32 v3, vcc, s11, v19
	global_load_dword v21, v[1:2], off offset:-4096
	v_addc_co_u32_e32 v4, vcc, 0, v20, vcc
	global_load_dword v22, v[3:4], off offset:-4096
	s_movk_i32 s11, 0x1000
	v_add_co_u32_e32 v5, vcc, s11, v17
	v_addc_co_u32_e32 v6, vcc, 0, v18, vcc
	v_add_co_u32_e32 v7, vcc, s11, v19
	global_load_dword v23, v[5:6], off offset:1024
	v_addc_co_u32_e32 v8, vcc, 0, v20, vcc
	global_load_dword v24, v[7:8], off offset:1024
	global_load_dword v25, v[5:6], off offset:2048
	;; [unrolled: 1-line block ×5, first 2 shown]
	global_load_dword v30, v[1:2], off
	global_load_dword v31, v[3:4], off
	s_mov_b32 s11, 0x66666667
	s_movk_i32 s12, 0x3000
	v_mov_b32_e32 v26, 0
	s_waitcnt vmcnt(17)
	v_cvt_i32_f32_e32 v5, v9
	s_waitcnt vmcnt(16)
	v_cvt_i32_f32_e32 v6, v10
	;; [unrolled: 2-line block ×8, first 2 shown]
	v_mul_hi_i32 v5, v5, s11
	v_mul_hi_i32 v6, v6, s11
	;; [unrolled: 1-line block ×8, first 2 shown]
	v_lshrrev_b32_e32 v13, 31, v5
	v_ashrrev_i32_e32 v5, 2, v5
	v_lshrrev_b32_e32 v14, 31, v6
	v_ashrrev_i32_e32 v6, 2, v6
	;; [unrolled: 2-line block ×4, first 2 shown]
	v_add_u32_e32 v5, v5, v13
	v_lshrrev_b32_e32 v13, 31, v9
	v_ashrrev_i32_e32 v9, 2, v9
	v_add_u32_e32 v6, v6, v14
	v_lshrrev_b32_e32 v14, 31, v10
	v_ashrrev_i32_e32 v10, 2, v10
	;; [unrolled: 3-line block ×4, first 2 shown]
	v_add_u32_e32 v9, v9, v13
	v_add_u32_e32 v10, v10, v14
	;; [unrolled: 1-line block ×3, first 2 shown]
	global_load_dword v13, v[1:2], off offset:1024
	global_load_dword v14, v[1:2], off offset:2048
	;; [unrolled: 1-line block ×3, first 2 shown]
	v_add_u32_e32 v12, v12, v16
	s_waitcnt vmcnt(12)
	v_cvt_i32_f32_e32 v1, v21
	global_load_dword v16, v[3:4], off offset:1024
	global_load_dword v21, v[3:4], off offset:2048
	;; [unrolled: 1-line block ×3, first 2 shown]
	s_waitcnt vmcnt(14)
	v_cvt_i32_f32_e32 v2, v22
	s_waitcnt vmcnt(13)
	v_cvt_i32_f32_e32 v4, v23
	v_mul_hi_i32 v1, v1, s11
	v_cmp_ne_u32_e32 vcc, v11, v12
	v_mul_hi_i32 v2, v2, s11
	v_cndmask_b32_e64 v11, 0, 1, vcc
	v_lshrrev_b32_e32 v3, 31, v1
	v_ashrrev_i32_e32 v1, 2, v1
	v_add_u32_e32 v1, v1, v3
	v_lshrrev_b32_e32 v3, 31, v2
	v_ashrrev_i32_e32 v2, 2, v2
	v_add_u32_e32 v2, v2, v3
	s_waitcnt vmcnt(12)
	v_cvt_i32_f32_e32 v3, v24
	v_mul_hi_i32 v4, v4, s11
	v_cmp_ne_u32_e32 vcc, v1, v2
	v_cndmask_b32_e64 v12, 0, 1, vcc
	v_mul_hi_i32 v1, v3, s11
	v_lshrrev_b32_e32 v2, 31, v4
	v_ashrrev_i32_e32 v3, 2, v4
	v_add_u32_e32 v22, v3, v2
	v_lshrrev_b32_e32 v23, 31, v1
	v_ashrrev_i32_e32 v24, 2, v1
	v_add_co_u32_e32 v1, vcc, s12, v17
	v_addc_co_u32_e32 v2, vcc, 0, v18, vcc
	v_add_co_u32_e32 v3, vcc, s12, v19
	global_load_dword v17, v[1:2], off
	v_addc_co_u32_e32 v4, vcc, 0, v20, vcc
	s_waitcnt vmcnt(12)
	v_cvt_i32_f32_e32 v25, v25
	global_load_dword v18, v[3:4], off
	v_add_u32_e32 v19, v24, v23
	s_waitcnt vmcnt(11)
	v_cvt_i32_f32_e32 v23, v28
	v_mul_hi_i32 v20, v25, s11
	v_cmp_ne_u32_e32 vcc, v22, v19
	global_load_dword v24, v[1:2], off offset:1024
	global_load_dword v25, v[3:4], off offset:1024
	v_lshrrev_b32_e32 v22, 31, v20
	v_ashrrev_i32_e32 v20, 2, v20
	v_add_u32_e32 v20, v20, v22
	v_cvt_i32_f32_e32 v22, v27
	v_mul_hi_i32 v23, v23, s11
	v_cndmask_b32_e64 v19, 0, 1, vcc
	s_waitcnt vmcnt(12)
	v_cvt_i32_f32_e32 v28, v29
	v_mul_hi_i32 v22, v22, s11
	v_lshrrev_b32_e32 v27, 31, v23
	v_ashrrev_i32_e32 v23, 2, v23
	v_add_u32_e32 v23, v23, v27
	v_cmp_ne_u32_e32 vcc, v20, v23
	v_lshrrev_b32_e32 v20, 31, v22
	global_load_dword v27, v[1:2], off offset:2048
	v_ashrrev_i32_e32 v22, 2, v22
	v_add_u32_e32 v20, v22, v20
	global_load_dword v22, v[3:4], off offset:2048
	v_mul_hi_i32 v23, v28, s11
	global_load_dword v1, v[1:2], off offset:3072
	s_waitcnt vmcnt(14)
	v_cvt_i32_f32_e32 v29, v30
	global_load_dword v3, v[3:4], off offset:3072
	s_waitcnt vmcnt(14)
	v_cvt_i32_f32_e32 v30, v31
	v_lshrrev_b32_e32 v28, 31, v23
	v_ashrrev_i32_e32 v23, 2, v23
	v_add_u32_e32 v23, v23, v28
	v_mul_hi_i32 v29, v29, s11
	v_cndmask_b32_e64 v28, 0, 1, vcc
	v_cmp_ne_u32_e32 vcc, v20, v23
	v_mul_hi_i32 v20, v30, s11
	v_lshrrev_b32_e32 v4, 31, v29
	v_ashrrev_i32_e32 v23, 2, v29
	v_add_u32_e32 v4, v23, v4
	v_lshrrev_b32_e32 v23, 31, v20
	v_ashrrev_i32_e32 v20, 2, v20
	v_add_u32_e32 v20, v20, v23
	s_waitcnt vmcnt(13)
	v_cvt_i32_f32_e32 v13, v13
	v_cndmask_b32_e64 v2, 0, 1, vcc
	v_cmp_ne_u32_e32 vcc, v4, v20
	s_waitcnt vmcnt(10)
	v_cvt_i32_f32_e32 v16, v16
	v_mul_hi_i32 v13, v13, s11
	v_cvt_i32_f32_e32 v14, v14
	v_cndmask_b32_e64 v4, 0, 1, vcc
	v_mul_hi_i32 v16, v16, s11
	v_lshrrev_b32_e32 v20, 31, v13
	v_ashrrev_i32_e32 v13, 2, v13
	v_add_u32_e32 v13, v13, v20
	v_lshrrev_b32_e32 v20, 31, v16
	v_ashrrev_i32_e32 v16, 2, v16
	v_add_u32_e32 v16, v16, v20
	s_waitcnt vmcnt(9)
	v_cvt_i32_f32_e32 v20, v21
	v_mul_hi_i32 v14, v14, s11
	v_cmp_ne_u32_e32 vcc, v13, v16
	v_cvt_i32_f32_e32 v15, v15
	v_mul_hi_i32 v16, v20, s11
	v_lshrrev_b32_e32 v20, 31, v14
	v_ashrrev_i32_e32 v14, 2, v14
	v_add_u32_e32 v14, v14, v20
	v_lshrrev_b32_e32 v20, 31, v16
	v_ashrrev_i32_e32 v16, 2, v16
	v_add_u32_e32 v16, v16, v20
	s_waitcnt vmcnt(8)
	v_cvt_i32_f32_e32 v20, v32
	v_mul_hi_i32 v15, v15, s11
	v_cndmask_b32_e64 v13, 0, 1, vcc
	v_cmp_ne_u32_e32 vcc, v14, v16
	v_mul_hi_i32 v16, v20, s11
	v_lshrrev_b32_e32 v20, 31, v15
	v_ashrrev_i32_e32 v15, 2, v15
	v_add_u32_e32 v15, v15, v20
	v_lshrrev_b32_e32 v20, 31, v16
	s_waitcnt vmcnt(7)
	v_cvt_i32_f32_e32 v17, v17
	v_ashrrev_i32_e32 v16, 2, v16
	v_add_u32_e32 v16, v16, v20
	v_cndmask_b32_e64 v14, 0, 1, vcc
	s_waitcnt vmcnt(6)
	v_cvt_i32_f32_e32 v18, v18
	v_mul_hi_i32 v17, v17, s11
	v_cmp_ne_u32_e32 vcc, v15, v16
	v_cndmask_b32_e64 v15, 0, 1, vcc
	v_mul_hi_i32 v16, v18, s11
	v_lshrrev_b32_e32 v18, 31, v17
	v_ashrrev_i32_e32 v17, 2, v17
	v_add_u32_e32 v17, v17, v18
	v_lshrrev_b32_e32 v18, 31, v16
	s_waitcnt vmcnt(5)
	v_cvt_i32_f32_e32 v20, v24
	v_ashrrev_i32_e32 v16, 2, v16
	v_add_u32_e32 v16, v16, v18
	s_waitcnt vmcnt(4)
	v_cvt_i32_f32_e32 v18, v25
	v_mul_hi_i32 v20, v20, s11
	v_cmp_ne_u32_e32 vcc, v17, v16
	v_cndmask_b32_e64 v16, 0, 1, vcc
	v_mul_hi_i32 v17, v18, s11
	v_lshrrev_b32_e32 v18, 31, v20
	v_ashrrev_i32_e32 v20, 2, v20
	v_add_u32_e32 v18, v20, v18
	v_lshrrev_b32_e32 v20, 31, v17
	s_waitcnt vmcnt(3)
	v_cvt_i32_f32_e32 v21, v27
	v_ashrrev_i32_e32 v17, 2, v17
	v_add_u32_e32 v17, v17, v20
	s_waitcnt vmcnt(2)
	v_cvt_i32_f32_e32 v20, v22
	s_waitcnt vmcnt(1)
	v_cvt_i32_f32_e32 v1, v1
	v_mul_hi_i32 v21, v21, s11
	s_waitcnt vmcnt(0)
	v_cvt_i32_f32_e32 v3, v3
	v_cmp_ne_u32_e32 vcc, v18, v17
	v_mul_hi_i32 v18, v20, s11
	v_mul_hi_i32 v1, v1, s11
	v_lshrrev_b32_e32 v20, 31, v21
	v_ashrrev_i32_e32 v21, 2, v21
	v_mul_hi_i32 v3, v3, s11
	v_add_u32_e32 v20, v21, v20
	v_lshrrev_b32_e32 v21, 31, v18
	v_ashrrev_i32_e32 v18, 2, v18
	v_add_u32_e32 v18, v18, v21
	v_cndmask_b32_e64 v17, 0, 1, vcc
	v_cmp_ne_u32_e32 vcc, v20, v18
	v_lshrrev_b32_e32 v20, 31, v1
	v_ashrrev_i32_e32 v1, 2, v1
	v_add_u32_e32 v1, v1, v20
	v_lshrrev_b32_e32 v20, 31, v3
	v_ashrrev_i32_e32 v3, 2, v3
	v_add_u32_e32 v3, v3, v20
	v_cndmask_b32_e64 v18, 0, 1, vcc
	v_cmp_ne_u32_e32 vcc, v1, v3
	v_cndmask_b32_e64 v1, 0, 1, vcc
	v_cmp_ne_u32_e32 vcc, v7, v8
	;; [unrolled: 2-line block ×4, first 2 shown]
	v_addc_co_u32_e32 v3, vcc, v3, v5, vcc
	v_add_co_u32_e32 v3, vcc, v3, v11
	v_addc_co_u32_e64 v5, s[12:13], 0, 0, vcc
	v_add_co_u32_e32 v3, vcc, v3, v12
	v_addc_co_u32_e32 v5, vcc, 0, v5, vcc
	v_add_co_u32_e32 v3, vcc, v3, v19
	v_addc_co_u32_e32 v5, vcc, 0, v5, vcc
	;; [unrolled: 2-line block ×12, first 2 shown]
	s_nop 0
	v_mov_b32_dpp v4, v1 quad_perm:[1,0,3,2] row_mask:0xf bank_mask:0xf bound_ctrl:1
	v_add_co_u32_e32 v1, vcc, v1, v4
	v_addc_co_u32_e32 v2, vcc, 0, v2, vcc
	v_mov_b32_dpp v5, v26 quad_perm:[1,0,3,2] row_mask:0xf bank_mask:0xf bound_ctrl:1
	v_add_co_u32_e32 v4, vcc, 0, v1
	v_addc_co_u32_e32 v2, vcc, v5, v2, vcc
	v_mov_b32_dpp v1, v1 quad_perm:[2,3,0,1] row_mask:0xf bank_mask:0xf bound_ctrl:1
	v_add_co_u32_e32 v1, vcc, v4, v1
	v_mov_b32_dpp v5, v2 quad_perm:[2,3,0,1] row_mask:0xf bank_mask:0xf bound_ctrl:1
	v_addc_co_u32_e32 v2, vcc, 0, v2, vcc
	v_add_co_u32_e32 v4, vcc, 0, v1
	v_addc_co_u32_e32 v2, vcc, v2, v5, vcc
	v_mov_b32_dpp v1, v1 row_ror:4 row_mask:0xf bank_mask:0xf bound_ctrl:1
	v_add_co_u32_e32 v1, vcc, v4, v1
	v_mov_b32_dpp v5, v2 row_ror:4 row_mask:0xf bank_mask:0xf bound_ctrl:1
	v_addc_co_u32_e32 v2, vcc, 0, v2, vcc
	v_add_co_u32_e32 v4, vcc, 0, v1
	v_addc_co_u32_e32 v2, vcc, v2, v5, vcc
	v_mov_b32_dpp v1, v1 row_ror:8 row_mask:0xf bank_mask:0xf bound_ctrl:1
	v_add_co_u32_e32 v1, vcc, v4, v1
	v_mov_b32_dpp v5, v2 row_ror:8 row_mask:0xf bank_mask:0xf bound_ctrl:1
	v_addc_co_u32_e32 v2, vcc, 0, v2, vcc
	v_add_co_u32_e32 v4, vcc, 0, v1
	v_addc_co_u32_e32 v2, vcc, v2, v5, vcc
	v_mov_b32_dpp v1, v1 row_bcast:15 row_mask:0xf bank_mask:0xf bound_ctrl:1
	v_add_co_u32_e32 v1, vcc, v4, v1
	v_mov_b32_dpp v5, v2 row_bcast:15 row_mask:0xf bank_mask:0xf bound_ctrl:1
	v_addc_co_u32_e32 v2, vcc, 0, v2, vcc
	v_add_co_u32_e32 v4, vcc, 0, v1
	v_addc_co_u32_e32 v2, vcc, v2, v5, vcc
	v_mov_b32_dpp v1, v1 row_bcast:31 row_mask:0xf bank_mask:0xf bound_ctrl:1
	v_mbcnt_lo_u32_b32 v3, -1, 0
	v_add_co_u32_e32 v1, vcc, v4, v1
	v_mbcnt_hi_u32_b32 v3, -1, v3
	v_addc_co_u32_e32 v4, vcc, 0, v2, vcc
	v_cmp_eq_u32_e32 vcc, 0, v3
	s_nop 0
	v_add_u32_dpp v2, v2, v4 row_bcast:31 row_mask:0xf bank_mask:0xf bound_ctrl:1
	v_lshlrev_b32_e32 v4, 2, v3
	v_or_b32_e32 v5, 0xfc, v4
	ds_bpermute_b32 v1, v5, v1
	ds_bpermute_b32 v2, v5, v2
	s_and_saveexec_b64 s[12:13], vcc
	s_cbranch_execz .LBB810_7
; %bb.6:
	v_lshrrev_b32_e32 v5, 3, v0
	v_and_b32_e32 v5, 24, v5
	s_waitcnt lgkmcnt(0)
	ds_write_b64 v5, v[1:2]
.LBB810_7:
	s_or_b64 exec, exec, s[12:13]
	v_cmp_gt_u32_e32 vcc, 64, v0
	s_waitcnt lgkmcnt(0)
	s_barrier
	s_and_saveexec_b64 s[12:13], vcc
	s_cbranch_execz .LBB810_9
; %bb.8:
	v_and_b32_e32 v5, 3, v3
	v_lshlrev_b32_e32 v1, 3, v5
	ds_read_b64 v[1:2], v1
	v_cmp_ne_u32_e32 vcc, 3, v5
	v_addc_co_u32_e32 v3, vcc, 0, v3, vcc
	v_lshlrev_b32_e32 v3, 2, v3
	s_waitcnt lgkmcnt(0)
	ds_bpermute_b32 v5, v3, v1
	ds_bpermute_b32 v3, v3, v2
	v_or_b32_e32 v4, 8, v4
	s_waitcnt lgkmcnt(1)
	v_add_co_u32_e32 v1, vcc, v1, v5
	v_addc_co_u32_e32 v2, vcc, 0, v2, vcc
	ds_bpermute_b32 v5, v4, v1
	v_add_co_u32_e32 v1, vcc, 0, v1
	s_waitcnt lgkmcnt(1)
	v_addc_co_u32_e32 v2, vcc, v3, v2, vcc
	ds_bpermute_b32 v3, v4, v2
	s_waitcnt lgkmcnt(1)
	v_add_co_u32_e32 v1, vcc, v1, v5
	v_addc_co_u32_e32 v2, vcc, 0, v2, vcc
	v_add_co_u32_e32 v1, vcc, 0, v1
	s_waitcnt lgkmcnt(0)
	v_addc_co_u32_e32 v2, vcc, v2, v3, vcc
.LBB810_9:
	s_or_b64 exec, exec, s[12:13]
	s_mov_b64 s[12:13], 0
	s_branch .LBB810_22
.LBB810_10:
	s_mov_b64 s[2:3], 0
                                        ; implicit-def: $vgpr1_vgpr2
                                        ; implicit-def: $vgpr3_vgpr4
	s_cbranch_execnz .LBB810_145
	s_branch .LBB810_206
.LBB810_11:
	s_mov_b64 s[2:3], 0
                                        ; implicit-def: $vgpr1_vgpr2
                                        ; implicit-def: $vgpr3_vgpr4
	s_cbranch_execnz .LBB810_110
	s_branch .LBB810_144
.LBB810_12:
	s_mov_b64 s[0:1], -1
	s_mov_b64 s[2:3], 0
                                        ; implicit-def: $vgpr1_vgpr2
                                        ; implicit-def: $vgpr3_vgpr4
.LBB810_13:
	s_and_b64 vcc, exec, s[0:1]
	s_cbranch_vccz .LBB810_109
.LBB810_14:
	s_cmp_eq_u32 s30, 8
                                        ; implicit-def: $vgpr1_vgpr2
                                        ; implicit-def: $vgpr3_vgpr4
	s_cbranch_scc0 .LBB810_109
; %bb.15:
	s_mov_b32 s7, 0
	s_lshl_b32 s0, s6, 11
	s_mov_b32 s1, s7
	s_lshr_b64 s[2:3], s[20:21], 11
	s_lshl_b64 s[8:9], s[0:1], 2
	s_add_u32 s16, s24, s8
	s_addc_u32 s17, s25, s9
	s_add_u32 s18, s26, s8
	s_addc_u32 s19, s27, s9
	s_cmp_lg_u64 s[2:3], s[6:7]
	s_cbranch_scc0 .LBB810_73
; %bb.16:
	v_lshlrev_b32_e32 v1, 2, v0
	v_mov_b32_e32 v2, s17
	v_add_co_u32_e32 v3, vcc, s16, v1
	v_addc_co_u32_e32 v2, vcc, 0, v2, vcc
	v_mov_b32_e32 v4, s19
	v_add_co_u32_e32 v5, vcc, s18, v1
	v_addc_co_u32_e32 v4, vcc, 0, v4, vcc
	s_movk_i32 s1, 0x1000
	global_load_dword v6, v1, s[16:17]
	global_load_dword v7, v1, s[18:19]
	global_load_dword v8, v1, s[16:17] offset:1024
	global_load_dword v9, v1, s[18:19] offset:1024
	;; [unrolled: 1-line block ×6, first 2 shown]
	v_add_co_u32_e32 v1, vcc, s1, v3
	v_addc_co_u32_e32 v2, vcc, 0, v2, vcc
	global_load_dword v14, v[1:2], off
	v_add_co_u32_e32 v3, vcc, s1, v5
	v_addc_co_u32_e32 v4, vcc, 0, v4, vcc
	global_load_dword v5, v[3:4], off
	global_load_dword v15, v[1:2], off offset:1024
	global_load_dword v16, v[3:4], off offset:1024
	;; [unrolled: 1-line block ×6, first 2 shown]
	s_mov_b32 s1, 0x66666667
	v_mov_b32_e32 v1, 0
	s_waitcnt vmcnt(15)
	v_cvt_i32_f32_e32 v2, v6
	s_waitcnt vmcnt(14)
	v_cvt_i32_f32_e32 v3, v7
	;; [unrolled: 2-line block ×8, first 2 shown]
	v_mul_hi_i32 v2, v2, s1
	v_mul_hi_i32 v4, v4, s1
	;; [unrolled: 1-line block ×3, first 2 shown]
	s_waitcnt vmcnt(6)
	v_cvt_i32_f32_e32 v5, v5
	v_cvt_i32_f32_e32 v11, v14
	v_mul_hi_i32 v9, v9, s1
	s_waitcnt vmcnt(5)
	v_cvt_i32_f32_e32 v12, v15
	v_mul_hi_i32 v5, v5, s1
	v_mul_hi_i32 v11, v11, s1
	s_waitcnt vmcnt(4)
	v_cvt_i32_f32_e32 v13, v16
	v_lshrrev_b32_e32 v24, 31, v9
	v_ashrrev_i32_e32 v9, 2, v9
	v_lshrrev_b32_e32 v25, 31, v10
	v_ashrrev_i32_e32 v10, 2, v10
	;; [unrolled: 2-line block ×3, first 2 shown]
	v_add_u32_e32 v9, v9, v24
	v_add_u32_e32 v10, v10, v25
	;; [unrolled: 1-line block ×3, first 2 shown]
	v_cmp_ne_u32_e32 vcc, v9, v10
	v_lshrrev_b32_e32 v10, 31, v11
	v_ashrrev_i32_e32 v11, 2, v11
	v_lshrrev_b32_e32 v14, 31, v5
	v_ashrrev_i32_e32 v5, 2, v5
	v_mul_hi_i32 v12, v12, s1
	v_add_u32_e32 v10, v11, v10
	v_add_u32_e32 v5, v5, v14
	v_cndmask_b32_e64 v9, 0, 1, vcc
	v_cmp_ne_u32_e32 vcc, v10, v5
	v_mul_hi_i32 v10, v13, s1
	v_lshrrev_b32_e32 v11, 31, v12
	v_ashrrev_i32_e32 v12, 2, v12
	v_add_u32_e32 v11, v12, v11
	v_lshrrev_b32_e32 v12, 31, v10
	s_waitcnt vmcnt(3)
	v_cvt_i32_f32_e32 v13, v17
	v_ashrrev_i32_e32 v10, 2, v10
	v_add_u32_e32 v10, v10, v12
	s_waitcnt vmcnt(2)
	v_cvt_i32_f32_e32 v12, v18
	v_mul_hi_i32 v13, v13, s1
	v_cndmask_b32_e64 v5, 0, 1, vcc
	v_cmp_ne_u32_e32 vcc, v11, v10
	v_mul_hi_i32 v11, v12, s1
	v_lshrrev_b32_e32 v12, 31, v13
	v_ashrrev_i32_e32 v13, 2, v13
	v_add_u32_e32 v12, v13, v12
	v_lshrrev_b32_e32 v13, 31, v11
	s_waitcnt vmcnt(1)
	v_cvt_i32_f32_e32 v14, v19
	v_ashrrev_i32_e32 v11, 2, v11
	v_add_u32_e32 v11, v11, v13
	s_waitcnt vmcnt(0)
	v_cvt_i32_f32_e32 v13, v20
	v_mul_hi_i32 v14, v14, s1
	v_cndmask_b32_e64 v10, 0, 1, vcc
	v_cmp_ne_u32_e32 vcc, v12, v11
	v_mul_hi_i32 v12, v13, s1
	v_mul_hi_i32 v6, v6, s1
	;; [unrolled: 1-line block ×5, first 2 shown]
	v_lshrrev_b32_e32 v13, 31, v14
	v_ashrrev_i32_e32 v14, 2, v14
	v_add_u32_e32 v13, v14, v13
	v_lshrrev_b32_e32 v14, 31, v12
	v_ashrrev_i32_e32 v12, 2, v12
	v_lshrrev_b32_e32 v16, 31, v4
	v_ashrrev_i32_e32 v4, 2, v4
	;; [unrolled: 2-line block ×3, first 2 shown]
	v_add_u32_e32 v12, v12, v14
	v_lshrrev_b32_e32 v15, 31, v3
	v_ashrrev_i32_e32 v3, 2, v3
	v_add_u32_e32 v4, v4, v16
	v_add_u32_e32 v6, v6, v21
	v_cndmask_b32_e64 v11, 0, 1, vcc
	v_cmp_ne_u32_e32 vcc, v13, v12
	v_lshrrev_b32_e32 v22, 31, v7
	v_ashrrev_i32_e32 v7, 2, v7
	v_lshrrev_b32_e32 v23, 31, v8
	v_ashrrev_i32_e32 v8, 2, v8
	v_add_u32_e32 v3, v3, v15
	v_cndmask_b32_e64 v12, 0, 1, vcc
	v_cmp_ne_u32_e32 vcc, v4, v6
	v_add_u32_e32 v7, v7, v22
	v_add_u32_e32 v8, v8, v23
	v_cndmask_b32_e64 v4, 0, 1, vcc
	v_cmp_ne_u32_e32 vcc, v2, v3
	v_cndmask_b32_e64 v2, 0, 1, vcc
	v_cmp_ne_u32_e32 vcc, v7, v8
	v_addc_co_u32_e32 v2, vcc, v4, v2, vcc
	v_add_co_u32_e32 v2, vcc, v2, v9
	v_addc_co_u32_e64 v3, s[2:3], 0, 0, vcc
	v_add_co_u32_e32 v2, vcc, v2, v5
	v_addc_co_u32_e32 v3, vcc, 0, v3, vcc
	v_add_co_u32_e32 v2, vcc, v2, v10
	v_addc_co_u32_e32 v3, vcc, 0, v3, vcc
	;; [unrolled: 2-line block ×4, first 2 shown]
	s_nop 0
	v_mov_b32_dpp v5, v2 quad_perm:[1,0,3,2] row_mask:0xf bank_mask:0xf bound_ctrl:1
	v_add_co_u32_e32 v2, vcc, v2, v5
	v_addc_co_u32_e32 v4, vcc, 0, v4, vcc
	v_mov_b32_dpp v1, v1 quad_perm:[1,0,3,2] row_mask:0xf bank_mask:0xf bound_ctrl:1
	v_add_co_u32_e32 v5, vcc, 0, v2
	v_addc_co_u32_e32 v1, vcc, v1, v4, vcc
	v_mov_b32_dpp v2, v2 quad_perm:[2,3,0,1] row_mask:0xf bank_mask:0xf bound_ctrl:1
	v_add_co_u32_e32 v2, vcc, v5, v2
	v_mov_b32_dpp v4, v1 quad_perm:[2,3,0,1] row_mask:0xf bank_mask:0xf bound_ctrl:1
	v_addc_co_u32_e32 v1, vcc, 0, v1, vcc
	v_add_co_u32_e32 v5, vcc, 0, v2
	v_addc_co_u32_e32 v1, vcc, v1, v4, vcc
	v_mov_b32_dpp v2, v2 row_ror:4 row_mask:0xf bank_mask:0xf bound_ctrl:1
	v_add_co_u32_e32 v2, vcc, v5, v2
	v_mov_b32_dpp v4, v1 row_ror:4 row_mask:0xf bank_mask:0xf bound_ctrl:1
	v_addc_co_u32_e32 v1, vcc, 0, v1, vcc
	v_add_co_u32_e32 v5, vcc, 0, v2
	v_addc_co_u32_e32 v1, vcc, v1, v4, vcc
	v_mov_b32_dpp v2, v2 row_ror:8 row_mask:0xf bank_mask:0xf bound_ctrl:1
	v_add_co_u32_e32 v2, vcc, v5, v2
	v_mov_b32_dpp v4, v1 row_ror:8 row_mask:0xf bank_mask:0xf bound_ctrl:1
	v_addc_co_u32_e32 v1, vcc, 0, v1, vcc
	v_add_co_u32_e32 v5, vcc, 0, v2
	v_addc_co_u32_e32 v1, vcc, v1, v4, vcc
	v_mov_b32_dpp v2, v2 row_bcast:15 row_mask:0xf bank_mask:0xf bound_ctrl:1
	v_add_co_u32_e32 v2, vcc, v5, v2
	v_mov_b32_dpp v4, v1 row_bcast:15 row_mask:0xf bank_mask:0xf bound_ctrl:1
	v_addc_co_u32_e32 v1, vcc, 0, v1, vcc
	v_add_co_u32_e32 v5, vcc, 0, v2
	v_addc_co_u32_e32 v1, vcc, v1, v4, vcc
	v_mov_b32_dpp v2, v2 row_bcast:31 row_mask:0xf bank_mask:0xf bound_ctrl:1
	v_mbcnt_lo_u32_b32 v3, -1, 0
	v_add_co_u32_e32 v2, vcc, v5, v2
	v_mbcnt_hi_u32_b32 v3, -1, v3
	v_addc_co_u32_e32 v4, vcc, 0, v1, vcc
	v_cmp_eq_u32_e32 vcc, 0, v3
	s_nop 0
	v_add_u32_dpp v5, v1, v4 row_bcast:31 row_mask:0xf bank_mask:0xf bound_ctrl:1
	v_lshlrev_b32_e32 v4, 2, v3
	v_or_b32_e32 v6, 0xfc, v4
	ds_bpermute_b32 v1, v6, v2
	ds_bpermute_b32 v2, v6, v5
	s_and_saveexec_b64 s[2:3], vcc
	s_cbranch_execz .LBB810_18
; %bb.17:
	v_lshrrev_b32_e32 v5, 3, v0
	v_and_b32_e32 v5, 24, v5
	s_waitcnt lgkmcnt(0)
	ds_write_b64 v5, v[1:2] offset:128
.LBB810_18:
	s_or_b64 exec, exec, s[2:3]
	v_cmp_gt_u32_e32 vcc, 64, v0
	s_waitcnt lgkmcnt(0)
	s_barrier
	s_and_saveexec_b64 s[2:3], vcc
	s_cbranch_execz .LBB810_20
; %bb.19:
	v_and_b32_e32 v5, 3, v3
	v_lshlrev_b32_e32 v1, 3, v5
	ds_read_b64 v[1:2], v1 offset:128
	v_cmp_ne_u32_e32 vcc, 3, v5
	v_addc_co_u32_e32 v3, vcc, 0, v3, vcc
	v_lshlrev_b32_e32 v3, 2, v3
	s_waitcnt lgkmcnt(0)
	ds_bpermute_b32 v5, v3, v1
	ds_bpermute_b32 v3, v3, v2
	v_or_b32_e32 v4, 8, v4
	s_waitcnt lgkmcnt(1)
	v_add_co_u32_e32 v1, vcc, v1, v5
	v_addc_co_u32_e32 v2, vcc, 0, v2, vcc
	ds_bpermute_b32 v5, v4, v1
	v_add_co_u32_e32 v1, vcc, 0, v1
	s_waitcnt lgkmcnt(1)
	v_addc_co_u32_e32 v2, vcc, v3, v2, vcc
	ds_bpermute_b32 v3, v4, v2
	s_waitcnt lgkmcnt(1)
	v_add_co_u32_e32 v1, vcc, v1, v5
	v_addc_co_u32_e32 v2, vcc, 0, v2, vcc
	v_add_co_u32_e32 v1, vcc, 0, v1
	s_waitcnt lgkmcnt(0)
	v_addc_co_u32_e32 v2, vcc, v2, v3, vcc
.LBB810_20:
	s_or_b64 exec, exec, s[2:3]
	s_mov_b64 s[2:3], 0
	s_branch .LBB810_74
.LBB810_21:
	s_mov_b64 s[12:13], -1
                                        ; implicit-def: $vgpr1_vgpr2
.LBB810_22:
	s_and_b64 vcc, exec, s[12:13]
	s_cbranch_vccz .LBB810_72
; %bb.23:
	s_sub_i32 s12, s20, s10
	v_cmp_gt_u32_e32 vcc, s12, v0
                                        ; implicit-def: $vgpr1_vgpr2
	s_and_saveexec_b64 s[10:11], vcc
	s_cbranch_execz .LBB810_25
; %bb.24:
	v_lshlrev_b32_e32 v1, 2, v0
	global_load_dword v2, v1, s[2:3]
	global_load_dword v3, v1, s[8:9]
	s_mov_b32 s13, 0x66666667
	s_waitcnt vmcnt(1)
	v_cvt_i32_f32_e32 v1, v2
	s_waitcnt vmcnt(0)
	v_cvt_i32_f32_e32 v2, v3
	v_mul_hi_i32 v1, v1, s13
	v_mul_hi_i32 v2, v2, s13
	s_mov_b32 s13, 0
	v_lshrrev_b32_e32 v3, 31, v1
	v_ashrrev_i32_e32 v1, 2, v1
	v_lshrrev_b32_e32 v4, 31, v2
	v_ashrrev_i32_e32 v2, 2, v2
	v_add_u32_e32 v1, v1, v3
	v_add_u32_e32 v2, v2, v4
	v_cmp_ne_u32_e32 vcc, v1, v2
	v_cndmask_b32_e64 v1, 0, 1, vcc
	v_mov_b32_e32 v2, s13
.LBB810_25:
	s_or_b64 exec, exec, s[10:11]
	v_or_b32_e32 v7, 0x100, v0
	v_mov_b32_e32 v3, 0
	v_mov_b32_e32 v5, 0
	;; [unrolled: 1-line block ×4, first 2 shown]
	v_cmp_gt_u32_e32 vcc, s12, v7
	s_and_saveexec_b64 s[10:11], vcc
	s_cbranch_execz .LBB810_27
; %bb.26:
	v_lshlrev_b32_e32 v5, 2, v0
	global_load_dword v6, v5, s[2:3] offset:1024
	global_load_dword v7, v5, s[8:9] offset:1024
	s_mov_b32 s13, 0x66666667
	s_waitcnt vmcnt(1)
	v_cvt_i32_f32_e32 v5, v6
	s_waitcnt vmcnt(0)
	v_cvt_i32_f32_e32 v6, v7
	v_mul_hi_i32 v5, v5, s13
	v_mul_hi_i32 v6, v6, s13
	s_mov_b32 s13, 0
	v_lshrrev_b32_e32 v7, 31, v5
	v_ashrrev_i32_e32 v5, 2, v5
	v_lshrrev_b32_e32 v8, 31, v6
	v_ashrrev_i32_e32 v6, 2, v6
	v_add_u32_e32 v5, v5, v7
	v_add_u32_e32 v6, v6, v8
	v_cmp_ne_u32_e32 vcc, v5, v6
	v_cndmask_b32_e64 v5, 0, 1, vcc
	v_mov_b32_e32 v6, s13
.LBB810_27:
	s_or_b64 exec, exec, s[10:11]
	v_or_b32_e32 v7, 0x200, v0
	v_cmp_gt_u32_e32 vcc, s12, v7
	s_and_saveexec_b64 s[10:11], vcc
	s_cbranch_execz .LBB810_29
; %bb.28:
	v_lshlrev_b32_e32 v3, 2, v0
	global_load_dword v4, v3, s[2:3] offset:2048
	global_load_dword v7, v3, s[8:9] offset:2048
	s_mov_b32 s13, 0x66666667
	s_waitcnt vmcnt(1)
	v_cvt_i32_f32_e32 v3, v4
	s_waitcnt vmcnt(0)
	v_cvt_i32_f32_e32 v4, v7
	v_mul_hi_i32 v3, v3, s13
	v_mul_hi_i32 v4, v4, s13
	s_mov_b32 s13, 0
	v_lshrrev_b32_e32 v7, 31, v3
	v_ashrrev_i32_e32 v3, 2, v3
	v_lshrrev_b32_e32 v8, 31, v4
	v_ashrrev_i32_e32 v4, 2, v4
	v_add_u32_e32 v3, v3, v7
	v_add_u32_e32 v4, v4, v8
	v_cmp_ne_u32_e32 vcc, v3, v4
	v_cndmask_b32_e64 v3, 0, 1, vcc
	v_mov_b32_e32 v4, s13
.LBB810_29:
	s_or_b64 exec, exec, s[10:11]
	v_or_b32_e32 v11, 0x300, v0
	v_mov_b32_e32 v7, 0
	v_mov_b32_e32 v9, 0
	;; [unrolled: 1-line block ×4, first 2 shown]
	v_cmp_gt_u32_e32 vcc, s12, v11
	s_and_saveexec_b64 s[10:11], vcc
	s_cbranch_execz .LBB810_31
; %bb.30:
	v_lshlrev_b32_e32 v9, 2, v0
	global_load_dword v10, v9, s[2:3] offset:3072
	global_load_dword v11, v9, s[8:9] offset:3072
	s_mov_b32 s13, 0x66666667
	s_waitcnt vmcnt(1)
	v_cvt_i32_f32_e32 v9, v10
	s_waitcnt vmcnt(0)
	v_cvt_i32_f32_e32 v10, v11
	v_mul_hi_i32 v9, v9, s13
	v_mul_hi_i32 v10, v10, s13
	s_mov_b32 s13, 0
	v_lshrrev_b32_e32 v11, 31, v9
	v_ashrrev_i32_e32 v9, 2, v9
	v_lshrrev_b32_e32 v12, 31, v10
	v_ashrrev_i32_e32 v10, 2, v10
	v_add_u32_e32 v9, v9, v11
	v_add_u32_e32 v10, v10, v12
	v_cmp_ne_u32_e32 vcc, v9, v10
	v_cndmask_b32_e64 v9, 0, 1, vcc
	v_mov_b32_e32 v10, s13
.LBB810_31:
	s_or_b64 exec, exec, s[10:11]
	v_or_b32_e32 v11, 0x400, v0
	v_cmp_gt_u32_e32 vcc, s12, v11
	s_and_saveexec_b64 s[10:11], vcc
	s_cbranch_execz .LBB810_33
; %bb.32:
	v_lshlrev_b32_e32 v7, 2, v11
	global_load_dword v8, v7, s[2:3]
	global_load_dword v11, v7, s[8:9]
	s_mov_b32 s13, 0x66666667
	s_waitcnt vmcnt(1)
	v_cvt_i32_f32_e32 v7, v8
	s_waitcnt vmcnt(0)
	v_cvt_i32_f32_e32 v8, v11
	v_mul_hi_i32 v7, v7, s13
	v_mul_hi_i32 v8, v8, s13
	s_mov_b32 s13, 0
	v_lshrrev_b32_e32 v11, 31, v7
	v_ashrrev_i32_e32 v7, 2, v7
	v_lshrrev_b32_e32 v12, 31, v8
	v_ashrrev_i32_e32 v8, 2, v8
	v_add_u32_e32 v7, v7, v11
	v_add_u32_e32 v8, v8, v12
	v_cmp_ne_u32_e32 vcc, v7, v8
	v_cndmask_b32_e64 v7, 0, 1, vcc
	v_mov_b32_e32 v8, s13
.LBB810_33:
	s_or_b64 exec, exec, s[10:11]
	v_or_b32_e32 v15, 0x500, v0
	v_mov_b32_e32 v11, 0
	v_mov_b32_e32 v13, 0
	v_mov_b32_e32 v12, 0
	v_mov_b32_e32 v14, 0
	v_cmp_gt_u32_e32 vcc, s12, v15
	s_and_saveexec_b64 s[10:11], vcc
	s_cbranch_execz .LBB810_35
; %bb.34:
	v_lshlrev_b32_e32 v13, 2, v15
	global_load_dword v14, v13, s[2:3]
	global_load_dword v15, v13, s[8:9]
	s_mov_b32 s13, 0x66666667
	s_waitcnt vmcnt(1)
	v_cvt_i32_f32_e32 v13, v14
	s_waitcnt vmcnt(0)
	v_cvt_i32_f32_e32 v14, v15
	v_mul_hi_i32 v13, v13, s13
	v_mul_hi_i32 v14, v14, s13
	s_mov_b32 s13, 0
	v_lshrrev_b32_e32 v15, 31, v13
	v_ashrrev_i32_e32 v13, 2, v13
	v_lshrrev_b32_e32 v16, 31, v14
	v_ashrrev_i32_e32 v14, 2, v14
	v_add_u32_e32 v13, v13, v15
	v_add_u32_e32 v14, v14, v16
	v_cmp_ne_u32_e32 vcc, v13, v14
	v_cndmask_b32_e64 v13, 0, 1, vcc
	v_mov_b32_e32 v14, s13
.LBB810_35:
	s_or_b64 exec, exec, s[10:11]
	v_or_b32_e32 v15, 0x600, v0
	v_cmp_gt_u32_e32 vcc, s12, v15
	s_and_saveexec_b64 s[10:11], vcc
	s_cbranch_execz .LBB810_37
; %bb.36:
	v_lshlrev_b32_e32 v11, 2, v15
	global_load_dword v12, v11, s[2:3]
	global_load_dword v15, v11, s[8:9]
	s_mov_b32 s13, 0x66666667
	s_waitcnt vmcnt(1)
	v_cvt_i32_f32_e32 v11, v12
	s_waitcnt vmcnt(0)
	v_cvt_i32_f32_e32 v12, v15
	v_mul_hi_i32 v11, v11, s13
	v_mul_hi_i32 v12, v12, s13
	s_mov_b32 s13, 0
	v_lshrrev_b32_e32 v15, 31, v11
	v_ashrrev_i32_e32 v11, 2, v11
	v_lshrrev_b32_e32 v16, 31, v12
	v_ashrrev_i32_e32 v12, 2, v12
	v_add_u32_e32 v11, v11, v15
	v_add_u32_e32 v12, v12, v16
	v_cmp_ne_u32_e32 vcc, v11, v12
	v_cndmask_b32_e64 v11, 0, 1, vcc
	v_mov_b32_e32 v12, s13
.LBB810_37:
	s_or_b64 exec, exec, s[10:11]
	v_or_b32_e32 v19, 0x700, v0
	v_mov_b32_e32 v15, 0
	v_mov_b32_e32 v17, 0
	v_mov_b32_e32 v16, 0
	v_mov_b32_e32 v18, 0
	v_cmp_gt_u32_e32 vcc, s12, v19
	s_and_saveexec_b64 s[10:11], vcc
	s_cbranch_execz .LBB810_39
; %bb.38:
	v_lshlrev_b32_e32 v17, 2, v19
	global_load_dword v18, v17, s[2:3]
	global_load_dword v19, v17, s[8:9]
	s_mov_b32 s13, 0x66666667
	s_waitcnt vmcnt(1)
	v_cvt_i32_f32_e32 v17, v18
	s_waitcnt vmcnt(0)
	v_cvt_i32_f32_e32 v18, v19
	v_mul_hi_i32 v17, v17, s13
	v_mul_hi_i32 v18, v18, s13
	s_mov_b32 s13, 0
	v_lshrrev_b32_e32 v19, 31, v17
	v_ashrrev_i32_e32 v17, 2, v17
	v_lshrrev_b32_e32 v20, 31, v18
	v_ashrrev_i32_e32 v18, 2, v18
	v_add_u32_e32 v17, v17, v19
	v_add_u32_e32 v18, v18, v20
	v_cmp_ne_u32_e32 vcc, v17, v18
	v_cndmask_b32_e64 v17, 0, 1, vcc
	v_mov_b32_e32 v18, s13
.LBB810_39:
	;; [unrolled: 58-line block ×5, first 2 shown]
	s_or_b64 exec, exec, s[10:11]
	v_or_b32_e32 v31, 0xe00, v0
	v_cmp_gt_u32_e32 vcc, s12, v31
	s_and_saveexec_b64 s[10:11], vcc
	s_cbranch_execz .LBB810_53
; %bb.52:
	v_lshlrev_b32_e32 v27, 2, v31
	global_load_dword v28, v27, s[2:3]
	global_load_dword v31, v27, s[8:9]
	s_mov_b32 s13, 0x66666667
	s_waitcnt vmcnt(1)
	v_cvt_i32_f32_e32 v27, v28
	s_waitcnt vmcnt(0)
	v_cvt_i32_f32_e32 v28, v31
	v_mul_hi_i32 v27, v27, s13
	v_mul_hi_i32 v28, v28, s13
	s_mov_b32 s13, 0
	v_lshrrev_b32_e32 v31, 31, v27
	v_ashrrev_i32_e32 v27, 2, v27
	v_lshrrev_b32_e32 v32, 31, v28
	v_ashrrev_i32_e32 v28, 2, v28
	v_add_u32_e32 v27, v27, v31
	v_add_u32_e32 v28, v28, v32
	v_cmp_ne_u32_e32 vcc, v27, v28
	v_cndmask_b32_e64 v27, 0, 1, vcc
	v_mov_b32_e32 v28, s13
.LBB810_53:
	s_or_b64 exec, exec, s[10:11]
	v_or_b32_e32 v33, 0xf00, v0
	v_mov_b32_e32 v31, 0
	v_mov_b32_e32 v32, 0
	v_cmp_gt_u32_e32 vcc, s12, v33
	s_and_saveexec_b64 s[10:11], vcc
	s_cbranch_execz .LBB810_55
; %bb.54:
	v_lshlrev_b32_e32 v31, 2, v33
	global_load_dword v32, v31, s[2:3]
	global_load_dword v33, v31, s[8:9]
	s_mov_b32 s2, 0x66666667
	s_waitcnt vmcnt(1)
	v_cvt_i32_f32_e32 v31, v32
	s_waitcnt vmcnt(0)
	v_cvt_i32_f32_e32 v32, v33
	v_mul_hi_i32 v31, v31, s2
	v_mul_hi_i32 v32, v32, s2
	s_mov_b32 s2, 0
	v_lshrrev_b32_e32 v33, 31, v31
	v_ashrrev_i32_e32 v31, 2, v31
	v_lshrrev_b32_e32 v34, 31, v32
	v_ashrrev_i32_e32 v32, 2, v32
	v_add_u32_e32 v31, v31, v33
	v_add_u32_e32 v32, v32, v34
	v_cmp_ne_u32_e32 vcc, v31, v32
	v_cndmask_b32_e64 v31, 0, 1, vcc
	v_mov_b32_e32 v32, s2
.LBB810_55:
	s_or_b64 exec, exec, s[10:11]
	v_add_co_u32_e32 v1, vcc, v5, v1
	v_addc_co_u32_e32 v2, vcc, v6, v2, vcc
	v_add_co_u32_e32 v1, vcc, v1, v3
	v_addc_co_u32_e32 v2, vcc, v2, v4, vcc
	;; [unrolled: 2-line block ×14, first 2 shown]
	v_mbcnt_lo_u32_b32 v3, -1, 0
	v_add_co_u32_e32 v1, vcc, v1, v31
	v_mbcnt_hi_u32_b32 v3, -1, v3
	v_addc_co_u32_e32 v2, vcc, v2, v32, vcc
	v_and_b32_e32 v4, 63, v3
	v_cmp_ne_u32_e32 vcc, 63, v4
	v_addc_co_u32_e32 v6, vcc, 0, v3, vcc
	v_lshlrev_b32_e32 v6, 2, v6
	ds_bpermute_b32 v8, v6, v1
	ds_bpermute_b32 v7, v6, v2
	s_min_u32 s8, s12, 0x100
	v_and_b32_e32 v5, 0xc0, v0
	v_sub_u32_e64 v5, s8, v5 clamp
	v_add_u32_e32 v6, 1, v4
	v_cmp_lt_u32_e32 vcc, v6, v5
	v_mov_b32_e32 v6, v1
	s_and_saveexec_b64 s[2:3], vcc
	s_cbranch_execz .LBB810_57
; %bb.56:
	s_waitcnt lgkmcnt(1)
	v_add_co_u32_e32 v6, vcc, v1, v8
	v_addc_co_u32_e32 v2, vcc, 0, v2, vcc
	v_add_co_u32_e32 v1, vcc, 0, v6
	s_waitcnt lgkmcnt(0)
	v_addc_co_u32_e32 v2, vcc, v7, v2, vcc
.LBB810_57:
	s_or_b64 exec, exec, s[2:3]
	v_cmp_gt_u32_e32 vcc, 62, v4
	s_waitcnt lgkmcnt(0)
	v_cndmask_b32_e64 v7, 0, 2, vcc
	v_add_lshl_u32 v7, v7, v3, 2
	ds_bpermute_b32 v8, v7, v6
	ds_bpermute_b32 v7, v7, v2
	v_add_u32_e32 v9, 2, v4
	v_cmp_lt_u32_e32 vcc, v9, v5
	s_and_saveexec_b64 s[2:3], vcc
	s_cbranch_execz .LBB810_59
; %bb.58:
	s_waitcnt lgkmcnt(1)
	v_add_co_u32_e32 v6, vcc, v1, v8
	v_addc_co_u32_e32 v2, vcc, 0, v2, vcc
	v_add_co_u32_e32 v1, vcc, 0, v6
	s_waitcnt lgkmcnt(0)
	v_addc_co_u32_e32 v2, vcc, v7, v2, vcc
.LBB810_59:
	s_or_b64 exec, exec, s[2:3]
	v_cmp_gt_u32_e32 vcc, 60, v4
	s_waitcnt lgkmcnt(0)
	v_cndmask_b32_e64 v7, 0, 4, vcc
	v_add_lshl_u32 v7, v7, v3, 2
	ds_bpermute_b32 v8, v7, v6
	ds_bpermute_b32 v7, v7, v2
	v_add_u32_e32 v9, 4, v4
	v_cmp_lt_u32_e32 vcc, v9, v5
	;; [unrolled: 19-line block ×4, first 2 shown]
	s_and_saveexec_b64 s[2:3], vcc
	s_cbranch_execz .LBB810_65
; %bb.64:
	s_waitcnt lgkmcnt(1)
	v_add_co_u32_e32 v6, vcc, v1, v8
	v_addc_co_u32_e32 v2, vcc, 0, v2, vcc
	v_add_co_u32_e32 v1, vcc, 0, v6
	s_waitcnt lgkmcnt(0)
	v_addc_co_u32_e32 v2, vcc, v7, v2, vcc
.LBB810_65:
	s_or_b64 exec, exec, s[2:3]
	s_waitcnt lgkmcnt(0)
	v_lshlrev_b32_e32 v7, 2, v3
	v_or_b32_e32 v8, 0x80, v7
	ds_bpermute_b32 v6, v8, v6
	ds_bpermute_b32 v8, v8, v2
	v_add_u32_e32 v4, 32, v4
	s_waitcnt lgkmcnt(1)
	v_add_co_u32_e32 v6, vcc, v1, v6
	v_addc_co_u32_e32 v9, vcc, 0, v2, vcc
	v_add_co_u32_e32 v6, vcc, 0, v6
	s_waitcnt lgkmcnt(0)
	v_addc_co_u32_e32 v8, vcc, v9, v8, vcc
	v_cmp_lt_u32_e32 vcc, v4, v5
	v_cndmask_b32_e32 v2, v2, v8, vcc
	v_cndmask_b32_e32 v1, v1, v6, vcc
	v_cmp_eq_u32_e32 vcc, 0, v3
	s_and_saveexec_b64 s[2:3], vcc
; %bb.66:
	v_lshrrev_b32_e32 v4, 3, v0
	v_and_b32_e32 v4, 24, v4
	ds_write_b64 v4, v[1:2] offset:160
; %bb.67:
	s_or_b64 exec, exec, s[2:3]
	v_cmp_gt_u32_e32 vcc, 4, v0
	s_waitcnt lgkmcnt(0)
	s_barrier
	s_and_saveexec_b64 s[2:3], vcc
	s_cbranch_execz .LBB810_71
; %bb.68:
	v_lshlrev_b32_e32 v1, 3, v3
	ds_read_b64 v[1:2], v1 offset:160
	v_and_b32_e32 v4, 3, v3
	v_cmp_ne_u32_e32 vcc, 3, v4
	v_addc_co_u32_e32 v3, vcc, 0, v3, vcc
	v_lshlrev_b32_e32 v3, 2, v3
	s_waitcnt lgkmcnt(0)
	ds_bpermute_b32 v6, v3, v1
	ds_bpermute_b32 v5, v3, v2
	s_add_i32 s8, s8, 63
	s_lshr_b32 s10, s8, 6
	v_add_u32_e32 v3, 1, v4
	v_cmp_gt_u32_e32 vcc, s10, v3
	v_mov_b32_e32 v3, v1
	s_and_saveexec_b64 s[8:9], vcc
	s_cbranch_execz .LBB810_70
; %bb.69:
	s_waitcnt lgkmcnt(1)
	v_add_co_u32_e32 v3, vcc, v1, v6
	v_addc_co_u32_e32 v2, vcc, 0, v2, vcc
	v_add_co_u32_e32 v1, vcc, 0, v3
	s_waitcnt lgkmcnt(0)
	v_addc_co_u32_e32 v2, vcc, v5, v2, vcc
.LBB810_70:
	s_or_b64 exec, exec, s[8:9]
	s_waitcnt lgkmcnt(0)
	v_or_b32_e32 v5, 8, v7
	ds_bpermute_b32 v3, v5, v3
	ds_bpermute_b32 v5, v5, v2
	v_add_u32_e32 v4, 2, v4
	s_waitcnt lgkmcnt(1)
	v_add_co_u32_e32 v3, vcc, v1, v3
	v_addc_co_u32_e32 v6, vcc, 0, v2, vcc
	v_add_co_u32_e32 v3, vcc, 0, v3
	s_waitcnt lgkmcnt(0)
	v_addc_co_u32_e32 v5, vcc, v6, v5, vcc
	v_cmp_gt_u32_e32 vcc, s10, v4
	v_cndmask_b32_e32 v2, v2, v5, vcc
	v_cndmask_b32_e32 v1, v1, v3, vcc
.LBB810_71:
	s_or_b64 exec, exec, s[2:3]
.LBB810_72:
	v_mov_b32_e32 v3, s6
	v_cmp_eq_u32_e64 s[2:3], 0, v0
	v_mov_b32_e32 v4, s7
	s_and_b64 vcc, exec, s[0:1]
	s_cbranch_vccnz .LBB810_14
	s_branch .LBB810_109
.LBB810_73:
	s_mov_b64 s[2:3], -1
                                        ; implicit-def: $vgpr1_vgpr2
.LBB810_74:
	s_and_b64 vcc, exec, s[2:3]
	s_cbranch_vccz .LBB810_108
; %bb.75:
	s_sub_i32 s31, s20, s0
	v_mov_b32_e32 v1, 0
	v_cmp_gt_u32_e32 vcc, s31, v0
	v_mov_b32_e32 v2, v1
	v_mov_b32_e32 v3, v1
	;; [unrolled: 1-line block ×15, first 2 shown]
	s_and_saveexec_b64 s[0:1], vcc
	s_cbranch_execz .LBB810_77
; %bb.76:
	v_mov_b32_e32 v2, v1
	v_mov_b32_e32 v3, v1
	;; [unrolled: 1-line block ×15, first 2 shown]
	v_lshlrev_b32_e32 v1, 2, v0
	global_load_dword v17, v1, s[16:17]
	global_load_dword v18, v1, s[18:19]
	s_mov_b32 s2, 0x66666667
	s_waitcnt vmcnt(1)
	v_cvt_i32_f32_e32 v1, v17
	s_waitcnt vmcnt(0)
	v_cvt_i32_f32_e32 v17, v18
	v_mul_hi_i32 v1, v1, s2
	v_mul_hi_i32 v17, v17, s2
	v_lshrrev_b32_e32 v18, 31, v1
	v_ashrrev_i32_e32 v1, 2, v1
	v_lshrrev_b32_e32 v19, 31, v17
	v_ashrrev_i32_e32 v17, 2, v17
	v_add_u32_e32 v1, v1, v18
	v_add_u32_e32 v17, v17, v19
	v_cmp_ne_u32_e32 vcc, v1, v17
	v_cndmask_b32_e64 v1, 0, 1, vcc
	v_and_b32_e32 v1, 0xffff, v1
.LBB810_77:
	s_or_b64 exec, exec, s[0:1]
	v_or_b32_e32 v17, 0x100, v0
	v_cmp_gt_u32_e32 vcc, s31, v17
	s_and_saveexec_b64 s[2:3], vcc
	s_cbranch_execz .LBB810_79
; %bb.78:
	v_lshlrev_b32_e32 v3, 2, v0
	global_load_dword v4, v3, s[16:17] offset:1024
	global_load_dword v17, v3, s[18:19] offset:1024
	s_mov_b32 s0, 0x66666667
	s_mov_b32 s8, 0
	s_waitcnt vmcnt(1)
	v_cvt_i32_f32_e32 v3, v4
	s_waitcnt vmcnt(0)
	v_cvt_i32_f32_e32 v4, v17
	v_mul_hi_i32 v3, v3, s0
	v_mul_hi_i32 v4, v4, s0
	v_lshrrev_b32_e32 v17, 31, v3
	v_ashrrev_i32_e32 v3, 2, v3
	v_lshrrev_b32_e32 v18, 31, v4
	v_ashrrev_i32_e32 v4, 2, v4
	v_add_u32_e32 v3, v3, v17
	v_add_u32_e32 v4, v4, v18
	v_cmp_ne_u32_e64 s[0:1], v3, v4
	v_cndmask_b32_e64 v3, 0, 1, s[0:1]
	v_mov_b32_e32 v4, s8
.LBB810_79:
	s_or_b64 exec, exec, s[2:3]
	v_or_b32_e32 v17, 0x200, v0
	v_cmp_gt_u32_e64 s[0:1], s31, v17
	s_and_saveexec_b64 s[8:9], s[0:1]
	s_cbranch_execz .LBB810_81
; %bb.80:
	v_lshlrev_b32_e32 v5, 2, v0
	global_load_dword v6, v5, s[16:17] offset:2048
	global_load_dword v17, v5, s[18:19] offset:2048
	s_mov_b32 s2, 0x66666667
	s_mov_b32 s10, 0
	s_waitcnt vmcnt(1)
	v_cvt_i32_f32_e32 v5, v6
	s_waitcnt vmcnt(0)
	v_cvt_i32_f32_e32 v6, v17
	v_mul_hi_i32 v5, v5, s2
	v_mul_hi_i32 v6, v6, s2
	v_lshrrev_b32_e32 v17, 31, v5
	v_ashrrev_i32_e32 v5, 2, v5
	v_lshrrev_b32_e32 v18, 31, v6
	v_ashrrev_i32_e32 v6, 2, v6
	v_add_u32_e32 v5, v5, v17
	v_add_u32_e32 v6, v6, v18
	v_cmp_ne_u32_e64 s[2:3], v5, v6
	v_cndmask_b32_e64 v5, 0, 1, s[2:3]
	v_mov_b32_e32 v6, s10
.LBB810_81:
	s_or_b64 exec, exec, s[8:9]
	v_or_b32_e32 v17, 0x300, v0
	v_cmp_gt_u32_e64 s[2:3], s31, v17
	s_and_saveexec_b64 s[10:11], s[2:3]
	s_cbranch_execz .LBB810_83
; %bb.82:
	v_lshlrev_b32_e32 v7, 2, v0
	global_load_dword v8, v7, s[16:17] offset:3072
	global_load_dword v17, v7, s[18:19] offset:3072
	s_mov_b32 s8, 0x66666667
	s_mov_b32 s12, 0
	s_waitcnt vmcnt(1)
	v_cvt_i32_f32_e32 v7, v8
	s_waitcnt vmcnt(0)
	v_cvt_i32_f32_e32 v8, v17
	v_mul_hi_i32 v7, v7, s8
	v_mul_hi_i32 v8, v8, s8
	v_lshrrev_b32_e32 v17, 31, v7
	v_ashrrev_i32_e32 v7, 2, v7
	v_lshrrev_b32_e32 v18, 31, v8
	v_ashrrev_i32_e32 v8, 2, v8
	v_add_u32_e32 v7, v7, v17
	v_add_u32_e32 v8, v8, v18
	v_cmp_ne_u32_e64 s[8:9], v7, v8
	v_cndmask_b32_e64 v7, 0, 1, s[8:9]
	v_mov_b32_e32 v8, s12
.LBB810_83:
	s_or_b64 exec, exec, s[10:11]
	v_or_b32_e32 v17, 0x400, v0
	v_cmp_gt_u32_e64 s[8:9], s31, v17
	s_and_saveexec_b64 s[12:13], s[8:9]
	s_cbranch_execz .LBB810_85
; %bb.84:
	v_lshlrev_b32_e32 v9, 2, v17
	global_load_dword v10, v9, s[16:17]
	global_load_dword v17, v9, s[18:19]
	s_mov_b32 s10, 0x66666667
	s_mov_b32 s14, 0
	s_waitcnt vmcnt(1)
	v_cvt_i32_f32_e32 v9, v10
	s_waitcnt vmcnt(0)
	v_cvt_i32_f32_e32 v10, v17
	v_mul_hi_i32 v9, v9, s10
	v_mul_hi_i32 v10, v10, s10
	v_lshrrev_b32_e32 v17, 31, v9
	v_ashrrev_i32_e32 v9, 2, v9
	v_lshrrev_b32_e32 v18, 31, v10
	v_ashrrev_i32_e32 v10, 2, v10
	v_add_u32_e32 v9, v9, v17
	v_add_u32_e32 v10, v10, v18
	v_cmp_ne_u32_e64 s[10:11], v9, v10
	v_cndmask_b32_e64 v9, 0, 1, s[10:11]
	v_mov_b32_e32 v10, s14
.LBB810_85:
	s_or_b64 exec, exec, s[12:13]
	v_or_b32_e32 v17, 0x500, v0
	v_cmp_gt_u32_e64 s[10:11], s31, v17
	s_and_saveexec_b64 s[14:15], s[10:11]
	s_cbranch_execz .LBB810_87
; %bb.86:
	v_lshlrev_b32_e32 v11, 2, v17
	global_load_dword v12, v11, s[16:17]
	global_load_dword v17, v11, s[18:19]
	s_mov_b32 s12, 0x66666667
	s_mov_b32 s28, 0
	s_waitcnt vmcnt(1)
	v_cvt_i32_f32_e32 v11, v12
	s_waitcnt vmcnt(0)
	v_cvt_i32_f32_e32 v12, v17
	v_mul_hi_i32 v11, v11, s12
	v_mul_hi_i32 v12, v12, s12
	v_lshrrev_b32_e32 v17, 31, v11
	v_ashrrev_i32_e32 v11, 2, v11
	v_lshrrev_b32_e32 v18, 31, v12
	v_ashrrev_i32_e32 v12, 2, v12
	v_add_u32_e32 v11, v11, v17
	v_add_u32_e32 v12, v12, v18
	v_cmp_ne_u32_e64 s[12:13], v11, v12
	v_cndmask_b32_e64 v11, 0, 1, s[12:13]
	v_mov_b32_e32 v12, s28
.LBB810_87:
	s_or_b64 exec, exec, s[14:15]
	v_or_b32_e32 v17, 0x600, v0
	v_cmp_gt_u32_e64 s[12:13], s31, v17
	s_and_saveexec_b64 s[28:29], s[12:13]
	;; [unrolled: 27-line block ×3, first 2 shown]
	s_cbranch_execz .LBB810_91
; %bb.90:
	v_lshlrev_b32_e32 v15, 2, v17
	global_load_dword v16, v15, s[16:17]
	global_load_dword v17, v15, s[18:19]
	s_mov_b32 s16, 0x66666667
	s_mov_b32 s18, 0
	s_waitcnt vmcnt(1)
	v_cvt_i32_f32_e32 v15, v16
	s_waitcnt vmcnt(0)
	v_cvt_i32_f32_e32 v16, v17
	v_mul_hi_i32 v15, v15, s16
	v_mul_hi_i32 v16, v16, s16
	v_lshrrev_b32_e32 v17, 31, v15
	v_ashrrev_i32_e32 v15, 2, v15
	v_lshrrev_b32_e32 v18, 31, v16
	v_ashrrev_i32_e32 v16, 2, v16
	v_add_u32_e32 v15, v15, v17
	v_add_u32_e32 v16, v16, v18
	v_cmp_ne_u32_e64 s[16:17], v15, v16
	v_cndmask_b32_e64 v15, 0, 1, s[16:17]
	v_mov_b32_e32 v16, s18
.LBB810_91:
	s_or_b64 exec, exec, s[28:29]
	v_cndmask_b32_e32 v3, 0, v3, vcc
	v_cndmask_b32_e32 v4, 0, v4, vcc
	v_add_co_u32_e32 v1, vcc, v3, v1
	v_addc_co_u32_e32 v2, vcc, v4, v2, vcc
	v_cndmask_b32_e64 v4, 0, v5, s[0:1]
	v_cndmask_b32_e64 v3, 0, v6, s[0:1]
	v_add_co_u32_e32 v1, vcc, v1, v4
	v_addc_co_u32_e32 v2, vcc, v2, v3, vcc
	v_cndmask_b32_e64 v4, 0, v7, s[2:3]
	v_cndmask_b32_e64 v3, 0, v8, s[2:3]
	;; [unrolled: 4-line block ×6, first 2 shown]
	v_add_co_u32_e32 v1, vcc, v1, v4
	v_addc_co_u32_e32 v2, vcc, v2, v3, vcc
	v_mbcnt_lo_u32_b32 v3, -1, 0
	v_mbcnt_hi_u32_b32 v3, -1, v3
	v_and_b32_e32 v4, 63, v3
	v_cmp_ne_u32_e32 vcc, 63, v4
	v_addc_co_u32_e32 v6, vcc, 0, v3, vcc
	v_lshlrev_b32_e32 v6, 2, v6
	ds_bpermute_b32 v8, v6, v1
	ds_bpermute_b32 v7, v6, v2
	s_min_u32 s2, s31, 0x100
	v_and_b32_e32 v5, 0xc0, v0
	v_sub_u32_e64 v5, s2, v5 clamp
	v_add_u32_e32 v6, 1, v4
	v_cmp_lt_u32_e32 vcc, v6, v5
	v_mov_b32_e32 v6, v1
	s_and_saveexec_b64 s[0:1], vcc
	s_cbranch_execz .LBB810_93
; %bb.92:
	s_waitcnt lgkmcnt(1)
	v_add_co_u32_e32 v6, vcc, v1, v8
	v_addc_co_u32_e32 v2, vcc, 0, v2, vcc
	v_add_co_u32_e32 v1, vcc, 0, v6
	s_waitcnt lgkmcnt(0)
	v_addc_co_u32_e32 v2, vcc, v2, v7, vcc
.LBB810_93:
	s_or_b64 exec, exec, s[0:1]
	v_cmp_gt_u32_e32 vcc, 62, v4
	s_waitcnt lgkmcnt(0)
	v_cndmask_b32_e64 v7, 0, 2, vcc
	v_add_lshl_u32 v7, v7, v3, 2
	ds_bpermute_b32 v8, v7, v6
	ds_bpermute_b32 v7, v7, v2
	v_add_u32_e32 v9, 2, v4
	v_cmp_lt_u32_e32 vcc, v9, v5
	s_and_saveexec_b64 s[0:1], vcc
	s_cbranch_execz .LBB810_95
; %bb.94:
	s_waitcnt lgkmcnt(1)
	v_add_co_u32_e32 v6, vcc, v1, v8
	v_addc_co_u32_e32 v2, vcc, 0, v2, vcc
	v_add_co_u32_e32 v1, vcc, 0, v6
	s_waitcnt lgkmcnt(0)
	v_addc_co_u32_e32 v2, vcc, v7, v2, vcc
.LBB810_95:
	s_or_b64 exec, exec, s[0:1]
	v_cmp_gt_u32_e32 vcc, 60, v4
	s_waitcnt lgkmcnt(0)
	v_cndmask_b32_e64 v7, 0, 4, vcc
	v_add_lshl_u32 v7, v7, v3, 2
	ds_bpermute_b32 v8, v7, v6
	ds_bpermute_b32 v7, v7, v2
	v_add_u32_e32 v9, 4, v4
	v_cmp_lt_u32_e32 vcc, v9, v5
	;; [unrolled: 19-line block ×4, first 2 shown]
	s_and_saveexec_b64 s[0:1], vcc
	s_cbranch_execz .LBB810_101
; %bb.100:
	s_waitcnt lgkmcnt(1)
	v_add_co_u32_e32 v6, vcc, v1, v8
	v_addc_co_u32_e32 v2, vcc, 0, v2, vcc
	v_add_co_u32_e32 v1, vcc, 0, v6
	s_waitcnt lgkmcnt(0)
	v_addc_co_u32_e32 v2, vcc, v7, v2, vcc
.LBB810_101:
	s_or_b64 exec, exec, s[0:1]
	s_waitcnt lgkmcnt(0)
	v_lshlrev_b32_e32 v7, 2, v3
	v_or_b32_e32 v8, 0x80, v7
	ds_bpermute_b32 v6, v8, v6
	ds_bpermute_b32 v8, v8, v2
	v_add_u32_e32 v4, 32, v4
	s_waitcnt lgkmcnt(1)
	v_add_co_u32_e32 v6, vcc, v1, v6
	v_addc_co_u32_e32 v9, vcc, 0, v2, vcc
	v_add_co_u32_e32 v6, vcc, 0, v6
	s_waitcnt lgkmcnt(0)
	v_addc_co_u32_e32 v8, vcc, v9, v8, vcc
	v_cmp_lt_u32_e32 vcc, v4, v5
	v_cndmask_b32_e32 v2, v2, v8, vcc
	v_cndmask_b32_e32 v1, v1, v6, vcc
	v_cmp_eq_u32_e32 vcc, 0, v3
	s_and_saveexec_b64 s[0:1], vcc
; %bb.102:
	v_lshrrev_b32_e32 v4, 3, v0
	v_and_b32_e32 v4, 24, v4
	ds_write_b64 v4, v[1:2] offset:160
; %bb.103:
	s_or_b64 exec, exec, s[0:1]
	v_cmp_gt_u32_e32 vcc, 4, v0
	s_waitcnt lgkmcnt(0)
	s_barrier
	s_and_saveexec_b64 s[0:1], vcc
	s_cbranch_execz .LBB810_107
; %bb.104:
	v_lshlrev_b32_e32 v1, 3, v3
	ds_read_b64 v[1:2], v1 offset:160
	v_and_b32_e32 v4, 3, v3
	v_cmp_ne_u32_e32 vcc, 3, v4
	v_addc_co_u32_e32 v3, vcc, 0, v3, vcc
	v_lshlrev_b32_e32 v3, 2, v3
	s_waitcnt lgkmcnt(0)
	ds_bpermute_b32 v6, v3, v1
	ds_bpermute_b32 v5, v3, v2
	s_add_i32 s2, s2, 63
	s_lshr_b32 s8, s2, 6
	v_add_u32_e32 v3, 1, v4
	v_cmp_gt_u32_e32 vcc, s8, v3
	v_mov_b32_e32 v3, v1
	s_and_saveexec_b64 s[2:3], vcc
	s_cbranch_execz .LBB810_106
; %bb.105:
	s_waitcnt lgkmcnt(1)
	v_add_co_u32_e32 v3, vcc, v1, v6
	v_addc_co_u32_e32 v2, vcc, 0, v2, vcc
	v_add_co_u32_e32 v1, vcc, 0, v3
	s_waitcnt lgkmcnt(0)
	v_addc_co_u32_e32 v2, vcc, v5, v2, vcc
.LBB810_106:
	s_or_b64 exec, exec, s[2:3]
	s_waitcnt lgkmcnt(0)
	v_or_b32_e32 v5, 8, v7
	ds_bpermute_b32 v3, v5, v3
	ds_bpermute_b32 v5, v5, v2
	v_add_u32_e32 v4, 2, v4
	s_waitcnt lgkmcnt(1)
	v_add_co_u32_e32 v3, vcc, v1, v3
	v_addc_co_u32_e32 v6, vcc, 0, v2, vcc
	v_add_co_u32_e32 v3, vcc, 0, v3
	s_waitcnt lgkmcnt(0)
	v_addc_co_u32_e32 v5, vcc, v6, v5, vcc
	v_cmp_gt_u32_e32 vcc, s8, v4
	v_cndmask_b32_e32 v2, v2, v5, vcc
	v_cndmask_b32_e32 v1, v1, v3, vcc
.LBB810_107:
	s_or_b64 exec, exec, s[0:1]
.LBB810_108:
	v_mov_b32_e32 v3, s6
	v_cmp_eq_u32_e64 s[2:3], 0, v0
	v_mov_b32_e32 v4, s7
.LBB810_109:
	s_branch .LBB810_144
.LBB810_110:
	s_cmp_eq_u32 s30, 4
                                        ; implicit-def: $vgpr1_vgpr2
                                        ; implicit-def: $vgpr3_vgpr4
	s_cbranch_scc0 .LBB810_144
; %bb.111:
	s_mov_b32 s7, 0
	s_lshl_b32 s0, s6, 10
	s_mov_b32 s1, s7
	s_lshr_b64 s[2:3], s[20:21], 10
	s_lshl_b64 s[10:11], s[0:1], 2
	s_add_u32 s8, s24, s10
	s_addc_u32 s9, s25, s11
	s_add_u32 s10, s26, s10
	s_addc_u32 s11, s27, s11
	s_cmp_lg_u64 s[2:3], s[6:7]
	s_cbranch_scc0 .LBB810_117
; %bb.112:
	v_lshlrev_b32_e32 v1, 2, v0
	global_load_dword v2, v1, s[8:9]
	global_load_dword v4, v1, s[10:11]
	global_load_dword v5, v1, s[8:9] offset:1024
	global_load_dword v6, v1, s[10:11] offset:1024
	;; [unrolled: 1-line block ×6, first 2 shown]
	s_mov_b32 s1, 0x66666667
	v_mov_b32_e32 v1, 0
	v_mbcnt_lo_u32_b32 v3, -1, 0
	v_mbcnt_hi_u32_b32 v3, -1, v3
	v_mov_b32_dpp v1, v1 quad_perm:[1,0,3,2] row_mask:0xf bank_mask:0xf bound_ctrl:1
	s_waitcnt vmcnt(7)
	v_cvt_i32_f32_e32 v2, v2
	s_waitcnt vmcnt(6)
	v_cvt_i32_f32_e32 v4, v4
	;; [unrolled: 2-line block ×8, first 2 shown]
	v_mul_hi_i32 v5, v5, s1
	v_mul_hi_i32 v6, v6, s1
	;; [unrolled: 1-line block ×8, first 2 shown]
	v_lshrrev_b32_e32 v17, 31, v10
	v_ashrrev_i32_e32 v10, 2, v10
	v_lshrrev_b32_e32 v18, 31, v9
	v_ashrrev_i32_e32 v9, 2, v9
	;; [unrolled: 2-line block ×4, first 2 shown]
	v_add_u32_e32 v10, v10, v17
	v_add_u32_e32 v9, v9, v18
	v_lshrrev_b32_e32 v11, 31, v2
	v_ashrrev_i32_e32 v2, 2, v2
	v_lshrrev_b32_e32 v12, 31, v4
	v_ashrrev_i32_e32 v4, 2, v4
	v_add_u32_e32 v5, v5, v13
	v_add_u32_e32 v6, v6, v14
	v_cmp_ne_u32_e32 vcc, v10, v9
	v_lshrrev_b32_e32 v15, 31, v7
	v_ashrrev_i32_e32 v7, 2, v7
	v_lshrrev_b32_e32 v16, 31, v8
	v_ashrrev_i32_e32 v8, 2, v8
	v_add_u32_e32 v2, v2, v11
	v_add_u32_e32 v4, v4, v12
	v_cndmask_b32_e64 v9, 0, 1, vcc
	v_cmp_ne_u32_e32 vcc, v5, v6
	v_add_u32_e32 v7, v7, v15
	v_add_u32_e32 v8, v8, v16
	v_cndmask_b32_e64 v5, 0, 1, vcc
	v_cmp_ne_u32_e32 vcc, v2, v4
	v_cndmask_b32_e64 v2, 0, 1, vcc
	v_cmp_ne_u32_e32 vcc, v7, v8
	v_addc_co_u32_e32 v2, vcc, v5, v2, vcc
	v_add_co_u32_e32 v2, vcc, v2, v9
	v_addc_co_u32_e64 v4, s[2:3], 0, 0, vcc
	s_nop 0
	v_mov_b32_dpp v5, v2 quad_perm:[1,0,3,2] row_mask:0xf bank_mask:0xf bound_ctrl:1
	v_add_co_u32_e32 v2, vcc, v2, v5
	v_addc_co_u32_e32 v4, vcc, 0, v4, vcc
	v_add_co_u32_e32 v5, vcc, 0, v2
	v_addc_co_u32_e32 v1, vcc, v1, v4, vcc
	v_mov_b32_dpp v2, v2 quad_perm:[2,3,0,1] row_mask:0xf bank_mask:0xf bound_ctrl:1
	v_add_co_u32_e32 v2, vcc, v5, v2
	v_mov_b32_dpp v4, v1 quad_perm:[2,3,0,1] row_mask:0xf bank_mask:0xf bound_ctrl:1
	v_addc_co_u32_e32 v1, vcc, 0, v1, vcc
	v_add_co_u32_e32 v5, vcc, 0, v2
	v_addc_co_u32_e32 v1, vcc, v1, v4, vcc
	v_mov_b32_dpp v2, v2 row_ror:4 row_mask:0xf bank_mask:0xf bound_ctrl:1
	v_add_co_u32_e32 v2, vcc, v5, v2
	v_mov_b32_dpp v4, v1 row_ror:4 row_mask:0xf bank_mask:0xf bound_ctrl:1
	v_addc_co_u32_e32 v1, vcc, 0, v1, vcc
	v_add_co_u32_e32 v5, vcc, 0, v2
	v_addc_co_u32_e32 v1, vcc, v1, v4, vcc
	v_mov_b32_dpp v2, v2 row_ror:8 row_mask:0xf bank_mask:0xf bound_ctrl:1
	v_add_co_u32_e32 v2, vcc, v5, v2
	v_mov_b32_dpp v4, v1 row_ror:8 row_mask:0xf bank_mask:0xf bound_ctrl:1
	v_addc_co_u32_e32 v1, vcc, 0, v1, vcc
	v_add_co_u32_e32 v5, vcc, 0, v2
	v_addc_co_u32_e32 v1, vcc, v1, v4, vcc
	v_mov_b32_dpp v2, v2 row_bcast:15 row_mask:0xf bank_mask:0xf bound_ctrl:1
	v_add_co_u32_e32 v2, vcc, v5, v2
	v_mov_b32_dpp v4, v1 row_bcast:15 row_mask:0xf bank_mask:0xf bound_ctrl:1
	v_addc_co_u32_e32 v1, vcc, 0, v1, vcc
	v_add_co_u32_e32 v5, vcc, 0, v2
	v_addc_co_u32_e32 v1, vcc, v1, v4, vcc
	v_mov_b32_dpp v2, v2 row_bcast:31 row_mask:0xf bank_mask:0xf bound_ctrl:1
	v_add_co_u32_e32 v2, vcc, v5, v2
	v_addc_co_u32_e32 v4, vcc, 0, v1, vcc
	v_cmp_eq_u32_e32 vcc, 0, v3
	s_nop 0
	v_add_u32_dpp v5, v1, v4 row_bcast:31 row_mask:0xf bank_mask:0xf bound_ctrl:1
	v_lshlrev_b32_e32 v4, 2, v3
	v_or_b32_e32 v6, 0xfc, v4
	ds_bpermute_b32 v1, v6, v2
	ds_bpermute_b32 v2, v6, v5
	s_and_saveexec_b64 s[2:3], vcc
	s_cbranch_execz .LBB810_114
; %bb.113:
	v_lshrrev_b32_e32 v5, 3, v0
	v_and_b32_e32 v5, 24, v5
	s_waitcnt lgkmcnt(0)
	ds_write_b64 v5, v[1:2] offset:96
.LBB810_114:
	s_or_b64 exec, exec, s[2:3]
	v_cmp_gt_u32_e32 vcc, 64, v0
	s_waitcnt lgkmcnt(0)
	s_barrier
	s_and_saveexec_b64 s[2:3], vcc
	s_cbranch_execz .LBB810_116
; %bb.115:
	v_and_b32_e32 v5, 3, v3
	v_lshlrev_b32_e32 v1, 3, v5
	ds_read_b64 v[1:2], v1 offset:96
	v_cmp_ne_u32_e32 vcc, 3, v5
	v_addc_co_u32_e32 v3, vcc, 0, v3, vcc
	v_lshlrev_b32_e32 v3, 2, v3
	s_waitcnt lgkmcnt(0)
	ds_bpermute_b32 v5, v3, v1
	ds_bpermute_b32 v3, v3, v2
	v_or_b32_e32 v4, 8, v4
	s_waitcnt lgkmcnt(1)
	v_add_co_u32_e32 v1, vcc, v1, v5
	v_addc_co_u32_e32 v2, vcc, 0, v2, vcc
	ds_bpermute_b32 v5, v4, v1
	v_add_co_u32_e32 v1, vcc, 0, v1
	s_waitcnt lgkmcnt(1)
	v_addc_co_u32_e32 v2, vcc, v3, v2, vcc
	ds_bpermute_b32 v3, v4, v2
	s_waitcnt lgkmcnt(1)
	v_add_co_u32_e32 v1, vcc, v1, v5
	v_addc_co_u32_e32 v2, vcc, 0, v2, vcc
	v_add_co_u32_e32 v1, vcc, 0, v1
	s_waitcnt lgkmcnt(0)
	v_addc_co_u32_e32 v2, vcc, v2, v3, vcc
.LBB810_116:
	s_or_b64 exec, exec, s[2:3]
	s_branch .LBB810_143
.LBB810_117:
                                        ; implicit-def: $vgpr1_vgpr2
	s_cbranch_execz .LBB810_143
; %bb.118:
	s_sub_i32 s14, s20, s0
	v_mov_b32_e32 v1, 0
	v_cmp_gt_u32_e32 vcc, s14, v0
	v_mov_b32_e32 v2, v1
	v_mov_b32_e32 v3, v1
	;; [unrolled: 1-line block ×7, first 2 shown]
	s_and_saveexec_b64 s[0:1], vcc
	s_cbranch_execz .LBB810_120
; %bb.119:
	v_lshlrev_b32_e32 v2, 2, v0
	global_load_dword v5, v2, s[8:9]
	global_load_dword v6, v2, s[10:11]
	s_mov_b32 s2, 0x66666667
	v_mov_b32_e32 v3, v1
	v_mov_b32_e32 v4, v1
	;; [unrolled: 1-line block ×3, first 2 shown]
	s_waitcnt vmcnt(1)
	v_cvt_i32_f32_e32 v2, v5
	s_waitcnt vmcnt(0)
	v_cvt_i32_f32_e32 v8, v6
	v_mov_b32_e32 v5, v1
	v_mov_b32_e32 v6, v1
	v_mul_hi_i32 v2, v2, s2
	v_mul_hi_i32 v9, v8, s2
	v_mov_b32_e32 v8, v1
	v_lshrrev_b32_e32 v10, 31, v2
	v_ashrrev_i32_e32 v2, 2, v2
	v_lshrrev_b32_e32 v11, 31, v9
	v_ashrrev_i32_e32 v9, 2, v9
	v_add_u32_e32 v2, v2, v10
	v_add_u32_e32 v9, v9, v11
	v_cmp_ne_u32_e32 vcc, v2, v9
	v_cndmask_b32_e64 v2, 0, 1, vcc
	v_and_b32_e32 v2, 0xffff, v2
	v_mov_b32_e32 v9, v1
	v_mov_b32_e32 v1, v2
	;; [unrolled: 1-line block ×9, first 2 shown]
.LBB810_120:
	s_or_b64 exec, exec, s[0:1]
	v_or_b32_e32 v9, 0x100, v0
	v_cmp_gt_u32_e32 vcc, s14, v9
	s_and_saveexec_b64 s[2:3], vcc
	s_cbranch_execz .LBB810_122
; %bb.121:
	v_lshlrev_b32_e32 v3, 2, v0
	global_load_dword v4, v3, s[8:9] offset:1024
	global_load_dword v9, v3, s[10:11] offset:1024
	s_mov_b32 s0, 0x66666667
	s_mov_b32 s12, 0
	s_waitcnt vmcnt(1)
	v_cvt_i32_f32_e32 v3, v4
	s_waitcnt vmcnt(0)
	v_cvt_i32_f32_e32 v4, v9
	v_mul_hi_i32 v3, v3, s0
	v_mul_hi_i32 v4, v4, s0
	v_lshrrev_b32_e32 v9, 31, v3
	v_ashrrev_i32_e32 v3, 2, v3
	v_lshrrev_b32_e32 v10, 31, v4
	v_ashrrev_i32_e32 v4, 2, v4
	v_add_u32_e32 v3, v3, v9
	v_add_u32_e32 v4, v4, v10
	v_cmp_ne_u32_e64 s[0:1], v3, v4
	v_cndmask_b32_e64 v3, 0, 1, s[0:1]
	v_mov_b32_e32 v4, s12
.LBB810_122:
	s_or_b64 exec, exec, s[2:3]
	v_or_b32_e32 v9, 0x200, v0
	v_cmp_gt_u32_e64 s[0:1], s14, v9
	s_and_saveexec_b64 s[12:13], s[0:1]
	s_cbranch_execz .LBB810_124
; %bb.123:
	v_lshlrev_b32_e32 v5, 2, v0
	global_load_dword v6, v5, s[8:9] offset:2048
	global_load_dword v9, v5, s[10:11] offset:2048
	s_mov_b32 s2, 0x66666667
	s_mov_b32 s15, 0
	s_waitcnt vmcnt(1)
	v_cvt_i32_f32_e32 v5, v6
	s_waitcnt vmcnt(0)
	v_cvt_i32_f32_e32 v6, v9
	v_mul_hi_i32 v5, v5, s2
	v_mul_hi_i32 v6, v6, s2
	v_lshrrev_b32_e32 v9, 31, v5
	v_ashrrev_i32_e32 v5, 2, v5
	v_lshrrev_b32_e32 v10, 31, v6
	v_ashrrev_i32_e32 v6, 2, v6
	v_add_u32_e32 v5, v5, v9
	v_add_u32_e32 v6, v6, v10
	v_cmp_ne_u32_e64 s[2:3], v5, v6
	v_cndmask_b32_e64 v5, 0, 1, s[2:3]
	v_mov_b32_e32 v6, s15
.LBB810_124:
	s_or_b64 exec, exec, s[12:13]
	v_or_b32_e32 v9, 0x300, v0
	v_cmp_gt_u32_e64 s[2:3], s14, v9
	s_and_saveexec_b64 s[12:13], s[2:3]
	s_cbranch_execz .LBB810_126
; %bb.125:
	v_lshlrev_b32_e32 v7, 2, v0
	global_load_dword v8, v7, s[8:9] offset:3072
	global_load_dword v9, v7, s[10:11] offset:3072
	s_mov_b32 s8, 0x66666667
	s_mov_b32 s10, 0
	s_waitcnt vmcnt(1)
	v_cvt_i32_f32_e32 v7, v8
	s_waitcnt vmcnt(0)
	v_cvt_i32_f32_e32 v8, v9
	v_mul_hi_i32 v7, v7, s8
	v_mul_hi_i32 v8, v8, s8
	v_lshrrev_b32_e32 v9, 31, v7
	v_ashrrev_i32_e32 v7, 2, v7
	v_lshrrev_b32_e32 v10, 31, v8
	v_ashrrev_i32_e32 v8, 2, v8
	v_add_u32_e32 v7, v7, v9
	v_add_u32_e32 v8, v8, v10
	v_cmp_ne_u32_e64 s[8:9], v7, v8
	v_cndmask_b32_e64 v7, 0, 1, s[8:9]
	v_mov_b32_e32 v8, s10
.LBB810_126:
	s_or_b64 exec, exec, s[12:13]
	v_cndmask_b32_e32 v3, 0, v3, vcc
	v_cndmask_b32_e32 v4, 0, v4, vcc
	v_add_co_u32_e32 v1, vcc, v3, v1
	v_addc_co_u32_e32 v2, vcc, v4, v2, vcc
	v_cndmask_b32_e64 v4, 0, v5, s[0:1]
	v_cndmask_b32_e64 v3, 0, v6, s[0:1]
	v_add_co_u32_e32 v1, vcc, v1, v4
	v_addc_co_u32_e32 v2, vcc, v2, v3, vcc
	v_cndmask_b32_e64 v4, 0, v7, s[2:3]
	v_cndmask_b32_e64 v3, 0, v8, s[2:3]
	v_add_co_u32_e32 v1, vcc, v1, v4
	v_addc_co_u32_e32 v2, vcc, v2, v3, vcc
	v_mbcnt_lo_u32_b32 v3, -1, 0
	v_mbcnt_hi_u32_b32 v3, -1, v3
	v_and_b32_e32 v4, 63, v3
	v_cmp_ne_u32_e32 vcc, 63, v4
	v_addc_co_u32_e32 v6, vcc, 0, v3, vcc
	v_lshlrev_b32_e32 v6, 2, v6
	ds_bpermute_b32 v8, v6, v1
	ds_bpermute_b32 v7, v6, v2
	s_min_u32 s2, s14, 0x100
	v_and_b32_e32 v5, 0xc0, v0
	v_sub_u32_e64 v5, s2, v5 clamp
	v_add_u32_e32 v6, 1, v4
	v_cmp_lt_u32_e32 vcc, v6, v5
	v_mov_b32_e32 v6, v1
	s_and_saveexec_b64 s[0:1], vcc
	s_cbranch_execz .LBB810_128
; %bb.127:
	s_waitcnt lgkmcnt(1)
	v_add_co_u32_e32 v6, vcc, v1, v8
	v_addc_co_u32_e32 v2, vcc, 0, v2, vcc
	v_add_co_u32_e32 v1, vcc, 0, v6
	s_waitcnt lgkmcnt(0)
	v_addc_co_u32_e32 v2, vcc, v7, v2, vcc
.LBB810_128:
	s_or_b64 exec, exec, s[0:1]
	v_cmp_gt_u32_e32 vcc, 62, v4
	s_waitcnt lgkmcnt(0)
	v_cndmask_b32_e64 v7, 0, 2, vcc
	v_add_lshl_u32 v7, v7, v3, 2
	ds_bpermute_b32 v8, v7, v6
	ds_bpermute_b32 v7, v7, v2
	v_add_u32_e32 v9, 2, v4
	v_cmp_lt_u32_e32 vcc, v9, v5
	s_and_saveexec_b64 s[0:1], vcc
	s_cbranch_execz .LBB810_130
; %bb.129:
	s_waitcnt lgkmcnt(1)
	v_add_co_u32_e32 v6, vcc, v1, v8
	v_addc_co_u32_e32 v2, vcc, 0, v2, vcc
	v_add_co_u32_e32 v1, vcc, 0, v6
	s_waitcnt lgkmcnt(0)
	v_addc_co_u32_e32 v2, vcc, v7, v2, vcc
.LBB810_130:
	s_or_b64 exec, exec, s[0:1]
	v_cmp_gt_u32_e32 vcc, 60, v4
	s_waitcnt lgkmcnt(0)
	v_cndmask_b32_e64 v7, 0, 4, vcc
	v_add_lshl_u32 v7, v7, v3, 2
	ds_bpermute_b32 v8, v7, v6
	ds_bpermute_b32 v7, v7, v2
	v_add_u32_e32 v9, 4, v4
	v_cmp_lt_u32_e32 vcc, v9, v5
	;; [unrolled: 19-line block ×4, first 2 shown]
	s_and_saveexec_b64 s[0:1], vcc
	s_cbranch_execz .LBB810_136
; %bb.135:
	s_waitcnt lgkmcnt(1)
	v_add_co_u32_e32 v6, vcc, v1, v8
	v_addc_co_u32_e32 v2, vcc, 0, v2, vcc
	v_add_co_u32_e32 v1, vcc, 0, v6
	s_waitcnt lgkmcnt(0)
	v_addc_co_u32_e32 v2, vcc, v7, v2, vcc
.LBB810_136:
	s_or_b64 exec, exec, s[0:1]
	s_waitcnt lgkmcnt(0)
	v_lshlrev_b32_e32 v7, 2, v3
	v_or_b32_e32 v8, 0x80, v7
	ds_bpermute_b32 v6, v8, v6
	ds_bpermute_b32 v8, v8, v2
	v_add_u32_e32 v4, 32, v4
	s_waitcnt lgkmcnt(1)
	v_add_co_u32_e32 v6, vcc, v1, v6
	v_addc_co_u32_e32 v9, vcc, 0, v2, vcc
	v_add_co_u32_e32 v6, vcc, 0, v6
	s_waitcnt lgkmcnt(0)
	v_addc_co_u32_e32 v8, vcc, v9, v8, vcc
	v_cmp_lt_u32_e32 vcc, v4, v5
	v_cndmask_b32_e32 v2, v2, v8, vcc
	v_cndmask_b32_e32 v1, v1, v6, vcc
	v_cmp_eq_u32_e32 vcc, 0, v3
	s_and_saveexec_b64 s[0:1], vcc
; %bb.137:
	v_lshrrev_b32_e32 v4, 3, v0
	v_and_b32_e32 v4, 24, v4
	ds_write_b64 v4, v[1:2] offset:160
; %bb.138:
	s_or_b64 exec, exec, s[0:1]
	v_cmp_gt_u32_e32 vcc, 4, v0
	s_waitcnt lgkmcnt(0)
	s_barrier
	s_and_saveexec_b64 s[0:1], vcc
	s_cbranch_execz .LBB810_142
; %bb.139:
	v_lshlrev_b32_e32 v1, 3, v3
	ds_read_b64 v[1:2], v1 offset:160
	v_and_b32_e32 v4, 3, v3
	v_cmp_ne_u32_e32 vcc, 3, v4
	v_addc_co_u32_e32 v3, vcc, 0, v3, vcc
	v_lshlrev_b32_e32 v3, 2, v3
	s_waitcnt lgkmcnt(0)
	ds_bpermute_b32 v6, v3, v1
	ds_bpermute_b32 v5, v3, v2
	s_add_i32 s2, s2, 63
	s_lshr_b32 s8, s2, 6
	v_add_u32_e32 v3, 1, v4
	v_cmp_gt_u32_e32 vcc, s8, v3
	v_mov_b32_e32 v3, v1
	s_and_saveexec_b64 s[2:3], vcc
	s_cbranch_execz .LBB810_141
; %bb.140:
	s_waitcnt lgkmcnt(1)
	v_add_co_u32_e32 v3, vcc, v1, v6
	v_addc_co_u32_e32 v2, vcc, 0, v2, vcc
	v_add_co_u32_e32 v1, vcc, 0, v3
	s_waitcnt lgkmcnt(0)
	v_addc_co_u32_e32 v2, vcc, v5, v2, vcc
.LBB810_141:
	s_or_b64 exec, exec, s[2:3]
	s_waitcnt lgkmcnt(0)
	v_or_b32_e32 v5, 8, v7
	ds_bpermute_b32 v3, v5, v3
	ds_bpermute_b32 v5, v5, v2
	v_add_u32_e32 v4, 2, v4
	s_waitcnt lgkmcnt(1)
	v_add_co_u32_e32 v3, vcc, v1, v3
	v_addc_co_u32_e32 v6, vcc, 0, v2, vcc
	v_add_co_u32_e32 v3, vcc, 0, v3
	s_waitcnt lgkmcnt(0)
	v_addc_co_u32_e32 v5, vcc, v6, v5, vcc
	v_cmp_gt_u32_e32 vcc, s8, v4
	v_cndmask_b32_e32 v2, v2, v5, vcc
	v_cndmask_b32_e32 v1, v1, v3, vcc
.LBB810_142:
	s_or_b64 exec, exec, s[0:1]
.LBB810_143:
	v_mov_b32_e32 v3, s6
	v_cmp_eq_u32_e64 s[2:3], 0, v0
	v_mov_b32_e32 v4, s7
.LBB810_144:
	s_branch .LBB810_206
.LBB810_145:
	s_cmp_gt_i32 s30, 1
	s_cbranch_scc0 .LBB810_153
; %bb.146:
	s_cmp_eq_u32 s30, 2
                                        ; implicit-def: $vgpr1_vgpr2
                                        ; implicit-def: $vgpr3_vgpr4
	s_cbranch_scc0 .LBB810_154
; %bb.147:
	s_mov_b32 s7, 0
	s_lshl_b32 s8, s6, 9
	s_mov_b32 s9, s7
	s_lshr_b64 s[10:11], s[20:21], 9
	s_lshl_b64 s[2:3], s[8:9], 2
	s_add_u32 s0, s24, s2
	s_addc_u32 s1, s25, s3
	s_add_u32 s2, s26, s2
	s_addc_u32 s3, s27, s3
	s_cmp_lg_u64 s[10:11], s[6:7]
	s_cbranch_scc0 .LBB810_155
; %bb.148:
	v_lshlrev_b32_e32 v1, 2, v0
	global_load_dword v2, v1, s[0:1]
	global_load_dword v5, v1, s[2:3]
	global_load_dword v6, v1, s[2:3] offset:1024
	global_load_dword v7, v1, s[0:1] offset:1024
	s_mov_b32 s9, 0x66666667
	v_mov_b32_e32 v1, 0
	v_mbcnt_lo_u32_b32 v3, -1, 0
	v_mbcnt_hi_u32_b32 v3, -1, v3
	v_mov_b32_dpp v1, v1 quad_perm:[1,0,3,2] row_mask:0xf bank_mask:0xf bound_ctrl:1
	v_lshlrev_b32_e32 v4, 2, v3
	v_or_b32_e32 v8, 0xfc, v4
	s_waitcnt vmcnt(3)
	v_cvt_i32_f32_e32 v2, v2
	s_waitcnt vmcnt(2)
	v_cvt_i32_f32_e32 v5, v5
	;; [unrolled: 2-line block ×4, first 2 shown]
	v_mul_hi_i32 v2, v2, s9
	v_mul_hi_i32 v5, v5, s9
	;; [unrolled: 1-line block ×4, first 2 shown]
	v_lshrrev_b32_e32 v9, 31, v2
	v_ashrrev_i32_e32 v2, 2, v2
	v_lshrrev_b32_e32 v10, 31, v5
	v_ashrrev_i32_e32 v5, 2, v5
	;; [unrolled: 2-line block ×4, first 2 shown]
	v_add_u32_e32 v2, v2, v9
	v_add_u32_e32 v5, v5, v10
	;; [unrolled: 1-line block ×4, first 2 shown]
	v_cmp_ne_u32_e32 vcc, v2, v5
	v_cndmask_b32_e64 v2, 0, 1, vcc
	v_cmp_ne_u32_e32 vcc, v7, v6
	v_addc_co_u32_e32 v2, vcc, 0, v2, vcc
	s_nop 1
	v_mov_b32_dpp v5, v2 quad_perm:[1,0,3,2] row_mask:0xf bank_mask:0xf bound_ctrl:1
	v_add_co_u32_e32 v2, vcc, v2, v5
	v_addc_co_u32_e64 v5, s[10:11], 0, 0, vcc
	v_add_co_u32_e32 v6, vcc, 0, v2
	v_addc_co_u32_e32 v1, vcc, v1, v5, vcc
	v_mov_b32_dpp v2, v2 quad_perm:[2,3,0,1] row_mask:0xf bank_mask:0xf bound_ctrl:1
	v_add_co_u32_e32 v2, vcc, v6, v2
	v_mov_b32_dpp v5, v1 quad_perm:[2,3,0,1] row_mask:0xf bank_mask:0xf bound_ctrl:1
	v_addc_co_u32_e32 v1, vcc, 0, v1, vcc
	v_add_co_u32_e32 v6, vcc, 0, v2
	v_addc_co_u32_e32 v1, vcc, v1, v5, vcc
	v_mov_b32_dpp v2, v2 row_ror:4 row_mask:0xf bank_mask:0xf bound_ctrl:1
	v_add_co_u32_e32 v2, vcc, v6, v2
	v_mov_b32_dpp v5, v1 row_ror:4 row_mask:0xf bank_mask:0xf bound_ctrl:1
	v_addc_co_u32_e32 v1, vcc, 0, v1, vcc
	v_add_co_u32_e32 v6, vcc, 0, v2
	v_addc_co_u32_e32 v1, vcc, v1, v5, vcc
	v_mov_b32_dpp v2, v2 row_ror:8 row_mask:0xf bank_mask:0xf bound_ctrl:1
	v_add_co_u32_e32 v2, vcc, v6, v2
	v_mov_b32_dpp v5, v1 row_ror:8 row_mask:0xf bank_mask:0xf bound_ctrl:1
	v_addc_co_u32_e32 v1, vcc, 0, v1, vcc
	v_add_co_u32_e32 v6, vcc, 0, v2
	v_addc_co_u32_e32 v1, vcc, v1, v5, vcc
	v_mov_b32_dpp v2, v2 row_bcast:15 row_mask:0xf bank_mask:0xf bound_ctrl:1
	v_add_co_u32_e32 v2, vcc, v6, v2
	v_mov_b32_dpp v5, v1 row_bcast:15 row_mask:0xf bank_mask:0xf bound_ctrl:1
	v_addc_co_u32_e32 v1, vcc, 0, v1, vcc
	v_add_co_u32_e32 v6, vcc, 0, v2
	v_addc_co_u32_e32 v1, vcc, v1, v5, vcc
	v_mov_b32_dpp v2, v2 row_bcast:31 row_mask:0xf bank_mask:0xf bound_ctrl:1
	v_add_co_u32_e32 v2, vcc, v6, v2
	v_addc_co_u32_e32 v5, vcc, 0, v1, vcc
	v_cmp_eq_u32_e32 vcc, 0, v3
	s_nop 0
	v_add_u32_dpp v5, v1, v5 row_bcast:31 row_mask:0xf bank_mask:0xf bound_ctrl:1
	ds_bpermute_b32 v1, v8, v2
	ds_bpermute_b32 v2, v8, v5
	s_and_saveexec_b64 s[10:11], vcc
	s_cbranch_execz .LBB810_150
; %bb.149:
	v_lshrrev_b32_e32 v5, 3, v0
	v_and_b32_e32 v5, 24, v5
	s_waitcnt lgkmcnt(0)
	ds_write_b64 v5, v[1:2] offset:64
.LBB810_150:
	s_or_b64 exec, exec, s[10:11]
	v_cmp_gt_u32_e32 vcc, 64, v0
	s_waitcnt lgkmcnt(0)
	s_barrier
	s_and_saveexec_b64 s[10:11], vcc
	s_cbranch_execz .LBB810_152
; %bb.151:
	v_and_b32_e32 v5, 3, v3
	v_lshlrev_b32_e32 v1, 3, v5
	ds_read_b64 v[1:2], v1 offset:64
	v_cmp_ne_u32_e32 vcc, 3, v5
	v_addc_co_u32_e32 v3, vcc, 0, v3, vcc
	v_lshlrev_b32_e32 v3, 2, v3
	s_waitcnt lgkmcnt(0)
	ds_bpermute_b32 v5, v3, v1
	ds_bpermute_b32 v3, v3, v2
	v_or_b32_e32 v4, 8, v4
	s_waitcnt lgkmcnt(1)
	v_add_co_u32_e32 v1, vcc, v1, v5
	v_addc_co_u32_e32 v2, vcc, 0, v2, vcc
	ds_bpermute_b32 v5, v4, v1
	v_add_co_u32_e32 v1, vcc, 0, v1
	s_waitcnt lgkmcnt(1)
	v_addc_co_u32_e32 v2, vcc, v3, v2, vcc
	ds_bpermute_b32 v3, v4, v2
	s_waitcnt lgkmcnt(1)
	v_add_co_u32_e32 v1, vcc, v1, v5
	v_addc_co_u32_e32 v2, vcc, 0, v2, vcc
	v_add_co_u32_e32 v1, vcc, 0, v1
	s_waitcnt lgkmcnt(0)
	v_addc_co_u32_e32 v2, vcc, v2, v3, vcc
.LBB810_152:
	s_or_b64 exec, exec, s[10:11]
	s_branch .LBB810_177
.LBB810_153:
                                        ; implicit-def: $vgpr1_vgpr2
                                        ; implicit-def: $vgpr3_vgpr4
	s_cbranch_execnz .LBB810_178
	s_branch .LBB810_206
.LBB810_154:
	s_branch .LBB810_206
.LBB810_155:
                                        ; implicit-def: $vgpr1_vgpr2
	s_cbranch_execz .LBB810_177
; %bb.156:
	s_sub_i32 s10, s20, s8
	v_mov_b32_e32 v1, 0
	v_cmp_gt_u32_e32 vcc, s10, v0
	v_mov_b32_e32 v2, v1
	v_mov_b32_e32 v3, v1
	;; [unrolled: 1-line block ×3, first 2 shown]
	s_and_saveexec_b64 s[8:9], vcc
	s_cbranch_execz .LBB810_158
; %bb.157:
	v_lshlrev_b32_e32 v2, 2, v0
	global_load_dword v3, v2, s[0:1]
	global_load_dword v4, v2, s[2:3]
	s_mov_b32 s11, 0x66666667
	s_waitcnt vmcnt(1)
	v_cvt_i32_f32_e32 v2, v3
	s_waitcnt vmcnt(0)
	v_cvt_i32_f32_e32 v4, v4
	v_mov_b32_e32 v3, v1
	v_mul_hi_i32 v2, v2, s11
	v_mul_hi_i32 v5, v4, s11
	v_mov_b32_e32 v4, v1
	v_lshrrev_b32_e32 v6, 31, v2
	v_ashrrev_i32_e32 v2, 2, v2
	v_lshrrev_b32_e32 v7, 31, v5
	v_ashrrev_i32_e32 v5, 2, v5
	v_add_u32_e32 v2, v2, v6
	v_add_u32_e32 v5, v5, v7
	v_cmp_ne_u32_e32 vcc, v2, v5
	v_cndmask_b32_e64 v2, 0, 1, vcc
	v_and_b32_e32 v2, 0xffff, v2
	v_mov_b32_e32 v5, v1
	v_mov_b32_e32 v1, v2
	;; [unrolled: 1-line block ×5, first 2 shown]
.LBB810_158:
	s_or_b64 exec, exec, s[8:9]
	v_or_b32_e32 v5, 0x100, v0
	v_cmp_gt_u32_e32 vcc, s10, v5
	s_and_saveexec_b64 s[8:9], vcc
	s_cbranch_execz .LBB810_160
; %bb.159:
	v_lshlrev_b32_e32 v3, 2, v0
	global_load_dword v4, v3, s[0:1] offset:1024
	global_load_dword v5, v3, s[2:3] offset:1024
	s_mov_b32 s0, 0x66666667
	s_mov_b32 s2, 0
	s_waitcnt vmcnt(1)
	v_cvt_i32_f32_e32 v3, v4
	s_waitcnt vmcnt(0)
	v_cvt_i32_f32_e32 v4, v5
	v_mul_hi_i32 v3, v3, s0
	v_mul_hi_i32 v4, v4, s0
	v_lshrrev_b32_e32 v5, 31, v3
	v_ashrrev_i32_e32 v3, 2, v3
	v_lshrrev_b32_e32 v6, 31, v4
	v_ashrrev_i32_e32 v4, 2, v4
	v_add_u32_e32 v3, v3, v5
	v_add_u32_e32 v4, v4, v6
	v_cmp_ne_u32_e64 s[0:1], v3, v4
	v_cndmask_b32_e64 v3, 0, 1, s[0:1]
	v_mov_b32_e32 v4, s2
.LBB810_160:
	s_or_b64 exec, exec, s[8:9]
	v_cndmask_b32_e32 v3, 0, v3, vcc
	v_cndmask_b32_e32 v4, 0, v4, vcc
	v_add_co_u32_e32 v1, vcc, v3, v1
	v_mbcnt_lo_u32_b32 v3, -1, 0
	v_mbcnt_hi_u32_b32 v3, -1, v3
	v_addc_co_u32_e32 v2, vcc, v4, v2, vcc
	v_and_b32_e32 v4, 63, v3
	v_cmp_ne_u32_e32 vcc, 63, v4
	v_addc_co_u32_e32 v6, vcc, 0, v3, vcc
	v_lshlrev_b32_e32 v6, 2, v6
	ds_bpermute_b32 v8, v6, v1
	ds_bpermute_b32 v7, v6, v2
	s_min_u32 s2, s10, 0x100
	v_and_b32_e32 v5, 0xc0, v0
	v_sub_u32_e64 v5, s2, v5 clamp
	v_add_u32_e32 v6, 1, v4
	v_cmp_lt_u32_e32 vcc, v6, v5
	v_mov_b32_e32 v6, v1
	s_and_saveexec_b64 s[0:1], vcc
	s_cbranch_execz .LBB810_162
; %bb.161:
	s_waitcnt lgkmcnt(1)
	v_add_co_u32_e32 v6, vcc, v1, v8
	v_addc_co_u32_e32 v2, vcc, 0, v2, vcc
	v_add_co_u32_e32 v1, vcc, 0, v6
	s_waitcnt lgkmcnt(0)
	v_addc_co_u32_e32 v2, vcc, v7, v2, vcc
.LBB810_162:
	s_or_b64 exec, exec, s[0:1]
	v_cmp_gt_u32_e32 vcc, 62, v4
	s_waitcnt lgkmcnt(0)
	v_cndmask_b32_e64 v7, 0, 2, vcc
	v_add_lshl_u32 v7, v7, v3, 2
	ds_bpermute_b32 v8, v7, v6
	ds_bpermute_b32 v7, v7, v2
	v_add_u32_e32 v9, 2, v4
	v_cmp_lt_u32_e32 vcc, v9, v5
	s_and_saveexec_b64 s[0:1], vcc
	s_cbranch_execz .LBB810_164
; %bb.163:
	s_waitcnt lgkmcnt(1)
	v_add_co_u32_e32 v6, vcc, v1, v8
	v_addc_co_u32_e32 v2, vcc, 0, v2, vcc
	v_add_co_u32_e32 v1, vcc, 0, v6
	s_waitcnt lgkmcnt(0)
	v_addc_co_u32_e32 v2, vcc, v7, v2, vcc
.LBB810_164:
	s_or_b64 exec, exec, s[0:1]
	v_cmp_gt_u32_e32 vcc, 60, v4
	s_waitcnt lgkmcnt(0)
	v_cndmask_b32_e64 v7, 0, 4, vcc
	v_add_lshl_u32 v7, v7, v3, 2
	ds_bpermute_b32 v8, v7, v6
	ds_bpermute_b32 v7, v7, v2
	v_add_u32_e32 v9, 4, v4
	v_cmp_lt_u32_e32 vcc, v9, v5
	;; [unrolled: 19-line block ×4, first 2 shown]
	s_and_saveexec_b64 s[0:1], vcc
	s_cbranch_execz .LBB810_170
; %bb.169:
	s_waitcnt lgkmcnt(1)
	v_add_co_u32_e32 v6, vcc, v1, v8
	v_addc_co_u32_e32 v2, vcc, 0, v2, vcc
	v_add_co_u32_e32 v1, vcc, 0, v6
	s_waitcnt lgkmcnt(0)
	v_addc_co_u32_e32 v2, vcc, v7, v2, vcc
.LBB810_170:
	s_or_b64 exec, exec, s[0:1]
	s_waitcnt lgkmcnt(0)
	v_lshlrev_b32_e32 v7, 2, v3
	v_or_b32_e32 v8, 0x80, v7
	ds_bpermute_b32 v6, v8, v6
	ds_bpermute_b32 v8, v8, v2
	v_add_u32_e32 v4, 32, v4
	s_waitcnt lgkmcnt(1)
	v_add_co_u32_e32 v6, vcc, v1, v6
	v_addc_co_u32_e32 v9, vcc, 0, v2, vcc
	v_add_co_u32_e32 v6, vcc, 0, v6
	s_waitcnt lgkmcnt(0)
	v_addc_co_u32_e32 v8, vcc, v9, v8, vcc
	v_cmp_lt_u32_e32 vcc, v4, v5
	v_cndmask_b32_e32 v2, v2, v8, vcc
	v_cndmask_b32_e32 v1, v1, v6, vcc
	v_cmp_eq_u32_e32 vcc, 0, v3
	s_and_saveexec_b64 s[0:1], vcc
; %bb.171:
	v_lshrrev_b32_e32 v4, 3, v0
	v_and_b32_e32 v4, 24, v4
	ds_write_b64 v4, v[1:2] offset:160
; %bb.172:
	s_or_b64 exec, exec, s[0:1]
	v_cmp_gt_u32_e32 vcc, 4, v0
	s_waitcnt lgkmcnt(0)
	s_barrier
	s_and_saveexec_b64 s[0:1], vcc
	s_cbranch_execz .LBB810_176
; %bb.173:
	v_lshlrev_b32_e32 v1, 3, v3
	ds_read_b64 v[1:2], v1 offset:160
	v_and_b32_e32 v4, 3, v3
	v_cmp_ne_u32_e32 vcc, 3, v4
	v_addc_co_u32_e32 v3, vcc, 0, v3, vcc
	v_lshlrev_b32_e32 v3, 2, v3
	s_waitcnt lgkmcnt(0)
	ds_bpermute_b32 v6, v3, v1
	ds_bpermute_b32 v5, v3, v2
	s_add_i32 s2, s2, 63
	s_lshr_b32 s8, s2, 6
	v_add_u32_e32 v3, 1, v4
	v_cmp_gt_u32_e32 vcc, s8, v3
	v_mov_b32_e32 v3, v1
	s_and_saveexec_b64 s[2:3], vcc
	s_cbranch_execz .LBB810_175
; %bb.174:
	s_waitcnt lgkmcnt(1)
	v_add_co_u32_e32 v3, vcc, v1, v6
	v_addc_co_u32_e32 v2, vcc, 0, v2, vcc
	v_add_co_u32_e32 v1, vcc, 0, v3
	s_waitcnt lgkmcnt(0)
	v_addc_co_u32_e32 v2, vcc, v5, v2, vcc
.LBB810_175:
	s_or_b64 exec, exec, s[2:3]
	s_waitcnt lgkmcnt(0)
	v_or_b32_e32 v5, 8, v7
	ds_bpermute_b32 v3, v5, v3
	ds_bpermute_b32 v5, v5, v2
	v_add_u32_e32 v4, 2, v4
	s_waitcnt lgkmcnt(1)
	v_add_co_u32_e32 v3, vcc, v1, v3
	v_addc_co_u32_e32 v6, vcc, 0, v2, vcc
	v_add_co_u32_e32 v3, vcc, 0, v3
	s_waitcnt lgkmcnt(0)
	v_addc_co_u32_e32 v5, vcc, v6, v5, vcc
	v_cmp_gt_u32_e32 vcc, s8, v4
	v_cndmask_b32_e32 v2, v2, v5, vcc
	v_cndmask_b32_e32 v1, v1, v3, vcc
.LBB810_176:
	s_or_b64 exec, exec, s[0:1]
.LBB810_177:
	v_mov_b32_e32 v3, s6
	v_cmp_eq_u32_e64 s[2:3], 0, v0
	v_mov_b32_e32 v4, s7
	s_branch .LBB810_206
.LBB810_178:
	s_cmp_eq_u32 s30, 1
                                        ; implicit-def: $vgpr1_vgpr2
                                        ; implicit-def: $vgpr3_vgpr4
	s_cbranch_scc0 .LBB810_206
; %bb.179:
	s_mov_b32 s1, 0
	s_lshl_b32 s0, s6, 8
	s_mov_b32 s7, s1
	s_lshr_b64 s[2:3], s[20:21], 8
	s_cmp_lg_u64 s[2:3], s[6:7]
	v_mbcnt_lo_u32_b32 v3, -1, 0
	s_cbranch_scc0 .LBB810_185
; %bb.180:
	s_lshl_b64 s[2:3], s[0:1], 2
	s_add_u32 s8, s24, s2
	s_addc_u32 s9, s25, s3
	v_lshlrev_b32_e32 v1, 2, v0
	s_add_u32 s2, s26, s2
	global_load_dword v2, v1, s[8:9]
	s_addc_u32 s3, s27, s3
	global_load_dword v1, v1, s[2:3]
	s_mov_b32 s2, 0x66666667
	v_mov_b32_e32 v5, 0
	v_mbcnt_hi_u32_b32 v4, -1, v3
	s_waitcnt vmcnt(1)
	v_cvt_i32_f32_e32 v2, v2
	v_mov_b32_dpp v6, v5 quad_perm:[1,0,3,2] row_mask:0xf bank_mask:0xf bound_ctrl:1
	s_waitcnt vmcnt(0)
	v_cvt_i32_f32_e32 v1, v1
	v_lshlrev_b32_e32 v5, 2, v4
	v_mul_hi_i32 v2, v2, s2
	v_or_b32_e32 v7, 0xfc, v5
	v_mul_hi_i32 v1, v1, s2
	v_lshrrev_b32_e32 v8, 31, v2
	v_ashrrev_i32_e32 v2, 2, v2
	v_add_u32_e32 v2, v2, v8
	v_lshrrev_b32_e32 v8, 31, v1
	v_ashrrev_i32_e32 v1, 2, v1
	v_add_u32_e32 v1, v1, v8
	v_cmp_ne_u32_e32 vcc, v2, v1
	v_cndmask_b32_e64 v1, 0, 1, vcc
	s_nop 1
	v_mov_b32_dpp v2, v1 quad_perm:[1,0,3,2] row_mask:0xf bank_mask:0xf bound_ctrl:1
	v_add_co_u32_e32 v1, vcc, v1, v2
	v_addc_co_u32_e64 v2, s[2:3], 0, 0, vcc
	v_add_co_u32_e32 v8, vcc, 0, v1
	v_addc_co_u32_e32 v2, vcc, v6, v2, vcc
	v_mov_b32_dpp v1, v1 quad_perm:[2,3,0,1] row_mask:0xf bank_mask:0xf bound_ctrl:1
	v_add_co_u32_e32 v1, vcc, v8, v1
	v_mov_b32_dpp v6, v2 quad_perm:[2,3,0,1] row_mask:0xf bank_mask:0xf bound_ctrl:1
	v_addc_co_u32_e32 v2, vcc, 0, v2, vcc
	v_add_co_u32_e32 v8, vcc, 0, v1
	v_addc_co_u32_e32 v2, vcc, v2, v6, vcc
	v_mov_b32_dpp v1, v1 row_ror:4 row_mask:0xf bank_mask:0xf bound_ctrl:1
	v_add_co_u32_e32 v1, vcc, v8, v1
	v_mov_b32_dpp v6, v2 row_ror:4 row_mask:0xf bank_mask:0xf bound_ctrl:1
	v_addc_co_u32_e32 v2, vcc, 0, v2, vcc
	v_add_co_u32_e32 v8, vcc, 0, v1
	v_addc_co_u32_e32 v2, vcc, v2, v6, vcc
	v_mov_b32_dpp v1, v1 row_ror:8 row_mask:0xf bank_mask:0xf bound_ctrl:1
	v_add_co_u32_e32 v1, vcc, v8, v1
	v_mov_b32_dpp v6, v2 row_ror:8 row_mask:0xf bank_mask:0xf bound_ctrl:1
	v_addc_co_u32_e32 v2, vcc, 0, v2, vcc
	v_add_co_u32_e32 v8, vcc, 0, v1
	v_addc_co_u32_e32 v2, vcc, v2, v6, vcc
	v_mov_b32_dpp v1, v1 row_bcast:15 row_mask:0xf bank_mask:0xf bound_ctrl:1
	v_add_co_u32_e32 v1, vcc, v8, v1
	v_mov_b32_dpp v6, v2 row_bcast:15 row_mask:0xf bank_mask:0xf bound_ctrl:1
	v_addc_co_u32_e32 v2, vcc, 0, v2, vcc
	v_add_co_u32_e32 v8, vcc, 0, v1
	v_addc_co_u32_e32 v2, vcc, v2, v6, vcc
	v_mov_b32_dpp v1, v1 row_bcast:31 row_mask:0xf bank_mask:0xf bound_ctrl:1
	v_add_co_u32_e32 v1, vcc, v8, v1
	v_addc_co_u32_e32 v6, vcc, 0, v2, vcc
	ds_bpermute_b32 v1, v7, v1
	s_nop 0
	v_add_u32_dpp v2, v2, v6 row_bcast:31 row_mask:0xf bank_mask:0xf bound_ctrl:1
	ds_bpermute_b32 v2, v7, v2
	v_cmp_eq_u32_e32 vcc, 0, v4
	s_and_saveexec_b64 s[2:3], vcc
	s_cbranch_execz .LBB810_182
; %bb.181:
	v_lshrrev_b32_e32 v6, 3, v0
	v_and_b32_e32 v6, 24, v6
	s_waitcnt lgkmcnt(0)
	ds_write_b64 v6, v[1:2] offset:32
.LBB810_182:
	s_or_b64 exec, exec, s[2:3]
	v_cmp_gt_u32_e32 vcc, 64, v0
	s_waitcnt lgkmcnt(0)
	s_barrier
	s_and_saveexec_b64 s[2:3], vcc
	s_cbranch_execz .LBB810_184
; %bb.183:
	v_and_b32_e32 v6, 3, v4
	v_lshlrev_b32_e32 v1, 3, v6
	ds_read_b64 v[1:2], v1 offset:32
	v_cmp_ne_u32_e32 vcc, 3, v6
	v_addc_co_u32_e32 v4, vcc, 0, v4, vcc
	v_lshlrev_b32_e32 v4, 2, v4
	s_waitcnt lgkmcnt(0)
	ds_bpermute_b32 v6, v4, v1
	ds_bpermute_b32 v4, v4, v2
	v_or_b32_e32 v5, 8, v5
	s_waitcnt lgkmcnt(1)
	v_add_co_u32_e32 v1, vcc, v1, v6
	v_addc_co_u32_e32 v2, vcc, 0, v2, vcc
	ds_bpermute_b32 v6, v5, v1
	v_add_co_u32_e32 v1, vcc, 0, v1
	s_waitcnt lgkmcnt(1)
	v_addc_co_u32_e32 v2, vcc, v4, v2, vcc
	ds_bpermute_b32 v4, v5, v2
	s_waitcnt lgkmcnt(1)
	v_add_co_u32_e32 v1, vcc, v1, v6
	v_addc_co_u32_e32 v2, vcc, 0, v2, vcc
	v_add_co_u32_e32 v1, vcc, 0, v1
	s_waitcnt lgkmcnt(0)
	v_addc_co_u32_e32 v2, vcc, v2, v4, vcc
.LBB810_184:
	s_or_b64 exec, exec, s[2:3]
	s_branch .LBB810_205
.LBB810_185:
                                        ; implicit-def: $vgpr1_vgpr2
	s_cbranch_execz .LBB810_205
; %bb.186:
	s_sub_i32 s8, s20, s0
	v_cmp_gt_u32_e32 vcc, s8, v0
                                        ; implicit-def: $vgpr1_vgpr2
	s_and_saveexec_b64 s[2:3], vcc
	s_cbranch_execz .LBB810_188
; %bb.187:
	s_lshl_b64 s[0:1], s[0:1], 2
	s_add_u32 s10, s26, s0
	s_addc_u32 s11, s27, s1
	s_add_u32 s0, s24, s0
	s_addc_u32 s1, s25, s1
	v_lshlrev_b32_e32 v1, 2, v0
	global_load_dword v2, v1, s[0:1]
	global_load_dword v4, v1, s[10:11]
	s_mov_b32 s0, 0x66666667
	s_waitcnt vmcnt(1)
	v_cvt_i32_f32_e32 v1, v2
	s_waitcnt vmcnt(0)
	v_cvt_i32_f32_e32 v2, v4
	v_mul_hi_i32 v1, v1, s0
	v_mul_hi_i32 v2, v2, s0
	s_mov_b32 s0, 0
	v_lshrrev_b32_e32 v4, 31, v1
	v_ashrrev_i32_e32 v1, 2, v1
	v_lshrrev_b32_e32 v5, 31, v2
	v_ashrrev_i32_e32 v2, 2, v2
	v_add_u32_e32 v1, v1, v4
	v_add_u32_e32 v2, v2, v5
	v_cmp_ne_u32_e32 vcc, v1, v2
	v_cndmask_b32_e64 v1, 0, 1, vcc
	v_mov_b32_e32 v2, s0
.LBB810_188:
	s_or_b64 exec, exec, s[2:3]
	v_mbcnt_hi_u32_b32 v3, -1, v3
	v_and_b32_e32 v4, 63, v3
	v_cmp_ne_u32_e32 vcc, 63, v4
	v_addc_co_u32_e32 v6, vcc, 0, v3, vcc
	v_lshlrev_b32_e32 v6, 2, v6
	ds_bpermute_b32 v8, v6, v1
	ds_bpermute_b32 v7, v6, v2
	s_min_u32 s2, s8, 0x100
	v_and_b32_e32 v5, 0xc0, v0
	v_sub_u32_e64 v5, s2, v5 clamp
	v_add_u32_e32 v6, 1, v4
	v_cmp_lt_u32_e32 vcc, v6, v5
	v_mov_b32_e32 v6, v1
	s_and_saveexec_b64 s[0:1], vcc
	s_cbranch_execz .LBB810_190
; %bb.189:
	s_waitcnt lgkmcnt(1)
	v_add_co_u32_e32 v6, vcc, v1, v8
	v_addc_co_u32_e32 v2, vcc, 0, v2, vcc
	v_add_co_u32_e32 v1, vcc, 0, v6
	s_waitcnt lgkmcnt(0)
	v_addc_co_u32_e32 v2, vcc, v7, v2, vcc
.LBB810_190:
	s_or_b64 exec, exec, s[0:1]
	v_cmp_gt_u32_e32 vcc, 62, v4
	s_waitcnt lgkmcnt(0)
	v_cndmask_b32_e64 v7, 0, 2, vcc
	v_add_lshl_u32 v7, v7, v3, 2
	ds_bpermute_b32 v8, v7, v6
	ds_bpermute_b32 v7, v7, v2
	v_add_u32_e32 v9, 2, v4
	v_cmp_lt_u32_e32 vcc, v9, v5
	s_and_saveexec_b64 s[0:1], vcc
	s_cbranch_execz .LBB810_192
; %bb.191:
	s_waitcnt lgkmcnt(1)
	v_add_co_u32_e32 v6, vcc, v1, v8
	v_addc_co_u32_e32 v2, vcc, 0, v2, vcc
	v_add_co_u32_e32 v1, vcc, 0, v6
	s_waitcnt lgkmcnt(0)
	v_addc_co_u32_e32 v2, vcc, v7, v2, vcc
.LBB810_192:
	s_or_b64 exec, exec, s[0:1]
	v_cmp_gt_u32_e32 vcc, 60, v4
	s_waitcnt lgkmcnt(0)
	v_cndmask_b32_e64 v7, 0, 4, vcc
	v_add_lshl_u32 v7, v7, v3, 2
	ds_bpermute_b32 v8, v7, v6
	ds_bpermute_b32 v7, v7, v2
	v_add_u32_e32 v9, 4, v4
	v_cmp_lt_u32_e32 vcc, v9, v5
	;; [unrolled: 19-line block ×4, first 2 shown]
	s_and_saveexec_b64 s[0:1], vcc
	s_cbranch_execz .LBB810_198
; %bb.197:
	s_waitcnt lgkmcnt(1)
	v_add_co_u32_e32 v6, vcc, v1, v8
	v_addc_co_u32_e32 v2, vcc, 0, v2, vcc
	v_add_co_u32_e32 v1, vcc, 0, v6
	s_waitcnt lgkmcnt(0)
	v_addc_co_u32_e32 v2, vcc, v7, v2, vcc
.LBB810_198:
	s_or_b64 exec, exec, s[0:1]
	s_waitcnt lgkmcnt(0)
	v_lshlrev_b32_e32 v7, 2, v3
	v_or_b32_e32 v8, 0x80, v7
	ds_bpermute_b32 v6, v8, v6
	ds_bpermute_b32 v8, v8, v2
	v_add_u32_e32 v4, 32, v4
	s_waitcnt lgkmcnt(1)
	v_add_co_u32_e32 v6, vcc, v1, v6
	v_addc_co_u32_e32 v9, vcc, 0, v2, vcc
	v_add_co_u32_e32 v6, vcc, 0, v6
	s_waitcnt lgkmcnt(0)
	v_addc_co_u32_e32 v8, vcc, v9, v8, vcc
	v_cmp_lt_u32_e32 vcc, v4, v5
	v_cndmask_b32_e32 v2, v2, v8, vcc
	v_cndmask_b32_e32 v1, v1, v6, vcc
	v_cmp_eq_u32_e32 vcc, 0, v3
	s_and_saveexec_b64 s[0:1], vcc
; %bb.199:
	v_lshrrev_b32_e32 v4, 3, v0
	v_and_b32_e32 v4, 24, v4
	ds_write_b64 v4, v[1:2] offset:160
; %bb.200:
	s_or_b64 exec, exec, s[0:1]
	v_cmp_gt_u32_e32 vcc, 4, v0
	s_waitcnt lgkmcnt(0)
	s_barrier
	s_and_saveexec_b64 s[0:1], vcc
	s_cbranch_execz .LBB810_204
; %bb.201:
	v_lshlrev_b32_e32 v1, 3, v3
	ds_read_b64 v[1:2], v1 offset:160
	v_and_b32_e32 v4, 3, v3
	v_cmp_ne_u32_e32 vcc, 3, v4
	v_addc_co_u32_e32 v3, vcc, 0, v3, vcc
	v_lshlrev_b32_e32 v3, 2, v3
	s_waitcnt lgkmcnt(0)
	ds_bpermute_b32 v6, v3, v1
	ds_bpermute_b32 v5, v3, v2
	s_add_i32 s2, s2, 63
	s_lshr_b32 s8, s2, 6
	v_add_u32_e32 v3, 1, v4
	v_cmp_gt_u32_e32 vcc, s8, v3
	v_mov_b32_e32 v3, v1
	s_and_saveexec_b64 s[2:3], vcc
	s_cbranch_execz .LBB810_203
; %bb.202:
	s_waitcnt lgkmcnt(1)
	v_add_co_u32_e32 v3, vcc, v1, v6
	v_addc_co_u32_e32 v2, vcc, 0, v2, vcc
	v_add_co_u32_e32 v1, vcc, 0, v3
	s_waitcnt lgkmcnt(0)
	v_addc_co_u32_e32 v2, vcc, v5, v2, vcc
.LBB810_203:
	s_or_b64 exec, exec, s[2:3]
	s_waitcnt lgkmcnt(0)
	v_or_b32_e32 v5, 8, v7
	ds_bpermute_b32 v3, v5, v3
	ds_bpermute_b32 v5, v5, v2
	v_add_u32_e32 v4, 2, v4
	s_waitcnt lgkmcnt(1)
	v_add_co_u32_e32 v3, vcc, v1, v3
	v_addc_co_u32_e32 v6, vcc, 0, v2, vcc
	v_add_co_u32_e32 v3, vcc, 0, v3
	s_waitcnt lgkmcnt(0)
	v_addc_co_u32_e32 v5, vcc, v6, v5, vcc
	v_cmp_gt_u32_e32 vcc, s8, v4
	v_cndmask_b32_e32 v2, v2, v5, vcc
	v_cndmask_b32_e32 v1, v1, v3, vcc
.LBB810_204:
	s_or_b64 exec, exec, s[0:1]
.LBB810_205:
	v_mov_b32_e32 v3, s6
	v_cmp_eq_u32_e64 s[2:3], 0, v0
	v_mov_b32_e32 v4, s7
.LBB810_206:
	s_and_saveexec_b64 s[0:1], s[2:3]
	s_cbranch_execz .LBB810_208
; %bb.207:
	v_lshlrev_b64 v[3:4], 3, v[3:4]
	s_load_dwordx2 s[0:1], s[4:5], 0x30
	v_mov_b32_e32 v0, s23
	v_add_co_u32_e32 v3, vcc, s22, v3
	v_addc_co_u32_e32 v4, vcc, v0, v4, vcc
	s_cmp_lg_u64 s[20:21], 0
	s_cselect_b64 vcc, -1, 0
	v_cndmask_b32_e32 v0, 0, v1, vcc
	v_cndmask_b32_e32 v2, 0, v2, vcc
	s_waitcnt lgkmcnt(0)
	v_mov_b32_e32 v1, s1
	v_add_co_u32_e32 v0, vcc, s0, v0
	v_addc_co_u32_e32 v1, vcc, v2, v1, vcc
	global_store_dwordx2 v[3:4], v[0:1], off
.LBB810_208:
	s_endpgm
	.section	.rodata,"a",@progbits
	.p2align	6, 0x0
	.amdhsa_kernel _ZN7rocprim17ROCPRIM_400000_NS6detail17trampoline_kernelINS0_14default_configENS1_22reduce_config_selectorIlEEZNS1_11reduce_implILb1ES3_N6thrust23THRUST_200600_302600_NS11hip_rocprim26transform_input_iterator_tIlNS8_12zip_iteratorINS8_5tupleINS8_6detail15normal_iteratorINS8_10device_ptrIfEEEESH_NS8_9null_typeESI_SI_SI_SI_SI_SI_SI_EEEENS9_21zip_adj_not_predicateI22is_equal_div_10_uniqueIfEEEEEPllNS8_4plusIlEEEE10hipError_tPvRmT1_T2_T3_mT4_P12ihipStream_tbEUlT_E1_NS1_11comp_targetILNS1_3genE2ELNS1_11target_archE906ELNS1_3gpuE6ELNS1_3repE0EEENS1_30default_config_static_selectorELNS0_4arch9wavefront6targetE1EEEvSW_
		.amdhsa_group_segment_fixed_size 192
		.amdhsa_private_segment_fixed_size 0
		.amdhsa_kernarg_size 64
		.amdhsa_user_sgpr_count 6
		.amdhsa_user_sgpr_private_segment_buffer 1
		.amdhsa_user_sgpr_dispatch_ptr 0
		.amdhsa_user_sgpr_queue_ptr 0
		.amdhsa_user_sgpr_kernarg_segment_ptr 1
		.amdhsa_user_sgpr_dispatch_id 0
		.amdhsa_user_sgpr_flat_scratch_init 0
		.amdhsa_user_sgpr_private_segment_size 0
		.amdhsa_uses_dynamic_stack 0
		.amdhsa_system_sgpr_private_segment_wavefront_offset 0
		.amdhsa_system_sgpr_workgroup_id_x 1
		.amdhsa_system_sgpr_workgroup_id_y 0
		.amdhsa_system_sgpr_workgroup_id_z 0
		.amdhsa_system_sgpr_workgroup_info 0
		.amdhsa_system_vgpr_workitem_id 0
		.amdhsa_next_free_vgpr 35
		.amdhsa_next_free_sgpr 34
		.amdhsa_reserve_vcc 1
		.amdhsa_reserve_flat_scratch 0
		.amdhsa_float_round_mode_32 0
		.amdhsa_float_round_mode_16_64 0
		.amdhsa_float_denorm_mode_32 3
		.amdhsa_float_denorm_mode_16_64 3
		.amdhsa_dx10_clamp 1
		.amdhsa_ieee_mode 1
		.amdhsa_fp16_overflow 0
		.amdhsa_exception_fp_ieee_invalid_op 0
		.amdhsa_exception_fp_denorm_src 0
		.amdhsa_exception_fp_ieee_div_zero 0
		.amdhsa_exception_fp_ieee_overflow 0
		.amdhsa_exception_fp_ieee_underflow 0
		.amdhsa_exception_fp_ieee_inexact 0
		.amdhsa_exception_int_div_zero 0
	.end_amdhsa_kernel
	.section	.text._ZN7rocprim17ROCPRIM_400000_NS6detail17trampoline_kernelINS0_14default_configENS1_22reduce_config_selectorIlEEZNS1_11reduce_implILb1ES3_N6thrust23THRUST_200600_302600_NS11hip_rocprim26transform_input_iterator_tIlNS8_12zip_iteratorINS8_5tupleINS8_6detail15normal_iteratorINS8_10device_ptrIfEEEESH_NS8_9null_typeESI_SI_SI_SI_SI_SI_SI_EEEENS9_21zip_adj_not_predicateI22is_equal_div_10_uniqueIfEEEEEPllNS8_4plusIlEEEE10hipError_tPvRmT1_T2_T3_mT4_P12ihipStream_tbEUlT_E1_NS1_11comp_targetILNS1_3genE2ELNS1_11target_archE906ELNS1_3gpuE6ELNS1_3repE0EEENS1_30default_config_static_selectorELNS0_4arch9wavefront6targetE1EEEvSW_,"axG",@progbits,_ZN7rocprim17ROCPRIM_400000_NS6detail17trampoline_kernelINS0_14default_configENS1_22reduce_config_selectorIlEEZNS1_11reduce_implILb1ES3_N6thrust23THRUST_200600_302600_NS11hip_rocprim26transform_input_iterator_tIlNS8_12zip_iteratorINS8_5tupleINS8_6detail15normal_iteratorINS8_10device_ptrIfEEEESH_NS8_9null_typeESI_SI_SI_SI_SI_SI_SI_EEEENS9_21zip_adj_not_predicateI22is_equal_div_10_uniqueIfEEEEEPllNS8_4plusIlEEEE10hipError_tPvRmT1_T2_T3_mT4_P12ihipStream_tbEUlT_E1_NS1_11comp_targetILNS1_3genE2ELNS1_11target_archE906ELNS1_3gpuE6ELNS1_3repE0EEENS1_30default_config_static_selectorELNS0_4arch9wavefront6targetE1EEEvSW_,comdat
.Lfunc_end810:
	.size	_ZN7rocprim17ROCPRIM_400000_NS6detail17trampoline_kernelINS0_14default_configENS1_22reduce_config_selectorIlEEZNS1_11reduce_implILb1ES3_N6thrust23THRUST_200600_302600_NS11hip_rocprim26transform_input_iterator_tIlNS8_12zip_iteratorINS8_5tupleINS8_6detail15normal_iteratorINS8_10device_ptrIfEEEESH_NS8_9null_typeESI_SI_SI_SI_SI_SI_SI_EEEENS9_21zip_adj_not_predicateI22is_equal_div_10_uniqueIfEEEEEPllNS8_4plusIlEEEE10hipError_tPvRmT1_T2_T3_mT4_P12ihipStream_tbEUlT_E1_NS1_11comp_targetILNS1_3genE2ELNS1_11target_archE906ELNS1_3gpuE6ELNS1_3repE0EEENS1_30default_config_static_selectorELNS0_4arch9wavefront6targetE1EEEvSW_, .Lfunc_end810-_ZN7rocprim17ROCPRIM_400000_NS6detail17trampoline_kernelINS0_14default_configENS1_22reduce_config_selectorIlEEZNS1_11reduce_implILb1ES3_N6thrust23THRUST_200600_302600_NS11hip_rocprim26transform_input_iterator_tIlNS8_12zip_iteratorINS8_5tupleINS8_6detail15normal_iteratorINS8_10device_ptrIfEEEESH_NS8_9null_typeESI_SI_SI_SI_SI_SI_SI_EEEENS9_21zip_adj_not_predicateI22is_equal_div_10_uniqueIfEEEEEPllNS8_4plusIlEEEE10hipError_tPvRmT1_T2_T3_mT4_P12ihipStream_tbEUlT_E1_NS1_11comp_targetILNS1_3genE2ELNS1_11target_archE906ELNS1_3gpuE6ELNS1_3repE0EEENS1_30default_config_static_selectorELNS0_4arch9wavefront6targetE1EEEvSW_
                                        ; -- End function
	.set _ZN7rocprim17ROCPRIM_400000_NS6detail17trampoline_kernelINS0_14default_configENS1_22reduce_config_selectorIlEEZNS1_11reduce_implILb1ES3_N6thrust23THRUST_200600_302600_NS11hip_rocprim26transform_input_iterator_tIlNS8_12zip_iteratorINS8_5tupleINS8_6detail15normal_iteratorINS8_10device_ptrIfEEEESH_NS8_9null_typeESI_SI_SI_SI_SI_SI_SI_EEEENS9_21zip_adj_not_predicateI22is_equal_div_10_uniqueIfEEEEEPllNS8_4plusIlEEEE10hipError_tPvRmT1_T2_T3_mT4_P12ihipStream_tbEUlT_E1_NS1_11comp_targetILNS1_3genE2ELNS1_11target_archE906ELNS1_3gpuE6ELNS1_3repE0EEENS1_30default_config_static_selectorELNS0_4arch9wavefront6targetE1EEEvSW_.num_vgpr, 35
	.set _ZN7rocprim17ROCPRIM_400000_NS6detail17trampoline_kernelINS0_14default_configENS1_22reduce_config_selectorIlEEZNS1_11reduce_implILb1ES3_N6thrust23THRUST_200600_302600_NS11hip_rocprim26transform_input_iterator_tIlNS8_12zip_iteratorINS8_5tupleINS8_6detail15normal_iteratorINS8_10device_ptrIfEEEESH_NS8_9null_typeESI_SI_SI_SI_SI_SI_SI_EEEENS9_21zip_adj_not_predicateI22is_equal_div_10_uniqueIfEEEEEPllNS8_4plusIlEEEE10hipError_tPvRmT1_T2_T3_mT4_P12ihipStream_tbEUlT_E1_NS1_11comp_targetILNS1_3genE2ELNS1_11target_archE906ELNS1_3gpuE6ELNS1_3repE0EEENS1_30default_config_static_selectorELNS0_4arch9wavefront6targetE1EEEvSW_.num_agpr, 0
	.set _ZN7rocprim17ROCPRIM_400000_NS6detail17trampoline_kernelINS0_14default_configENS1_22reduce_config_selectorIlEEZNS1_11reduce_implILb1ES3_N6thrust23THRUST_200600_302600_NS11hip_rocprim26transform_input_iterator_tIlNS8_12zip_iteratorINS8_5tupleINS8_6detail15normal_iteratorINS8_10device_ptrIfEEEESH_NS8_9null_typeESI_SI_SI_SI_SI_SI_SI_EEEENS9_21zip_adj_not_predicateI22is_equal_div_10_uniqueIfEEEEEPllNS8_4plusIlEEEE10hipError_tPvRmT1_T2_T3_mT4_P12ihipStream_tbEUlT_E1_NS1_11comp_targetILNS1_3genE2ELNS1_11target_archE906ELNS1_3gpuE6ELNS1_3repE0EEENS1_30default_config_static_selectorELNS0_4arch9wavefront6targetE1EEEvSW_.numbered_sgpr, 34
	.set _ZN7rocprim17ROCPRIM_400000_NS6detail17trampoline_kernelINS0_14default_configENS1_22reduce_config_selectorIlEEZNS1_11reduce_implILb1ES3_N6thrust23THRUST_200600_302600_NS11hip_rocprim26transform_input_iterator_tIlNS8_12zip_iteratorINS8_5tupleINS8_6detail15normal_iteratorINS8_10device_ptrIfEEEESH_NS8_9null_typeESI_SI_SI_SI_SI_SI_SI_EEEENS9_21zip_adj_not_predicateI22is_equal_div_10_uniqueIfEEEEEPllNS8_4plusIlEEEE10hipError_tPvRmT1_T2_T3_mT4_P12ihipStream_tbEUlT_E1_NS1_11comp_targetILNS1_3genE2ELNS1_11target_archE906ELNS1_3gpuE6ELNS1_3repE0EEENS1_30default_config_static_selectorELNS0_4arch9wavefront6targetE1EEEvSW_.num_named_barrier, 0
	.set _ZN7rocprim17ROCPRIM_400000_NS6detail17trampoline_kernelINS0_14default_configENS1_22reduce_config_selectorIlEEZNS1_11reduce_implILb1ES3_N6thrust23THRUST_200600_302600_NS11hip_rocprim26transform_input_iterator_tIlNS8_12zip_iteratorINS8_5tupleINS8_6detail15normal_iteratorINS8_10device_ptrIfEEEESH_NS8_9null_typeESI_SI_SI_SI_SI_SI_SI_EEEENS9_21zip_adj_not_predicateI22is_equal_div_10_uniqueIfEEEEEPllNS8_4plusIlEEEE10hipError_tPvRmT1_T2_T3_mT4_P12ihipStream_tbEUlT_E1_NS1_11comp_targetILNS1_3genE2ELNS1_11target_archE906ELNS1_3gpuE6ELNS1_3repE0EEENS1_30default_config_static_selectorELNS0_4arch9wavefront6targetE1EEEvSW_.private_seg_size, 0
	.set _ZN7rocprim17ROCPRIM_400000_NS6detail17trampoline_kernelINS0_14default_configENS1_22reduce_config_selectorIlEEZNS1_11reduce_implILb1ES3_N6thrust23THRUST_200600_302600_NS11hip_rocprim26transform_input_iterator_tIlNS8_12zip_iteratorINS8_5tupleINS8_6detail15normal_iteratorINS8_10device_ptrIfEEEESH_NS8_9null_typeESI_SI_SI_SI_SI_SI_SI_EEEENS9_21zip_adj_not_predicateI22is_equal_div_10_uniqueIfEEEEEPllNS8_4plusIlEEEE10hipError_tPvRmT1_T2_T3_mT4_P12ihipStream_tbEUlT_E1_NS1_11comp_targetILNS1_3genE2ELNS1_11target_archE906ELNS1_3gpuE6ELNS1_3repE0EEENS1_30default_config_static_selectorELNS0_4arch9wavefront6targetE1EEEvSW_.uses_vcc, 1
	.set _ZN7rocprim17ROCPRIM_400000_NS6detail17trampoline_kernelINS0_14default_configENS1_22reduce_config_selectorIlEEZNS1_11reduce_implILb1ES3_N6thrust23THRUST_200600_302600_NS11hip_rocprim26transform_input_iterator_tIlNS8_12zip_iteratorINS8_5tupleINS8_6detail15normal_iteratorINS8_10device_ptrIfEEEESH_NS8_9null_typeESI_SI_SI_SI_SI_SI_SI_EEEENS9_21zip_adj_not_predicateI22is_equal_div_10_uniqueIfEEEEEPllNS8_4plusIlEEEE10hipError_tPvRmT1_T2_T3_mT4_P12ihipStream_tbEUlT_E1_NS1_11comp_targetILNS1_3genE2ELNS1_11target_archE906ELNS1_3gpuE6ELNS1_3repE0EEENS1_30default_config_static_selectorELNS0_4arch9wavefront6targetE1EEEvSW_.uses_flat_scratch, 0
	.set _ZN7rocprim17ROCPRIM_400000_NS6detail17trampoline_kernelINS0_14default_configENS1_22reduce_config_selectorIlEEZNS1_11reduce_implILb1ES3_N6thrust23THRUST_200600_302600_NS11hip_rocprim26transform_input_iterator_tIlNS8_12zip_iteratorINS8_5tupleINS8_6detail15normal_iteratorINS8_10device_ptrIfEEEESH_NS8_9null_typeESI_SI_SI_SI_SI_SI_SI_EEEENS9_21zip_adj_not_predicateI22is_equal_div_10_uniqueIfEEEEEPllNS8_4plusIlEEEE10hipError_tPvRmT1_T2_T3_mT4_P12ihipStream_tbEUlT_E1_NS1_11comp_targetILNS1_3genE2ELNS1_11target_archE906ELNS1_3gpuE6ELNS1_3repE0EEENS1_30default_config_static_selectorELNS0_4arch9wavefront6targetE1EEEvSW_.has_dyn_sized_stack, 0
	.set _ZN7rocprim17ROCPRIM_400000_NS6detail17trampoline_kernelINS0_14default_configENS1_22reduce_config_selectorIlEEZNS1_11reduce_implILb1ES3_N6thrust23THRUST_200600_302600_NS11hip_rocprim26transform_input_iterator_tIlNS8_12zip_iteratorINS8_5tupleINS8_6detail15normal_iteratorINS8_10device_ptrIfEEEESH_NS8_9null_typeESI_SI_SI_SI_SI_SI_SI_EEEENS9_21zip_adj_not_predicateI22is_equal_div_10_uniqueIfEEEEEPllNS8_4plusIlEEEE10hipError_tPvRmT1_T2_T3_mT4_P12ihipStream_tbEUlT_E1_NS1_11comp_targetILNS1_3genE2ELNS1_11target_archE906ELNS1_3gpuE6ELNS1_3repE0EEENS1_30default_config_static_selectorELNS0_4arch9wavefront6targetE1EEEvSW_.has_recursion, 0
	.set _ZN7rocprim17ROCPRIM_400000_NS6detail17trampoline_kernelINS0_14default_configENS1_22reduce_config_selectorIlEEZNS1_11reduce_implILb1ES3_N6thrust23THRUST_200600_302600_NS11hip_rocprim26transform_input_iterator_tIlNS8_12zip_iteratorINS8_5tupleINS8_6detail15normal_iteratorINS8_10device_ptrIfEEEESH_NS8_9null_typeESI_SI_SI_SI_SI_SI_SI_EEEENS9_21zip_adj_not_predicateI22is_equal_div_10_uniqueIfEEEEEPllNS8_4plusIlEEEE10hipError_tPvRmT1_T2_T3_mT4_P12ihipStream_tbEUlT_E1_NS1_11comp_targetILNS1_3genE2ELNS1_11target_archE906ELNS1_3gpuE6ELNS1_3repE0EEENS1_30default_config_static_selectorELNS0_4arch9wavefront6targetE1EEEvSW_.has_indirect_call, 0
	.section	.AMDGPU.csdata,"",@progbits
; Kernel info:
; codeLenInByte = 14156
; TotalNumSgprs: 38
; NumVgprs: 35
; ScratchSize: 0
; MemoryBound: 0
; FloatMode: 240
; IeeeMode: 1
; LDSByteSize: 192 bytes/workgroup (compile time only)
; SGPRBlocks: 4
; VGPRBlocks: 8
; NumSGPRsForWavesPerEU: 38
; NumVGPRsForWavesPerEU: 35
; Occupancy: 7
; WaveLimiterHint : 0
; COMPUTE_PGM_RSRC2:SCRATCH_EN: 0
; COMPUTE_PGM_RSRC2:USER_SGPR: 6
; COMPUTE_PGM_RSRC2:TRAP_HANDLER: 0
; COMPUTE_PGM_RSRC2:TGID_X_EN: 1
; COMPUTE_PGM_RSRC2:TGID_Y_EN: 0
; COMPUTE_PGM_RSRC2:TGID_Z_EN: 0
; COMPUTE_PGM_RSRC2:TIDIG_COMP_CNT: 0
	.section	.text._ZN7rocprim17ROCPRIM_400000_NS6detail17trampoline_kernelINS0_14default_configENS1_22reduce_config_selectorIlEEZNS1_11reduce_implILb1ES3_N6thrust23THRUST_200600_302600_NS11hip_rocprim26transform_input_iterator_tIlNS8_12zip_iteratorINS8_5tupleINS8_6detail15normal_iteratorINS8_10device_ptrIfEEEESH_NS8_9null_typeESI_SI_SI_SI_SI_SI_SI_EEEENS9_21zip_adj_not_predicateI22is_equal_div_10_uniqueIfEEEEEPllNS8_4plusIlEEEE10hipError_tPvRmT1_T2_T3_mT4_P12ihipStream_tbEUlT_E1_NS1_11comp_targetILNS1_3genE10ELNS1_11target_archE1201ELNS1_3gpuE5ELNS1_3repE0EEENS1_30default_config_static_selectorELNS0_4arch9wavefront6targetE1EEEvSW_,"axG",@progbits,_ZN7rocprim17ROCPRIM_400000_NS6detail17trampoline_kernelINS0_14default_configENS1_22reduce_config_selectorIlEEZNS1_11reduce_implILb1ES3_N6thrust23THRUST_200600_302600_NS11hip_rocprim26transform_input_iterator_tIlNS8_12zip_iteratorINS8_5tupleINS8_6detail15normal_iteratorINS8_10device_ptrIfEEEESH_NS8_9null_typeESI_SI_SI_SI_SI_SI_SI_EEEENS9_21zip_adj_not_predicateI22is_equal_div_10_uniqueIfEEEEEPllNS8_4plusIlEEEE10hipError_tPvRmT1_T2_T3_mT4_P12ihipStream_tbEUlT_E1_NS1_11comp_targetILNS1_3genE10ELNS1_11target_archE1201ELNS1_3gpuE5ELNS1_3repE0EEENS1_30default_config_static_selectorELNS0_4arch9wavefront6targetE1EEEvSW_,comdat
	.protected	_ZN7rocprim17ROCPRIM_400000_NS6detail17trampoline_kernelINS0_14default_configENS1_22reduce_config_selectorIlEEZNS1_11reduce_implILb1ES3_N6thrust23THRUST_200600_302600_NS11hip_rocprim26transform_input_iterator_tIlNS8_12zip_iteratorINS8_5tupleINS8_6detail15normal_iteratorINS8_10device_ptrIfEEEESH_NS8_9null_typeESI_SI_SI_SI_SI_SI_SI_EEEENS9_21zip_adj_not_predicateI22is_equal_div_10_uniqueIfEEEEEPllNS8_4plusIlEEEE10hipError_tPvRmT1_T2_T3_mT4_P12ihipStream_tbEUlT_E1_NS1_11comp_targetILNS1_3genE10ELNS1_11target_archE1201ELNS1_3gpuE5ELNS1_3repE0EEENS1_30default_config_static_selectorELNS0_4arch9wavefront6targetE1EEEvSW_ ; -- Begin function _ZN7rocprim17ROCPRIM_400000_NS6detail17trampoline_kernelINS0_14default_configENS1_22reduce_config_selectorIlEEZNS1_11reduce_implILb1ES3_N6thrust23THRUST_200600_302600_NS11hip_rocprim26transform_input_iterator_tIlNS8_12zip_iteratorINS8_5tupleINS8_6detail15normal_iteratorINS8_10device_ptrIfEEEESH_NS8_9null_typeESI_SI_SI_SI_SI_SI_SI_EEEENS9_21zip_adj_not_predicateI22is_equal_div_10_uniqueIfEEEEEPllNS8_4plusIlEEEE10hipError_tPvRmT1_T2_T3_mT4_P12ihipStream_tbEUlT_E1_NS1_11comp_targetILNS1_3genE10ELNS1_11target_archE1201ELNS1_3gpuE5ELNS1_3repE0EEENS1_30default_config_static_selectorELNS0_4arch9wavefront6targetE1EEEvSW_
	.globl	_ZN7rocprim17ROCPRIM_400000_NS6detail17trampoline_kernelINS0_14default_configENS1_22reduce_config_selectorIlEEZNS1_11reduce_implILb1ES3_N6thrust23THRUST_200600_302600_NS11hip_rocprim26transform_input_iterator_tIlNS8_12zip_iteratorINS8_5tupleINS8_6detail15normal_iteratorINS8_10device_ptrIfEEEESH_NS8_9null_typeESI_SI_SI_SI_SI_SI_SI_EEEENS9_21zip_adj_not_predicateI22is_equal_div_10_uniqueIfEEEEEPllNS8_4plusIlEEEE10hipError_tPvRmT1_T2_T3_mT4_P12ihipStream_tbEUlT_E1_NS1_11comp_targetILNS1_3genE10ELNS1_11target_archE1201ELNS1_3gpuE5ELNS1_3repE0EEENS1_30default_config_static_selectorELNS0_4arch9wavefront6targetE1EEEvSW_
	.p2align	8
	.type	_ZN7rocprim17ROCPRIM_400000_NS6detail17trampoline_kernelINS0_14default_configENS1_22reduce_config_selectorIlEEZNS1_11reduce_implILb1ES3_N6thrust23THRUST_200600_302600_NS11hip_rocprim26transform_input_iterator_tIlNS8_12zip_iteratorINS8_5tupleINS8_6detail15normal_iteratorINS8_10device_ptrIfEEEESH_NS8_9null_typeESI_SI_SI_SI_SI_SI_SI_EEEENS9_21zip_adj_not_predicateI22is_equal_div_10_uniqueIfEEEEEPllNS8_4plusIlEEEE10hipError_tPvRmT1_T2_T3_mT4_P12ihipStream_tbEUlT_E1_NS1_11comp_targetILNS1_3genE10ELNS1_11target_archE1201ELNS1_3gpuE5ELNS1_3repE0EEENS1_30default_config_static_selectorELNS0_4arch9wavefront6targetE1EEEvSW_,@function
_ZN7rocprim17ROCPRIM_400000_NS6detail17trampoline_kernelINS0_14default_configENS1_22reduce_config_selectorIlEEZNS1_11reduce_implILb1ES3_N6thrust23THRUST_200600_302600_NS11hip_rocprim26transform_input_iterator_tIlNS8_12zip_iteratorINS8_5tupleINS8_6detail15normal_iteratorINS8_10device_ptrIfEEEESH_NS8_9null_typeESI_SI_SI_SI_SI_SI_SI_EEEENS9_21zip_adj_not_predicateI22is_equal_div_10_uniqueIfEEEEEPllNS8_4plusIlEEEE10hipError_tPvRmT1_T2_T3_mT4_P12ihipStream_tbEUlT_E1_NS1_11comp_targetILNS1_3genE10ELNS1_11target_archE1201ELNS1_3gpuE5ELNS1_3repE0EEENS1_30default_config_static_selectorELNS0_4arch9wavefront6targetE1EEEvSW_: ; @_ZN7rocprim17ROCPRIM_400000_NS6detail17trampoline_kernelINS0_14default_configENS1_22reduce_config_selectorIlEEZNS1_11reduce_implILb1ES3_N6thrust23THRUST_200600_302600_NS11hip_rocprim26transform_input_iterator_tIlNS8_12zip_iteratorINS8_5tupleINS8_6detail15normal_iteratorINS8_10device_ptrIfEEEESH_NS8_9null_typeESI_SI_SI_SI_SI_SI_SI_EEEENS9_21zip_adj_not_predicateI22is_equal_div_10_uniqueIfEEEEEPllNS8_4plusIlEEEE10hipError_tPvRmT1_T2_T3_mT4_P12ihipStream_tbEUlT_E1_NS1_11comp_targetILNS1_3genE10ELNS1_11target_archE1201ELNS1_3gpuE5ELNS1_3repE0EEENS1_30default_config_static_selectorELNS0_4arch9wavefront6targetE1EEEvSW_
; %bb.0:
	.section	.rodata,"a",@progbits
	.p2align	6, 0x0
	.amdhsa_kernel _ZN7rocprim17ROCPRIM_400000_NS6detail17trampoline_kernelINS0_14default_configENS1_22reduce_config_selectorIlEEZNS1_11reduce_implILb1ES3_N6thrust23THRUST_200600_302600_NS11hip_rocprim26transform_input_iterator_tIlNS8_12zip_iteratorINS8_5tupleINS8_6detail15normal_iteratorINS8_10device_ptrIfEEEESH_NS8_9null_typeESI_SI_SI_SI_SI_SI_SI_EEEENS9_21zip_adj_not_predicateI22is_equal_div_10_uniqueIfEEEEEPllNS8_4plusIlEEEE10hipError_tPvRmT1_T2_T3_mT4_P12ihipStream_tbEUlT_E1_NS1_11comp_targetILNS1_3genE10ELNS1_11target_archE1201ELNS1_3gpuE5ELNS1_3repE0EEENS1_30default_config_static_selectorELNS0_4arch9wavefront6targetE1EEEvSW_
		.amdhsa_group_segment_fixed_size 0
		.amdhsa_private_segment_fixed_size 0
		.amdhsa_kernarg_size 64
		.amdhsa_user_sgpr_count 6
		.amdhsa_user_sgpr_private_segment_buffer 1
		.amdhsa_user_sgpr_dispatch_ptr 0
		.amdhsa_user_sgpr_queue_ptr 0
		.amdhsa_user_sgpr_kernarg_segment_ptr 1
		.amdhsa_user_sgpr_dispatch_id 0
		.amdhsa_user_sgpr_flat_scratch_init 0
		.amdhsa_user_sgpr_private_segment_size 0
		.amdhsa_uses_dynamic_stack 0
		.amdhsa_system_sgpr_private_segment_wavefront_offset 0
		.amdhsa_system_sgpr_workgroup_id_x 1
		.amdhsa_system_sgpr_workgroup_id_y 0
		.amdhsa_system_sgpr_workgroup_id_z 0
		.amdhsa_system_sgpr_workgroup_info 0
		.amdhsa_system_vgpr_workitem_id 0
		.amdhsa_next_free_vgpr 1
		.amdhsa_next_free_sgpr 0
		.amdhsa_reserve_vcc 0
		.amdhsa_reserve_flat_scratch 0
		.amdhsa_float_round_mode_32 0
		.amdhsa_float_round_mode_16_64 0
		.amdhsa_float_denorm_mode_32 3
		.amdhsa_float_denorm_mode_16_64 3
		.amdhsa_dx10_clamp 1
		.amdhsa_ieee_mode 1
		.amdhsa_fp16_overflow 0
		.amdhsa_exception_fp_ieee_invalid_op 0
		.amdhsa_exception_fp_denorm_src 0
		.amdhsa_exception_fp_ieee_div_zero 0
		.amdhsa_exception_fp_ieee_overflow 0
		.amdhsa_exception_fp_ieee_underflow 0
		.amdhsa_exception_fp_ieee_inexact 0
		.amdhsa_exception_int_div_zero 0
	.end_amdhsa_kernel
	.section	.text._ZN7rocprim17ROCPRIM_400000_NS6detail17trampoline_kernelINS0_14default_configENS1_22reduce_config_selectorIlEEZNS1_11reduce_implILb1ES3_N6thrust23THRUST_200600_302600_NS11hip_rocprim26transform_input_iterator_tIlNS8_12zip_iteratorINS8_5tupleINS8_6detail15normal_iteratorINS8_10device_ptrIfEEEESH_NS8_9null_typeESI_SI_SI_SI_SI_SI_SI_EEEENS9_21zip_adj_not_predicateI22is_equal_div_10_uniqueIfEEEEEPllNS8_4plusIlEEEE10hipError_tPvRmT1_T2_T3_mT4_P12ihipStream_tbEUlT_E1_NS1_11comp_targetILNS1_3genE10ELNS1_11target_archE1201ELNS1_3gpuE5ELNS1_3repE0EEENS1_30default_config_static_selectorELNS0_4arch9wavefront6targetE1EEEvSW_,"axG",@progbits,_ZN7rocprim17ROCPRIM_400000_NS6detail17trampoline_kernelINS0_14default_configENS1_22reduce_config_selectorIlEEZNS1_11reduce_implILb1ES3_N6thrust23THRUST_200600_302600_NS11hip_rocprim26transform_input_iterator_tIlNS8_12zip_iteratorINS8_5tupleINS8_6detail15normal_iteratorINS8_10device_ptrIfEEEESH_NS8_9null_typeESI_SI_SI_SI_SI_SI_SI_EEEENS9_21zip_adj_not_predicateI22is_equal_div_10_uniqueIfEEEEEPllNS8_4plusIlEEEE10hipError_tPvRmT1_T2_T3_mT4_P12ihipStream_tbEUlT_E1_NS1_11comp_targetILNS1_3genE10ELNS1_11target_archE1201ELNS1_3gpuE5ELNS1_3repE0EEENS1_30default_config_static_selectorELNS0_4arch9wavefront6targetE1EEEvSW_,comdat
.Lfunc_end811:
	.size	_ZN7rocprim17ROCPRIM_400000_NS6detail17trampoline_kernelINS0_14default_configENS1_22reduce_config_selectorIlEEZNS1_11reduce_implILb1ES3_N6thrust23THRUST_200600_302600_NS11hip_rocprim26transform_input_iterator_tIlNS8_12zip_iteratorINS8_5tupleINS8_6detail15normal_iteratorINS8_10device_ptrIfEEEESH_NS8_9null_typeESI_SI_SI_SI_SI_SI_SI_EEEENS9_21zip_adj_not_predicateI22is_equal_div_10_uniqueIfEEEEEPllNS8_4plusIlEEEE10hipError_tPvRmT1_T2_T3_mT4_P12ihipStream_tbEUlT_E1_NS1_11comp_targetILNS1_3genE10ELNS1_11target_archE1201ELNS1_3gpuE5ELNS1_3repE0EEENS1_30default_config_static_selectorELNS0_4arch9wavefront6targetE1EEEvSW_, .Lfunc_end811-_ZN7rocprim17ROCPRIM_400000_NS6detail17trampoline_kernelINS0_14default_configENS1_22reduce_config_selectorIlEEZNS1_11reduce_implILb1ES3_N6thrust23THRUST_200600_302600_NS11hip_rocprim26transform_input_iterator_tIlNS8_12zip_iteratorINS8_5tupleINS8_6detail15normal_iteratorINS8_10device_ptrIfEEEESH_NS8_9null_typeESI_SI_SI_SI_SI_SI_SI_EEEENS9_21zip_adj_not_predicateI22is_equal_div_10_uniqueIfEEEEEPllNS8_4plusIlEEEE10hipError_tPvRmT1_T2_T3_mT4_P12ihipStream_tbEUlT_E1_NS1_11comp_targetILNS1_3genE10ELNS1_11target_archE1201ELNS1_3gpuE5ELNS1_3repE0EEENS1_30default_config_static_selectorELNS0_4arch9wavefront6targetE1EEEvSW_
                                        ; -- End function
	.set _ZN7rocprim17ROCPRIM_400000_NS6detail17trampoline_kernelINS0_14default_configENS1_22reduce_config_selectorIlEEZNS1_11reduce_implILb1ES3_N6thrust23THRUST_200600_302600_NS11hip_rocprim26transform_input_iterator_tIlNS8_12zip_iteratorINS8_5tupleINS8_6detail15normal_iteratorINS8_10device_ptrIfEEEESH_NS8_9null_typeESI_SI_SI_SI_SI_SI_SI_EEEENS9_21zip_adj_not_predicateI22is_equal_div_10_uniqueIfEEEEEPllNS8_4plusIlEEEE10hipError_tPvRmT1_T2_T3_mT4_P12ihipStream_tbEUlT_E1_NS1_11comp_targetILNS1_3genE10ELNS1_11target_archE1201ELNS1_3gpuE5ELNS1_3repE0EEENS1_30default_config_static_selectorELNS0_4arch9wavefront6targetE1EEEvSW_.num_vgpr, 0
	.set _ZN7rocprim17ROCPRIM_400000_NS6detail17trampoline_kernelINS0_14default_configENS1_22reduce_config_selectorIlEEZNS1_11reduce_implILb1ES3_N6thrust23THRUST_200600_302600_NS11hip_rocprim26transform_input_iterator_tIlNS8_12zip_iteratorINS8_5tupleINS8_6detail15normal_iteratorINS8_10device_ptrIfEEEESH_NS8_9null_typeESI_SI_SI_SI_SI_SI_SI_EEEENS9_21zip_adj_not_predicateI22is_equal_div_10_uniqueIfEEEEEPllNS8_4plusIlEEEE10hipError_tPvRmT1_T2_T3_mT4_P12ihipStream_tbEUlT_E1_NS1_11comp_targetILNS1_3genE10ELNS1_11target_archE1201ELNS1_3gpuE5ELNS1_3repE0EEENS1_30default_config_static_selectorELNS0_4arch9wavefront6targetE1EEEvSW_.num_agpr, 0
	.set _ZN7rocprim17ROCPRIM_400000_NS6detail17trampoline_kernelINS0_14default_configENS1_22reduce_config_selectorIlEEZNS1_11reduce_implILb1ES3_N6thrust23THRUST_200600_302600_NS11hip_rocprim26transform_input_iterator_tIlNS8_12zip_iteratorINS8_5tupleINS8_6detail15normal_iteratorINS8_10device_ptrIfEEEESH_NS8_9null_typeESI_SI_SI_SI_SI_SI_SI_EEEENS9_21zip_adj_not_predicateI22is_equal_div_10_uniqueIfEEEEEPllNS8_4plusIlEEEE10hipError_tPvRmT1_T2_T3_mT4_P12ihipStream_tbEUlT_E1_NS1_11comp_targetILNS1_3genE10ELNS1_11target_archE1201ELNS1_3gpuE5ELNS1_3repE0EEENS1_30default_config_static_selectorELNS0_4arch9wavefront6targetE1EEEvSW_.numbered_sgpr, 0
	.set _ZN7rocprim17ROCPRIM_400000_NS6detail17trampoline_kernelINS0_14default_configENS1_22reduce_config_selectorIlEEZNS1_11reduce_implILb1ES3_N6thrust23THRUST_200600_302600_NS11hip_rocprim26transform_input_iterator_tIlNS8_12zip_iteratorINS8_5tupleINS8_6detail15normal_iteratorINS8_10device_ptrIfEEEESH_NS8_9null_typeESI_SI_SI_SI_SI_SI_SI_EEEENS9_21zip_adj_not_predicateI22is_equal_div_10_uniqueIfEEEEEPllNS8_4plusIlEEEE10hipError_tPvRmT1_T2_T3_mT4_P12ihipStream_tbEUlT_E1_NS1_11comp_targetILNS1_3genE10ELNS1_11target_archE1201ELNS1_3gpuE5ELNS1_3repE0EEENS1_30default_config_static_selectorELNS0_4arch9wavefront6targetE1EEEvSW_.num_named_barrier, 0
	.set _ZN7rocprim17ROCPRIM_400000_NS6detail17trampoline_kernelINS0_14default_configENS1_22reduce_config_selectorIlEEZNS1_11reduce_implILb1ES3_N6thrust23THRUST_200600_302600_NS11hip_rocprim26transform_input_iterator_tIlNS8_12zip_iteratorINS8_5tupleINS8_6detail15normal_iteratorINS8_10device_ptrIfEEEESH_NS8_9null_typeESI_SI_SI_SI_SI_SI_SI_EEEENS9_21zip_adj_not_predicateI22is_equal_div_10_uniqueIfEEEEEPllNS8_4plusIlEEEE10hipError_tPvRmT1_T2_T3_mT4_P12ihipStream_tbEUlT_E1_NS1_11comp_targetILNS1_3genE10ELNS1_11target_archE1201ELNS1_3gpuE5ELNS1_3repE0EEENS1_30default_config_static_selectorELNS0_4arch9wavefront6targetE1EEEvSW_.private_seg_size, 0
	.set _ZN7rocprim17ROCPRIM_400000_NS6detail17trampoline_kernelINS0_14default_configENS1_22reduce_config_selectorIlEEZNS1_11reduce_implILb1ES3_N6thrust23THRUST_200600_302600_NS11hip_rocprim26transform_input_iterator_tIlNS8_12zip_iteratorINS8_5tupleINS8_6detail15normal_iteratorINS8_10device_ptrIfEEEESH_NS8_9null_typeESI_SI_SI_SI_SI_SI_SI_EEEENS9_21zip_adj_not_predicateI22is_equal_div_10_uniqueIfEEEEEPllNS8_4plusIlEEEE10hipError_tPvRmT1_T2_T3_mT4_P12ihipStream_tbEUlT_E1_NS1_11comp_targetILNS1_3genE10ELNS1_11target_archE1201ELNS1_3gpuE5ELNS1_3repE0EEENS1_30default_config_static_selectorELNS0_4arch9wavefront6targetE1EEEvSW_.uses_vcc, 0
	.set _ZN7rocprim17ROCPRIM_400000_NS6detail17trampoline_kernelINS0_14default_configENS1_22reduce_config_selectorIlEEZNS1_11reduce_implILb1ES3_N6thrust23THRUST_200600_302600_NS11hip_rocprim26transform_input_iterator_tIlNS8_12zip_iteratorINS8_5tupleINS8_6detail15normal_iteratorINS8_10device_ptrIfEEEESH_NS8_9null_typeESI_SI_SI_SI_SI_SI_SI_EEEENS9_21zip_adj_not_predicateI22is_equal_div_10_uniqueIfEEEEEPllNS8_4plusIlEEEE10hipError_tPvRmT1_T2_T3_mT4_P12ihipStream_tbEUlT_E1_NS1_11comp_targetILNS1_3genE10ELNS1_11target_archE1201ELNS1_3gpuE5ELNS1_3repE0EEENS1_30default_config_static_selectorELNS0_4arch9wavefront6targetE1EEEvSW_.uses_flat_scratch, 0
	.set _ZN7rocprim17ROCPRIM_400000_NS6detail17trampoline_kernelINS0_14default_configENS1_22reduce_config_selectorIlEEZNS1_11reduce_implILb1ES3_N6thrust23THRUST_200600_302600_NS11hip_rocprim26transform_input_iterator_tIlNS8_12zip_iteratorINS8_5tupleINS8_6detail15normal_iteratorINS8_10device_ptrIfEEEESH_NS8_9null_typeESI_SI_SI_SI_SI_SI_SI_EEEENS9_21zip_adj_not_predicateI22is_equal_div_10_uniqueIfEEEEEPllNS8_4plusIlEEEE10hipError_tPvRmT1_T2_T3_mT4_P12ihipStream_tbEUlT_E1_NS1_11comp_targetILNS1_3genE10ELNS1_11target_archE1201ELNS1_3gpuE5ELNS1_3repE0EEENS1_30default_config_static_selectorELNS0_4arch9wavefront6targetE1EEEvSW_.has_dyn_sized_stack, 0
	.set _ZN7rocprim17ROCPRIM_400000_NS6detail17trampoline_kernelINS0_14default_configENS1_22reduce_config_selectorIlEEZNS1_11reduce_implILb1ES3_N6thrust23THRUST_200600_302600_NS11hip_rocprim26transform_input_iterator_tIlNS8_12zip_iteratorINS8_5tupleINS8_6detail15normal_iteratorINS8_10device_ptrIfEEEESH_NS8_9null_typeESI_SI_SI_SI_SI_SI_SI_EEEENS9_21zip_adj_not_predicateI22is_equal_div_10_uniqueIfEEEEEPllNS8_4plusIlEEEE10hipError_tPvRmT1_T2_T3_mT4_P12ihipStream_tbEUlT_E1_NS1_11comp_targetILNS1_3genE10ELNS1_11target_archE1201ELNS1_3gpuE5ELNS1_3repE0EEENS1_30default_config_static_selectorELNS0_4arch9wavefront6targetE1EEEvSW_.has_recursion, 0
	.set _ZN7rocprim17ROCPRIM_400000_NS6detail17trampoline_kernelINS0_14default_configENS1_22reduce_config_selectorIlEEZNS1_11reduce_implILb1ES3_N6thrust23THRUST_200600_302600_NS11hip_rocprim26transform_input_iterator_tIlNS8_12zip_iteratorINS8_5tupleINS8_6detail15normal_iteratorINS8_10device_ptrIfEEEESH_NS8_9null_typeESI_SI_SI_SI_SI_SI_SI_EEEENS9_21zip_adj_not_predicateI22is_equal_div_10_uniqueIfEEEEEPllNS8_4plusIlEEEE10hipError_tPvRmT1_T2_T3_mT4_P12ihipStream_tbEUlT_E1_NS1_11comp_targetILNS1_3genE10ELNS1_11target_archE1201ELNS1_3gpuE5ELNS1_3repE0EEENS1_30default_config_static_selectorELNS0_4arch9wavefront6targetE1EEEvSW_.has_indirect_call, 0
	.section	.AMDGPU.csdata,"",@progbits
; Kernel info:
; codeLenInByte = 0
; TotalNumSgprs: 4
; NumVgprs: 0
; ScratchSize: 0
; MemoryBound: 0
; FloatMode: 240
; IeeeMode: 1
; LDSByteSize: 0 bytes/workgroup (compile time only)
; SGPRBlocks: 0
; VGPRBlocks: 0
; NumSGPRsForWavesPerEU: 4
; NumVGPRsForWavesPerEU: 1
; Occupancy: 10
; WaveLimiterHint : 0
; COMPUTE_PGM_RSRC2:SCRATCH_EN: 0
; COMPUTE_PGM_RSRC2:USER_SGPR: 6
; COMPUTE_PGM_RSRC2:TRAP_HANDLER: 0
; COMPUTE_PGM_RSRC2:TGID_X_EN: 1
; COMPUTE_PGM_RSRC2:TGID_Y_EN: 0
; COMPUTE_PGM_RSRC2:TGID_Z_EN: 0
; COMPUTE_PGM_RSRC2:TIDIG_COMP_CNT: 0
	.section	.text._ZN7rocprim17ROCPRIM_400000_NS6detail17trampoline_kernelINS0_14default_configENS1_22reduce_config_selectorIlEEZNS1_11reduce_implILb1ES3_N6thrust23THRUST_200600_302600_NS11hip_rocprim26transform_input_iterator_tIlNS8_12zip_iteratorINS8_5tupleINS8_6detail15normal_iteratorINS8_10device_ptrIfEEEESH_NS8_9null_typeESI_SI_SI_SI_SI_SI_SI_EEEENS9_21zip_adj_not_predicateI22is_equal_div_10_uniqueIfEEEEEPllNS8_4plusIlEEEE10hipError_tPvRmT1_T2_T3_mT4_P12ihipStream_tbEUlT_E1_NS1_11comp_targetILNS1_3genE10ELNS1_11target_archE1200ELNS1_3gpuE4ELNS1_3repE0EEENS1_30default_config_static_selectorELNS0_4arch9wavefront6targetE1EEEvSW_,"axG",@progbits,_ZN7rocprim17ROCPRIM_400000_NS6detail17trampoline_kernelINS0_14default_configENS1_22reduce_config_selectorIlEEZNS1_11reduce_implILb1ES3_N6thrust23THRUST_200600_302600_NS11hip_rocprim26transform_input_iterator_tIlNS8_12zip_iteratorINS8_5tupleINS8_6detail15normal_iteratorINS8_10device_ptrIfEEEESH_NS8_9null_typeESI_SI_SI_SI_SI_SI_SI_EEEENS9_21zip_adj_not_predicateI22is_equal_div_10_uniqueIfEEEEEPllNS8_4plusIlEEEE10hipError_tPvRmT1_T2_T3_mT4_P12ihipStream_tbEUlT_E1_NS1_11comp_targetILNS1_3genE10ELNS1_11target_archE1200ELNS1_3gpuE4ELNS1_3repE0EEENS1_30default_config_static_selectorELNS0_4arch9wavefront6targetE1EEEvSW_,comdat
	.protected	_ZN7rocprim17ROCPRIM_400000_NS6detail17trampoline_kernelINS0_14default_configENS1_22reduce_config_selectorIlEEZNS1_11reduce_implILb1ES3_N6thrust23THRUST_200600_302600_NS11hip_rocprim26transform_input_iterator_tIlNS8_12zip_iteratorINS8_5tupleINS8_6detail15normal_iteratorINS8_10device_ptrIfEEEESH_NS8_9null_typeESI_SI_SI_SI_SI_SI_SI_EEEENS9_21zip_adj_not_predicateI22is_equal_div_10_uniqueIfEEEEEPllNS8_4plusIlEEEE10hipError_tPvRmT1_T2_T3_mT4_P12ihipStream_tbEUlT_E1_NS1_11comp_targetILNS1_3genE10ELNS1_11target_archE1200ELNS1_3gpuE4ELNS1_3repE0EEENS1_30default_config_static_selectorELNS0_4arch9wavefront6targetE1EEEvSW_ ; -- Begin function _ZN7rocprim17ROCPRIM_400000_NS6detail17trampoline_kernelINS0_14default_configENS1_22reduce_config_selectorIlEEZNS1_11reduce_implILb1ES3_N6thrust23THRUST_200600_302600_NS11hip_rocprim26transform_input_iterator_tIlNS8_12zip_iteratorINS8_5tupleINS8_6detail15normal_iteratorINS8_10device_ptrIfEEEESH_NS8_9null_typeESI_SI_SI_SI_SI_SI_SI_EEEENS9_21zip_adj_not_predicateI22is_equal_div_10_uniqueIfEEEEEPllNS8_4plusIlEEEE10hipError_tPvRmT1_T2_T3_mT4_P12ihipStream_tbEUlT_E1_NS1_11comp_targetILNS1_3genE10ELNS1_11target_archE1200ELNS1_3gpuE4ELNS1_3repE0EEENS1_30default_config_static_selectorELNS0_4arch9wavefront6targetE1EEEvSW_
	.globl	_ZN7rocprim17ROCPRIM_400000_NS6detail17trampoline_kernelINS0_14default_configENS1_22reduce_config_selectorIlEEZNS1_11reduce_implILb1ES3_N6thrust23THRUST_200600_302600_NS11hip_rocprim26transform_input_iterator_tIlNS8_12zip_iteratorINS8_5tupleINS8_6detail15normal_iteratorINS8_10device_ptrIfEEEESH_NS8_9null_typeESI_SI_SI_SI_SI_SI_SI_EEEENS9_21zip_adj_not_predicateI22is_equal_div_10_uniqueIfEEEEEPllNS8_4plusIlEEEE10hipError_tPvRmT1_T2_T3_mT4_P12ihipStream_tbEUlT_E1_NS1_11comp_targetILNS1_3genE10ELNS1_11target_archE1200ELNS1_3gpuE4ELNS1_3repE0EEENS1_30default_config_static_selectorELNS0_4arch9wavefront6targetE1EEEvSW_
	.p2align	8
	.type	_ZN7rocprim17ROCPRIM_400000_NS6detail17trampoline_kernelINS0_14default_configENS1_22reduce_config_selectorIlEEZNS1_11reduce_implILb1ES3_N6thrust23THRUST_200600_302600_NS11hip_rocprim26transform_input_iterator_tIlNS8_12zip_iteratorINS8_5tupleINS8_6detail15normal_iteratorINS8_10device_ptrIfEEEESH_NS8_9null_typeESI_SI_SI_SI_SI_SI_SI_EEEENS9_21zip_adj_not_predicateI22is_equal_div_10_uniqueIfEEEEEPllNS8_4plusIlEEEE10hipError_tPvRmT1_T2_T3_mT4_P12ihipStream_tbEUlT_E1_NS1_11comp_targetILNS1_3genE10ELNS1_11target_archE1200ELNS1_3gpuE4ELNS1_3repE0EEENS1_30default_config_static_selectorELNS0_4arch9wavefront6targetE1EEEvSW_,@function
_ZN7rocprim17ROCPRIM_400000_NS6detail17trampoline_kernelINS0_14default_configENS1_22reduce_config_selectorIlEEZNS1_11reduce_implILb1ES3_N6thrust23THRUST_200600_302600_NS11hip_rocprim26transform_input_iterator_tIlNS8_12zip_iteratorINS8_5tupleINS8_6detail15normal_iteratorINS8_10device_ptrIfEEEESH_NS8_9null_typeESI_SI_SI_SI_SI_SI_SI_EEEENS9_21zip_adj_not_predicateI22is_equal_div_10_uniqueIfEEEEEPllNS8_4plusIlEEEE10hipError_tPvRmT1_T2_T3_mT4_P12ihipStream_tbEUlT_E1_NS1_11comp_targetILNS1_3genE10ELNS1_11target_archE1200ELNS1_3gpuE4ELNS1_3repE0EEENS1_30default_config_static_selectorELNS0_4arch9wavefront6targetE1EEEvSW_: ; @_ZN7rocprim17ROCPRIM_400000_NS6detail17trampoline_kernelINS0_14default_configENS1_22reduce_config_selectorIlEEZNS1_11reduce_implILb1ES3_N6thrust23THRUST_200600_302600_NS11hip_rocprim26transform_input_iterator_tIlNS8_12zip_iteratorINS8_5tupleINS8_6detail15normal_iteratorINS8_10device_ptrIfEEEESH_NS8_9null_typeESI_SI_SI_SI_SI_SI_SI_EEEENS9_21zip_adj_not_predicateI22is_equal_div_10_uniqueIfEEEEEPllNS8_4plusIlEEEE10hipError_tPvRmT1_T2_T3_mT4_P12ihipStream_tbEUlT_E1_NS1_11comp_targetILNS1_3genE10ELNS1_11target_archE1200ELNS1_3gpuE4ELNS1_3repE0EEENS1_30default_config_static_selectorELNS0_4arch9wavefront6targetE1EEEvSW_
; %bb.0:
	.section	.rodata,"a",@progbits
	.p2align	6, 0x0
	.amdhsa_kernel _ZN7rocprim17ROCPRIM_400000_NS6detail17trampoline_kernelINS0_14default_configENS1_22reduce_config_selectorIlEEZNS1_11reduce_implILb1ES3_N6thrust23THRUST_200600_302600_NS11hip_rocprim26transform_input_iterator_tIlNS8_12zip_iteratorINS8_5tupleINS8_6detail15normal_iteratorINS8_10device_ptrIfEEEESH_NS8_9null_typeESI_SI_SI_SI_SI_SI_SI_EEEENS9_21zip_adj_not_predicateI22is_equal_div_10_uniqueIfEEEEEPllNS8_4plusIlEEEE10hipError_tPvRmT1_T2_T3_mT4_P12ihipStream_tbEUlT_E1_NS1_11comp_targetILNS1_3genE10ELNS1_11target_archE1200ELNS1_3gpuE4ELNS1_3repE0EEENS1_30default_config_static_selectorELNS0_4arch9wavefront6targetE1EEEvSW_
		.amdhsa_group_segment_fixed_size 0
		.amdhsa_private_segment_fixed_size 0
		.amdhsa_kernarg_size 64
		.amdhsa_user_sgpr_count 6
		.amdhsa_user_sgpr_private_segment_buffer 1
		.amdhsa_user_sgpr_dispatch_ptr 0
		.amdhsa_user_sgpr_queue_ptr 0
		.amdhsa_user_sgpr_kernarg_segment_ptr 1
		.amdhsa_user_sgpr_dispatch_id 0
		.amdhsa_user_sgpr_flat_scratch_init 0
		.amdhsa_user_sgpr_private_segment_size 0
		.amdhsa_uses_dynamic_stack 0
		.amdhsa_system_sgpr_private_segment_wavefront_offset 0
		.amdhsa_system_sgpr_workgroup_id_x 1
		.amdhsa_system_sgpr_workgroup_id_y 0
		.amdhsa_system_sgpr_workgroup_id_z 0
		.amdhsa_system_sgpr_workgroup_info 0
		.amdhsa_system_vgpr_workitem_id 0
		.amdhsa_next_free_vgpr 1
		.amdhsa_next_free_sgpr 0
		.amdhsa_reserve_vcc 0
		.amdhsa_reserve_flat_scratch 0
		.amdhsa_float_round_mode_32 0
		.amdhsa_float_round_mode_16_64 0
		.amdhsa_float_denorm_mode_32 3
		.amdhsa_float_denorm_mode_16_64 3
		.amdhsa_dx10_clamp 1
		.amdhsa_ieee_mode 1
		.amdhsa_fp16_overflow 0
		.amdhsa_exception_fp_ieee_invalid_op 0
		.amdhsa_exception_fp_denorm_src 0
		.amdhsa_exception_fp_ieee_div_zero 0
		.amdhsa_exception_fp_ieee_overflow 0
		.amdhsa_exception_fp_ieee_underflow 0
		.amdhsa_exception_fp_ieee_inexact 0
		.amdhsa_exception_int_div_zero 0
	.end_amdhsa_kernel
	.section	.text._ZN7rocprim17ROCPRIM_400000_NS6detail17trampoline_kernelINS0_14default_configENS1_22reduce_config_selectorIlEEZNS1_11reduce_implILb1ES3_N6thrust23THRUST_200600_302600_NS11hip_rocprim26transform_input_iterator_tIlNS8_12zip_iteratorINS8_5tupleINS8_6detail15normal_iteratorINS8_10device_ptrIfEEEESH_NS8_9null_typeESI_SI_SI_SI_SI_SI_SI_EEEENS9_21zip_adj_not_predicateI22is_equal_div_10_uniqueIfEEEEEPllNS8_4plusIlEEEE10hipError_tPvRmT1_T2_T3_mT4_P12ihipStream_tbEUlT_E1_NS1_11comp_targetILNS1_3genE10ELNS1_11target_archE1200ELNS1_3gpuE4ELNS1_3repE0EEENS1_30default_config_static_selectorELNS0_4arch9wavefront6targetE1EEEvSW_,"axG",@progbits,_ZN7rocprim17ROCPRIM_400000_NS6detail17trampoline_kernelINS0_14default_configENS1_22reduce_config_selectorIlEEZNS1_11reduce_implILb1ES3_N6thrust23THRUST_200600_302600_NS11hip_rocprim26transform_input_iterator_tIlNS8_12zip_iteratorINS8_5tupleINS8_6detail15normal_iteratorINS8_10device_ptrIfEEEESH_NS8_9null_typeESI_SI_SI_SI_SI_SI_SI_EEEENS9_21zip_adj_not_predicateI22is_equal_div_10_uniqueIfEEEEEPllNS8_4plusIlEEEE10hipError_tPvRmT1_T2_T3_mT4_P12ihipStream_tbEUlT_E1_NS1_11comp_targetILNS1_3genE10ELNS1_11target_archE1200ELNS1_3gpuE4ELNS1_3repE0EEENS1_30default_config_static_selectorELNS0_4arch9wavefront6targetE1EEEvSW_,comdat
.Lfunc_end812:
	.size	_ZN7rocprim17ROCPRIM_400000_NS6detail17trampoline_kernelINS0_14default_configENS1_22reduce_config_selectorIlEEZNS1_11reduce_implILb1ES3_N6thrust23THRUST_200600_302600_NS11hip_rocprim26transform_input_iterator_tIlNS8_12zip_iteratorINS8_5tupleINS8_6detail15normal_iteratorINS8_10device_ptrIfEEEESH_NS8_9null_typeESI_SI_SI_SI_SI_SI_SI_EEEENS9_21zip_adj_not_predicateI22is_equal_div_10_uniqueIfEEEEEPllNS8_4plusIlEEEE10hipError_tPvRmT1_T2_T3_mT4_P12ihipStream_tbEUlT_E1_NS1_11comp_targetILNS1_3genE10ELNS1_11target_archE1200ELNS1_3gpuE4ELNS1_3repE0EEENS1_30default_config_static_selectorELNS0_4arch9wavefront6targetE1EEEvSW_, .Lfunc_end812-_ZN7rocprim17ROCPRIM_400000_NS6detail17trampoline_kernelINS0_14default_configENS1_22reduce_config_selectorIlEEZNS1_11reduce_implILb1ES3_N6thrust23THRUST_200600_302600_NS11hip_rocprim26transform_input_iterator_tIlNS8_12zip_iteratorINS8_5tupleINS8_6detail15normal_iteratorINS8_10device_ptrIfEEEESH_NS8_9null_typeESI_SI_SI_SI_SI_SI_SI_EEEENS9_21zip_adj_not_predicateI22is_equal_div_10_uniqueIfEEEEEPllNS8_4plusIlEEEE10hipError_tPvRmT1_T2_T3_mT4_P12ihipStream_tbEUlT_E1_NS1_11comp_targetILNS1_3genE10ELNS1_11target_archE1200ELNS1_3gpuE4ELNS1_3repE0EEENS1_30default_config_static_selectorELNS0_4arch9wavefront6targetE1EEEvSW_
                                        ; -- End function
	.set _ZN7rocprim17ROCPRIM_400000_NS6detail17trampoline_kernelINS0_14default_configENS1_22reduce_config_selectorIlEEZNS1_11reduce_implILb1ES3_N6thrust23THRUST_200600_302600_NS11hip_rocprim26transform_input_iterator_tIlNS8_12zip_iteratorINS8_5tupleINS8_6detail15normal_iteratorINS8_10device_ptrIfEEEESH_NS8_9null_typeESI_SI_SI_SI_SI_SI_SI_EEEENS9_21zip_adj_not_predicateI22is_equal_div_10_uniqueIfEEEEEPllNS8_4plusIlEEEE10hipError_tPvRmT1_T2_T3_mT4_P12ihipStream_tbEUlT_E1_NS1_11comp_targetILNS1_3genE10ELNS1_11target_archE1200ELNS1_3gpuE4ELNS1_3repE0EEENS1_30default_config_static_selectorELNS0_4arch9wavefront6targetE1EEEvSW_.num_vgpr, 0
	.set _ZN7rocprim17ROCPRIM_400000_NS6detail17trampoline_kernelINS0_14default_configENS1_22reduce_config_selectorIlEEZNS1_11reduce_implILb1ES3_N6thrust23THRUST_200600_302600_NS11hip_rocprim26transform_input_iterator_tIlNS8_12zip_iteratorINS8_5tupleINS8_6detail15normal_iteratorINS8_10device_ptrIfEEEESH_NS8_9null_typeESI_SI_SI_SI_SI_SI_SI_EEEENS9_21zip_adj_not_predicateI22is_equal_div_10_uniqueIfEEEEEPllNS8_4plusIlEEEE10hipError_tPvRmT1_T2_T3_mT4_P12ihipStream_tbEUlT_E1_NS1_11comp_targetILNS1_3genE10ELNS1_11target_archE1200ELNS1_3gpuE4ELNS1_3repE0EEENS1_30default_config_static_selectorELNS0_4arch9wavefront6targetE1EEEvSW_.num_agpr, 0
	.set _ZN7rocprim17ROCPRIM_400000_NS6detail17trampoline_kernelINS0_14default_configENS1_22reduce_config_selectorIlEEZNS1_11reduce_implILb1ES3_N6thrust23THRUST_200600_302600_NS11hip_rocprim26transform_input_iterator_tIlNS8_12zip_iteratorINS8_5tupleINS8_6detail15normal_iteratorINS8_10device_ptrIfEEEESH_NS8_9null_typeESI_SI_SI_SI_SI_SI_SI_EEEENS9_21zip_adj_not_predicateI22is_equal_div_10_uniqueIfEEEEEPllNS8_4plusIlEEEE10hipError_tPvRmT1_T2_T3_mT4_P12ihipStream_tbEUlT_E1_NS1_11comp_targetILNS1_3genE10ELNS1_11target_archE1200ELNS1_3gpuE4ELNS1_3repE0EEENS1_30default_config_static_selectorELNS0_4arch9wavefront6targetE1EEEvSW_.numbered_sgpr, 0
	.set _ZN7rocprim17ROCPRIM_400000_NS6detail17trampoline_kernelINS0_14default_configENS1_22reduce_config_selectorIlEEZNS1_11reduce_implILb1ES3_N6thrust23THRUST_200600_302600_NS11hip_rocprim26transform_input_iterator_tIlNS8_12zip_iteratorINS8_5tupleINS8_6detail15normal_iteratorINS8_10device_ptrIfEEEESH_NS8_9null_typeESI_SI_SI_SI_SI_SI_SI_EEEENS9_21zip_adj_not_predicateI22is_equal_div_10_uniqueIfEEEEEPllNS8_4plusIlEEEE10hipError_tPvRmT1_T2_T3_mT4_P12ihipStream_tbEUlT_E1_NS1_11comp_targetILNS1_3genE10ELNS1_11target_archE1200ELNS1_3gpuE4ELNS1_3repE0EEENS1_30default_config_static_selectorELNS0_4arch9wavefront6targetE1EEEvSW_.num_named_barrier, 0
	.set _ZN7rocprim17ROCPRIM_400000_NS6detail17trampoline_kernelINS0_14default_configENS1_22reduce_config_selectorIlEEZNS1_11reduce_implILb1ES3_N6thrust23THRUST_200600_302600_NS11hip_rocprim26transform_input_iterator_tIlNS8_12zip_iteratorINS8_5tupleINS8_6detail15normal_iteratorINS8_10device_ptrIfEEEESH_NS8_9null_typeESI_SI_SI_SI_SI_SI_SI_EEEENS9_21zip_adj_not_predicateI22is_equal_div_10_uniqueIfEEEEEPllNS8_4plusIlEEEE10hipError_tPvRmT1_T2_T3_mT4_P12ihipStream_tbEUlT_E1_NS1_11comp_targetILNS1_3genE10ELNS1_11target_archE1200ELNS1_3gpuE4ELNS1_3repE0EEENS1_30default_config_static_selectorELNS0_4arch9wavefront6targetE1EEEvSW_.private_seg_size, 0
	.set _ZN7rocprim17ROCPRIM_400000_NS6detail17trampoline_kernelINS0_14default_configENS1_22reduce_config_selectorIlEEZNS1_11reduce_implILb1ES3_N6thrust23THRUST_200600_302600_NS11hip_rocprim26transform_input_iterator_tIlNS8_12zip_iteratorINS8_5tupleINS8_6detail15normal_iteratorINS8_10device_ptrIfEEEESH_NS8_9null_typeESI_SI_SI_SI_SI_SI_SI_EEEENS9_21zip_adj_not_predicateI22is_equal_div_10_uniqueIfEEEEEPllNS8_4plusIlEEEE10hipError_tPvRmT1_T2_T3_mT4_P12ihipStream_tbEUlT_E1_NS1_11comp_targetILNS1_3genE10ELNS1_11target_archE1200ELNS1_3gpuE4ELNS1_3repE0EEENS1_30default_config_static_selectorELNS0_4arch9wavefront6targetE1EEEvSW_.uses_vcc, 0
	.set _ZN7rocprim17ROCPRIM_400000_NS6detail17trampoline_kernelINS0_14default_configENS1_22reduce_config_selectorIlEEZNS1_11reduce_implILb1ES3_N6thrust23THRUST_200600_302600_NS11hip_rocprim26transform_input_iterator_tIlNS8_12zip_iteratorINS8_5tupleINS8_6detail15normal_iteratorINS8_10device_ptrIfEEEESH_NS8_9null_typeESI_SI_SI_SI_SI_SI_SI_EEEENS9_21zip_adj_not_predicateI22is_equal_div_10_uniqueIfEEEEEPllNS8_4plusIlEEEE10hipError_tPvRmT1_T2_T3_mT4_P12ihipStream_tbEUlT_E1_NS1_11comp_targetILNS1_3genE10ELNS1_11target_archE1200ELNS1_3gpuE4ELNS1_3repE0EEENS1_30default_config_static_selectorELNS0_4arch9wavefront6targetE1EEEvSW_.uses_flat_scratch, 0
	.set _ZN7rocprim17ROCPRIM_400000_NS6detail17trampoline_kernelINS0_14default_configENS1_22reduce_config_selectorIlEEZNS1_11reduce_implILb1ES3_N6thrust23THRUST_200600_302600_NS11hip_rocprim26transform_input_iterator_tIlNS8_12zip_iteratorINS8_5tupleINS8_6detail15normal_iteratorINS8_10device_ptrIfEEEESH_NS8_9null_typeESI_SI_SI_SI_SI_SI_SI_EEEENS9_21zip_adj_not_predicateI22is_equal_div_10_uniqueIfEEEEEPllNS8_4plusIlEEEE10hipError_tPvRmT1_T2_T3_mT4_P12ihipStream_tbEUlT_E1_NS1_11comp_targetILNS1_3genE10ELNS1_11target_archE1200ELNS1_3gpuE4ELNS1_3repE0EEENS1_30default_config_static_selectorELNS0_4arch9wavefront6targetE1EEEvSW_.has_dyn_sized_stack, 0
	.set _ZN7rocprim17ROCPRIM_400000_NS6detail17trampoline_kernelINS0_14default_configENS1_22reduce_config_selectorIlEEZNS1_11reduce_implILb1ES3_N6thrust23THRUST_200600_302600_NS11hip_rocprim26transform_input_iterator_tIlNS8_12zip_iteratorINS8_5tupleINS8_6detail15normal_iteratorINS8_10device_ptrIfEEEESH_NS8_9null_typeESI_SI_SI_SI_SI_SI_SI_EEEENS9_21zip_adj_not_predicateI22is_equal_div_10_uniqueIfEEEEEPllNS8_4plusIlEEEE10hipError_tPvRmT1_T2_T3_mT4_P12ihipStream_tbEUlT_E1_NS1_11comp_targetILNS1_3genE10ELNS1_11target_archE1200ELNS1_3gpuE4ELNS1_3repE0EEENS1_30default_config_static_selectorELNS0_4arch9wavefront6targetE1EEEvSW_.has_recursion, 0
	.set _ZN7rocprim17ROCPRIM_400000_NS6detail17trampoline_kernelINS0_14default_configENS1_22reduce_config_selectorIlEEZNS1_11reduce_implILb1ES3_N6thrust23THRUST_200600_302600_NS11hip_rocprim26transform_input_iterator_tIlNS8_12zip_iteratorINS8_5tupleINS8_6detail15normal_iteratorINS8_10device_ptrIfEEEESH_NS8_9null_typeESI_SI_SI_SI_SI_SI_SI_EEEENS9_21zip_adj_not_predicateI22is_equal_div_10_uniqueIfEEEEEPllNS8_4plusIlEEEE10hipError_tPvRmT1_T2_T3_mT4_P12ihipStream_tbEUlT_E1_NS1_11comp_targetILNS1_3genE10ELNS1_11target_archE1200ELNS1_3gpuE4ELNS1_3repE0EEENS1_30default_config_static_selectorELNS0_4arch9wavefront6targetE1EEEvSW_.has_indirect_call, 0
	.section	.AMDGPU.csdata,"",@progbits
; Kernel info:
; codeLenInByte = 0
; TotalNumSgprs: 4
; NumVgprs: 0
; ScratchSize: 0
; MemoryBound: 0
; FloatMode: 240
; IeeeMode: 1
; LDSByteSize: 0 bytes/workgroup (compile time only)
; SGPRBlocks: 0
; VGPRBlocks: 0
; NumSGPRsForWavesPerEU: 4
; NumVGPRsForWavesPerEU: 1
; Occupancy: 10
; WaveLimiterHint : 0
; COMPUTE_PGM_RSRC2:SCRATCH_EN: 0
; COMPUTE_PGM_RSRC2:USER_SGPR: 6
; COMPUTE_PGM_RSRC2:TRAP_HANDLER: 0
; COMPUTE_PGM_RSRC2:TGID_X_EN: 1
; COMPUTE_PGM_RSRC2:TGID_Y_EN: 0
; COMPUTE_PGM_RSRC2:TGID_Z_EN: 0
; COMPUTE_PGM_RSRC2:TIDIG_COMP_CNT: 0
	.section	.text._ZN7rocprim17ROCPRIM_400000_NS6detail17trampoline_kernelINS0_14default_configENS1_22reduce_config_selectorIlEEZNS1_11reduce_implILb1ES3_N6thrust23THRUST_200600_302600_NS11hip_rocprim26transform_input_iterator_tIlNS8_12zip_iteratorINS8_5tupleINS8_6detail15normal_iteratorINS8_10device_ptrIfEEEESH_NS8_9null_typeESI_SI_SI_SI_SI_SI_SI_EEEENS9_21zip_adj_not_predicateI22is_equal_div_10_uniqueIfEEEEEPllNS8_4plusIlEEEE10hipError_tPvRmT1_T2_T3_mT4_P12ihipStream_tbEUlT_E1_NS1_11comp_targetILNS1_3genE9ELNS1_11target_archE1100ELNS1_3gpuE3ELNS1_3repE0EEENS1_30default_config_static_selectorELNS0_4arch9wavefront6targetE1EEEvSW_,"axG",@progbits,_ZN7rocprim17ROCPRIM_400000_NS6detail17trampoline_kernelINS0_14default_configENS1_22reduce_config_selectorIlEEZNS1_11reduce_implILb1ES3_N6thrust23THRUST_200600_302600_NS11hip_rocprim26transform_input_iterator_tIlNS8_12zip_iteratorINS8_5tupleINS8_6detail15normal_iteratorINS8_10device_ptrIfEEEESH_NS8_9null_typeESI_SI_SI_SI_SI_SI_SI_EEEENS9_21zip_adj_not_predicateI22is_equal_div_10_uniqueIfEEEEEPllNS8_4plusIlEEEE10hipError_tPvRmT1_T2_T3_mT4_P12ihipStream_tbEUlT_E1_NS1_11comp_targetILNS1_3genE9ELNS1_11target_archE1100ELNS1_3gpuE3ELNS1_3repE0EEENS1_30default_config_static_selectorELNS0_4arch9wavefront6targetE1EEEvSW_,comdat
	.protected	_ZN7rocprim17ROCPRIM_400000_NS6detail17trampoline_kernelINS0_14default_configENS1_22reduce_config_selectorIlEEZNS1_11reduce_implILb1ES3_N6thrust23THRUST_200600_302600_NS11hip_rocprim26transform_input_iterator_tIlNS8_12zip_iteratorINS8_5tupleINS8_6detail15normal_iteratorINS8_10device_ptrIfEEEESH_NS8_9null_typeESI_SI_SI_SI_SI_SI_SI_EEEENS9_21zip_adj_not_predicateI22is_equal_div_10_uniqueIfEEEEEPllNS8_4plusIlEEEE10hipError_tPvRmT1_T2_T3_mT4_P12ihipStream_tbEUlT_E1_NS1_11comp_targetILNS1_3genE9ELNS1_11target_archE1100ELNS1_3gpuE3ELNS1_3repE0EEENS1_30default_config_static_selectorELNS0_4arch9wavefront6targetE1EEEvSW_ ; -- Begin function _ZN7rocprim17ROCPRIM_400000_NS6detail17trampoline_kernelINS0_14default_configENS1_22reduce_config_selectorIlEEZNS1_11reduce_implILb1ES3_N6thrust23THRUST_200600_302600_NS11hip_rocprim26transform_input_iterator_tIlNS8_12zip_iteratorINS8_5tupleINS8_6detail15normal_iteratorINS8_10device_ptrIfEEEESH_NS8_9null_typeESI_SI_SI_SI_SI_SI_SI_EEEENS9_21zip_adj_not_predicateI22is_equal_div_10_uniqueIfEEEEEPllNS8_4plusIlEEEE10hipError_tPvRmT1_T2_T3_mT4_P12ihipStream_tbEUlT_E1_NS1_11comp_targetILNS1_3genE9ELNS1_11target_archE1100ELNS1_3gpuE3ELNS1_3repE0EEENS1_30default_config_static_selectorELNS0_4arch9wavefront6targetE1EEEvSW_
	.globl	_ZN7rocprim17ROCPRIM_400000_NS6detail17trampoline_kernelINS0_14default_configENS1_22reduce_config_selectorIlEEZNS1_11reduce_implILb1ES3_N6thrust23THRUST_200600_302600_NS11hip_rocprim26transform_input_iterator_tIlNS8_12zip_iteratorINS8_5tupleINS8_6detail15normal_iteratorINS8_10device_ptrIfEEEESH_NS8_9null_typeESI_SI_SI_SI_SI_SI_SI_EEEENS9_21zip_adj_not_predicateI22is_equal_div_10_uniqueIfEEEEEPllNS8_4plusIlEEEE10hipError_tPvRmT1_T2_T3_mT4_P12ihipStream_tbEUlT_E1_NS1_11comp_targetILNS1_3genE9ELNS1_11target_archE1100ELNS1_3gpuE3ELNS1_3repE0EEENS1_30default_config_static_selectorELNS0_4arch9wavefront6targetE1EEEvSW_
	.p2align	8
	.type	_ZN7rocprim17ROCPRIM_400000_NS6detail17trampoline_kernelINS0_14default_configENS1_22reduce_config_selectorIlEEZNS1_11reduce_implILb1ES3_N6thrust23THRUST_200600_302600_NS11hip_rocprim26transform_input_iterator_tIlNS8_12zip_iteratorINS8_5tupleINS8_6detail15normal_iteratorINS8_10device_ptrIfEEEESH_NS8_9null_typeESI_SI_SI_SI_SI_SI_SI_EEEENS9_21zip_adj_not_predicateI22is_equal_div_10_uniqueIfEEEEEPllNS8_4plusIlEEEE10hipError_tPvRmT1_T2_T3_mT4_P12ihipStream_tbEUlT_E1_NS1_11comp_targetILNS1_3genE9ELNS1_11target_archE1100ELNS1_3gpuE3ELNS1_3repE0EEENS1_30default_config_static_selectorELNS0_4arch9wavefront6targetE1EEEvSW_,@function
_ZN7rocprim17ROCPRIM_400000_NS6detail17trampoline_kernelINS0_14default_configENS1_22reduce_config_selectorIlEEZNS1_11reduce_implILb1ES3_N6thrust23THRUST_200600_302600_NS11hip_rocprim26transform_input_iterator_tIlNS8_12zip_iteratorINS8_5tupleINS8_6detail15normal_iteratorINS8_10device_ptrIfEEEESH_NS8_9null_typeESI_SI_SI_SI_SI_SI_SI_EEEENS9_21zip_adj_not_predicateI22is_equal_div_10_uniqueIfEEEEEPllNS8_4plusIlEEEE10hipError_tPvRmT1_T2_T3_mT4_P12ihipStream_tbEUlT_E1_NS1_11comp_targetILNS1_3genE9ELNS1_11target_archE1100ELNS1_3gpuE3ELNS1_3repE0EEENS1_30default_config_static_selectorELNS0_4arch9wavefront6targetE1EEEvSW_: ; @_ZN7rocprim17ROCPRIM_400000_NS6detail17trampoline_kernelINS0_14default_configENS1_22reduce_config_selectorIlEEZNS1_11reduce_implILb1ES3_N6thrust23THRUST_200600_302600_NS11hip_rocprim26transform_input_iterator_tIlNS8_12zip_iteratorINS8_5tupleINS8_6detail15normal_iteratorINS8_10device_ptrIfEEEESH_NS8_9null_typeESI_SI_SI_SI_SI_SI_SI_EEEENS9_21zip_adj_not_predicateI22is_equal_div_10_uniqueIfEEEEEPllNS8_4plusIlEEEE10hipError_tPvRmT1_T2_T3_mT4_P12ihipStream_tbEUlT_E1_NS1_11comp_targetILNS1_3genE9ELNS1_11target_archE1100ELNS1_3gpuE3ELNS1_3repE0EEENS1_30default_config_static_selectorELNS0_4arch9wavefront6targetE1EEEvSW_
; %bb.0:
	.section	.rodata,"a",@progbits
	.p2align	6, 0x0
	.amdhsa_kernel _ZN7rocprim17ROCPRIM_400000_NS6detail17trampoline_kernelINS0_14default_configENS1_22reduce_config_selectorIlEEZNS1_11reduce_implILb1ES3_N6thrust23THRUST_200600_302600_NS11hip_rocprim26transform_input_iterator_tIlNS8_12zip_iteratorINS8_5tupleINS8_6detail15normal_iteratorINS8_10device_ptrIfEEEESH_NS8_9null_typeESI_SI_SI_SI_SI_SI_SI_EEEENS9_21zip_adj_not_predicateI22is_equal_div_10_uniqueIfEEEEEPllNS8_4plusIlEEEE10hipError_tPvRmT1_T2_T3_mT4_P12ihipStream_tbEUlT_E1_NS1_11comp_targetILNS1_3genE9ELNS1_11target_archE1100ELNS1_3gpuE3ELNS1_3repE0EEENS1_30default_config_static_selectorELNS0_4arch9wavefront6targetE1EEEvSW_
		.amdhsa_group_segment_fixed_size 0
		.amdhsa_private_segment_fixed_size 0
		.amdhsa_kernarg_size 64
		.amdhsa_user_sgpr_count 6
		.amdhsa_user_sgpr_private_segment_buffer 1
		.amdhsa_user_sgpr_dispatch_ptr 0
		.amdhsa_user_sgpr_queue_ptr 0
		.amdhsa_user_sgpr_kernarg_segment_ptr 1
		.amdhsa_user_sgpr_dispatch_id 0
		.amdhsa_user_sgpr_flat_scratch_init 0
		.amdhsa_user_sgpr_private_segment_size 0
		.amdhsa_uses_dynamic_stack 0
		.amdhsa_system_sgpr_private_segment_wavefront_offset 0
		.amdhsa_system_sgpr_workgroup_id_x 1
		.amdhsa_system_sgpr_workgroup_id_y 0
		.amdhsa_system_sgpr_workgroup_id_z 0
		.amdhsa_system_sgpr_workgroup_info 0
		.amdhsa_system_vgpr_workitem_id 0
		.amdhsa_next_free_vgpr 1
		.amdhsa_next_free_sgpr 0
		.amdhsa_reserve_vcc 0
		.amdhsa_reserve_flat_scratch 0
		.amdhsa_float_round_mode_32 0
		.amdhsa_float_round_mode_16_64 0
		.amdhsa_float_denorm_mode_32 3
		.amdhsa_float_denorm_mode_16_64 3
		.amdhsa_dx10_clamp 1
		.amdhsa_ieee_mode 1
		.amdhsa_fp16_overflow 0
		.amdhsa_exception_fp_ieee_invalid_op 0
		.amdhsa_exception_fp_denorm_src 0
		.amdhsa_exception_fp_ieee_div_zero 0
		.amdhsa_exception_fp_ieee_overflow 0
		.amdhsa_exception_fp_ieee_underflow 0
		.amdhsa_exception_fp_ieee_inexact 0
		.amdhsa_exception_int_div_zero 0
	.end_amdhsa_kernel
	.section	.text._ZN7rocprim17ROCPRIM_400000_NS6detail17trampoline_kernelINS0_14default_configENS1_22reduce_config_selectorIlEEZNS1_11reduce_implILb1ES3_N6thrust23THRUST_200600_302600_NS11hip_rocprim26transform_input_iterator_tIlNS8_12zip_iteratorINS8_5tupleINS8_6detail15normal_iteratorINS8_10device_ptrIfEEEESH_NS8_9null_typeESI_SI_SI_SI_SI_SI_SI_EEEENS9_21zip_adj_not_predicateI22is_equal_div_10_uniqueIfEEEEEPllNS8_4plusIlEEEE10hipError_tPvRmT1_T2_T3_mT4_P12ihipStream_tbEUlT_E1_NS1_11comp_targetILNS1_3genE9ELNS1_11target_archE1100ELNS1_3gpuE3ELNS1_3repE0EEENS1_30default_config_static_selectorELNS0_4arch9wavefront6targetE1EEEvSW_,"axG",@progbits,_ZN7rocprim17ROCPRIM_400000_NS6detail17trampoline_kernelINS0_14default_configENS1_22reduce_config_selectorIlEEZNS1_11reduce_implILb1ES3_N6thrust23THRUST_200600_302600_NS11hip_rocprim26transform_input_iterator_tIlNS8_12zip_iteratorINS8_5tupleINS8_6detail15normal_iteratorINS8_10device_ptrIfEEEESH_NS8_9null_typeESI_SI_SI_SI_SI_SI_SI_EEEENS9_21zip_adj_not_predicateI22is_equal_div_10_uniqueIfEEEEEPllNS8_4plusIlEEEE10hipError_tPvRmT1_T2_T3_mT4_P12ihipStream_tbEUlT_E1_NS1_11comp_targetILNS1_3genE9ELNS1_11target_archE1100ELNS1_3gpuE3ELNS1_3repE0EEENS1_30default_config_static_selectorELNS0_4arch9wavefront6targetE1EEEvSW_,comdat
.Lfunc_end813:
	.size	_ZN7rocprim17ROCPRIM_400000_NS6detail17trampoline_kernelINS0_14default_configENS1_22reduce_config_selectorIlEEZNS1_11reduce_implILb1ES3_N6thrust23THRUST_200600_302600_NS11hip_rocprim26transform_input_iterator_tIlNS8_12zip_iteratorINS8_5tupleINS8_6detail15normal_iteratorINS8_10device_ptrIfEEEESH_NS8_9null_typeESI_SI_SI_SI_SI_SI_SI_EEEENS9_21zip_adj_not_predicateI22is_equal_div_10_uniqueIfEEEEEPllNS8_4plusIlEEEE10hipError_tPvRmT1_T2_T3_mT4_P12ihipStream_tbEUlT_E1_NS1_11comp_targetILNS1_3genE9ELNS1_11target_archE1100ELNS1_3gpuE3ELNS1_3repE0EEENS1_30default_config_static_selectorELNS0_4arch9wavefront6targetE1EEEvSW_, .Lfunc_end813-_ZN7rocprim17ROCPRIM_400000_NS6detail17trampoline_kernelINS0_14default_configENS1_22reduce_config_selectorIlEEZNS1_11reduce_implILb1ES3_N6thrust23THRUST_200600_302600_NS11hip_rocprim26transform_input_iterator_tIlNS8_12zip_iteratorINS8_5tupleINS8_6detail15normal_iteratorINS8_10device_ptrIfEEEESH_NS8_9null_typeESI_SI_SI_SI_SI_SI_SI_EEEENS9_21zip_adj_not_predicateI22is_equal_div_10_uniqueIfEEEEEPllNS8_4plusIlEEEE10hipError_tPvRmT1_T2_T3_mT4_P12ihipStream_tbEUlT_E1_NS1_11comp_targetILNS1_3genE9ELNS1_11target_archE1100ELNS1_3gpuE3ELNS1_3repE0EEENS1_30default_config_static_selectorELNS0_4arch9wavefront6targetE1EEEvSW_
                                        ; -- End function
	.set _ZN7rocprim17ROCPRIM_400000_NS6detail17trampoline_kernelINS0_14default_configENS1_22reduce_config_selectorIlEEZNS1_11reduce_implILb1ES3_N6thrust23THRUST_200600_302600_NS11hip_rocprim26transform_input_iterator_tIlNS8_12zip_iteratorINS8_5tupleINS8_6detail15normal_iteratorINS8_10device_ptrIfEEEESH_NS8_9null_typeESI_SI_SI_SI_SI_SI_SI_EEEENS9_21zip_adj_not_predicateI22is_equal_div_10_uniqueIfEEEEEPllNS8_4plusIlEEEE10hipError_tPvRmT1_T2_T3_mT4_P12ihipStream_tbEUlT_E1_NS1_11comp_targetILNS1_3genE9ELNS1_11target_archE1100ELNS1_3gpuE3ELNS1_3repE0EEENS1_30default_config_static_selectorELNS0_4arch9wavefront6targetE1EEEvSW_.num_vgpr, 0
	.set _ZN7rocprim17ROCPRIM_400000_NS6detail17trampoline_kernelINS0_14default_configENS1_22reduce_config_selectorIlEEZNS1_11reduce_implILb1ES3_N6thrust23THRUST_200600_302600_NS11hip_rocprim26transform_input_iterator_tIlNS8_12zip_iteratorINS8_5tupleINS8_6detail15normal_iteratorINS8_10device_ptrIfEEEESH_NS8_9null_typeESI_SI_SI_SI_SI_SI_SI_EEEENS9_21zip_adj_not_predicateI22is_equal_div_10_uniqueIfEEEEEPllNS8_4plusIlEEEE10hipError_tPvRmT1_T2_T3_mT4_P12ihipStream_tbEUlT_E1_NS1_11comp_targetILNS1_3genE9ELNS1_11target_archE1100ELNS1_3gpuE3ELNS1_3repE0EEENS1_30default_config_static_selectorELNS0_4arch9wavefront6targetE1EEEvSW_.num_agpr, 0
	.set _ZN7rocprim17ROCPRIM_400000_NS6detail17trampoline_kernelINS0_14default_configENS1_22reduce_config_selectorIlEEZNS1_11reduce_implILb1ES3_N6thrust23THRUST_200600_302600_NS11hip_rocprim26transform_input_iterator_tIlNS8_12zip_iteratorINS8_5tupleINS8_6detail15normal_iteratorINS8_10device_ptrIfEEEESH_NS8_9null_typeESI_SI_SI_SI_SI_SI_SI_EEEENS9_21zip_adj_not_predicateI22is_equal_div_10_uniqueIfEEEEEPllNS8_4plusIlEEEE10hipError_tPvRmT1_T2_T3_mT4_P12ihipStream_tbEUlT_E1_NS1_11comp_targetILNS1_3genE9ELNS1_11target_archE1100ELNS1_3gpuE3ELNS1_3repE0EEENS1_30default_config_static_selectorELNS0_4arch9wavefront6targetE1EEEvSW_.numbered_sgpr, 0
	.set _ZN7rocprim17ROCPRIM_400000_NS6detail17trampoline_kernelINS0_14default_configENS1_22reduce_config_selectorIlEEZNS1_11reduce_implILb1ES3_N6thrust23THRUST_200600_302600_NS11hip_rocprim26transform_input_iterator_tIlNS8_12zip_iteratorINS8_5tupleINS8_6detail15normal_iteratorINS8_10device_ptrIfEEEESH_NS8_9null_typeESI_SI_SI_SI_SI_SI_SI_EEEENS9_21zip_adj_not_predicateI22is_equal_div_10_uniqueIfEEEEEPllNS8_4plusIlEEEE10hipError_tPvRmT1_T2_T3_mT4_P12ihipStream_tbEUlT_E1_NS1_11comp_targetILNS1_3genE9ELNS1_11target_archE1100ELNS1_3gpuE3ELNS1_3repE0EEENS1_30default_config_static_selectorELNS0_4arch9wavefront6targetE1EEEvSW_.num_named_barrier, 0
	.set _ZN7rocprim17ROCPRIM_400000_NS6detail17trampoline_kernelINS0_14default_configENS1_22reduce_config_selectorIlEEZNS1_11reduce_implILb1ES3_N6thrust23THRUST_200600_302600_NS11hip_rocprim26transform_input_iterator_tIlNS8_12zip_iteratorINS8_5tupleINS8_6detail15normal_iteratorINS8_10device_ptrIfEEEESH_NS8_9null_typeESI_SI_SI_SI_SI_SI_SI_EEEENS9_21zip_adj_not_predicateI22is_equal_div_10_uniqueIfEEEEEPllNS8_4plusIlEEEE10hipError_tPvRmT1_T2_T3_mT4_P12ihipStream_tbEUlT_E1_NS1_11comp_targetILNS1_3genE9ELNS1_11target_archE1100ELNS1_3gpuE3ELNS1_3repE0EEENS1_30default_config_static_selectorELNS0_4arch9wavefront6targetE1EEEvSW_.private_seg_size, 0
	.set _ZN7rocprim17ROCPRIM_400000_NS6detail17trampoline_kernelINS0_14default_configENS1_22reduce_config_selectorIlEEZNS1_11reduce_implILb1ES3_N6thrust23THRUST_200600_302600_NS11hip_rocprim26transform_input_iterator_tIlNS8_12zip_iteratorINS8_5tupleINS8_6detail15normal_iteratorINS8_10device_ptrIfEEEESH_NS8_9null_typeESI_SI_SI_SI_SI_SI_SI_EEEENS9_21zip_adj_not_predicateI22is_equal_div_10_uniqueIfEEEEEPllNS8_4plusIlEEEE10hipError_tPvRmT1_T2_T3_mT4_P12ihipStream_tbEUlT_E1_NS1_11comp_targetILNS1_3genE9ELNS1_11target_archE1100ELNS1_3gpuE3ELNS1_3repE0EEENS1_30default_config_static_selectorELNS0_4arch9wavefront6targetE1EEEvSW_.uses_vcc, 0
	.set _ZN7rocprim17ROCPRIM_400000_NS6detail17trampoline_kernelINS0_14default_configENS1_22reduce_config_selectorIlEEZNS1_11reduce_implILb1ES3_N6thrust23THRUST_200600_302600_NS11hip_rocprim26transform_input_iterator_tIlNS8_12zip_iteratorINS8_5tupleINS8_6detail15normal_iteratorINS8_10device_ptrIfEEEESH_NS8_9null_typeESI_SI_SI_SI_SI_SI_SI_EEEENS9_21zip_adj_not_predicateI22is_equal_div_10_uniqueIfEEEEEPllNS8_4plusIlEEEE10hipError_tPvRmT1_T2_T3_mT4_P12ihipStream_tbEUlT_E1_NS1_11comp_targetILNS1_3genE9ELNS1_11target_archE1100ELNS1_3gpuE3ELNS1_3repE0EEENS1_30default_config_static_selectorELNS0_4arch9wavefront6targetE1EEEvSW_.uses_flat_scratch, 0
	.set _ZN7rocprim17ROCPRIM_400000_NS6detail17trampoline_kernelINS0_14default_configENS1_22reduce_config_selectorIlEEZNS1_11reduce_implILb1ES3_N6thrust23THRUST_200600_302600_NS11hip_rocprim26transform_input_iterator_tIlNS8_12zip_iteratorINS8_5tupleINS8_6detail15normal_iteratorINS8_10device_ptrIfEEEESH_NS8_9null_typeESI_SI_SI_SI_SI_SI_SI_EEEENS9_21zip_adj_not_predicateI22is_equal_div_10_uniqueIfEEEEEPllNS8_4plusIlEEEE10hipError_tPvRmT1_T2_T3_mT4_P12ihipStream_tbEUlT_E1_NS1_11comp_targetILNS1_3genE9ELNS1_11target_archE1100ELNS1_3gpuE3ELNS1_3repE0EEENS1_30default_config_static_selectorELNS0_4arch9wavefront6targetE1EEEvSW_.has_dyn_sized_stack, 0
	.set _ZN7rocprim17ROCPRIM_400000_NS6detail17trampoline_kernelINS0_14default_configENS1_22reduce_config_selectorIlEEZNS1_11reduce_implILb1ES3_N6thrust23THRUST_200600_302600_NS11hip_rocprim26transform_input_iterator_tIlNS8_12zip_iteratorINS8_5tupleINS8_6detail15normal_iteratorINS8_10device_ptrIfEEEESH_NS8_9null_typeESI_SI_SI_SI_SI_SI_SI_EEEENS9_21zip_adj_not_predicateI22is_equal_div_10_uniqueIfEEEEEPllNS8_4plusIlEEEE10hipError_tPvRmT1_T2_T3_mT4_P12ihipStream_tbEUlT_E1_NS1_11comp_targetILNS1_3genE9ELNS1_11target_archE1100ELNS1_3gpuE3ELNS1_3repE0EEENS1_30default_config_static_selectorELNS0_4arch9wavefront6targetE1EEEvSW_.has_recursion, 0
	.set _ZN7rocprim17ROCPRIM_400000_NS6detail17trampoline_kernelINS0_14default_configENS1_22reduce_config_selectorIlEEZNS1_11reduce_implILb1ES3_N6thrust23THRUST_200600_302600_NS11hip_rocprim26transform_input_iterator_tIlNS8_12zip_iteratorINS8_5tupleINS8_6detail15normal_iteratorINS8_10device_ptrIfEEEESH_NS8_9null_typeESI_SI_SI_SI_SI_SI_SI_EEEENS9_21zip_adj_not_predicateI22is_equal_div_10_uniqueIfEEEEEPllNS8_4plusIlEEEE10hipError_tPvRmT1_T2_T3_mT4_P12ihipStream_tbEUlT_E1_NS1_11comp_targetILNS1_3genE9ELNS1_11target_archE1100ELNS1_3gpuE3ELNS1_3repE0EEENS1_30default_config_static_selectorELNS0_4arch9wavefront6targetE1EEEvSW_.has_indirect_call, 0
	.section	.AMDGPU.csdata,"",@progbits
; Kernel info:
; codeLenInByte = 0
; TotalNumSgprs: 4
; NumVgprs: 0
; ScratchSize: 0
; MemoryBound: 0
; FloatMode: 240
; IeeeMode: 1
; LDSByteSize: 0 bytes/workgroup (compile time only)
; SGPRBlocks: 0
; VGPRBlocks: 0
; NumSGPRsForWavesPerEU: 4
; NumVGPRsForWavesPerEU: 1
; Occupancy: 10
; WaveLimiterHint : 0
; COMPUTE_PGM_RSRC2:SCRATCH_EN: 0
; COMPUTE_PGM_RSRC2:USER_SGPR: 6
; COMPUTE_PGM_RSRC2:TRAP_HANDLER: 0
; COMPUTE_PGM_RSRC2:TGID_X_EN: 1
; COMPUTE_PGM_RSRC2:TGID_Y_EN: 0
; COMPUTE_PGM_RSRC2:TGID_Z_EN: 0
; COMPUTE_PGM_RSRC2:TIDIG_COMP_CNT: 0
	.section	.text._ZN7rocprim17ROCPRIM_400000_NS6detail17trampoline_kernelINS0_14default_configENS1_22reduce_config_selectorIlEEZNS1_11reduce_implILb1ES3_N6thrust23THRUST_200600_302600_NS11hip_rocprim26transform_input_iterator_tIlNS8_12zip_iteratorINS8_5tupleINS8_6detail15normal_iteratorINS8_10device_ptrIfEEEESH_NS8_9null_typeESI_SI_SI_SI_SI_SI_SI_EEEENS9_21zip_adj_not_predicateI22is_equal_div_10_uniqueIfEEEEEPllNS8_4plusIlEEEE10hipError_tPvRmT1_T2_T3_mT4_P12ihipStream_tbEUlT_E1_NS1_11comp_targetILNS1_3genE8ELNS1_11target_archE1030ELNS1_3gpuE2ELNS1_3repE0EEENS1_30default_config_static_selectorELNS0_4arch9wavefront6targetE1EEEvSW_,"axG",@progbits,_ZN7rocprim17ROCPRIM_400000_NS6detail17trampoline_kernelINS0_14default_configENS1_22reduce_config_selectorIlEEZNS1_11reduce_implILb1ES3_N6thrust23THRUST_200600_302600_NS11hip_rocprim26transform_input_iterator_tIlNS8_12zip_iteratorINS8_5tupleINS8_6detail15normal_iteratorINS8_10device_ptrIfEEEESH_NS8_9null_typeESI_SI_SI_SI_SI_SI_SI_EEEENS9_21zip_adj_not_predicateI22is_equal_div_10_uniqueIfEEEEEPllNS8_4plusIlEEEE10hipError_tPvRmT1_T2_T3_mT4_P12ihipStream_tbEUlT_E1_NS1_11comp_targetILNS1_3genE8ELNS1_11target_archE1030ELNS1_3gpuE2ELNS1_3repE0EEENS1_30default_config_static_selectorELNS0_4arch9wavefront6targetE1EEEvSW_,comdat
	.protected	_ZN7rocprim17ROCPRIM_400000_NS6detail17trampoline_kernelINS0_14default_configENS1_22reduce_config_selectorIlEEZNS1_11reduce_implILb1ES3_N6thrust23THRUST_200600_302600_NS11hip_rocprim26transform_input_iterator_tIlNS8_12zip_iteratorINS8_5tupleINS8_6detail15normal_iteratorINS8_10device_ptrIfEEEESH_NS8_9null_typeESI_SI_SI_SI_SI_SI_SI_EEEENS9_21zip_adj_not_predicateI22is_equal_div_10_uniqueIfEEEEEPllNS8_4plusIlEEEE10hipError_tPvRmT1_T2_T3_mT4_P12ihipStream_tbEUlT_E1_NS1_11comp_targetILNS1_3genE8ELNS1_11target_archE1030ELNS1_3gpuE2ELNS1_3repE0EEENS1_30default_config_static_selectorELNS0_4arch9wavefront6targetE1EEEvSW_ ; -- Begin function _ZN7rocprim17ROCPRIM_400000_NS6detail17trampoline_kernelINS0_14default_configENS1_22reduce_config_selectorIlEEZNS1_11reduce_implILb1ES3_N6thrust23THRUST_200600_302600_NS11hip_rocprim26transform_input_iterator_tIlNS8_12zip_iteratorINS8_5tupleINS8_6detail15normal_iteratorINS8_10device_ptrIfEEEESH_NS8_9null_typeESI_SI_SI_SI_SI_SI_SI_EEEENS9_21zip_adj_not_predicateI22is_equal_div_10_uniqueIfEEEEEPllNS8_4plusIlEEEE10hipError_tPvRmT1_T2_T3_mT4_P12ihipStream_tbEUlT_E1_NS1_11comp_targetILNS1_3genE8ELNS1_11target_archE1030ELNS1_3gpuE2ELNS1_3repE0EEENS1_30default_config_static_selectorELNS0_4arch9wavefront6targetE1EEEvSW_
	.globl	_ZN7rocprim17ROCPRIM_400000_NS6detail17trampoline_kernelINS0_14default_configENS1_22reduce_config_selectorIlEEZNS1_11reduce_implILb1ES3_N6thrust23THRUST_200600_302600_NS11hip_rocprim26transform_input_iterator_tIlNS8_12zip_iteratorINS8_5tupleINS8_6detail15normal_iteratorINS8_10device_ptrIfEEEESH_NS8_9null_typeESI_SI_SI_SI_SI_SI_SI_EEEENS9_21zip_adj_not_predicateI22is_equal_div_10_uniqueIfEEEEEPllNS8_4plusIlEEEE10hipError_tPvRmT1_T2_T3_mT4_P12ihipStream_tbEUlT_E1_NS1_11comp_targetILNS1_3genE8ELNS1_11target_archE1030ELNS1_3gpuE2ELNS1_3repE0EEENS1_30default_config_static_selectorELNS0_4arch9wavefront6targetE1EEEvSW_
	.p2align	8
	.type	_ZN7rocprim17ROCPRIM_400000_NS6detail17trampoline_kernelINS0_14default_configENS1_22reduce_config_selectorIlEEZNS1_11reduce_implILb1ES3_N6thrust23THRUST_200600_302600_NS11hip_rocprim26transform_input_iterator_tIlNS8_12zip_iteratorINS8_5tupleINS8_6detail15normal_iteratorINS8_10device_ptrIfEEEESH_NS8_9null_typeESI_SI_SI_SI_SI_SI_SI_EEEENS9_21zip_adj_not_predicateI22is_equal_div_10_uniqueIfEEEEEPllNS8_4plusIlEEEE10hipError_tPvRmT1_T2_T3_mT4_P12ihipStream_tbEUlT_E1_NS1_11comp_targetILNS1_3genE8ELNS1_11target_archE1030ELNS1_3gpuE2ELNS1_3repE0EEENS1_30default_config_static_selectorELNS0_4arch9wavefront6targetE1EEEvSW_,@function
_ZN7rocprim17ROCPRIM_400000_NS6detail17trampoline_kernelINS0_14default_configENS1_22reduce_config_selectorIlEEZNS1_11reduce_implILb1ES3_N6thrust23THRUST_200600_302600_NS11hip_rocprim26transform_input_iterator_tIlNS8_12zip_iteratorINS8_5tupleINS8_6detail15normal_iteratorINS8_10device_ptrIfEEEESH_NS8_9null_typeESI_SI_SI_SI_SI_SI_SI_EEEENS9_21zip_adj_not_predicateI22is_equal_div_10_uniqueIfEEEEEPllNS8_4plusIlEEEE10hipError_tPvRmT1_T2_T3_mT4_P12ihipStream_tbEUlT_E1_NS1_11comp_targetILNS1_3genE8ELNS1_11target_archE1030ELNS1_3gpuE2ELNS1_3repE0EEENS1_30default_config_static_selectorELNS0_4arch9wavefront6targetE1EEEvSW_: ; @_ZN7rocprim17ROCPRIM_400000_NS6detail17trampoline_kernelINS0_14default_configENS1_22reduce_config_selectorIlEEZNS1_11reduce_implILb1ES3_N6thrust23THRUST_200600_302600_NS11hip_rocprim26transform_input_iterator_tIlNS8_12zip_iteratorINS8_5tupleINS8_6detail15normal_iteratorINS8_10device_ptrIfEEEESH_NS8_9null_typeESI_SI_SI_SI_SI_SI_SI_EEEENS9_21zip_adj_not_predicateI22is_equal_div_10_uniqueIfEEEEEPllNS8_4plusIlEEEE10hipError_tPvRmT1_T2_T3_mT4_P12ihipStream_tbEUlT_E1_NS1_11comp_targetILNS1_3genE8ELNS1_11target_archE1030ELNS1_3gpuE2ELNS1_3repE0EEENS1_30default_config_static_selectorELNS0_4arch9wavefront6targetE1EEEvSW_
; %bb.0:
	.section	.rodata,"a",@progbits
	.p2align	6, 0x0
	.amdhsa_kernel _ZN7rocprim17ROCPRIM_400000_NS6detail17trampoline_kernelINS0_14default_configENS1_22reduce_config_selectorIlEEZNS1_11reduce_implILb1ES3_N6thrust23THRUST_200600_302600_NS11hip_rocprim26transform_input_iterator_tIlNS8_12zip_iteratorINS8_5tupleINS8_6detail15normal_iteratorINS8_10device_ptrIfEEEESH_NS8_9null_typeESI_SI_SI_SI_SI_SI_SI_EEEENS9_21zip_adj_not_predicateI22is_equal_div_10_uniqueIfEEEEEPllNS8_4plusIlEEEE10hipError_tPvRmT1_T2_T3_mT4_P12ihipStream_tbEUlT_E1_NS1_11comp_targetILNS1_3genE8ELNS1_11target_archE1030ELNS1_3gpuE2ELNS1_3repE0EEENS1_30default_config_static_selectorELNS0_4arch9wavefront6targetE1EEEvSW_
		.amdhsa_group_segment_fixed_size 0
		.amdhsa_private_segment_fixed_size 0
		.amdhsa_kernarg_size 64
		.amdhsa_user_sgpr_count 6
		.amdhsa_user_sgpr_private_segment_buffer 1
		.amdhsa_user_sgpr_dispatch_ptr 0
		.amdhsa_user_sgpr_queue_ptr 0
		.amdhsa_user_sgpr_kernarg_segment_ptr 1
		.amdhsa_user_sgpr_dispatch_id 0
		.amdhsa_user_sgpr_flat_scratch_init 0
		.amdhsa_user_sgpr_private_segment_size 0
		.amdhsa_uses_dynamic_stack 0
		.amdhsa_system_sgpr_private_segment_wavefront_offset 0
		.amdhsa_system_sgpr_workgroup_id_x 1
		.amdhsa_system_sgpr_workgroup_id_y 0
		.amdhsa_system_sgpr_workgroup_id_z 0
		.amdhsa_system_sgpr_workgroup_info 0
		.amdhsa_system_vgpr_workitem_id 0
		.amdhsa_next_free_vgpr 1
		.amdhsa_next_free_sgpr 0
		.amdhsa_reserve_vcc 0
		.amdhsa_reserve_flat_scratch 0
		.amdhsa_float_round_mode_32 0
		.amdhsa_float_round_mode_16_64 0
		.amdhsa_float_denorm_mode_32 3
		.amdhsa_float_denorm_mode_16_64 3
		.amdhsa_dx10_clamp 1
		.amdhsa_ieee_mode 1
		.amdhsa_fp16_overflow 0
		.amdhsa_exception_fp_ieee_invalid_op 0
		.amdhsa_exception_fp_denorm_src 0
		.amdhsa_exception_fp_ieee_div_zero 0
		.amdhsa_exception_fp_ieee_overflow 0
		.amdhsa_exception_fp_ieee_underflow 0
		.amdhsa_exception_fp_ieee_inexact 0
		.amdhsa_exception_int_div_zero 0
	.end_amdhsa_kernel
	.section	.text._ZN7rocprim17ROCPRIM_400000_NS6detail17trampoline_kernelINS0_14default_configENS1_22reduce_config_selectorIlEEZNS1_11reduce_implILb1ES3_N6thrust23THRUST_200600_302600_NS11hip_rocprim26transform_input_iterator_tIlNS8_12zip_iteratorINS8_5tupleINS8_6detail15normal_iteratorINS8_10device_ptrIfEEEESH_NS8_9null_typeESI_SI_SI_SI_SI_SI_SI_EEEENS9_21zip_adj_not_predicateI22is_equal_div_10_uniqueIfEEEEEPllNS8_4plusIlEEEE10hipError_tPvRmT1_T2_T3_mT4_P12ihipStream_tbEUlT_E1_NS1_11comp_targetILNS1_3genE8ELNS1_11target_archE1030ELNS1_3gpuE2ELNS1_3repE0EEENS1_30default_config_static_selectorELNS0_4arch9wavefront6targetE1EEEvSW_,"axG",@progbits,_ZN7rocprim17ROCPRIM_400000_NS6detail17trampoline_kernelINS0_14default_configENS1_22reduce_config_selectorIlEEZNS1_11reduce_implILb1ES3_N6thrust23THRUST_200600_302600_NS11hip_rocprim26transform_input_iterator_tIlNS8_12zip_iteratorINS8_5tupleINS8_6detail15normal_iteratorINS8_10device_ptrIfEEEESH_NS8_9null_typeESI_SI_SI_SI_SI_SI_SI_EEEENS9_21zip_adj_not_predicateI22is_equal_div_10_uniqueIfEEEEEPllNS8_4plusIlEEEE10hipError_tPvRmT1_T2_T3_mT4_P12ihipStream_tbEUlT_E1_NS1_11comp_targetILNS1_3genE8ELNS1_11target_archE1030ELNS1_3gpuE2ELNS1_3repE0EEENS1_30default_config_static_selectorELNS0_4arch9wavefront6targetE1EEEvSW_,comdat
.Lfunc_end814:
	.size	_ZN7rocprim17ROCPRIM_400000_NS6detail17trampoline_kernelINS0_14default_configENS1_22reduce_config_selectorIlEEZNS1_11reduce_implILb1ES3_N6thrust23THRUST_200600_302600_NS11hip_rocprim26transform_input_iterator_tIlNS8_12zip_iteratorINS8_5tupleINS8_6detail15normal_iteratorINS8_10device_ptrIfEEEESH_NS8_9null_typeESI_SI_SI_SI_SI_SI_SI_EEEENS9_21zip_adj_not_predicateI22is_equal_div_10_uniqueIfEEEEEPllNS8_4plusIlEEEE10hipError_tPvRmT1_T2_T3_mT4_P12ihipStream_tbEUlT_E1_NS1_11comp_targetILNS1_3genE8ELNS1_11target_archE1030ELNS1_3gpuE2ELNS1_3repE0EEENS1_30default_config_static_selectorELNS0_4arch9wavefront6targetE1EEEvSW_, .Lfunc_end814-_ZN7rocprim17ROCPRIM_400000_NS6detail17trampoline_kernelINS0_14default_configENS1_22reduce_config_selectorIlEEZNS1_11reduce_implILb1ES3_N6thrust23THRUST_200600_302600_NS11hip_rocprim26transform_input_iterator_tIlNS8_12zip_iteratorINS8_5tupleINS8_6detail15normal_iteratorINS8_10device_ptrIfEEEESH_NS8_9null_typeESI_SI_SI_SI_SI_SI_SI_EEEENS9_21zip_adj_not_predicateI22is_equal_div_10_uniqueIfEEEEEPllNS8_4plusIlEEEE10hipError_tPvRmT1_T2_T3_mT4_P12ihipStream_tbEUlT_E1_NS1_11comp_targetILNS1_3genE8ELNS1_11target_archE1030ELNS1_3gpuE2ELNS1_3repE0EEENS1_30default_config_static_selectorELNS0_4arch9wavefront6targetE1EEEvSW_
                                        ; -- End function
	.set _ZN7rocprim17ROCPRIM_400000_NS6detail17trampoline_kernelINS0_14default_configENS1_22reduce_config_selectorIlEEZNS1_11reduce_implILb1ES3_N6thrust23THRUST_200600_302600_NS11hip_rocprim26transform_input_iterator_tIlNS8_12zip_iteratorINS8_5tupleINS8_6detail15normal_iteratorINS8_10device_ptrIfEEEESH_NS8_9null_typeESI_SI_SI_SI_SI_SI_SI_EEEENS9_21zip_adj_not_predicateI22is_equal_div_10_uniqueIfEEEEEPllNS8_4plusIlEEEE10hipError_tPvRmT1_T2_T3_mT4_P12ihipStream_tbEUlT_E1_NS1_11comp_targetILNS1_3genE8ELNS1_11target_archE1030ELNS1_3gpuE2ELNS1_3repE0EEENS1_30default_config_static_selectorELNS0_4arch9wavefront6targetE1EEEvSW_.num_vgpr, 0
	.set _ZN7rocprim17ROCPRIM_400000_NS6detail17trampoline_kernelINS0_14default_configENS1_22reduce_config_selectorIlEEZNS1_11reduce_implILb1ES3_N6thrust23THRUST_200600_302600_NS11hip_rocprim26transform_input_iterator_tIlNS8_12zip_iteratorINS8_5tupleINS8_6detail15normal_iteratorINS8_10device_ptrIfEEEESH_NS8_9null_typeESI_SI_SI_SI_SI_SI_SI_EEEENS9_21zip_adj_not_predicateI22is_equal_div_10_uniqueIfEEEEEPllNS8_4plusIlEEEE10hipError_tPvRmT1_T2_T3_mT4_P12ihipStream_tbEUlT_E1_NS1_11comp_targetILNS1_3genE8ELNS1_11target_archE1030ELNS1_3gpuE2ELNS1_3repE0EEENS1_30default_config_static_selectorELNS0_4arch9wavefront6targetE1EEEvSW_.num_agpr, 0
	.set _ZN7rocprim17ROCPRIM_400000_NS6detail17trampoline_kernelINS0_14default_configENS1_22reduce_config_selectorIlEEZNS1_11reduce_implILb1ES3_N6thrust23THRUST_200600_302600_NS11hip_rocprim26transform_input_iterator_tIlNS8_12zip_iteratorINS8_5tupleINS8_6detail15normal_iteratorINS8_10device_ptrIfEEEESH_NS8_9null_typeESI_SI_SI_SI_SI_SI_SI_EEEENS9_21zip_adj_not_predicateI22is_equal_div_10_uniqueIfEEEEEPllNS8_4plusIlEEEE10hipError_tPvRmT1_T2_T3_mT4_P12ihipStream_tbEUlT_E1_NS1_11comp_targetILNS1_3genE8ELNS1_11target_archE1030ELNS1_3gpuE2ELNS1_3repE0EEENS1_30default_config_static_selectorELNS0_4arch9wavefront6targetE1EEEvSW_.numbered_sgpr, 0
	.set _ZN7rocprim17ROCPRIM_400000_NS6detail17trampoline_kernelINS0_14default_configENS1_22reduce_config_selectorIlEEZNS1_11reduce_implILb1ES3_N6thrust23THRUST_200600_302600_NS11hip_rocprim26transform_input_iterator_tIlNS8_12zip_iteratorINS8_5tupleINS8_6detail15normal_iteratorINS8_10device_ptrIfEEEESH_NS8_9null_typeESI_SI_SI_SI_SI_SI_SI_EEEENS9_21zip_adj_not_predicateI22is_equal_div_10_uniqueIfEEEEEPllNS8_4plusIlEEEE10hipError_tPvRmT1_T2_T3_mT4_P12ihipStream_tbEUlT_E1_NS1_11comp_targetILNS1_3genE8ELNS1_11target_archE1030ELNS1_3gpuE2ELNS1_3repE0EEENS1_30default_config_static_selectorELNS0_4arch9wavefront6targetE1EEEvSW_.num_named_barrier, 0
	.set _ZN7rocprim17ROCPRIM_400000_NS6detail17trampoline_kernelINS0_14default_configENS1_22reduce_config_selectorIlEEZNS1_11reduce_implILb1ES3_N6thrust23THRUST_200600_302600_NS11hip_rocprim26transform_input_iterator_tIlNS8_12zip_iteratorINS8_5tupleINS8_6detail15normal_iteratorINS8_10device_ptrIfEEEESH_NS8_9null_typeESI_SI_SI_SI_SI_SI_SI_EEEENS9_21zip_adj_not_predicateI22is_equal_div_10_uniqueIfEEEEEPllNS8_4plusIlEEEE10hipError_tPvRmT1_T2_T3_mT4_P12ihipStream_tbEUlT_E1_NS1_11comp_targetILNS1_3genE8ELNS1_11target_archE1030ELNS1_3gpuE2ELNS1_3repE0EEENS1_30default_config_static_selectorELNS0_4arch9wavefront6targetE1EEEvSW_.private_seg_size, 0
	.set _ZN7rocprim17ROCPRIM_400000_NS6detail17trampoline_kernelINS0_14default_configENS1_22reduce_config_selectorIlEEZNS1_11reduce_implILb1ES3_N6thrust23THRUST_200600_302600_NS11hip_rocprim26transform_input_iterator_tIlNS8_12zip_iteratorINS8_5tupleINS8_6detail15normal_iteratorINS8_10device_ptrIfEEEESH_NS8_9null_typeESI_SI_SI_SI_SI_SI_SI_EEEENS9_21zip_adj_not_predicateI22is_equal_div_10_uniqueIfEEEEEPllNS8_4plusIlEEEE10hipError_tPvRmT1_T2_T3_mT4_P12ihipStream_tbEUlT_E1_NS1_11comp_targetILNS1_3genE8ELNS1_11target_archE1030ELNS1_3gpuE2ELNS1_3repE0EEENS1_30default_config_static_selectorELNS0_4arch9wavefront6targetE1EEEvSW_.uses_vcc, 0
	.set _ZN7rocprim17ROCPRIM_400000_NS6detail17trampoline_kernelINS0_14default_configENS1_22reduce_config_selectorIlEEZNS1_11reduce_implILb1ES3_N6thrust23THRUST_200600_302600_NS11hip_rocprim26transform_input_iterator_tIlNS8_12zip_iteratorINS8_5tupleINS8_6detail15normal_iteratorINS8_10device_ptrIfEEEESH_NS8_9null_typeESI_SI_SI_SI_SI_SI_SI_EEEENS9_21zip_adj_not_predicateI22is_equal_div_10_uniqueIfEEEEEPllNS8_4plusIlEEEE10hipError_tPvRmT1_T2_T3_mT4_P12ihipStream_tbEUlT_E1_NS1_11comp_targetILNS1_3genE8ELNS1_11target_archE1030ELNS1_3gpuE2ELNS1_3repE0EEENS1_30default_config_static_selectorELNS0_4arch9wavefront6targetE1EEEvSW_.uses_flat_scratch, 0
	.set _ZN7rocprim17ROCPRIM_400000_NS6detail17trampoline_kernelINS0_14default_configENS1_22reduce_config_selectorIlEEZNS1_11reduce_implILb1ES3_N6thrust23THRUST_200600_302600_NS11hip_rocprim26transform_input_iterator_tIlNS8_12zip_iteratorINS8_5tupleINS8_6detail15normal_iteratorINS8_10device_ptrIfEEEESH_NS8_9null_typeESI_SI_SI_SI_SI_SI_SI_EEEENS9_21zip_adj_not_predicateI22is_equal_div_10_uniqueIfEEEEEPllNS8_4plusIlEEEE10hipError_tPvRmT1_T2_T3_mT4_P12ihipStream_tbEUlT_E1_NS1_11comp_targetILNS1_3genE8ELNS1_11target_archE1030ELNS1_3gpuE2ELNS1_3repE0EEENS1_30default_config_static_selectorELNS0_4arch9wavefront6targetE1EEEvSW_.has_dyn_sized_stack, 0
	.set _ZN7rocprim17ROCPRIM_400000_NS6detail17trampoline_kernelINS0_14default_configENS1_22reduce_config_selectorIlEEZNS1_11reduce_implILb1ES3_N6thrust23THRUST_200600_302600_NS11hip_rocprim26transform_input_iterator_tIlNS8_12zip_iteratorINS8_5tupleINS8_6detail15normal_iteratorINS8_10device_ptrIfEEEESH_NS8_9null_typeESI_SI_SI_SI_SI_SI_SI_EEEENS9_21zip_adj_not_predicateI22is_equal_div_10_uniqueIfEEEEEPllNS8_4plusIlEEEE10hipError_tPvRmT1_T2_T3_mT4_P12ihipStream_tbEUlT_E1_NS1_11comp_targetILNS1_3genE8ELNS1_11target_archE1030ELNS1_3gpuE2ELNS1_3repE0EEENS1_30default_config_static_selectorELNS0_4arch9wavefront6targetE1EEEvSW_.has_recursion, 0
	.set _ZN7rocprim17ROCPRIM_400000_NS6detail17trampoline_kernelINS0_14default_configENS1_22reduce_config_selectorIlEEZNS1_11reduce_implILb1ES3_N6thrust23THRUST_200600_302600_NS11hip_rocprim26transform_input_iterator_tIlNS8_12zip_iteratorINS8_5tupleINS8_6detail15normal_iteratorINS8_10device_ptrIfEEEESH_NS8_9null_typeESI_SI_SI_SI_SI_SI_SI_EEEENS9_21zip_adj_not_predicateI22is_equal_div_10_uniqueIfEEEEEPllNS8_4plusIlEEEE10hipError_tPvRmT1_T2_T3_mT4_P12ihipStream_tbEUlT_E1_NS1_11comp_targetILNS1_3genE8ELNS1_11target_archE1030ELNS1_3gpuE2ELNS1_3repE0EEENS1_30default_config_static_selectorELNS0_4arch9wavefront6targetE1EEEvSW_.has_indirect_call, 0
	.section	.AMDGPU.csdata,"",@progbits
; Kernel info:
; codeLenInByte = 0
; TotalNumSgprs: 4
; NumVgprs: 0
; ScratchSize: 0
; MemoryBound: 0
; FloatMode: 240
; IeeeMode: 1
; LDSByteSize: 0 bytes/workgroup (compile time only)
; SGPRBlocks: 0
; VGPRBlocks: 0
; NumSGPRsForWavesPerEU: 4
; NumVGPRsForWavesPerEU: 1
; Occupancy: 10
; WaveLimiterHint : 0
; COMPUTE_PGM_RSRC2:SCRATCH_EN: 0
; COMPUTE_PGM_RSRC2:USER_SGPR: 6
; COMPUTE_PGM_RSRC2:TRAP_HANDLER: 0
; COMPUTE_PGM_RSRC2:TGID_X_EN: 1
; COMPUTE_PGM_RSRC2:TGID_Y_EN: 0
; COMPUTE_PGM_RSRC2:TGID_Z_EN: 0
; COMPUTE_PGM_RSRC2:TIDIG_COMP_CNT: 0
	.section	.text._ZN7rocprim17ROCPRIM_400000_NS6detail17trampoline_kernelINS0_14default_configENS1_22reduce_config_selectorIlEEZNS1_11reduce_implILb1ES3_N6thrust23THRUST_200600_302600_NS11hip_rocprim26transform_input_iterator_tIlNS8_12zip_iteratorINS8_5tupleINS8_6detail15normal_iteratorINS8_10device_ptrIyEEEESH_NS8_9null_typeESI_SI_SI_SI_SI_SI_SI_EEEENS9_21zip_adj_not_predicateINS8_8equal_toIyEEEEEEPllNS8_4plusIlEEEE10hipError_tPvRmT1_T2_T3_mT4_P12ihipStream_tbEUlT_E0_NS1_11comp_targetILNS1_3genE0ELNS1_11target_archE4294967295ELNS1_3gpuE0ELNS1_3repE0EEENS1_30default_config_static_selectorELNS0_4arch9wavefront6targetE1EEEvSW_,"axG",@progbits,_ZN7rocprim17ROCPRIM_400000_NS6detail17trampoline_kernelINS0_14default_configENS1_22reduce_config_selectorIlEEZNS1_11reduce_implILb1ES3_N6thrust23THRUST_200600_302600_NS11hip_rocprim26transform_input_iterator_tIlNS8_12zip_iteratorINS8_5tupleINS8_6detail15normal_iteratorINS8_10device_ptrIyEEEESH_NS8_9null_typeESI_SI_SI_SI_SI_SI_SI_EEEENS9_21zip_adj_not_predicateINS8_8equal_toIyEEEEEEPllNS8_4plusIlEEEE10hipError_tPvRmT1_T2_T3_mT4_P12ihipStream_tbEUlT_E0_NS1_11comp_targetILNS1_3genE0ELNS1_11target_archE4294967295ELNS1_3gpuE0ELNS1_3repE0EEENS1_30default_config_static_selectorELNS0_4arch9wavefront6targetE1EEEvSW_,comdat
	.protected	_ZN7rocprim17ROCPRIM_400000_NS6detail17trampoline_kernelINS0_14default_configENS1_22reduce_config_selectorIlEEZNS1_11reduce_implILb1ES3_N6thrust23THRUST_200600_302600_NS11hip_rocprim26transform_input_iterator_tIlNS8_12zip_iteratorINS8_5tupleINS8_6detail15normal_iteratorINS8_10device_ptrIyEEEESH_NS8_9null_typeESI_SI_SI_SI_SI_SI_SI_EEEENS9_21zip_adj_not_predicateINS8_8equal_toIyEEEEEEPllNS8_4plusIlEEEE10hipError_tPvRmT1_T2_T3_mT4_P12ihipStream_tbEUlT_E0_NS1_11comp_targetILNS1_3genE0ELNS1_11target_archE4294967295ELNS1_3gpuE0ELNS1_3repE0EEENS1_30default_config_static_selectorELNS0_4arch9wavefront6targetE1EEEvSW_ ; -- Begin function _ZN7rocprim17ROCPRIM_400000_NS6detail17trampoline_kernelINS0_14default_configENS1_22reduce_config_selectorIlEEZNS1_11reduce_implILb1ES3_N6thrust23THRUST_200600_302600_NS11hip_rocprim26transform_input_iterator_tIlNS8_12zip_iteratorINS8_5tupleINS8_6detail15normal_iteratorINS8_10device_ptrIyEEEESH_NS8_9null_typeESI_SI_SI_SI_SI_SI_SI_EEEENS9_21zip_adj_not_predicateINS8_8equal_toIyEEEEEEPllNS8_4plusIlEEEE10hipError_tPvRmT1_T2_T3_mT4_P12ihipStream_tbEUlT_E0_NS1_11comp_targetILNS1_3genE0ELNS1_11target_archE4294967295ELNS1_3gpuE0ELNS1_3repE0EEENS1_30default_config_static_selectorELNS0_4arch9wavefront6targetE1EEEvSW_
	.globl	_ZN7rocprim17ROCPRIM_400000_NS6detail17trampoline_kernelINS0_14default_configENS1_22reduce_config_selectorIlEEZNS1_11reduce_implILb1ES3_N6thrust23THRUST_200600_302600_NS11hip_rocprim26transform_input_iterator_tIlNS8_12zip_iteratorINS8_5tupleINS8_6detail15normal_iteratorINS8_10device_ptrIyEEEESH_NS8_9null_typeESI_SI_SI_SI_SI_SI_SI_EEEENS9_21zip_adj_not_predicateINS8_8equal_toIyEEEEEEPllNS8_4plusIlEEEE10hipError_tPvRmT1_T2_T3_mT4_P12ihipStream_tbEUlT_E0_NS1_11comp_targetILNS1_3genE0ELNS1_11target_archE4294967295ELNS1_3gpuE0ELNS1_3repE0EEENS1_30default_config_static_selectorELNS0_4arch9wavefront6targetE1EEEvSW_
	.p2align	8
	.type	_ZN7rocprim17ROCPRIM_400000_NS6detail17trampoline_kernelINS0_14default_configENS1_22reduce_config_selectorIlEEZNS1_11reduce_implILb1ES3_N6thrust23THRUST_200600_302600_NS11hip_rocprim26transform_input_iterator_tIlNS8_12zip_iteratorINS8_5tupleINS8_6detail15normal_iteratorINS8_10device_ptrIyEEEESH_NS8_9null_typeESI_SI_SI_SI_SI_SI_SI_EEEENS9_21zip_adj_not_predicateINS8_8equal_toIyEEEEEEPllNS8_4plusIlEEEE10hipError_tPvRmT1_T2_T3_mT4_P12ihipStream_tbEUlT_E0_NS1_11comp_targetILNS1_3genE0ELNS1_11target_archE4294967295ELNS1_3gpuE0ELNS1_3repE0EEENS1_30default_config_static_selectorELNS0_4arch9wavefront6targetE1EEEvSW_,@function
_ZN7rocprim17ROCPRIM_400000_NS6detail17trampoline_kernelINS0_14default_configENS1_22reduce_config_selectorIlEEZNS1_11reduce_implILb1ES3_N6thrust23THRUST_200600_302600_NS11hip_rocprim26transform_input_iterator_tIlNS8_12zip_iteratorINS8_5tupleINS8_6detail15normal_iteratorINS8_10device_ptrIyEEEESH_NS8_9null_typeESI_SI_SI_SI_SI_SI_SI_EEEENS9_21zip_adj_not_predicateINS8_8equal_toIyEEEEEEPllNS8_4plusIlEEEE10hipError_tPvRmT1_T2_T3_mT4_P12ihipStream_tbEUlT_E0_NS1_11comp_targetILNS1_3genE0ELNS1_11target_archE4294967295ELNS1_3gpuE0ELNS1_3repE0EEENS1_30default_config_static_selectorELNS0_4arch9wavefront6targetE1EEEvSW_: ; @_ZN7rocprim17ROCPRIM_400000_NS6detail17trampoline_kernelINS0_14default_configENS1_22reduce_config_selectorIlEEZNS1_11reduce_implILb1ES3_N6thrust23THRUST_200600_302600_NS11hip_rocprim26transform_input_iterator_tIlNS8_12zip_iteratorINS8_5tupleINS8_6detail15normal_iteratorINS8_10device_ptrIyEEEESH_NS8_9null_typeESI_SI_SI_SI_SI_SI_SI_EEEENS9_21zip_adj_not_predicateINS8_8equal_toIyEEEEEEPllNS8_4plusIlEEEE10hipError_tPvRmT1_T2_T3_mT4_P12ihipStream_tbEUlT_E0_NS1_11comp_targetILNS1_3genE0ELNS1_11target_archE4294967295ELNS1_3gpuE0ELNS1_3repE0EEENS1_30default_config_static_selectorELNS0_4arch9wavefront6targetE1EEEvSW_
; %bb.0:
	.section	.rodata,"a",@progbits
	.p2align	6, 0x0
	.amdhsa_kernel _ZN7rocprim17ROCPRIM_400000_NS6detail17trampoline_kernelINS0_14default_configENS1_22reduce_config_selectorIlEEZNS1_11reduce_implILb1ES3_N6thrust23THRUST_200600_302600_NS11hip_rocprim26transform_input_iterator_tIlNS8_12zip_iteratorINS8_5tupleINS8_6detail15normal_iteratorINS8_10device_ptrIyEEEESH_NS8_9null_typeESI_SI_SI_SI_SI_SI_SI_EEEENS9_21zip_adj_not_predicateINS8_8equal_toIyEEEEEEPllNS8_4plusIlEEEE10hipError_tPvRmT1_T2_T3_mT4_P12ihipStream_tbEUlT_E0_NS1_11comp_targetILNS1_3genE0ELNS1_11target_archE4294967295ELNS1_3gpuE0ELNS1_3repE0EEENS1_30default_config_static_selectorELNS0_4arch9wavefront6targetE1EEEvSW_
		.amdhsa_group_segment_fixed_size 0
		.amdhsa_private_segment_fixed_size 0
		.amdhsa_kernarg_size 80
		.amdhsa_user_sgpr_count 6
		.amdhsa_user_sgpr_private_segment_buffer 1
		.amdhsa_user_sgpr_dispatch_ptr 0
		.amdhsa_user_sgpr_queue_ptr 0
		.amdhsa_user_sgpr_kernarg_segment_ptr 1
		.amdhsa_user_sgpr_dispatch_id 0
		.amdhsa_user_sgpr_flat_scratch_init 0
		.amdhsa_user_sgpr_private_segment_size 0
		.amdhsa_uses_dynamic_stack 0
		.amdhsa_system_sgpr_private_segment_wavefront_offset 0
		.amdhsa_system_sgpr_workgroup_id_x 1
		.amdhsa_system_sgpr_workgroup_id_y 0
		.amdhsa_system_sgpr_workgroup_id_z 0
		.amdhsa_system_sgpr_workgroup_info 0
		.amdhsa_system_vgpr_workitem_id 0
		.amdhsa_next_free_vgpr 1
		.amdhsa_next_free_sgpr 0
		.amdhsa_reserve_vcc 0
		.amdhsa_reserve_flat_scratch 0
		.amdhsa_float_round_mode_32 0
		.amdhsa_float_round_mode_16_64 0
		.amdhsa_float_denorm_mode_32 3
		.amdhsa_float_denorm_mode_16_64 3
		.amdhsa_dx10_clamp 1
		.amdhsa_ieee_mode 1
		.amdhsa_fp16_overflow 0
		.amdhsa_exception_fp_ieee_invalid_op 0
		.amdhsa_exception_fp_denorm_src 0
		.amdhsa_exception_fp_ieee_div_zero 0
		.amdhsa_exception_fp_ieee_overflow 0
		.amdhsa_exception_fp_ieee_underflow 0
		.amdhsa_exception_fp_ieee_inexact 0
		.amdhsa_exception_int_div_zero 0
	.end_amdhsa_kernel
	.section	.text._ZN7rocprim17ROCPRIM_400000_NS6detail17trampoline_kernelINS0_14default_configENS1_22reduce_config_selectorIlEEZNS1_11reduce_implILb1ES3_N6thrust23THRUST_200600_302600_NS11hip_rocprim26transform_input_iterator_tIlNS8_12zip_iteratorINS8_5tupleINS8_6detail15normal_iteratorINS8_10device_ptrIyEEEESH_NS8_9null_typeESI_SI_SI_SI_SI_SI_SI_EEEENS9_21zip_adj_not_predicateINS8_8equal_toIyEEEEEEPllNS8_4plusIlEEEE10hipError_tPvRmT1_T2_T3_mT4_P12ihipStream_tbEUlT_E0_NS1_11comp_targetILNS1_3genE0ELNS1_11target_archE4294967295ELNS1_3gpuE0ELNS1_3repE0EEENS1_30default_config_static_selectorELNS0_4arch9wavefront6targetE1EEEvSW_,"axG",@progbits,_ZN7rocprim17ROCPRIM_400000_NS6detail17trampoline_kernelINS0_14default_configENS1_22reduce_config_selectorIlEEZNS1_11reduce_implILb1ES3_N6thrust23THRUST_200600_302600_NS11hip_rocprim26transform_input_iterator_tIlNS8_12zip_iteratorINS8_5tupleINS8_6detail15normal_iteratorINS8_10device_ptrIyEEEESH_NS8_9null_typeESI_SI_SI_SI_SI_SI_SI_EEEENS9_21zip_adj_not_predicateINS8_8equal_toIyEEEEEEPllNS8_4plusIlEEEE10hipError_tPvRmT1_T2_T3_mT4_P12ihipStream_tbEUlT_E0_NS1_11comp_targetILNS1_3genE0ELNS1_11target_archE4294967295ELNS1_3gpuE0ELNS1_3repE0EEENS1_30default_config_static_selectorELNS0_4arch9wavefront6targetE1EEEvSW_,comdat
.Lfunc_end815:
	.size	_ZN7rocprim17ROCPRIM_400000_NS6detail17trampoline_kernelINS0_14default_configENS1_22reduce_config_selectorIlEEZNS1_11reduce_implILb1ES3_N6thrust23THRUST_200600_302600_NS11hip_rocprim26transform_input_iterator_tIlNS8_12zip_iteratorINS8_5tupleINS8_6detail15normal_iteratorINS8_10device_ptrIyEEEESH_NS8_9null_typeESI_SI_SI_SI_SI_SI_SI_EEEENS9_21zip_adj_not_predicateINS8_8equal_toIyEEEEEEPllNS8_4plusIlEEEE10hipError_tPvRmT1_T2_T3_mT4_P12ihipStream_tbEUlT_E0_NS1_11comp_targetILNS1_3genE0ELNS1_11target_archE4294967295ELNS1_3gpuE0ELNS1_3repE0EEENS1_30default_config_static_selectorELNS0_4arch9wavefront6targetE1EEEvSW_, .Lfunc_end815-_ZN7rocprim17ROCPRIM_400000_NS6detail17trampoline_kernelINS0_14default_configENS1_22reduce_config_selectorIlEEZNS1_11reduce_implILb1ES3_N6thrust23THRUST_200600_302600_NS11hip_rocprim26transform_input_iterator_tIlNS8_12zip_iteratorINS8_5tupleINS8_6detail15normal_iteratorINS8_10device_ptrIyEEEESH_NS8_9null_typeESI_SI_SI_SI_SI_SI_SI_EEEENS9_21zip_adj_not_predicateINS8_8equal_toIyEEEEEEPllNS8_4plusIlEEEE10hipError_tPvRmT1_T2_T3_mT4_P12ihipStream_tbEUlT_E0_NS1_11comp_targetILNS1_3genE0ELNS1_11target_archE4294967295ELNS1_3gpuE0ELNS1_3repE0EEENS1_30default_config_static_selectorELNS0_4arch9wavefront6targetE1EEEvSW_
                                        ; -- End function
	.set _ZN7rocprim17ROCPRIM_400000_NS6detail17trampoline_kernelINS0_14default_configENS1_22reduce_config_selectorIlEEZNS1_11reduce_implILb1ES3_N6thrust23THRUST_200600_302600_NS11hip_rocprim26transform_input_iterator_tIlNS8_12zip_iteratorINS8_5tupleINS8_6detail15normal_iteratorINS8_10device_ptrIyEEEESH_NS8_9null_typeESI_SI_SI_SI_SI_SI_SI_EEEENS9_21zip_adj_not_predicateINS8_8equal_toIyEEEEEEPllNS8_4plusIlEEEE10hipError_tPvRmT1_T2_T3_mT4_P12ihipStream_tbEUlT_E0_NS1_11comp_targetILNS1_3genE0ELNS1_11target_archE4294967295ELNS1_3gpuE0ELNS1_3repE0EEENS1_30default_config_static_selectorELNS0_4arch9wavefront6targetE1EEEvSW_.num_vgpr, 0
	.set _ZN7rocprim17ROCPRIM_400000_NS6detail17trampoline_kernelINS0_14default_configENS1_22reduce_config_selectorIlEEZNS1_11reduce_implILb1ES3_N6thrust23THRUST_200600_302600_NS11hip_rocprim26transform_input_iterator_tIlNS8_12zip_iteratorINS8_5tupleINS8_6detail15normal_iteratorINS8_10device_ptrIyEEEESH_NS8_9null_typeESI_SI_SI_SI_SI_SI_SI_EEEENS9_21zip_adj_not_predicateINS8_8equal_toIyEEEEEEPllNS8_4plusIlEEEE10hipError_tPvRmT1_T2_T3_mT4_P12ihipStream_tbEUlT_E0_NS1_11comp_targetILNS1_3genE0ELNS1_11target_archE4294967295ELNS1_3gpuE0ELNS1_3repE0EEENS1_30default_config_static_selectorELNS0_4arch9wavefront6targetE1EEEvSW_.num_agpr, 0
	.set _ZN7rocprim17ROCPRIM_400000_NS6detail17trampoline_kernelINS0_14default_configENS1_22reduce_config_selectorIlEEZNS1_11reduce_implILb1ES3_N6thrust23THRUST_200600_302600_NS11hip_rocprim26transform_input_iterator_tIlNS8_12zip_iteratorINS8_5tupleINS8_6detail15normal_iteratorINS8_10device_ptrIyEEEESH_NS8_9null_typeESI_SI_SI_SI_SI_SI_SI_EEEENS9_21zip_adj_not_predicateINS8_8equal_toIyEEEEEEPllNS8_4plusIlEEEE10hipError_tPvRmT1_T2_T3_mT4_P12ihipStream_tbEUlT_E0_NS1_11comp_targetILNS1_3genE0ELNS1_11target_archE4294967295ELNS1_3gpuE0ELNS1_3repE0EEENS1_30default_config_static_selectorELNS0_4arch9wavefront6targetE1EEEvSW_.numbered_sgpr, 0
	.set _ZN7rocprim17ROCPRIM_400000_NS6detail17trampoline_kernelINS0_14default_configENS1_22reduce_config_selectorIlEEZNS1_11reduce_implILb1ES3_N6thrust23THRUST_200600_302600_NS11hip_rocprim26transform_input_iterator_tIlNS8_12zip_iteratorINS8_5tupleINS8_6detail15normal_iteratorINS8_10device_ptrIyEEEESH_NS8_9null_typeESI_SI_SI_SI_SI_SI_SI_EEEENS9_21zip_adj_not_predicateINS8_8equal_toIyEEEEEEPllNS8_4plusIlEEEE10hipError_tPvRmT1_T2_T3_mT4_P12ihipStream_tbEUlT_E0_NS1_11comp_targetILNS1_3genE0ELNS1_11target_archE4294967295ELNS1_3gpuE0ELNS1_3repE0EEENS1_30default_config_static_selectorELNS0_4arch9wavefront6targetE1EEEvSW_.num_named_barrier, 0
	.set _ZN7rocprim17ROCPRIM_400000_NS6detail17trampoline_kernelINS0_14default_configENS1_22reduce_config_selectorIlEEZNS1_11reduce_implILb1ES3_N6thrust23THRUST_200600_302600_NS11hip_rocprim26transform_input_iterator_tIlNS8_12zip_iteratorINS8_5tupleINS8_6detail15normal_iteratorINS8_10device_ptrIyEEEESH_NS8_9null_typeESI_SI_SI_SI_SI_SI_SI_EEEENS9_21zip_adj_not_predicateINS8_8equal_toIyEEEEEEPllNS8_4plusIlEEEE10hipError_tPvRmT1_T2_T3_mT4_P12ihipStream_tbEUlT_E0_NS1_11comp_targetILNS1_3genE0ELNS1_11target_archE4294967295ELNS1_3gpuE0ELNS1_3repE0EEENS1_30default_config_static_selectorELNS0_4arch9wavefront6targetE1EEEvSW_.private_seg_size, 0
	.set _ZN7rocprim17ROCPRIM_400000_NS6detail17trampoline_kernelINS0_14default_configENS1_22reduce_config_selectorIlEEZNS1_11reduce_implILb1ES3_N6thrust23THRUST_200600_302600_NS11hip_rocprim26transform_input_iterator_tIlNS8_12zip_iteratorINS8_5tupleINS8_6detail15normal_iteratorINS8_10device_ptrIyEEEESH_NS8_9null_typeESI_SI_SI_SI_SI_SI_SI_EEEENS9_21zip_adj_not_predicateINS8_8equal_toIyEEEEEEPllNS8_4plusIlEEEE10hipError_tPvRmT1_T2_T3_mT4_P12ihipStream_tbEUlT_E0_NS1_11comp_targetILNS1_3genE0ELNS1_11target_archE4294967295ELNS1_3gpuE0ELNS1_3repE0EEENS1_30default_config_static_selectorELNS0_4arch9wavefront6targetE1EEEvSW_.uses_vcc, 0
	.set _ZN7rocprim17ROCPRIM_400000_NS6detail17trampoline_kernelINS0_14default_configENS1_22reduce_config_selectorIlEEZNS1_11reduce_implILb1ES3_N6thrust23THRUST_200600_302600_NS11hip_rocprim26transform_input_iterator_tIlNS8_12zip_iteratorINS8_5tupleINS8_6detail15normal_iteratorINS8_10device_ptrIyEEEESH_NS8_9null_typeESI_SI_SI_SI_SI_SI_SI_EEEENS9_21zip_adj_not_predicateINS8_8equal_toIyEEEEEEPllNS8_4plusIlEEEE10hipError_tPvRmT1_T2_T3_mT4_P12ihipStream_tbEUlT_E0_NS1_11comp_targetILNS1_3genE0ELNS1_11target_archE4294967295ELNS1_3gpuE0ELNS1_3repE0EEENS1_30default_config_static_selectorELNS0_4arch9wavefront6targetE1EEEvSW_.uses_flat_scratch, 0
	.set _ZN7rocprim17ROCPRIM_400000_NS6detail17trampoline_kernelINS0_14default_configENS1_22reduce_config_selectorIlEEZNS1_11reduce_implILb1ES3_N6thrust23THRUST_200600_302600_NS11hip_rocprim26transform_input_iterator_tIlNS8_12zip_iteratorINS8_5tupleINS8_6detail15normal_iteratorINS8_10device_ptrIyEEEESH_NS8_9null_typeESI_SI_SI_SI_SI_SI_SI_EEEENS9_21zip_adj_not_predicateINS8_8equal_toIyEEEEEEPllNS8_4plusIlEEEE10hipError_tPvRmT1_T2_T3_mT4_P12ihipStream_tbEUlT_E0_NS1_11comp_targetILNS1_3genE0ELNS1_11target_archE4294967295ELNS1_3gpuE0ELNS1_3repE0EEENS1_30default_config_static_selectorELNS0_4arch9wavefront6targetE1EEEvSW_.has_dyn_sized_stack, 0
	.set _ZN7rocprim17ROCPRIM_400000_NS6detail17trampoline_kernelINS0_14default_configENS1_22reduce_config_selectorIlEEZNS1_11reduce_implILb1ES3_N6thrust23THRUST_200600_302600_NS11hip_rocprim26transform_input_iterator_tIlNS8_12zip_iteratorINS8_5tupleINS8_6detail15normal_iteratorINS8_10device_ptrIyEEEESH_NS8_9null_typeESI_SI_SI_SI_SI_SI_SI_EEEENS9_21zip_adj_not_predicateINS8_8equal_toIyEEEEEEPllNS8_4plusIlEEEE10hipError_tPvRmT1_T2_T3_mT4_P12ihipStream_tbEUlT_E0_NS1_11comp_targetILNS1_3genE0ELNS1_11target_archE4294967295ELNS1_3gpuE0ELNS1_3repE0EEENS1_30default_config_static_selectorELNS0_4arch9wavefront6targetE1EEEvSW_.has_recursion, 0
	.set _ZN7rocprim17ROCPRIM_400000_NS6detail17trampoline_kernelINS0_14default_configENS1_22reduce_config_selectorIlEEZNS1_11reduce_implILb1ES3_N6thrust23THRUST_200600_302600_NS11hip_rocprim26transform_input_iterator_tIlNS8_12zip_iteratorINS8_5tupleINS8_6detail15normal_iteratorINS8_10device_ptrIyEEEESH_NS8_9null_typeESI_SI_SI_SI_SI_SI_SI_EEEENS9_21zip_adj_not_predicateINS8_8equal_toIyEEEEEEPllNS8_4plusIlEEEE10hipError_tPvRmT1_T2_T3_mT4_P12ihipStream_tbEUlT_E0_NS1_11comp_targetILNS1_3genE0ELNS1_11target_archE4294967295ELNS1_3gpuE0ELNS1_3repE0EEENS1_30default_config_static_selectorELNS0_4arch9wavefront6targetE1EEEvSW_.has_indirect_call, 0
	.section	.AMDGPU.csdata,"",@progbits
; Kernel info:
; codeLenInByte = 0
; TotalNumSgprs: 4
; NumVgprs: 0
; ScratchSize: 0
; MemoryBound: 0
; FloatMode: 240
; IeeeMode: 1
; LDSByteSize: 0 bytes/workgroup (compile time only)
; SGPRBlocks: 0
; VGPRBlocks: 0
; NumSGPRsForWavesPerEU: 4
; NumVGPRsForWavesPerEU: 1
; Occupancy: 10
; WaveLimiterHint : 0
; COMPUTE_PGM_RSRC2:SCRATCH_EN: 0
; COMPUTE_PGM_RSRC2:USER_SGPR: 6
; COMPUTE_PGM_RSRC2:TRAP_HANDLER: 0
; COMPUTE_PGM_RSRC2:TGID_X_EN: 1
; COMPUTE_PGM_RSRC2:TGID_Y_EN: 0
; COMPUTE_PGM_RSRC2:TGID_Z_EN: 0
; COMPUTE_PGM_RSRC2:TIDIG_COMP_CNT: 0
	.section	.text._ZN7rocprim17ROCPRIM_400000_NS6detail17trampoline_kernelINS0_14default_configENS1_22reduce_config_selectorIlEEZNS1_11reduce_implILb1ES3_N6thrust23THRUST_200600_302600_NS11hip_rocprim26transform_input_iterator_tIlNS8_12zip_iteratorINS8_5tupleINS8_6detail15normal_iteratorINS8_10device_ptrIyEEEESH_NS8_9null_typeESI_SI_SI_SI_SI_SI_SI_EEEENS9_21zip_adj_not_predicateINS8_8equal_toIyEEEEEEPllNS8_4plusIlEEEE10hipError_tPvRmT1_T2_T3_mT4_P12ihipStream_tbEUlT_E0_NS1_11comp_targetILNS1_3genE5ELNS1_11target_archE942ELNS1_3gpuE9ELNS1_3repE0EEENS1_30default_config_static_selectorELNS0_4arch9wavefront6targetE1EEEvSW_,"axG",@progbits,_ZN7rocprim17ROCPRIM_400000_NS6detail17trampoline_kernelINS0_14default_configENS1_22reduce_config_selectorIlEEZNS1_11reduce_implILb1ES3_N6thrust23THRUST_200600_302600_NS11hip_rocprim26transform_input_iterator_tIlNS8_12zip_iteratorINS8_5tupleINS8_6detail15normal_iteratorINS8_10device_ptrIyEEEESH_NS8_9null_typeESI_SI_SI_SI_SI_SI_SI_EEEENS9_21zip_adj_not_predicateINS8_8equal_toIyEEEEEEPllNS8_4plusIlEEEE10hipError_tPvRmT1_T2_T3_mT4_P12ihipStream_tbEUlT_E0_NS1_11comp_targetILNS1_3genE5ELNS1_11target_archE942ELNS1_3gpuE9ELNS1_3repE0EEENS1_30default_config_static_selectorELNS0_4arch9wavefront6targetE1EEEvSW_,comdat
	.protected	_ZN7rocprim17ROCPRIM_400000_NS6detail17trampoline_kernelINS0_14default_configENS1_22reduce_config_selectorIlEEZNS1_11reduce_implILb1ES3_N6thrust23THRUST_200600_302600_NS11hip_rocprim26transform_input_iterator_tIlNS8_12zip_iteratorINS8_5tupleINS8_6detail15normal_iteratorINS8_10device_ptrIyEEEESH_NS8_9null_typeESI_SI_SI_SI_SI_SI_SI_EEEENS9_21zip_adj_not_predicateINS8_8equal_toIyEEEEEEPllNS8_4plusIlEEEE10hipError_tPvRmT1_T2_T3_mT4_P12ihipStream_tbEUlT_E0_NS1_11comp_targetILNS1_3genE5ELNS1_11target_archE942ELNS1_3gpuE9ELNS1_3repE0EEENS1_30default_config_static_selectorELNS0_4arch9wavefront6targetE1EEEvSW_ ; -- Begin function _ZN7rocprim17ROCPRIM_400000_NS6detail17trampoline_kernelINS0_14default_configENS1_22reduce_config_selectorIlEEZNS1_11reduce_implILb1ES3_N6thrust23THRUST_200600_302600_NS11hip_rocprim26transform_input_iterator_tIlNS8_12zip_iteratorINS8_5tupleINS8_6detail15normal_iteratorINS8_10device_ptrIyEEEESH_NS8_9null_typeESI_SI_SI_SI_SI_SI_SI_EEEENS9_21zip_adj_not_predicateINS8_8equal_toIyEEEEEEPllNS8_4plusIlEEEE10hipError_tPvRmT1_T2_T3_mT4_P12ihipStream_tbEUlT_E0_NS1_11comp_targetILNS1_3genE5ELNS1_11target_archE942ELNS1_3gpuE9ELNS1_3repE0EEENS1_30default_config_static_selectorELNS0_4arch9wavefront6targetE1EEEvSW_
	.globl	_ZN7rocprim17ROCPRIM_400000_NS6detail17trampoline_kernelINS0_14default_configENS1_22reduce_config_selectorIlEEZNS1_11reduce_implILb1ES3_N6thrust23THRUST_200600_302600_NS11hip_rocprim26transform_input_iterator_tIlNS8_12zip_iteratorINS8_5tupleINS8_6detail15normal_iteratorINS8_10device_ptrIyEEEESH_NS8_9null_typeESI_SI_SI_SI_SI_SI_SI_EEEENS9_21zip_adj_not_predicateINS8_8equal_toIyEEEEEEPllNS8_4plusIlEEEE10hipError_tPvRmT1_T2_T3_mT4_P12ihipStream_tbEUlT_E0_NS1_11comp_targetILNS1_3genE5ELNS1_11target_archE942ELNS1_3gpuE9ELNS1_3repE0EEENS1_30default_config_static_selectorELNS0_4arch9wavefront6targetE1EEEvSW_
	.p2align	8
	.type	_ZN7rocprim17ROCPRIM_400000_NS6detail17trampoline_kernelINS0_14default_configENS1_22reduce_config_selectorIlEEZNS1_11reduce_implILb1ES3_N6thrust23THRUST_200600_302600_NS11hip_rocprim26transform_input_iterator_tIlNS8_12zip_iteratorINS8_5tupleINS8_6detail15normal_iteratorINS8_10device_ptrIyEEEESH_NS8_9null_typeESI_SI_SI_SI_SI_SI_SI_EEEENS9_21zip_adj_not_predicateINS8_8equal_toIyEEEEEEPllNS8_4plusIlEEEE10hipError_tPvRmT1_T2_T3_mT4_P12ihipStream_tbEUlT_E0_NS1_11comp_targetILNS1_3genE5ELNS1_11target_archE942ELNS1_3gpuE9ELNS1_3repE0EEENS1_30default_config_static_selectorELNS0_4arch9wavefront6targetE1EEEvSW_,@function
_ZN7rocprim17ROCPRIM_400000_NS6detail17trampoline_kernelINS0_14default_configENS1_22reduce_config_selectorIlEEZNS1_11reduce_implILb1ES3_N6thrust23THRUST_200600_302600_NS11hip_rocprim26transform_input_iterator_tIlNS8_12zip_iteratorINS8_5tupleINS8_6detail15normal_iteratorINS8_10device_ptrIyEEEESH_NS8_9null_typeESI_SI_SI_SI_SI_SI_SI_EEEENS9_21zip_adj_not_predicateINS8_8equal_toIyEEEEEEPllNS8_4plusIlEEEE10hipError_tPvRmT1_T2_T3_mT4_P12ihipStream_tbEUlT_E0_NS1_11comp_targetILNS1_3genE5ELNS1_11target_archE942ELNS1_3gpuE9ELNS1_3repE0EEENS1_30default_config_static_selectorELNS0_4arch9wavefront6targetE1EEEvSW_: ; @_ZN7rocprim17ROCPRIM_400000_NS6detail17trampoline_kernelINS0_14default_configENS1_22reduce_config_selectorIlEEZNS1_11reduce_implILb1ES3_N6thrust23THRUST_200600_302600_NS11hip_rocprim26transform_input_iterator_tIlNS8_12zip_iteratorINS8_5tupleINS8_6detail15normal_iteratorINS8_10device_ptrIyEEEESH_NS8_9null_typeESI_SI_SI_SI_SI_SI_SI_EEEENS9_21zip_adj_not_predicateINS8_8equal_toIyEEEEEEPllNS8_4plusIlEEEE10hipError_tPvRmT1_T2_T3_mT4_P12ihipStream_tbEUlT_E0_NS1_11comp_targetILNS1_3genE5ELNS1_11target_archE942ELNS1_3gpuE9ELNS1_3repE0EEENS1_30default_config_static_selectorELNS0_4arch9wavefront6targetE1EEEvSW_
; %bb.0:
	.section	.rodata,"a",@progbits
	.p2align	6, 0x0
	.amdhsa_kernel _ZN7rocprim17ROCPRIM_400000_NS6detail17trampoline_kernelINS0_14default_configENS1_22reduce_config_selectorIlEEZNS1_11reduce_implILb1ES3_N6thrust23THRUST_200600_302600_NS11hip_rocprim26transform_input_iterator_tIlNS8_12zip_iteratorINS8_5tupleINS8_6detail15normal_iteratorINS8_10device_ptrIyEEEESH_NS8_9null_typeESI_SI_SI_SI_SI_SI_SI_EEEENS9_21zip_adj_not_predicateINS8_8equal_toIyEEEEEEPllNS8_4plusIlEEEE10hipError_tPvRmT1_T2_T3_mT4_P12ihipStream_tbEUlT_E0_NS1_11comp_targetILNS1_3genE5ELNS1_11target_archE942ELNS1_3gpuE9ELNS1_3repE0EEENS1_30default_config_static_selectorELNS0_4arch9wavefront6targetE1EEEvSW_
		.amdhsa_group_segment_fixed_size 0
		.amdhsa_private_segment_fixed_size 0
		.amdhsa_kernarg_size 80
		.amdhsa_user_sgpr_count 6
		.amdhsa_user_sgpr_private_segment_buffer 1
		.amdhsa_user_sgpr_dispatch_ptr 0
		.amdhsa_user_sgpr_queue_ptr 0
		.amdhsa_user_sgpr_kernarg_segment_ptr 1
		.amdhsa_user_sgpr_dispatch_id 0
		.amdhsa_user_sgpr_flat_scratch_init 0
		.amdhsa_user_sgpr_private_segment_size 0
		.amdhsa_uses_dynamic_stack 0
		.amdhsa_system_sgpr_private_segment_wavefront_offset 0
		.amdhsa_system_sgpr_workgroup_id_x 1
		.amdhsa_system_sgpr_workgroup_id_y 0
		.amdhsa_system_sgpr_workgroup_id_z 0
		.amdhsa_system_sgpr_workgroup_info 0
		.amdhsa_system_vgpr_workitem_id 0
		.amdhsa_next_free_vgpr 1
		.amdhsa_next_free_sgpr 0
		.amdhsa_reserve_vcc 0
		.amdhsa_reserve_flat_scratch 0
		.amdhsa_float_round_mode_32 0
		.amdhsa_float_round_mode_16_64 0
		.amdhsa_float_denorm_mode_32 3
		.amdhsa_float_denorm_mode_16_64 3
		.amdhsa_dx10_clamp 1
		.amdhsa_ieee_mode 1
		.amdhsa_fp16_overflow 0
		.amdhsa_exception_fp_ieee_invalid_op 0
		.amdhsa_exception_fp_denorm_src 0
		.amdhsa_exception_fp_ieee_div_zero 0
		.amdhsa_exception_fp_ieee_overflow 0
		.amdhsa_exception_fp_ieee_underflow 0
		.amdhsa_exception_fp_ieee_inexact 0
		.amdhsa_exception_int_div_zero 0
	.end_amdhsa_kernel
	.section	.text._ZN7rocprim17ROCPRIM_400000_NS6detail17trampoline_kernelINS0_14default_configENS1_22reduce_config_selectorIlEEZNS1_11reduce_implILb1ES3_N6thrust23THRUST_200600_302600_NS11hip_rocprim26transform_input_iterator_tIlNS8_12zip_iteratorINS8_5tupleINS8_6detail15normal_iteratorINS8_10device_ptrIyEEEESH_NS8_9null_typeESI_SI_SI_SI_SI_SI_SI_EEEENS9_21zip_adj_not_predicateINS8_8equal_toIyEEEEEEPllNS8_4plusIlEEEE10hipError_tPvRmT1_T2_T3_mT4_P12ihipStream_tbEUlT_E0_NS1_11comp_targetILNS1_3genE5ELNS1_11target_archE942ELNS1_3gpuE9ELNS1_3repE0EEENS1_30default_config_static_selectorELNS0_4arch9wavefront6targetE1EEEvSW_,"axG",@progbits,_ZN7rocprim17ROCPRIM_400000_NS6detail17trampoline_kernelINS0_14default_configENS1_22reduce_config_selectorIlEEZNS1_11reduce_implILb1ES3_N6thrust23THRUST_200600_302600_NS11hip_rocprim26transform_input_iterator_tIlNS8_12zip_iteratorINS8_5tupleINS8_6detail15normal_iteratorINS8_10device_ptrIyEEEESH_NS8_9null_typeESI_SI_SI_SI_SI_SI_SI_EEEENS9_21zip_adj_not_predicateINS8_8equal_toIyEEEEEEPllNS8_4plusIlEEEE10hipError_tPvRmT1_T2_T3_mT4_P12ihipStream_tbEUlT_E0_NS1_11comp_targetILNS1_3genE5ELNS1_11target_archE942ELNS1_3gpuE9ELNS1_3repE0EEENS1_30default_config_static_selectorELNS0_4arch9wavefront6targetE1EEEvSW_,comdat
.Lfunc_end816:
	.size	_ZN7rocprim17ROCPRIM_400000_NS6detail17trampoline_kernelINS0_14default_configENS1_22reduce_config_selectorIlEEZNS1_11reduce_implILb1ES3_N6thrust23THRUST_200600_302600_NS11hip_rocprim26transform_input_iterator_tIlNS8_12zip_iteratorINS8_5tupleINS8_6detail15normal_iteratorINS8_10device_ptrIyEEEESH_NS8_9null_typeESI_SI_SI_SI_SI_SI_SI_EEEENS9_21zip_adj_not_predicateINS8_8equal_toIyEEEEEEPllNS8_4plusIlEEEE10hipError_tPvRmT1_T2_T3_mT4_P12ihipStream_tbEUlT_E0_NS1_11comp_targetILNS1_3genE5ELNS1_11target_archE942ELNS1_3gpuE9ELNS1_3repE0EEENS1_30default_config_static_selectorELNS0_4arch9wavefront6targetE1EEEvSW_, .Lfunc_end816-_ZN7rocprim17ROCPRIM_400000_NS6detail17trampoline_kernelINS0_14default_configENS1_22reduce_config_selectorIlEEZNS1_11reduce_implILb1ES3_N6thrust23THRUST_200600_302600_NS11hip_rocprim26transform_input_iterator_tIlNS8_12zip_iteratorINS8_5tupleINS8_6detail15normal_iteratorINS8_10device_ptrIyEEEESH_NS8_9null_typeESI_SI_SI_SI_SI_SI_SI_EEEENS9_21zip_adj_not_predicateINS8_8equal_toIyEEEEEEPllNS8_4plusIlEEEE10hipError_tPvRmT1_T2_T3_mT4_P12ihipStream_tbEUlT_E0_NS1_11comp_targetILNS1_3genE5ELNS1_11target_archE942ELNS1_3gpuE9ELNS1_3repE0EEENS1_30default_config_static_selectorELNS0_4arch9wavefront6targetE1EEEvSW_
                                        ; -- End function
	.set _ZN7rocprim17ROCPRIM_400000_NS6detail17trampoline_kernelINS0_14default_configENS1_22reduce_config_selectorIlEEZNS1_11reduce_implILb1ES3_N6thrust23THRUST_200600_302600_NS11hip_rocprim26transform_input_iterator_tIlNS8_12zip_iteratorINS8_5tupleINS8_6detail15normal_iteratorINS8_10device_ptrIyEEEESH_NS8_9null_typeESI_SI_SI_SI_SI_SI_SI_EEEENS9_21zip_adj_not_predicateINS8_8equal_toIyEEEEEEPllNS8_4plusIlEEEE10hipError_tPvRmT1_T2_T3_mT4_P12ihipStream_tbEUlT_E0_NS1_11comp_targetILNS1_3genE5ELNS1_11target_archE942ELNS1_3gpuE9ELNS1_3repE0EEENS1_30default_config_static_selectorELNS0_4arch9wavefront6targetE1EEEvSW_.num_vgpr, 0
	.set _ZN7rocprim17ROCPRIM_400000_NS6detail17trampoline_kernelINS0_14default_configENS1_22reduce_config_selectorIlEEZNS1_11reduce_implILb1ES3_N6thrust23THRUST_200600_302600_NS11hip_rocprim26transform_input_iterator_tIlNS8_12zip_iteratorINS8_5tupleINS8_6detail15normal_iteratorINS8_10device_ptrIyEEEESH_NS8_9null_typeESI_SI_SI_SI_SI_SI_SI_EEEENS9_21zip_adj_not_predicateINS8_8equal_toIyEEEEEEPllNS8_4plusIlEEEE10hipError_tPvRmT1_T2_T3_mT4_P12ihipStream_tbEUlT_E0_NS1_11comp_targetILNS1_3genE5ELNS1_11target_archE942ELNS1_3gpuE9ELNS1_3repE0EEENS1_30default_config_static_selectorELNS0_4arch9wavefront6targetE1EEEvSW_.num_agpr, 0
	.set _ZN7rocprim17ROCPRIM_400000_NS6detail17trampoline_kernelINS0_14default_configENS1_22reduce_config_selectorIlEEZNS1_11reduce_implILb1ES3_N6thrust23THRUST_200600_302600_NS11hip_rocprim26transform_input_iterator_tIlNS8_12zip_iteratorINS8_5tupleINS8_6detail15normal_iteratorINS8_10device_ptrIyEEEESH_NS8_9null_typeESI_SI_SI_SI_SI_SI_SI_EEEENS9_21zip_adj_not_predicateINS8_8equal_toIyEEEEEEPllNS8_4plusIlEEEE10hipError_tPvRmT1_T2_T3_mT4_P12ihipStream_tbEUlT_E0_NS1_11comp_targetILNS1_3genE5ELNS1_11target_archE942ELNS1_3gpuE9ELNS1_3repE0EEENS1_30default_config_static_selectorELNS0_4arch9wavefront6targetE1EEEvSW_.numbered_sgpr, 0
	.set _ZN7rocprim17ROCPRIM_400000_NS6detail17trampoline_kernelINS0_14default_configENS1_22reduce_config_selectorIlEEZNS1_11reduce_implILb1ES3_N6thrust23THRUST_200600_302600_NS11hip_rocprim26transform_input_iterator_tIlNS8_12zip_iteratorINS8_5tupleINS8_6detail15normal_iteratorINS8_10device_ptrIyEEEESH_NS8_9null_typeESI_SI_SI_SI_SI_SI_SI_EEEENS9_21zip_adj_not_predicateINS8_8equal_toIyEEEEEEPllNS8_4plusIlEEEE10hipError_tPvRmT1_T2_T3_mT4_P12ihipStream_tbEUlT_E0_NS1_11comp_targetILNS1_3genE5ELNS1_11target_archE942ELNS1_3gpuE9ELNS1_3repE0EEENS1_30default_config_static_selectorELNS0_4arch9wavefront6targetE1EEEvSW_.num_named_barrier, 0
	.set _ZN7rocprim17ROCPRIM_400000_NS6detail17trampoline_kernelINS0_14default_configENS1_22reduce_config_selectorIlEEZNS1_11reduce_implILb1ES3_N6thrust23THRUST_200600_302600_NS11hip_rocprim26transform_input_iterator_tIlNS8_12zip_iteratorINS8_5tupleINS8_6detail15normal_iteratorINS8_10device_ptrIyEEEESH_NS8_9null_typeESI_SI_SI_SI_SI_SI_SI_EEEENS9_21zip_adj_not_predicateINS8_8equal_toIyEEEEEEPllNS8_4plusIlEEEE10hipError_tPvRmT1_T2_T3_mT4_P12ihipStream_tbEUlT_E0_NS1_11comp_targetILNS1_3genE5ELNS1_11target_archE942ELNS1_3gpuE9ELNS1_3repE0EEENS1_30default_config_static_selectorELNS0_4arch9wavefront6targetE1EEEvSW_.private_seg_size, 0
	.set _ZN7rocprim17ROCPRIM_400000_NS6detail17trampoline_kernelINS0_14default_configENS1_22reduce_config_selectorIlEEZNS1_11reduce_implILb1ES3_N6thrust23THRUST_200600_302600_NS11hip_rocprim26transform_input_iterator_tIlNS8_12zip_iteratorINS8_5tupleINS8_6detail15normal_iteratorINS8_10device_ptrIyEEEESH_NS8_9null_typeESI_SI_SI_SI_SI_SI_SI_EEEENS9_21zip_adj_not_predicateINS8_8equal_toIyEEEEEEPllNS8_4plusIlEEEE10hipError_tPvRmT1_T2_T3_mT4_P12ihipStream_tbEUlT_E0_NS1_11comp_targetILNS1_3genE5ELNS1_11target_archE942ELNS1_3gpuE9ELNS1_3repE0EEENS1_30default_config_static_selectorELNS0_4arch9wavefront6targetE1EEEvSW_.uses_vcc, 0
	.set _ZN7rocprim17ROCPRIM_400000_NS6detail17trampoline_kernelINS0_14default_configENS1_22reduce_config_selectorIlEEZNS1_11reduce_implILb1ES3_N6thrust23THRUST_200600_302600_NS11hip_rocprim26transform_input_iterator_tIlNS8_12zip_iteratorINS8_5tupleINS8_6detail15normal_iteratorINS8_10device_ptrIyEEEESH_NS8_9null_typeESI_SI_SI_SI_SI_SI_SI_EEEENS9_21zip_adj_not_predicateINS8_8equal_toIyEEEEEEPllNS8_4plusIlEEEE10hipError_tPvRmT1_T2_T3_mT4_P12ihipStream_tbEUlT_E0_NS1_11comp_targetILNS1_3genE5ELNS1_11target_archE942ELNS1_3gpuE9ELNS1_3repE0EEENS1_30default_config_static_selectorELNS0_4arch9wavefront6targetE1EEEvSW_.uses_flat_scratch, 0
	.set _ZN7rocprim17ROCPRIM_400000_NS6detail17trampoline_kernelINS0_14default_configENS1_22reduce_config_selectorIlEEZNS1_11reduce_implILb1ES3_N6thrust23THRUST_200600_302600_NS11hip_rocprim26transform_input_iterator_tIlNS8_12zip_iteratorINS8_5tupleINS8_6detail15normal_iteratorINS8_10device_ptrIyEEEESH_NS8_9null_typeESI_SI_SI_SI_SI_SI_SI_EEEENS9_21zip_adj_not_predicateINS8_8equal_toIyEEEEEEPllNS8_4plusIlEEEE10hipError_tPvRmT1_T2_T3_mT4_P12ihipStream_tbEUlT_E0_NS1_11comp_targetILNS1_3genE5ELNS1_11target_archE942ELNS1_3gpuE9ELNS1_3repE0EEENS1_30default_config_static_selectorELNS0_4arch9wavefront6targetE1EEEvSW_.has_dyn_sized_stack, 0
	.set _ZN7rocprim17ROCPRIM_400000_NS6detail17trampoline_kernelINS0_14default_configENS1_22reduce_config_selectorIlEEZNS1_11reduce_implILb1ES3_N6thrust23THRUST_200600_302600_NS11hip_rocprim26transform_input_iterator_tIlNS8_12zip_iteratorINS8_5tupleINS8_6detail15normal_iteratorINS8_10device_ptrIyEEEESH_NS8_9null_typeESI_SI_SI_SI_SI_SI_SI_EEEENS9_21zip_adj_not_predicateINS8_8equal_toIyEEEEEEPllNS8_4plusIlEEEE10hipError_tPvRmT1_T2_T3_mT4_P12ihipStream_tbEUlT_E0_NS1_11comp_targetILNS1_3genE5ELNS1_11target_archE942ELNS1_3gpuE9ELNS1_3repE0EEENS1_30default_config_static_selectorELNS0_4arch9wavefront6targetE1EEEvSW_.has_recursion, 0
	.set _ZN7rocprim17ROCPRIM_400000_NS6detail17trampoline_kernelINS0_14default_configENS1_22reduce_config_selectorIlEEZNS1_11reduce_implILb1ES3_N6thrust23THRUST_200600_302600_NS11hip_rocprim26transform_input_iterator_tIlNS8_12zip_iteratorINS8_5tupleINS8_6detail15normal_iteratorINS8_10device_ptrIyEEEESH_NS8_9null_typeESI_SI_SI_SI_SI_SI_SI_EEEENS9_21zip_adj_not_predicateINS8_8equal_toIyEEEEEEPllNS8_4plusIlEEEE10hipError_tPvRmT1_T2_T3_mT4_P12ihipStream_tbEUlT_E0_NS1_11comp_targetILNS1_3genE5ELNS1_11target_archE942ELNS1_3gpuE9ELNS1_3repE0EEENS1_30default_config_static_selectorELNS0_4arch9wavefront6targetE1EEEvSW_.has_indirect_call, 0
	.section	.AMDGPU.csdata,"",@progbits
; Kernel info:
; codeLenInByte = 0
; TotalNumSgprs: 4
; NumVgprs: 0
; ScratchSize: 0
; MemoryBound: 0
; FloatMode: 240
; IeeeMode: 1
; LDSByteSize: 0 bytes/workgroup (compile time only)
; SGPRBlocks: 0
; VGPRBlocks: 0
; NumSGPRsForWavesPerEU: 4
; NumVGPRsForWavesPerEU: 1
; Occupancy: 10
; WaveLimiterHint : 0
; COMPUTE_PGM_RSRC2:SCRATCH_EN: 0
; COMPUTE_PGM_RSRC2:USER_SGPR: 6
; COMPUTE_PGM_RSRC2:TRAP_HANDLER: 0
; COMPUTE_PGM_RSRC2:TGID_X_EN: 1
; COMPUTE_PGM_RSRC2:TGID_Y_EN: 0
; COMPUTE_PGM_RSRC2:TGID_Z_EN: 0
; COMPUTE_PGM_RSRC2:TIDIG_COMP_CNT: 0
	.section	.text._ZN7rocprim17ROCPRIM_400000_NS6detail17trampoline_kernelINS0_14default_configENS1_22reduce_config_selectorIlEEZNS1_11reduce_implILb1ES3_N6thrust23THRUST_200600_302600_NS11hip_rocprim26transform_input_iterator_tIlNS8_12zip_iteratorINS8_5tupleINS8_6detail15normal_iteratorINS8_10device_ptrIyEEEESH_NS8_9null_typeESI_SI_SI_SI_SI_SI_SI_EEEENS9_21zip_adj_not_predicateINS8_8equal_toIyEEEEEEPllNS8_4plusIlEEEE10hipError_tPvRmT1_T2_T3_mT4_P12ihipStream_tbEUlT_E0_NS1_11comp_targetILNS1_3genE4ELNS1_11target_archE910ELNS1_3gpuE8ELNS1_3repE0EEENS1_30default_config_static_selectorELNS0_4arch9wavefront6targetE1EEEvSW_,"axG",@progbits,_ZN7rocprim17ROCPRIM_400000_NS6detail17trampoline_kernelINS0_14default_configENS1_22reduce_config_selectorIlEEZNS1_11reduce_implILb1ES3_N6thrust23THRUST_200600_302600_NS11hip_rocprim26transform_input_iterator_tIlNS8_12zip_iteratorINS8_5tupleINS8_6detail15normal_iteratorINS8_10device_ptrIyEEEESH_NS8_9null_typeESI_SI_SI_SI_SI_SI_SI_EEEENS9_21zip_adj_not_predicateINS8_8equal_toIyEEEEEEPllNS8_4plusIlEEEE10hipError_tPvRmT1_T2_T3_mT4_P12ihipStream_tbEUlT_E0_NS1_11comp_targetILNS1_3genE4ELNS1_11target_archE910ELNS1_3gpuE8ELNS1_3repE0EEENS1_30default_config_static_selectorELNS0_4arch9wavefront6targetE1EEEvSW_,comdat
	.protected	_ZN7rocprim17ROCPRIM_400000_NS6detail17trampoline_kernelINS0_14default_configENS1_22reduce_config_selectorIlEEZNS1_11reduce_implILb1ES3_N6thrust23THRUST_200600_302600_NS11hip_rocprim26transform_input_iterator_tIlNS8_12zip_iteratorINS8_5tupleINS8_6detail15normal_iteratorINS8_10device_ptrIyEEEESH_NS8_9null_typeESI_SI_SI_SI_SI_SI_SI_EEEENS9_21zip_adj_not_predicateINS8_8equal_toIyEEEEEEPllNS8_4plusIlEEEE10hipError_tPvRmT1_T2_T3_mT4_P12ihipStream_tbEUlT_E0_NS1_11comp_targetILNS1_3genE4ELNS1_11target_archE910ELNS1_3gpuE8ELNS1_3repE0EEENS1_30default_config_static_selectorELNS0_4arch9wavefront6targetE1EEEvSW_ ; -- Begin function _ZN7rocprim17ROCPRIM_400000_NS6detail17trampoline_kernelINS0_14default_configENS1_22reduce_config_selectorIlEEZNS1_11reduce_implILb1ES3_N6thrust23THRUST_200600_302600_NS11hip_rocprim26transform_input_iterator_tIlNS8_12zip_iteratorINS8_5tupleINS8_6detail15normal_iteratorINS8_10device_ptrIyEEEESH_NS8_9null_typeESI_SI_SI_SI_SI_SI_SI_EEEENS9_21zip_adj_not_predicateINS8_8equal_toIyEEEEEEPllNS8_4plusIlEEEE10hipError_tPvRmT1_T2_T3_mT4_P12ihipStream_tbEUlT_E0_NS1_11comp_targetILNS1_3genE4ELNS1_11target_archE910ELNS1_3gpuE8ELNS1_3repE0EEENS1_30default_config_static_selectorELNS0_4arch9wavefront6targetE1EEEvSW_
	.globl	_ZN7rocprim17ROCPRIM_400000_NS6detail17trampoline_kernelINS0_14default_configENS1_22reduce_config_selectorIlEEZNS1_11reduce_implILb1ES3_N6thrust23THRUST_200600_302600_NS11hip_rocprim26transform_input_iterator_tIlNS8_12zip_iteratorINS8_5tupleINS8_6detail15normal_iteratorINS8_10device_ptrIyEEEESH_NS8_9null_typeESI_SI_SI_SI_SI_SI_SI_EEEENS9_21zip_adj_not_predicateINS8_8equal_toIyEEEEEEPllNS8_4plusIlEEEE10hipError_tPvRmT1_T2_T3_mT4_P12ihipStream_tbEUlT_E0_NS1_11comp_targetILNS1_3genE4ELNS1_11target_archE910ELNS1_3gpuE8ELNS1_3repE0EEENS1_30default_config_static_selectorELNS0_4arch9wavefront6targetE1EEEvSW_
	.p2align	8
	.type	_ZN7rocprim17ROCPRIM_400000_NS6detail17trampoline_kernelINS0_14default_configENS1_22reduce_config_selectorIlEEZNS1_11reduce_implILb1ES3_N6thrust23THRUST_200600_302600_NS11hip_rocprim26transform_input_iterator_tIlNS8_12zip_iteratorINS8_5tupleINS8_6detail15normal_iteratorINS8_10device_ptrIyEEEESH_NS8_9null_typeESI_SI_SI_SI_SI_SI_SI_EEEENS9_21zip_adj_not_predicateINS8_8equal_toIyEEEEEEPllNS8_4plusIlEEEE10hipError_tPvRmT1_T2_T3_mT4_P12ihipStream_tbEUlT_E0_NS1_11comp_targetILNS1_3genE4ELNS1_11target_archE910ELNS1_3gpuE8ELNS1_3repE0EEENS1_30default_config_static_selectorELNS0_4arch9wavefront6targetE1EEEvSW_,@function
_ZN7rocprim17ROCPRIM_400000_NS6detail17trampoline_kernelINS0_14default_configENS1_22reduce_config_selectorIlEEZNS1_11reduce_implILb1ES3_N6thrust23THRUST_200600_302600_NS11hip_rocprim26transform_input_iterator_tIlNS8_12zip_iteratorINS8_5tupleINS8_6detail15normal_iteratorINS8_10device_ptrIyEEEESH_NS8_9null_typeESI_SI_SI_SI_SI_SI_SI_EEEENS9_21zip_adj_not_predicateINS8_8equal_toIyEEEEEEPllNS8_4plusIlEEEE10hipError_tPvRmT1_T2_T3_mT4_P12ihipStream_tbEUlT_E0_NS1_11comp_targetILNS1_3genE4ELNS1_11target_archE910ELNS1_3gpuE8ELNS1_3repE0EEENS1_30default_config_static_selectorELNS0_4arch9wavefront6targetE1EEEvSW_: ; @_ZN7rocprim17ROCPRIM_400000_NS6detail17trampoline_kernelINS0_14default_configENS1_22reduce_config_selectorIlEEZNS1_11reduce_implILb1ES3_N6thrust23THRUST_200600_302600_NS11hip_rocprim26transform_input_iterator_tIlNS8_12zip_iteratorINS8_5tupleINS8_6detail15normal_iteratorINS8_10device_ptrIyEEEESH_NS8_9null_typeESI_SI_SI_SI_SI_SI_SI_EEEENS9_21zip_adj_not_predicateINS8_8equal_toIyEEEEEEPllNS8_4plusIlEEEE10hipError_tPvRmT1_T2_T3_mT4_P12ihipStream_tbEUlT_E0_NS1_11comp_targetILNS1_3genE4ELNS1_11target_archE910ELNS1_3gpuE8ELNS1_3repE0EEENS1_30default_config_static_selectorELNS0_4arch9wavefront6targetE1EEEvSW_
; %bb.0:
	.section	.rodata,"a",@progbits
	.p2align	6, 0x0
	.amdhsa_kernel _ZN7rocprim17ROCPRIM_400000_NS6detail17trampoline_kernelINS0_14default_configENS1_22reduce_config_selectorIlEEZNS1_11reduce_implILb1ES3_N6thrust23THRUST_200600_302600_NS11hip_rocprim26transform_input_iterator_tIlNS8_12zip_iteratorINS8_5tupleINS8_6detail15normal_iteratorINS8_10device_ptrIyEEEESH_NS8_9null_typeESI_SI_SI_SI_SI_SI_SI_EEEENS9_21zip_adj_not_predicateINS8_8equal_toIyEEEEEEPllNS8_4plusIlEEEE10hipError_tPvRmT1_T2_T3_mT4_P12ihipStream_tbEUlT_E0_NS1_11comp_targetILNS1_3genE4ELNS1_11target_archE910ELNS1_3gpuE8ELNS1_3repE0EEENS1_30default_config_static_selectorELNS0_4arch9wavefront6targetE1EEEvSW_
		.amdhsa_group_segment_fixed_size 0
		.amdhsa_private_segment_fixed_size 0
		.amdhsa_kernarg_size 80
		.amdhsa_user_sgpr_count 6
		.amdhsa_user_sgpr_private_segment_buffer 1
		.amdhsa_user_sgpr_dispatch_ptr 0
		.amdhsa_user_sgpr_queue_ptr 0
		.amdhsa_user_sgpr_kernarg_segment_ptr 1
		.amdhsa_user_sgpr_dispatch_id 0
		.amdhsa_user_sgpr_flat_scratch_init 0
		.amdhsa_user_sgpr_private_segment_size 0
		.amdhsa_uses_dynamic_stack 0
		.amdhsa_system_sgpr_private_segment_wavefront_offset 0
		.amdhsa_system_sgpr_workgroup_id_x 1
		.amdhsa_system_sgpr_workgroup_id_y 0
		.amdhsa_system_sgpr_workgroup_id_z 0
		.amdhsa_system_sgpr_workgroup_info 0
		.amdhsa_system_vgpr_workitem_id 0
		.amdhsa_next_free_vgpr 1
		.amdhsa_next_free_sgpr 0
		.amdhsa_reserve_vcc 0
		.amdhsa_reserve_flat_scratch 0
		.amdhsa_float_round_mode_32 0
		.amdhsa_float_round_mode_16_64 0
		.amdhsa_float_denorm_mode_32 3
		.amdhsa_float_denorm_mode_16_64 3
		.amdhsa_dx10_clamp 1
		.amdhsa_ieee_mode 1
		.amdhsa_fp16_overflow 0
		.amdhsa_exception_fp_ieee_invalid_op 0
		.amdhsa_exception_fp_denorm_src 0
		.amdhsa_exception_fp_ieee_div_zero 0
		.amdhsa_exception_fp_ieee_overflow 0
		.amdhsa_exception_fp_ieee_underflow 0
		.amdhsa_exception_fp_ieee_inexact 0
		.amdhsa_exception_int_div_zero 0
	.end_amdhsa_kernel
	.section	.text._ZN7rocprim17ROCPRIM_400000_NS6detail17trampoline_kernelINS0_14default_configENS1_22reduce_config_selectorIlEEZNS1_11reduce_implILb1ES3_N6thrust23THRUST_200600_302600_NS11hip_rocprim26transform_input_iterator_tIlNS8_12zip_iteratorINS8_5tupleINS8_6detail15normal_iteratorINS8_10device_ptrIyEEEESH_NS8_9null_typeESI_SI_SI_SI_SI_SI_SI_EEEENS9_21zip_adj_not_predicateINS8_8equal_toIyEEEEEEPllNS8_4plusIlEEEE10hipError_tPvRmT1_T2_T3_mT4_P12ihipStream_tbEUlT_E0_NS1_11comp_targetILNS1_3genE4ELNS1_11target_archE910ELNS1_3gpuE8ELNS1_3repE0EEENS1_30default_config_static_selectorELNS0_4arch9wavefront6targetE1EEEvSW_,"axG",@progbits,_ZN7rocprim17ROCPRIM_400000_NS6detail17trampoline_kernelINS0_14default_configENS1_22reduce_config_selectorIlEEZNS1_11reduce_implILb1ES3_N6thrust23THRUST_200600_302600_NS11hip_rocprim26transform_input_iterator_tIlNS8_12zip_iteratorINS8_5tupleINS8_6detail15normal_iteratorINS8_10device_ptrIyEEEESH_NS8_9null_typeESI_SI_SI_SI_SI_SI_SI_EEEENS9_21zip_adj_not_predicateINS8_8equal_toIyEEEEEEPllNS8_4plusIlEEEE10hipError_tPvRmT1_T2_T3_mT4_P12ihipStream_tbEUlT_E0_NS1_11comp_targetILNS1_3genE4ELNS1_11target_archE910ELNS1_3gpuE8ELNS1_3repE0EEENS1_30default_config_static_selectorELNS0_4arch9wavefront6targetE1EEEvSW_,comdat
.Lfunc_end817:
	.size	_ZN7rocprim17ROCPRIM_400000_NS6detail17trampoline_kernelINS0_14default_configENS1_22reduce_config_selectorIlEEZNS1_11reduce_implILb1ES3_N6thrust23THRUST_200600_302600_NS11hip_rocprim26transform_input_iterator_tIlNS8_12zip_iteratorINS8_5tupleINS8_6detail15normal_iteratorINS8_10device_ptrIyEEEESH_NS8_9null_typeESI_SI_SI_SI_SI_SI_SI_EEEENS9_21zip_adj_not_predicateINS8_8equal_toIyEEEEEEPllNS8_4plusIlEEEE10hipError_tPvRmT1_T2_T3_mT4_P12ihipStream_tbEUlT_E0_NS1_11comp_targetILNS1_3genE4ELNS1_11target_archE910ELNS1_3gpuE8ELNS1_3repE0EEENS1_30default_config_static_selectorELNS0_4arch9wavefront6targetE1EEEvSW_, .Lfunc_end817-_ZN7rocprim17ROCPRIM_400000_NS6detail17trampoline_kernelINS0_14default_configENS1_22reduce_config_selectorIlEEZNS1_11reduce_implILb1ES3_N6thrust23THRUST_200600_302600_NS11hip_rocprim26transform_input_iterator_tIlNS8_12zip_iteratorINS8_5tupleINS8_6detail15normal_iteratorINS8_10device_ptrIyEEEESH_NS8_9null_typeESI_SI_SI_SI_SI_SI_SI_EEEENS9_21zip_adj_not_predicateINS8_8equal_toIyEEEEEEPllNS8_4plusIlEEEE10hipError_tPvRmT1_T2_T3_mT4_P12ihipStream_tbEUlT_E0_NS1_11comp_targetILNS1_3genE4ELNS1_11target_archE910ELNS1_3gpuE8ELNS1_3repE0EEENS1_30default_config_static_selectorELNS0_4arch9wavefront6targetE1EEEvSW_
                                        ; -- End function
	.set _ZN7rocprim17ROCPRIM_400000_NS6detail17trampoline_kernelINS0_14default_configENS1_22reduce_config_selectorIlEEZNS1_11reduce_implILb1ES3_N6thrust23THRUST_200600_302600_NS11hip_rocprim26transform_input_iterator_tIlNS8_12zip_iteratorINS8_5tupleINS8_6detail15normal_iteratorINS8_10device_ptrIyEEEESH_NS8_9null_typeESI_SI_SI_SI_SI_SI_SI_EEEENS9_21zip_adj_not_predicateINS8_8equal_toIyEEEEEEPllNS8_4plusIlEEEE10hipError_tPvRmT1_T2_T3_mT4_P12ihipStream_tbEUlT_E0_NS1_11comp_targetILNS1_3genE4ELNS1_11target_archE910ELNS1_3gpuE8ELNS1_3repE0EEENS1_30default_config_static_selectorELNS0_4arch9wavefront6targetE1EEEvSW_.num_vgpr, 0
	.set _ZN7rocprim17ROCPRIM_400000_NS6detail17trampoline_kernelINS0_14default_configENS1_22reduce_config_selectorIlEEZNS1_11reduce_implILb1ES3_N6thrust23THRUST_200600_302600_NS11hip_rocprim26transform_input_iterator_tIlNS8_12zip_iteratorINS8_5tupleINS8_6detail15normal_iteratorINS8_10device_ptrIyEEEESH_NS8_9null_typeESI_SI_SI_SI_SI_SI_SI_EEEENS9_21zip_adj_not_predicateINS8_8equal_toIyEEEEEEPllNS8_4plusIlEEEE10hipError_tPvRmT1_T2_T3_mT4_P12ihipStream_tbEUlT_E0_NS1_11comp_targetILNS1_3genE4ELNS1_11target_archE910ELNS1_3gpuE8ELNS1_3repE0EEENS1_30default_config_static_selectorELNS0_4arch9wavefront6targetE1EEEvSW_.num_agpr, 0
	.set _ZN7rocprim17ROCPRIM_400000_NS6detail17trampoline_kernelINS0_14default_configENS1_22reduce_config_selectorIlEEZNS1_11reduce_implILb1ES3_N6thrust23THRUST_200600_302600_NS11hip_rocprim26transform_input_iterator_tIlNS8_12zip_iteratorINS8_5tupleINS8_6detail15normal_iteratorINS8_10device_ptrIyEEEESH_NS8_9null_typeESI_SI_SI_SI_SI_SI_SI_EEEENS9_21zip_adj_not_predicateINS8_8equal_toIyEEEEEEPllNS8_4plusIlEEEE10hipError_tPvRmT1_T2_T3_mT4_P12ihipStream_tbEUlT_E0_NS1_11comp_targetILNS1_3genE4ELNS1_11target_archE910ELNS1_3gpuE8ELNS1_3repE0EEENS1_30default_config_static_selectorELNS0_4arch9wavefront6targetE1EEEvSW_.numbered_sgpr, 0
	.set _ZN7rocprim17ROCPRIM_400000_NS6detail17trampoline_kernelINS0_14default_configENS1_22reduce_config_selectorIlEEZNS1_11reduce_implILb1ES3_N6thrust23THRUST_200600_302600_NS11hip_rocprim26transform_input_iterator_tIlNS8_12zip_iteratorINS8_5tupleINS8_6detail15normal_iteratorINS8_10device_ptrIyEEEESH_NS8_9null_typeESI_SI_SI_SI_SI_SI_SI_EEEENS9_21zip_adj_not_predicateINS8_8equal_toIyEEEEEEPllNS8_4plusIlEEEE10hipError_tPvRmT1_T2_T3_mT4_P12ihipStream_tbEUlT_E0_NS1_11comp_targetILNS1_3genE4ELNS1_11target_archE910ELNS1_3gpuE8ELNS1_3repE0EEENS1_30default_config_static_selectorELNS0_4arch9wavefront6targetE1EEEvSW_.num_named_barrier, 0
	.set _ZN7rocprim17ROCPRIM_400000_NS6detail17trampoline_kernelINS0_14default_configENS1_22reduce_config_selectorIlEEZNS1_11reduce_implILb1ES3_N6thrust23THRUST_200600_302600_NS11hip_rocprim26transform_input_iterator_tIlNS8_12zip_iteratorINS8_5tupleINS8_6detail15normal_iteratorINS8_10device_ptrIyEEEESH_NS8_9null_typeESI_SI_SI_SI_SI_SI_SI_EEEENS9_21zip_adj_not_predicateINS8_8equal_toIyEEEEEEPllNS8_4plusIlEEEE10hipError_tPvRmT1_T2_T3_mT4_P12ihipStream_tbEUlT_E0_NS1_11comp_targetILNS1_3genE4ELNS1_11target_archE910ELNS1_3gpuE8ELNS1_3repE0EEENS1_30default_config_static_selectorELNS0_4arch9wavefront6targetE1EEEvSW_.private_seg_size, 0
	.set _ZN7rocprim17ROCPRIM_400000_NS6detail17trampoline_kernelINS0_14default_configENS1_22reduce_config_selectorIlEEZNS1_11reduce_implILb1ES3_N6thrust23THRUST_200600_302600_NS11hip_rocprim26transform_input_iterator_tIlNS8_12zip_iteratorINS8_5tupleINS8_6detail15normal_iteratorINS8_10device_ptrIyEEEESH_NS8_9null_typeESI_SI_SI_SI_SI_SI_SI_EEEENS9_21zip_adj_not_predicateINS8_8equal_toIyEEEEEEPllNS8_4plusIlEEEE10hipError_tPvRmT1_T2_T3_mT4_P12ihipStream_tbEUlT_E0_NS1_11comp_targetILNS1_3genE4ELNS1_11target_archE910ELNS1_3gpuE8ELNS1_3repE0EEENS1_30default_config_static_selectorELNS0_4arch9wavefront6targetE1EEEvSW_.uses_vcc, 0
	.set _ZN7rocprim17ROCPRIM_400000_NS6detail17trampoline_kernelINS0_14default_configENS1_22reduce_config_selectorIlEEZNS1_11reduce_implILb1ES3_N6thrust23THRUST_200600_302600_NS11hip_rocprim26transform_input_iterator_tIlNS8_12zip_iteratorINS8_5tupleINS8_6detail15normal_iteratorINS8_10device_ptrIyEEEESH_NS8_9null_typeESI_SI_SI_SI_SI_SI_SI_EEEENS9_21zip_adj_not_predicateINS8_8equal_toIyEEEEEEPllNS8_4plusIlEEEE10hipError_tPvRmT1_T2_T3_mT4_P12ihipStream_tbEUlT_E0_NS1_11comp_targetILNS1_3genE4ELNS1_11target_archE910ELNS1_3gpuE8ELNS1_3repE0EEENS1_30default_config_static_selectorELNS0_4arch9wavefront6targetE1EEEvSW_.uses_flat_scratch, 0
	.set _ZN7rocprim17ROCPRIM_400000_NS6detail17trampoline_kernelINS0_14default_configENS1_22reduce_config_selectorIlEEZNS1_11reduce_implILb1ES3_N6thrust23THRUST_200600_302600_NS11hip_rocprim26transform_input_iterator_tIlNS8_12zip_iteratorINS8_5tupleINS8_6detail15normal_iteratorINS8_10device_ptrIyEEEESH_NS8_9null_typeESI_SI_SI_SI_SI_SI_SI_EEEENS9_21zip_adj_not_predicateINS8_8equal_toIyEEEEEEPllNS8_4plusIlEEEE10hipError_tPvRmT1_T2_T3_mT4_P12ihipStream_tbEUlT_E0_NS1_11comp_targetILNS1_3genE4ELNS1_11target_archE910ELNS1_3gpuE8ELNS1_3repE0EEENS1_30default_config_static_selectorELNS0_4arch9wavefront6targetE1EEEvSW_.has_dyn_sized_stack, 0
	.set _ZN7rocprim17ROCPRIM_400000_NS6detail17trampoline_kernelINS0_14default_configENS1_22reduce_config_selectorIlEEZNS1_11reduce_implILb1ES3_N6thrust23THRUST_200600_302600_NS11hip_rocprim26transform_input_iterator_tIlNS8_12zip_iteratorINS8_5tupleINS8_6detail15normal_iteratorINS8_10device_ptrIyEEEESH_NS8_9null_typeESI_SI_SI_SI_SI_SI_SI_EEEENS9_21zip_adj_not_predicateINS8_8equal_toIyEEEEEEPllNS8_4plusIlEEEE10hipError_tPvRmT1_T2_T3_mT4_P12ihipStream_tbEUlT_E0_NS1_11comp_targetILNS1_3genE4ELNS1_11target_archE910ELNS1_3gpuE8ELNS1_3repE0EEENS1_30default_config_static_selectorELNS0_4arch9wavefront6targetE1EEEvSW_.has_recursion, 0
	.set _ZN7rocprim17ROCPRIM_400000_NS6detail17trampoline_kernelINS0_14default_configENS1_22reduce_config_selectorIlEEZNS1_11reduce_implILb1ES3_N6thrust23THRUST_200600_302600_NS11hip_rocprim26transform_input_iterator_tIlNS8_12zip_iteratorINS8_5tupleINS8_6detail15normal_iteratorINS8_10device_ptrIyEEEESH_NS8_9null_typeESI_SI_SI_SI_SI_SI_SI_EEEENS9_21zip_adj_not_predicateINS8_8equal_toIyEEEEEEPllNS8_4plusIlEEEE10hipError_tPvRmT1_T2_T3_mT4_P12ihipStream_tbEUlT_E0_NS1_11comp_targetILNS1_3genE4ELNS1_11target_archE910ELNS1_3gpuE8ELNS1_3repE0EEENS1_30default_config_static_selectorELNS0_4arch9wavefront6targetE1EEEvSW_.has_indirect_call, 0
	.section	.AMDGPU.csdata,"",@progbits
; Kernel info:
; codeLenInByte = 0
; TotalNumSgprs: 4
; NumVgprs: 0
; ScratchSize: 0
; MemoryBound: 0
; FloatMode: 240
; IeeeMode: 1
; LDSByteSize: 0 bytes/workgroup (compile time only)
; SGPRBlocks: 0
; VGPRBlocks: 0
; NumSGPRsForWavesPerEU: 4
; NumVGPRsForWavesPerEU: 1
; Occupancy: 10
; WaveLimiterHint : 0
; COMPUTE_PGM_RSRC2:SCRATCH_EN: 0
; COMPUTE_PGM_RSRC2:USER_SGPR: 6
; COMPUTE_PGM_RSRC2:TRAP_HANDLER: 0
; COMPUTE_PGM_RSRC2:TGID_X_EN: 1
; COMPUTE_PGM_RSRC2:TGID_Y_EN: 0
; COMPUTE_PGM_RSRC2:TGID_Z_EN: 0
; COMPUTE_PGM_RSRC2:TIDIG_COMP_CNT: 0
	.section	.text._ZN7rocprim17ROCPRIM_400000_NS6detail17trampoline_kernelINS0_14default_configENS1_22reduce_config_selectorIlEEZNS1_11reduce_implILb1ES3_N6thrust23THRUST_200600_302600_NS11hip_rocprim26transform_input_iterator_tIlNS8_12zip_iteratorINS8_5tupleINS8_6detail15normal_iteratorINS8_10device_ptrIyEEEESH_NS8_9null_typeESI_SI_SI_SI_SI_SI_SI_EEEENS9_21zip_adj_not_predicateINS8_8equal_toIyEEEEEEPllNS8_4plusIlEEEE10hipError_tPvRmT1_T2_T3_mT4_P12ihipStream_tbEUlT_E0_NS1_11comp_targetILNS1_3genE3ELNS1_11target_archE908ELNS1_3gpuE7ELNS1_3repE0EEENS1_30default_config_static_selectorELNS0_4arch9wavefront6targetE1EEEvSW_,"axG",@progbits,_ZN7rocprim17ROCPRIM_400000_NS6detail17trampoline_kernelINS0_14default_configENS1_22reduce_config_selectorIlEEZNS1_11reduce_implILb1ES3_N6thrust23THRUST_200600_302600_NS11hip_rocprim26transform_input_iterator_tIlNS8_12zip_iteratorINS8_5tupleINS8_6detail15normal_iteratorINS8_10device_ptrIyEEEESH_NS8_9null_typeESI_SI_SI_SI_SI_SI_SI_EEEENS9_21zip_adj_not_predicateINS8_8equal_toIyEEEEEEPllNS8_4plusIlEEEE10hipError_tPvRmT1_T2_T3_mT4_P12ihipStream_tbEUlT_E0_NS1_11comp_targetILNS1_3genE3ELNS1_11target_archE908ELNS1_3gpuE7ELNS1_3repE0EEENS1_30default_config_static_selectorELNS0_4arch9wavefront6targetE1EEEvSW_,comdat
	.protected	_ZN7rocprim17ROCPRIM_400000_NS6detail17trampoline_kernelINS0_14default_configENS1_22reduce_config_selectorIlEEZNS1_11reduce_implILb1ES3_N6thrust23THRUST_200600_302600_NS11hip_rocprim26transform_input_iterator_tIlNS8_12zip_iteratorINS8_5tupleINS8_6detail15normal_iteratorINS8_10device_ptrIyEEEESH_NS8_9null_typeESI_SI_SI_SI_SI_SI_SI_EEEENS9_21zip_adj_not_predicateINS8_8equal_toIyEEEEEEPllNS8_4plusIlEEEE10hipError_tPvRmT1_T2_T3_mT4_P12ihipStream_tbEUlT_E0_NS1_11comp_targetILNS1_3genE3ELNS1_11target_archE908ELNS1_3gpuE7ELNS1_3repE0EEENS1_30default_config_static_selectorELNS0_4arch9wavefront6targetE1EEEvSW_ ; -- Begin function _ZN7rocprim17ROCPRIM_400000_NS6detail17trampoline_kernelINS0_14default_configENS1_22reduce_config_selectorIlEEZNS1_11reduce_implILb1ES3_N6thrust23THRUST_200600_302600_NS11hip_rocprim26transform_input_iterator_tIlNS8_12zip_iteratorINS8_5tupleINS8_6detail15normal_iteratorINS8_10device_ptrIyEEEESH_NS8_9null_typeESI_SI_SI_SI_SI_SI_SI_EEEENS9_21zip_adj_not_predicateINS8_8equal_toIyEEEEEEPllNS8_4plusIlEEEE10hipError_tPvRmT1_T2_T3_mT4_P12ihipStream_tbEUlT_E0_NS1_11comp_targetILNS1_3genE3ELNS1_11target_archE908ELNS1_3gpuE7ELNS1_3repE0EEENS1_30default_config_static_selectorELNS0_4arch9wavefront6targetE1EEEvSW_
	.globl	_ZN7rocprim17ROCPRIM_400000_NS6detail17trampoline_kernelINS0_14default_configENS1_22reduce_config_selectorIlEEZNS1_11reduce_implILb1ES3_N6thrust23THRUST_200600_302600_NS11hip_rocprim26transform_input_iterator_tIlNS8_12zip_iteratorINS8_5tupleINS8_6detail15normal_iteratorINS8_10device_ptrIyEEEESH_NS8_9null_typeESI_SI_SI_SI_SI_SI_SI_EEEENS9_21zip_adj_not_predicateINS8_8equal_toIyEEEEEEPllNS8_4plusIlEEEE10hipError_tPvRmT1_T2_T3_mT4_P12ihipStream_tbEUlT_E0_NS1_11comp_targetILNS1_3genE3ELNS1_11target_archE908ELNS1_3gpuE7ELNS1_3repE0EEENS1_30default_config_static_selectorELNS0_4arch9wavefront6targetE1EEEvSW_
	.p2align	8
	.type	_ZN7rocprim17ROCPRIM_400000_NS6detail17trampoline_kernelINS0_14default_configENS1_22reduce_config_selectorIlEEZNS1_11reduce_implILb1ES3_N6thrust23THRUST_200600_302600_NS11hip_rocprim26transform_input_iterator_tIlNS8_12zip_iteratorINS8_5tupleINS8_6detail15normal_iteratorINS8_10device_ptrIyEEEESH_NS8_9null_typeESI_SI_SI_SI_SI_SI_SI_EEEENS9_21zip_adj_not_predicateINS8_8equal_toIyEEEEEEPllNS8_4plusIlEEEE10hipError_tPvRmT1_T2_T3_mT4_P12ihipStream_tbEUlT_E0_NS1_11comp_targetILNS1_3genE3ELNS1_11target_archE908ELNS1_3gpuE7ELNS1_3repE0EEENS1_30default_config_static_selectorELNS0_4arch9wavefront6targetE1EEEvSW_,@function
_ZN7rocprim17ROCPRIM_400000_NS6detail17trampoline_kernelINS0_14default_configENS1_22reduce_config_selectorIlEEZNS1_11reduce_implILb1ES3_N6thrust23THRUST_200600_302600_NS11hip_rocprim26transform_input_iterator_tIlNS8_12zip_iteratorINS8_5tupleINS8_6detail15normal_iteratorINS8_10device_ptrIyEEEESH_NS8_9null_typeESI_SI_SI_SI_SI_SI_SI_EEEENS9_21zip_adj_not_predicateINS8_8equal_toIyEEEEEEPllNS8_4plusIlEEEE10hipError_tPvRmT1_T2_T3_mT4_P12ihipStream_tbEUlT_E0_NS1_11comp_targetILNS1_3genE3ELNS1_11target_archE908ELNS1_3gpuE7ELNS1_3repE0EEENS1_30default_config_static_selectorELNS0_4arch9wavefront6targetE1EEEvSW_: ; @_ZN7rocprim17ROCPRIM_400000_NS6detail17trampoline_kernelINS0_14default_configENS1_22reduce_config_selectorIlEEZNS1_11reduce_implILb1ES3_N6thrust23THRUST_200600_302600_NS11hip_rocprim26transform_input_iterator_tIlNS8_12zip_iteratorINS8_5tupleINS8_6detail15normal_iteratorINS8_10device_ptrIyEEEESH_NS8_9null_typeESI_SI_SI_SI_SI_SI_SI_EEEENS9_21zip_adj_not_predicateINS8_8equal_toIyEEEEEEPllNS8_4plusIlEEEE10hipError_tPvRmT1_T2_T3_mT4_P12ihipStream_tbEUlT_E0_NS1_11comp_targetILNS1_3genE3ELNS1_11target_archE908ELNS1_3gpuE7ELNS1_3repE0EEENS1_30default_config_static_selectorELNS0_4arch9wavefront6targetE1EEEvSW_
; %bb.0:
	.section	.rodata,"a",@progbits
	.p2align	6, 0x0
	.amdhsa_kernel _ZN7rocprim17ROCPRIM_400000_NS6detail17trampoline_kernelINS0_14default_configENS1_22reduce_config_selectorIlEEZNS1_11reduce_implILb1ES3_N6thrust23THRUST_200600_302600_NS11hip_rocprim26transform_input_iterator_tIlNS8_12zip_iteratorINS8_5tupleINS8_6detail15normal_iteratorINS8_10device_ptrIyEEEESH_NS8_9null_typeESI_SI_SI_SI_SI_SI_SI_EEEENS9_21zip_adj_not_predicateINS8_8equal_toIyEEEEEEPllNS8_4plusIlEEEE10hipError_tPvRmT1_T2_T3_mT4_P12ihipStream_tbEUlT_E0_NS1_11comp_targetILNS1_3genE3ELNS1_11target_archE908ELNS1_3gpuE7ELNS1_3repE0EEENS1_30default_config_static_selectorELNS0_4arch9wavefront6targetE1EEEvSW_
		.amdhsa_group_segment_fixed_size 0
		.amdhsa_private_segment_fixed_size 0
		.amdhsa_kernarg_size 80
		.amdhsa_user_sgpr_count 6
		.amdhsa_user_sgpr_private_segment_buffer 1
		.amdhsa_user_sgpr_dispatch_ptr 0
		.amdhsa_user_sgpr_queue_ptr 0
		.amdhsa_user_sgpr_kernarg_segment_ptr 1
		.amdhsa_user_sgpr_dispatch_id 0
		.amdhsa_user_sgpr_flat_scratch_init 0
		.amdhsa_user_sgpr_private_segment_size 0
		.amdhsa_uses_dynamic_stack 0
		.amdhsa_system_sgpr_private_segment_wavefront_offset 0
		.amdhsa_system_sgpr_workgroup_id_x 1
		.amdhsa_system_sgpr_workgroup_id_y 0
		.amdhsa_system_sgpr_workgroup_id_z 0
		.amdhsa_system_sgpr_workgroup_info 0
		.amdhsa_system_vgpr_workitem_id 0
		.amdhsa_next_free_vgpr 1
		.amdhsa_next_free_sgpr 0
		.amdhsa_reserve_vcc 0
		.amdhsa_reserve_flat_scratch 0
		.amdhsa_float_round_mode_32 0
		.amdhsa_float_round_mode_16_64 0
		.amdhsa_float_denorm_mode_32 3
		.amdhsa_float_denorm_mode_16_64 3
		.amdhsa_dx10_clamp 1
		.amdhsa_ieee_mode 1
		.amdhsa_fp16_overflow 0
		.amdhsa_exception_fp_ieee_invalid_op 0
		.amdhsa_exception_fp_denorm_src 0
		.amdhsa_exception_fp_ieee_div_zero 0
		.amdhsa_exception_fp_ieee_overflow 0
		.amdhsa_exception_fp_ieee_underflow 0
		.amdhsa_exception_fp_ieee_inexact 0
		.amdhsa_exception_int_div_zero 0
	.end_amdhsa_kernel
	.section	.text._ZN7rocprim17ROCPRIM_400000_NS6detail17trampoline_kernelINS0_14default_configENS1_22reduce_config_selectorIlEEZNS1_11reduce_implILb1ES3_N6thrust23THRUST_200600_302600_NS11hip_rocprim26transform_input_iterator_tIlNS8_12zip_iteratorINS8_5tupleINS8_6detail15normal_iteratorINS8_10device_ptrIyEEEESH_NS8_9null_typeESI_SI_SI_SI_SI_SI_SI_EEEENS9_21zip_adj_not_predicateINS8_8equal_toIyEEEEEEPllNS8_4plusIlEEEE10hipError_tPvRmT1_T2_T3_mT4_P12ihipStream_tbEUlT_E0_NS1_11comp_targetILNS1_3genE3ELNS1_11target_archE908ELNS1_3gpuE7ELNS1_3repE0EEENS1_30default_config_static_selectorELNS0_4arch9wavefront6targetE1EEEvSW_,"axG",@progbits,_ZN7rocprim17ROCPRIM_400000_NS6detail17trampoline_kernelINS0_14default_configENS1_22reduce_config_selectorIlEEZNS1_11reduce_implILb1ES3_N6thrust23THRUST_200600_302600_NS11hip_rocprim26transform_input_iterator_tIlNS8_12zip_iteratorINS8_5tupleINS8_6detail15normal_iteratorINS8_10device_ptrIyEEEESH_NS8_9null_typeESI_SI_SI_SI_SI_SI_SI_EEEENS9_21zip_adj_not_predicateINS8_8equal_toIyEEEEEEPllNS8_4plusIlEEEE10hipError_tPvRmT1_T2_T3_mT4_P12ihipStream_tbEUlT_E0_NS1_11comp_targetILNS1_3genE3ELNS1_11target_archE908ELNS1_3gpuE7ELNS1_3repE0EEENS1_30default_config_static_selectorELNS0_4arch9wavefront6targetE1EEEvSW_,comdat
.Lfunc_end818:
	.size	_ZN7rocprim17ROCPRIM_400000_NS6detail17trampoline_kernelINS0_14default_configENS1_22reduce_config_selectorIlEEZNS1_11reduce_implILb1ES3_N6thrust23THRUST_200600_302600_NS11hip_rocprim26transform_input_iterator_tIlNS8_12zip_iteratorINS8_5tupleINS8_6detail15normal_iteratorINS8_10device_ptrIyEEEESH_NS8_9null_typeESI_SI_SI_SI_SI_SI_SI_EEEENS9_21zip_adj_not_predicateINS8_8equal_toIyEEEEEEPllNS8_4plusIlEEEE10hipError_tPvRmT1_T2_T3_mT4_P12ihipStream_tbEUlT_E0_NS1_11comp_targetILNS1_3genE3ELNS1_11target_archE908ELNS1_3gpuE7ELNS1_3repE0EEENS1_30default_config_static_selectorELNS0_4arch9wavefront6targetE1EEEvSW_, .Lfunc_end818-_ZN7rocprim17ROCPRIM_400000_NS6detail17trampoline_kernelINS0_14default_configENS1_22reduce_config_selectorIlEEZNS1_11reduce_implILb1ES3_N6thrust23THRUST_200600_302600_NS11hip_rocprim26transform_input_iterator_tIlNS8_12zip_iteratorINS8_5tupleINS8_6detail15normal_iteratorINS8_10device_ptrIyEEEESH_NS8_9null_typeESI_SI_SI_SI_SI_SI_SI_EEEENS9_21zip_adj_not_predicateINS8_8equal_toIyEEEEEEPllNS8_4plusIlEEEE10hipError_tPvRmT1_T2_T3_mT4_P12ihipStream_tbEUlT_E0_NS1_11comp_targetILNS1_3genE3ELNS1_11target_archE908ELNS1_3gpuE7ELNS1_3repE0EEENS1_30default_config_static_selectorELNS0_4arch9wavefront6targetE1EEEvSW_
                                        ; -- End function
	.set _ZN7rocprim17ROCPRIM_400000_NS6detail17trampoline_kernelINS0_14default_configENS1_22reduce_config_selectorIlEEZNS1_11reduce_implILb1ES3_N6thrust23THRUST_200600_302600_NS11hip_rocprim26transform_input_iterator_tIlNS8_12zip_iteratorINS8_5tupleINS8_6detail15normal_iteratorINS8_10device_ptrIyEEEESH_NS8_9null_typeESI_SI_SI_SI_SI_SI_SI_EEEENS9_21zip_adj_not_predicateINS8_8equal_toIyEEEEEEPllNS8_4plusIlEEEE10hipError_tPvRmT1_T2_T3_mT4_P12ihipStream_tbEUlT_E0_NS1_11comp_targetILNS1_3genE3ELNS1_11target_archE908ELNS1_3gpuE7ELNS1_3repE0EEENS1_30default_config_static_selectorELNS0_4arch9wavefront6targetE1EEEvSW_.num_vgpr, 0
	.set _ZN7rocprim17ROCPRIM_400000_NS6detail17trampoline_kernelINS0_14default_configENS1_22reduce_config_selectorIlEEZNS1_11reduce_implILb1ES3_N6thrust23THRUST_200600_302600_NS11hip_rocprim26transform_input_iterator_tIlNS8_12zip_iteratorINS8_5tupleINS8_6detail15normal_iteratorINS8_10device_ptrIyEEEESH_NS8_9null_typeESI_SI_SI_SI_SI_SI_SI_EEEENS9_21zip_adj_not_predicateINS8_8equal_toIyEEEEEEPllNS8_4plusIlEEEE10hipError_tPvRmT1_T2_T3_mT4_P12ihipStream_tbEUlT_E0_NS1_11comp_targetILNS1_3genE3ELNS1_11target_archE908ELNS1_3gpuE7ELNS1_3repE0EEENS1_30default_config_static_selectorELNS0_4arch9wavefront6targetE1EEEvSW_.num_agpr, 0
	.set _ZN7rocprim17ROCPRIM_400000_NS6detail17trampoline_kernelINS0_14default_configENS1_22reduce_config_selectorIlEEZNS1_11reduce_implILb1ES3_N6thrust23THRUST_200600_302600_NS11hip_rocprim26transform_input_iterator_tIlNS8_12zip_iteratorINS8_5tupleINS8_6detail15normal_iteratorINS8_10device_ptrIyEEEESH_NS8_9null_typeESI_SI_SI_SI_SI_SI_SI_EEEENS9_21zip_adj_not_predicateINS8_8equal_toIyEEEEEEPllNS8_4plusIlEEEE10hipError_tPvRmT1_T2_T3_mT4_P12ihipStream_tbEUlT_E0_NS1_11comp_targetILNS1_3genE3ELNS1_11target_archE908ELNS1_3gpuE7ELNS1_3repE0EEENS1_30default_config_static_selectorELNS0_4arch9wavefront6targetE1EEEvSW_.numbered_sgpr, 0
	.set _ZN7rocprim17ROCPRIM_400000_NS6detail17trampoline_kernelINS0_14default_configENS1_22reduce_config_selectorIlEEZNS1_11reduce_implILb1ES3_N6thrust23THRUST_200600_302600_NS11hip_rocprim26transform_input_iterator_tIlNS8_12zip_iteratorINS8_5tupleINS8_6detail15normal_iteratorINS8_10device_ptrIyEEEESH_NS8_9null_typeESI_SI_SI_SI_SI_SI_SI_EEEENS9_21zip_adj_not_predicateINS8_8equal_toIyEEEEEEPllNS8_4plusIlEEEE10hipError_tPvRmT1_T2_T3_mT4_P12ihipStream_tbEUlT_E0_NS1_11comp_targetILNS1_3genE3ELNS1_11target_archE908ELNS1_3gpuE7ELNS1_3repE0EEENS1_30default_config_static_selectorELNS0_4arch9wavefront6targetE1EEEvSW_.num_named_barrier, 0
	.set _ZN7rocprim17ROCPRIM_400000_NS6detail17trampoline_kernelINS0_14default_configENS1_22reduce_config_selectorIlEEZNS1_11reduce_implILb1ES3_N6thrust23THRUST_200600_302600_NS11hip_rocprim26transform_input_iterator_tIlNS8_12zip_iteratorINS8_5tupleINS8_6detail15normal_iteratorINS8_10device_ptrIyEEEESH_NS8_9null_typeESI_SI_SI_SI_SI_SI_SI_EEEENS9_21zip_adj_not_predicateINS8_8equal_toIyEEEEEEPllNS8_4plusIlEEEE10hipError_tPvRmT1_T2_T3_mT4_P12ihipStream_tbEUlT_E0_NS1_11comp_targetILNS1_3genE3ELNS1_11target_archE908ELNS1_3gpuE7ELNS1_3repE0EEENS1_30default_config_static_selectorELNS0_4arch9wavefront6targetE1EEEvSW_.private_seg_size, 0
	.set _ZN7rocprim17ROCPRIM_400000_NS6detail17trampoline_kernelINS0_14default_configENS1_22reduce_config_selectorIlEEZNS1_11reduce_implILb1ES3_N6thrust23THRUST_200600_302600_NS11hip_rocprim26transform_input_iterator_tIlNS8_12zip_iteratorINS8_5tupleINS8_6detail15normal_iteratorINS8_10device_ptrIyEEEESH_NS8_9null_typeESI_SI_SI_SI_SI_SI_SI_EEEENS9_21zip_adj_not_predicateINS8_8equal_toIyEEEEEEPllNS8_4plusIlEEEE10hipError_tPvRmT1_T2_T3_mT4_P12ihipStream_tbEUlT_E0_NS1_11comp_targetILNS1_3genE3ELNS1_11target_archE908ELNS1_3gpuE7ELNS1_3repE0EEENS1_30default_config_static_selectorELNS0_4arch9wavefront6targetE1EEEvSW_.uses_vcc, 0
	.set _ZN7rocprim17ROCPRIM_400000_NS6detail17trampoline_kernelINS0_14default_configENS1_22reduce_config_selectorIlEEZNS1_11reduce_implILb1ES3_N6thrust23THRUST_200600_302600_NS11hip_rocprim26transform_input_iterator_tIlNS8_12zip_iteratorINS8_5tupleINS8_6detail15normal_iteratorINS8_10device_ptrIyEEEESH_NS8_9null_typeESI_SI_SI_SI_SI_SI_SI_EEEENS9_21zip_adj_not_predicateINS8_8equal_toIyEEEEEEPllNS8_4plusIlEEEE10hipError_tPvRmT1_T2_T3_mT4_P12ihipStream_tbEUlT_E0_NS1_11comp_targetILNS1_3genE3ELNS1_11target_archE908ELNS1_3gpuE7ELNS1_3repE0EEENS1_30default_config_static_selectorELNS0_4arch9wavefront6targetE1EEEvSW_.uses_flat_scratch, 0
	.set _ZN7rocprim17ROCPRIM_400000_NS6detail17trampoline_kernelINS0_14default_configENS1_22reduce_config_selectorIlEEZNS1_11reduce_implILb1ES3_N6thrust23THRUST_200600_302600_NS11hip_rocprim26transform_input_iterator_tIlNS8_12zip_iteratorINS8_5tupleINS8_6detail15normal_iteratorINS8_10device_ptrIyEEEESH_NS8_9null_typeESI_SI_SI_SI_SI_SI_SI_EEEENS9_21zip_adj_not_predicateINS8_8equal_toIyEEEEEEPllNS8_4plusIlEEEE10hipError_tPvRmT1_T2_T3_mT4_P12ihipStream_tbEUlT_E0_NS1_11comp_targetILNS1_3genE3ELNS1_11target_archE908ELNS1_3gpuE7ELNS1_3repE0EEENS1_30default_config_static_selectorELNS0_4arch9wavefront6targetE1EEEvSW_.has_dyn_sized_stack, 0
	.set _ZN7rocprim17ROCPRIM_400000_NS6detail17trampoline_kernelINS0_14default_configENS1_22reduce_config_selectorIlEEZNS1_11reduce_implILb1ES3_N6thrust23THRUST_200600_302600_NS11hip_rocprim26transform_input_iterator_tIlNS8_12zip_iteratorINS8_5tupleINS8_6detail15normal_iteratorINS8_10device_ptrIyEEEESH_NS8_9null_typeESI_SI_SI_SI_SI_SI_SI_EEEENS9_21zip_adj_not_predicateINS8_8equal_toIyEEEEEEPllNS8_4plusIlEEEE10hipError_tPvRmT1_T2_T3_mT4_P12ihipStream_tbEUlT_E0_NS1_11comp_targetILNS1_3genE3ELNS1_11target_archE908ELNS1_3gpuE7ELNS1_3repE0EEENS1_30default_config_static_selectorELNS0_4arch9wavefront6targetE1EEEvSW_.has_recursion, 0
	.set _ZN7rocprim17ROCPRIM_400000_NS6detail17trampoline_kernelINS0_14default_configENS1_22reduce_config_selectorIlEEZNS1_11reduce_implILb1ES3_N6thrust23THRUST_200600_302600_NS11hip_rocprim26transform_input_iterator_tIlNS8_12zip_iteratorINS8_5tupleINS8_6detail15normal_iteratorINS8_10device_ptrIyEEEESH_NS8_9null_typeESI_SI_SI_SI_SI_SI_SI_EEEENS9_21zip_adj_not_predicateINS8_8equal_toIyEEEEEEPllNS8_4plusIlEEEE10hipError_tPvRmT1_T2_T3_mT4_P12ihipStream_tbEUlT_E0_NS1_11comp_targetILNS1_3genE3ELNS1_11target_archE908ELNS1_3gpuE7ELNS1_3repE0EEENS1_30default_config_static_selectorELNS0_4arch9wavefront6targetE1EEEvSW_.has_indirect_call, 0
	.section	.AMDGPU.csdata,"",@progbits
; Kernel info:
; codeLenInByte = 0
; TotalNumSgprs: 4
; NumVgprs: 0
; ScratchSize: 0
; MemoryBound: 0
; FloatMode: 240
; IeeeMode: 1
; LDSByteSize: 0 bytes/workgroup (compile time only)
; SGPRBlocks: 0
; VGPRBlocks: 0
; NumSGPRsForWavesPerEU: 4
; NumVGPRsForWavesPerEU: 1
; Occupancy: 10
; WaveLimiterHint : 0
; COMPUTE_PGM_RSRC2:SCRATCH_EN: 0
; COMPUTE_PGM_RSRC2:USER_SGPR: 6
; COMPUTE_PGM_RSRC2:TRAP_HANDLER: 0
; COMPUTE_PGM_RSRC2:TGID_X_EN: 1
; COMPUTE_PGM_RSRC2:TGID_Y_EN: 0
; COMPUTE_PGM_RSRC2:TGID_Z_EN: 0
; COMPUTE_PGM_RSRC2:TIDIG_COMP_CNT: 0
	.section	.text._ZN7rocprim17ROCPRIM_400000_NS6detail17trampoline_kernelINS0_14default_configENS1_22reduce_config_selectorIlEEZNS1_11reduce_implILb1ES3_N6thrust23THRUST_200600_302600_NS11hip_rocprim26transform_input_iterator_tIlNS8_12zip_iteratorINS8_5tupleINS8_6detail15normal_iteratorINS8_10device_ptrIyEEEESH_NS8_9null_typeESI_SI_SI_SI_SI_SI_SI_EEEENS9_21zip_adj_not_predicateINS8_8equal_toIyEEEEEEPllNS8_4plusIlEEEE10hipError_tPvRmT1_T2_T3_mT4_P12ihipStream_tbEUlT_E0_NS1_11comp_targetILNS1_3genE2ELNS1_11target_archE906ELNS1_3gpuE6ELNS1_3repE0EEENS1_30default_config_static_selectorELNS0_4arch9wavefront6targetE1EEEvSW_,"axG",@progbits,_ZN7rocprim17ROCPRIM_400000_NS6detail17trampoline_kernelINS0_14default_configENS1_22reduce_config_selectorIlEEZNS1_11reduce_implILb1ES3_N6thrust23THRUST_200600_302600_NS11hip_rocprim26transform_input_iterator_tIlNS8_12zip_iteratorINS8_5tupleINS8_6detail15normal_iteratorINS8_10device_ptrIyEEEESH_NS8_9null_typeESI_SI_SI_SI_SI_SI_SI_EEEENS9_21zip_adj_not_predicateINS8_8equal_toIyEEEEEEPllNS8_4plusIlEEEE10hipError_tPvRmT1_T2_T3_mT4_P12ihipStream_tbEUlT_E0_NS1_11comp_targetILNS1_3genE2ELNS1_11target_archE906ELNS1_3gpuE6ELNS1_3repE0EEENS1_30default_config_static_selectorELNS0_4arch9wavefront6targetE1EEEvSW_,comdat
	.protected	_ZN7rocprim17ROCPRIM_400000_NS6detail17trampoline_kernelINS0_14default_configENS1_22reduce_config_selectorIlEEZNS1_11reduce_implILb1ES3_N6thrust23THRUST_200600_302600_NS11hip_rocprim26transform_input_iterator_tIlNS8_12zip_iteratorINS8_5tupleINS8_6detail15normal_iteratorINS8_10device_ptrIyEEEESH_NS8_9null_typeESI_SI_SI_SI_SI_SI_SI_EEEENS9_21zip_adj_not_predicateINS8_8equal_toIyEEEEEEPllNS8_4plusIlEEEE10hipError_tPvRmT1_T2_T3_mT4_P12ihipStream_tbEUlT_E0_NS1_11comp_targetILNS1_3genE2ELNS1_11target_archE906ELNS1_3gpuE6ELNS1_3repE0EEENS1_30default_config_static_selectorELNS0_4arch9wavefront6targetE1EEEvSW_ ; -- Begin function _ZN7rocprim17ROCPRIM_400000_NS6detail17trampoline_kernelINS0_14default_configENS1_22reduce_config_selectorIlEEZNS1_11reduce_implILb1ES3_N6thrust23THRUST_200600_302600_NS11hip_rocprim26transform_input_iterator_tIlNS8_12zip_iteratorINS8_5tupleINS8_6detail15normal_iteratorINS8_10device_ptrIyEEEESH_NS8_9null_typeESI_SI_SI_SI_SI_SI_SI_EEEENS9_21zip_adj_not_predicateINS8_8equal_toIyEEEEEEPllNS8_4plusIlEEEE10hipError_tPvRmT1_T2_T3_mT4_P12ihipStream_tbEUlT_E0_NS1_11comp_targetILNS1_3genE2ELNS1_11target_archE906ELNS1_3gpuE6ELNS1_3repE0EEENS1_30default_config_static_selectorELNS0_4arch9wavefront6targetE1EEEvSW_
	.globl	_ZN7rocprim17ROCPRIM_400000_NS6detail17trampoline_kernelINS0_14default_configENS1_22reduce_config_selectorIlEEZNS1_11reduce_implILb1ES3_N6thrust23THRUST_200600_302600_NS11hip_rocprim26transform_input_iterator_tIlNS8_12zip_iteratorINS8_5tupleINS8_6detail15normal_iteratorINS8_10device_ptrIyEEEESH_NS8_9null_typeESI_SI_SI_SI_SI_SI_SI_EEEENS9_21zip_adj_not_predicateINS8_8equal_toIyEEEEEEPllNS8_4plusIlEEEE10hipError_tPvRmT1_T2_T3_mT4_P12ihipStream_tbEUlT_E0_NS1_11comp_targetILNS1_3genE2ELNS1_11target_archE906ELNS1_3gpuE6ELNS1_3repE0EEENS1_30default_config_static_selectorELNS0_4arch9wavefront6targetE1EEEvSW_
	.p2align	8
	.type	_ZN7rocprim17ROCPRIM_400000_NS6detail17trampoline_kernelINS0_14default_configENS1_22reduce_config_selectorIlEEZNS1_11reduce_implILb1ES3_N6thrust23THRUST_200600_302600_NS11hip_rocprim26transform_input_iterator_tIlNS8_12zip_iteratorINS8_5tupleINS8_6detail15normal_iteratorINS8_10device_ptrIyEEEESH_NS8_9null_typeESI_SI_SI_SI_SI_SI_SI_EEEENS9_21zip_adj_not_predicateINS8_8equal_toIyEEEEEEPllNS8_4plusIlEEEE10hipError_tPvRmT1_T2_T3_mT4_P12ihipStream_tbEUlT_E0_NS1_11comp_targetILNS1_3genE2ELNS1_11target_archE906ELNS1_3gpuE6ELNS1_3repE0EEENS1_30default_config_static_selectorELNS0_4arch9wavefront6targetE1EEEvSW_,@function
_ZN7rocprim17ROCPRIM_400000_NS6detail17trampoline_kernelINS0_14default_configENS1_22reduce_config_selectorIlEEZNS1_11reduce_implILb1ES3_N6thrust23THRUST_200600_302600_NS11hip_rocprim26transform_input_iterator_tIlNS8_12zip_iteratorINS8_5tupleINS8_6detail15normal_iteratorINS8_10device_ptrIyEEEESH_NS8_9null_typeESI_SI_SI_SI_SI_SI_SI_EEEENS9_21zip_adj_not_predicateINS8_8equal_toIyEEEEEEPllNS8_4plusIlEEEE10hipError_tPvRmT1_T2_T3_mT4_P12ihipStream_tbEUlT_E0_NS1_11comp_targetILNS1_3genE2ELNS1_11target_archE906ELNS1_3gpuE6ELNS1_3repE0EEENS1_30default_config_static_selectorELNS0_4arch9wavefront6targetE1EEEvSW_: ; @_ZN7rocprim17ROCPRIM_400000_NS6detail17trampoline_kernelINS0_14default_configENS1_22reduce_config_selectorIlEEZNS1_11reduce_implILb1ES3_N6thrust23THRUST_200600_302600_NS11hip_rocprim26transform_input_iterator_tIlNS8_12zip_iteratorINS8_5tupleINS8_6detail15normal_iteratorINS8_10device_ptrIyEEEESH_NS8_9null_typeESI_SI_SI_SI_SI_SI_SI_EEEENS9_21zip_adj_not_predicateINS8_8equal_toIyEEEEEEPllNS8_4plusIlEEEE10hipError_tPvRmT1_T2_T3_mT4_P12ihipStream_tbEUlT_E0_NS1_11comp_targetILNS1_3genE2ELNS1_11target_archE906ELNS1_3gpuE6ELNS1_3repE0EEENS1_30default_config_static_selectorELNS0_4arch9wavefront6targetE1EEEvSW_
; %bb.0:
	s_load_dwordx8 s[8:15], s[4:5], 0x18
	s_load_dwordx4 s[0:3], s[4:5], 0x0
	s_load_dwordx4 s[16:19], s[4:5], 0x38
	v_lshlrev_b32_e32 v6, 3, v0
	v_mbcnt_lo_u32_b32 v5, -1, 0
	s_waitcnt lgkmcnt(0)
	s_lshl_b64 s[4:5], s[8:9], 3
	s_add_u32 s0, s0, s4
	s_addc_u32 s1, s1, s5
	s_add_u32 s20, s2, s4
	s_addc_u32 s21, s3, s5
	s_lshl_b32 s4, s6, 9
	s_mov_b32 s5, 0
	s_lshr_b64 s[8:9], s[10:11], 9
	s_lshl_b64 s[2:3], s[4:5], 3
	s_add_u32 s0, s0, s2
	s_addc_u32 s1, s1, s3
	s_add_u32 s2, s20, s2
	s_mov_b32 s7, s5
	s_addc_u32 s3, s21, s3
	s_cmp_lg_u64 s[8:9], s[6:7]
	s_cbranch_scc0 .LBB819_6
; %bb.1:
	global_load_dwordx2 v[1:2], v6, s[0:1]
	global_load_dwordx2 v[7:8], v6, s[2:3]
	global_load_dwordx2 v[9:10], v6, s[2:3] offset:2048
	global_load_dwordx2 v[11:12], v6, s[0:1] offset:2048
	v_mov_b32_e32 v4, 0
	v_mbcnt_hi_u32_b32 v3, -1, v5
	s_waitcnt vmcnt(2)
	v_cmp_ne_u64_e32 vcc, v[1:2], v[7:8]
	v_mov_b32_dpp v13, v4 quad_perm:[1,0,3,2] row_mask:0xf bank_mask:0xf bound_ctrl:1
	v_cndmask_b32_e64 v1, 0, 1, vcc
	s_waitcnt vmcnt(0)
	v_cmp_ne_u64_e32 vcc, v[11:12], v[9:10]
	v_lshlrev_b32_e32 v4, 2, v3
	v_addc_co_u32_e32 v1, vcc, 0, v1, vcc
	v_or_b32_e32 v14, 0xfc, v4
	s_nop 0
	v_mov_b32_dpp v2, v1 quad_perm:[1,0,3,2] row_mask:0xf bank_mask:0xf bound_ctrl:1
	v_add_co_u32_e32 v1, vcc, v1, v2
	v_addc_co_u32_e64 v2, s[8:9], 0, 0, vcc
	v_add_co_u32_e32 v7, vcc, 0, v1
	v_addc_co_u32_e32 v2, vcc, v13, v2, vcc
	v_mov_b32_dpp v1, v1 quad_perm:[2,3,0,1] row_mask:0xf bank_mask:0xf bound_ctrl:1
	v_add_co_u32_e32 v1, vcc, v7, v1
	v_mov_b32_dpp v8, v2 quad_perm:[2,3,0,1] row_mask:0xf bank_mask:0xf bound_ctrl:1
	v_addc_co_u32_e32 v2, vcc, 0, v2, vcc
	v_add_co_u32_e32 v7, vcc, 0, v1
	v_addc_co_u32_e32 v2, vcc, v2, v8, vcc
	v_mov_b32_dpp v1, v1 row_ror:4 row_mask:0xf bank_mask:0xf bound_ctrl:1
	v_add_co_u32_e32 v1, vcc, v7, v1
	v_mov_b32_dpp v8, v2 row_ror:4 row_mask:0xf bank_mask:0xf bound_ctrl:1
	v_addc_co_u32_e32 v2, vcc, 0, v2, vcc
	v_add_co_u32_e32 v7, vcc, 0, v1
	v_addc_co_u32_e32 v2, vcc, v2, v8, vcc
	v_mov_b32_dpp v1, v1 row_ror:8 row_mask:0xf bank_mask:0xf bound_ctrl:1
	v_add_co_u32_e32 v1, vcc, v7, v1
	v_mov_b32_dpp v8, v2 row_ror:8 row_mask:0xf bank_mask:0xf bound_ctrl:1
	v_addc_co_u32_e32 v2, vcc, 0, v2, vcc
	v_add_co_u32_e32 v7, vcc, 0, v1
	v_addc_co_u32_e32 v2, vcc, v2, v8, vcc
	v_mov_b32_dpp v1, v1 row_bcast:15 row_mask:0xf bank_mask:0xf bound_ctrl:1
	v_add_co_u32_e32 v1, vcc, v7, v1
	v_mov_b32_dpp v8, v2 row_bcast:15 row_mask:0xf bank_mask:0xf bound_ctrl:1
	v_addc_co_u32_e32 v2, vcc, 0, v2, vcc
	v_add_co_u32_e32 v7, vcc, 0, v1
	v_addc_co_u32_e32 v2, vcc, v2, v8, vcc
	v_mov_b32_dpp v1, v1 row_bcast:31 row_mask:0xf bank_mask:0xf bound_ctrl:1
	v_add_co_u32_e32 v1, vcc, v7, v1
	v_addc_co_u32_e32 v7, vcc, 0, v2, vcc
	ds_bpermute_b32 v1, v14, v1
	s_nop 0
	v_add_u32_dpp v2, v2, v7 row_bcast:31 row_mask:0xf bank_mask:0xf bound_ctrl:1
	ds_bpermute_b32 v2, v14, v2
	v_cmp_eq_u32_e32 vcc, 0, v3
	s_and_saveexec_b64 s[8:9], vcc
	s_cbranch_execz .LBB819_3
; %bb.2:
	v_lshrrev_b32_e32 v7, 3, v0
	v_and_b32_e32 v7, 24, v7
	s_waitcnt lgkmcnt(0)
	ds_write_b64 v7, v[1:2]
.LBB819_3:
	s_or_b64 exec, exec, s[8:9]
	v_cmp_gt_u32_e32 vcc, 64, v0
	s_waitcnt lgkmcnt(0)
	s_barrier
	s_and_saveexec_b64 s[8:9], vcc
	s_cbranch_execz .LBB819_5
; %bb.4:
	v_and_b32_e32 v7, 3, v3
	v_lshlrev_b32_e32 v1, 3, v7
	ds_read_b64 v[1:2], v1
	v_cmp_ne_u32_e32 vcc, 3, v7
	v_addc_co_u32_e32 v3, vcc, 0, v3, vcc
	v_lshlrev_b32_e32 v3, 2, v3
	s_waitcnt lgkmcnt(0)
	ds_bpermute_b32 v7, v3, v1
	ds_bpermute_b32 v3, v3, v2
	v_or_b32_e32 v4, 8, v4
	s_waitcnt lgkmcnt(1)
	v_add_co_u32_e32 v1, vcc, v1, v7
	v_addc_co_u32_e32 v2, vcc, 0, v2, vcc
	ds_bpermute_b32 v7, v4, v1
	v_add_co_u32_e32 v1, vcc, 0, v1
	s_waitcnt lgkmcnt(1)
	v_addc_co_u32_e32 v2, vcc, v3, v2, vcc
	ds_bpermute_b32 v3, v4, v2
	s_waitcnt lgkmcnt(1)
	v_add_co_u32_e32 v1, vcc, v1, v7
	v_addc_co_u32_e32 v2, vcc, 0, v2, vcc
	v_add_co_u32_e32 v1, vcc, 0, v1
	s_waitcnt lgkmcnt(0)
	v_addc_co_u32_e32 v2, vcc, v2, v3, vcc
.LBB819_5:
	s_or_b64 exec, exec, s[8:9]
	s_branch .LBB819_28
.LBB819_6:
                                        ; implicit-def: $vgpr1_vgpr2
	s_cbranch_execz .LBB819_28
; %bb.7:
	s_sub_i32 s8, s10, s4
	v_mov_b32_e32 v1, 0
	v_cmp_gt_u32_e32 vcc, s8, v0
	v_mov_b32_e32 v2, v1
	v_mov_b32_e32 v3, v1
	;; [unrolled: 1-line block ×3, first 2 shown]
	s_and_saveexec_b64 s[4:5], vcc
	s_cbranch_execz .LBB819_9
; %bb.8:
	global_load_dwordx2 v[2:3], v6, s[0:1]
	global_load_dwordx2 v[10:11], v6, s[2:3]
	v_mov_b32_e32 v8, v1
	v_mov_b32_e32 v9, v1
	s_waitcnt vmcnt(0)
	v_cmp_ne_u64_e32 vcc, v[2:3], v[10:11]
	v_mov_b32_e32 v10, v1
	v_cndmask_b32_e64 v2, 0, 1, vcc
	v_and_b32_e32 v7, 0xffff, v2
	v_mov_b32_e32 v1, v7
	v_mov_b32_e32 v2, v8
	;; [unrolled: 1-line block ×4, first 2 shown]
.LBB819_9:
	s_or_b64 exec, exec, s[4:5]
	v_or_b32_e32 v7, 0x100, v0
	v_cmp_gt_u32_e32 vcc, s8, v7
	s_and_saveexec_b64 s[4:5], vcc
	s_cbranch_execz .LBB819_11
; %bb.10:
	global_load_dwordx2 v[3:4], v6, s[0:1] offset:2048
	global_load_dwordx2 v[7:8], v6, s[2:3] offset:2048
	s_mov_b32 s2, 0
	s_waitcnt vmcnt(0)
	v_cmp_ne_u64_e64 s[0:1], v[3:4], v[7:8]
	v_mov_b32_e32 v4, s2
	v_cndmask_b32_e64 v3, 0, 1, s[0:1]
.LBB819_11:
	s_or_b64 exec, exec, s[4:5]
	v_cndmask_b32_e32 v3, 0, v3, vcc
	v_cndmask_b32_e32 v4, 0, v4, vcc
	v_add_co_u32_e32 v1, vcc, v3, v1
	v_mbcnt_hi_u32_b32 v3, -1, v5
	v_addc_co_u32_e32 v2, vcc, v4, v2, vcc
	v_and_b32_e32 v4, 63, v3
	v_cmp_ne_u32_e32 vcc, 63, v4
	v_addc_co_u32_e32 v6, vcc, 0, v3, vcc
	v_lshlrev_b32_e32 v6, 2, v6
	ds_bpermute_b32 v8, v6, v1
	ds_bpermute_b32 v7, v6, v2
	s_min_u32 s2, s8, 0x100
	v_and_b32_e32 v5, 0xc0, v0
	v_sub_u32_e64 v5, s2, v5 clamp
	v_add_u32_e32 v6, 1, v4
	v_cmp_lt_u32_e32 vcc, v6, v5
	v_mov_b32_e32 v6, v1
	s_and_saveexec_b64 s[0:1], vcc
	s_cbranch_execz .LBB819_13
; %bb.12:
	s_waitcnt lgkmcnt(1)
	v_add_co_u32_e32 v6, vcc, v1, v8
	v_addc_co_u32_e32 v2, vcc, 0, v2, vcc
	v_add_co_u32_e32 v1, vcc, 0, v6
	s_waitcnt lgkmcnt(0)
	v_addc_co_u32_e32 v2, vcc, v7, v2, vcc
.LBB819_13:
	s_or_b64 exec, exec, s[0:1]
	v_cmp_gt_u32_e32 vcc, 62, v4
	s_waitcnt lgkmcnt(0)
	v_cndmask_b32_e64 v7, 0, 2, vcc
	v_add_lshl_u32 v7, v7, v3, 2
	ds_bpermute_b32 v8, v7, v6
	ds_bpermute_b32 v7, v7, v2
	v_add_u32_e32 v9, 2, v4
	v_cmp_lt_u32_e32 vcc, v9, v5
	s_and_saveexec_b64 s[0:1], vcc
	s_cbranch_execz .LBB819_15
; %bb.14:
	s_waitcnt lgkmcnt(1)
	v_add_co_u32_e32 v6, vcc, v1, v8
	v_addc_co_u32_e32 v2, vcc, 0, v2, vcc
	v_add_co_u32_e32 v1, vcc, 0, v6
	s_waitcnt lgkmcnt(0)
	v_addc_co_u32_e32 v2, vcc, v7, v2, vcc
.LBB819_15:
	s_or_b64 exec, exec, s[0:1]
	v_cmp_gt_u32_e32 vcc, 60, v4
	s_waitcnt lgkmcnt(0)
	v_cndmask_b32_e64 v7, 0, 4, vcc
	v_add_lshl_u32 v7, v7, v3, 2
	ds_bpermute_b32 v8, v7, v6
	ds_bpermute_b32 v7, v7, v2
	v_add_u32_e32 v9, 4, v4
	v_cmp_lt_u32_e32 vcc, v9, v5
	;; [unrolled: 19-line block ×4, first 2 shown]
	s_and_saveexec_b64 s[0:1], vcc
	s_cbranch_execz .LBB819_21
; %bb.20:
	s_waitcnt lgkmcnt(1)
	v_add_co_u32_e32 v6, vcc, v1, v8
	v_addc_co_u32_e32 v2, vcc, 0, v2, vcc
	v_add_co_u32_e32 v1, vcc, 0, v6
	s_waitcnt lgkmcnt(0)
	v_addc_co_u32_e32 v2, vcc, v7, v2, vcc
.LBB819_21:
	s_or_b64 exec, exec, s[0:1]
	s_waitcnt lgkmcnt(0)
	v_lshlrev_b32_e32 v7, 2, v3
	v_or_b32_e32 v8, 0x80, v7
	ds_bpermute_b32 v6, v8, v6
	ds_bpermute_b32 v8, v8, v2
	v_add_u32_e32 v4, 32, v4
	s_waitcnt lgkmcnt(1)
	v_add_co_u32_e32 v6, vcc, v1, v6
	v_addc_co_u32_e32 v9, vcc, 0, v2, vcc
	v_add_co_u32_e32 v6, vcc, 0, v6
	s_waitcnt lgkmcnt(0)
	v_addc_co_u32_e32 v8, vcc, v9, v8, vcc
	v_cmp_lt_u32_e32 vcc, v4, v5
	v_cndmask_b32_e32 v2, v2, v8, vcc
	v_cndmask_b32_e32 v1, v1, v6, vcc
	v_cmp_eq_u32_e32 vcc, 0, v3
	s_and_saveexec_b64 s[0:1], vcc
; %bb.22:
	v_lshrrev_b32_e32 v4, 3, v0
	v_and_b32_e32 v4, 24, v4
	ds_write_b64 v4, v[1:2] offset:32
; %bb.23:
	s_or_b64 exec, exec, s[0:1]
	v_cmp_gt_u32_e32 vcc, 4, v0
	s_waitcnt lgkmcnt(0)
	s_barrier
	s_and_saveexec_b64 s[0:1], vcc
	s_cbranch_execz .LBB819_27
; %bb.24:
	v_lshlrev_b32_e32 v1, 3, v3
	ds_read_b64 v[1:2], v1 offset:32
	v_and_b32_e32 v4, 3, v3
	v_cmp_ne_u32_e32 vcc, 3, v4
	v_addc_co_u32_e32 v3, vcc, 0, v3, vcc
	v_lshlrev_b32_e32 v3, 2, v3
	s_waitcnt lgkmcnt(0)
	ds_bpermute_b32 v6, v3, v1
	ds_bpermute_b32 v5, v3, v2
	s_add_i32 s2, s2, 63
	s_lshr_b32 s4, s2, 6
	v_add_u32_e32 v3, 1, v4
	v_cmp_gt_u32_e32 vcc, s4, v3
	v_mov_b32_e32 v3, v1
	s_and_saveexec_b64 s[2:3], vcc
	s_cbranch_execz .LBB819_26
; %bb.25:
	s_waitcnt lgkmcnt(1)
	v_add_co_u32_e32 v3, vcc, v1, v6
	v_addc_co_u32_e32 v2, vcc, 0, v2, vcc
	v_add_co_u32_e32 v1, vcc, 0, v3
	s_waitcnt lgkmcnt(0)
	v_addc_co_u32_e32 v2, vcc, v5, v2, vcc
.LBB819_26:
	s_or_b64 exec, exec, s[2:3]
	s_waitcnt lgkmcnt(0)
	v_or_b32_e32 v5, 8, v7
	ds_bpermute_b32 v3, v5, v3
	ds_bpermute_b32 v5, v5, v2
	v_add_u32_e32 v4, 2, v4
	s_waitcnt lgkmcnt(1)
	v_add_co_u32_e32 v3, vcc, v1, v3
	v_addc_co_u32_e32 v6, vcc, 0, v2, vcc
	v_add_co_u32_e32 v3, vcc, 0, v3
	s_waitcnt lgkmcnt(0)
	v_addc_co_u32_e32 v5, vcc, v6, v5, vcc
	v_cmp_gt_u32_e32 vcc, s4, v4
	v_cndmask_b32_e32 v2, v2, v5, vcc
	v_cndmask_b32_e32 v1, v1, v3, vcc
.LBB819_27:
	s_or_b64 exec, exec, s[0:1]
.LBB819_28:
	v_cmp_eq_u32_e32 vcc, 0, v0
	s_and_saveexec_b64 s[0:1], vcc
	s_cbranch_execnz .LBB819_30
; %bb.29:
	s_endpgm
.LBB819_30:
	s_mul_i32 s0, s16, s15
	s_mul_hi_u32 s1, s16, s14
	s_add_i32 s0, s1, s0
	s_mul_i32 s1, s17, s14
	s_add_i32 s1, s0, s1
	s_mul_i32 s0, s16, s14
	s_lshl_b64 s[0:1], s[0:1], 3
	s_add_u32 s2, s12, s0
	s_addc_u32 s3, s13, s1
	s_cmp_eq_u64 s[10:11], 0
	v_mov_b32_e32 v0, s19
	s_cselect_b64 vcc, -1, 0
	s_lshl_b64 s[0:1], s[6:7], 3
	v_cndmask_b32_e32 v2, v2, v0, vcc
	v_mov_b32_e32 v0, s18
	s_add_u32 s0, s2, s0
	v_cndmask_b32_e32 v1, v1, v0, vcc
	s_addc_u32 s1, s3, s1
	v_mov_b32_e32 v0, 0
	global_store_dwordx2 v0, v[1:2], s[0:1]
	s_endpgm
	.section	.rodata,"a",@progbits
	.p2align	6, 0x0
	.amdhsa_kernel _ZN7rocprim17ROCPRIM_400000_NS6detail17trampoline_kernelINS0_14default_configENS1_22reduce_config_selectorIlEEZNS1_11reduce_implILb1ES3_N6thrust23THRUST_200600_302600_NS11hip_rocprim26transform_input_iterator_tIlNS8_12zip_iteratorINS8_5tupleINS8_6detail15normal_iteratorINS8_10device_ptrIyEEEESH_NS8_9null_typeESI_SI_SI_SI_SI_SI_SI_EEEENS9_21zip_adj_not_predicateINS8_8equal_toIyEEEEEEPllNS8_4plusIlEEEE10hipError_tPvRmT1_T2_T3_mT4_P12ihipStream_tbEUlT_E0_NS1_11comp_targetILNS1_3genE2ELNS1_11target_archE906ELNS1_3gpuE6ELNS1_3repE0EEENS1_30default_config_static_selectorELNS0_4arch9wavefront6targetE1EEEvSW_
		.amdhsa_group_segment_fixed_size 64
		.amdhsa_private_segment_fixed_size 0
		.amdhsa_kernarg_size 80
		.amdhsa_user_sgpr_count 6
		.amdhsa_user_sgpr_private_segment_buffer 1
		.amdhsa_user_sgpr_dispatch_ptr 0
		.amdhsa_user_sgpr_queue_ptr 0
		.amdhsa_user_sgpr_kernarg_segment_ptr 1
		.amdhsa_user_sgpr_dispatch_id 0
		.amdhsa_user_sgpr_flat_scratch_init 0
		.amdhsa_user_sgpr_private_segment_size 0
		.amdhsa_uses_dynamic_stack 0
		.amdhsa_system_sgpr_private_segment_wavefront_offset 0
		.amdhsa_system_sgpr_workgroup_id_x 1
		.amdhsa_system_sgpr_workgroup_id_y 0
		.amdhsa_system_sgpr_workgroup_id_z 0
		.amdhsa_system_sgpr_workgroup_info 0
		.amdhsa_system_vgpr_workitem_id 0
		.amdhsa_next_free_vgpr 15
		.amdhsa_next_free_sgpr 22
		.amdhsa_reserve_vcc 1
		.amdhsa_reserve_flat_scratch 0
		.amdhsa_float_round_mode_32 0
		.amdhsa_float_round_mode_16_64 0
		.amdhsa_float_denorm_mode_32 3
		.amdhsa_float_denorm_mode_16_64 3
		.amdhsa_dx10_clamp 1
		.amdhsa_ieee_mode 1
		.amdhsa_fp16_overflow 0
		.amdhsa_exception_fp_ieee_invalid_op 0
		.amdhsa_exception_fp_denorm_src 0
		.amdhsa_exception_fp_ieee_div_zero 0
		.amdhsa_exception_fp_ieee_overflow 0
		.amdhsa_exception_fp_ieee_underflow 0
		.amdhsa_exception_fp_ieee_inexact 0
		.amdhsa_exception_int_div_zero 0
	.end_amdhsa_kernel
	.section	.text._ZN7rocprim17ROCPRIM_400000_NS6detail17trampoline_kernelINS0_14default_configENS1_22reduce_config_selectorIlEEZNS1_11reduce_implILb1ES3_N6thrust23THRUST_200600_302600_NS11hip_rocprim26transform_input_iterator_tIlNS8_12zip_iteratorINS8_5tupleINS8_6detail15normal_iteratorINS8_10device_ptrIyEEEESH_NS8_9null_typeESI_SI_SI_SI_SI_SI_SI_EEEENS9_21zip_adj_not_predicateINS8_8equal_toIyEEEEEEPllNS8_4plusIlEEEE10hipError_tPvRmT1_T2_T3_mT4_P12ihipStream_tbEUlT_E0_NS1_11comp_targetILNS1_3genE2ELNS1_11target_archE906ELNS1_3gpuE6ELNS1_3repE0EEENS1_30default_config_static_selectorELNS0_4arch9wavefront6targetE1EEEvSW_,"axG",@progbits,_ZN7rocprim17ROCPRIM_400000_NS6detail17trampoline_kernelINS0_14default_configENS1_22reduce_config_selectorIlEEZNS1_11reduce_implILb1ES3_N6thrust23THRUST_200600_302600_NS11hip_rocprim26transform_input_iterator_tIlNS8_12zip_iteratorINS8_5tupleINS8_6detail15normal_iteratorINS8_10device_ptrIyEEEESH_NS8_9null_typeESI_SI_SI_SI_SI_SI_SI_EEEENS9_21zip_adj_not_predicateINS8_8equal_toIyEEEEEEPllNS8_4plusIlEEEE10hipError_tPvRmT1_T2_T3_mT4_P12ihipStream_tbEUlT_E0_NS1_11comp_targetILNS1_3genE2ELNS1_11target_archE906ELNS1_3gpuE6ELNS1_3repE0EEENS1_30default_config_static_selectorELNS0_4arch9wavefront6targetE1EEEvSW_,comdat
.Lfunc_end819:
	.size	_ZN7rocprim17ROCPRIM_400000_NS6detail17trampoline_kernelINS0_14default_configENS1_22reduce_config_selectorIlEEZNS1_11reduce_implILb1ES3_N6thrust23THRUST_200600_302600_NS11hip_rocprim26transform_input_iterator_tIlNS8_12zip_iteratorINS8_5tupleINS8_6detail15normal_iteratorINS8_10device_ptrIyEEEESH_NS8_9null_typeESI_SI_SI_SI_SI_SI_SI_EEEENS9_21zip_adj_not_predicateINS8_8equal_toIyEEEEEEPllNS8_4plusIlEEEE10hipError_tPvRmT1_T2_T3_mT4_P12ihipStream_tbEUlT_E0_NS1_11comp_targetILNS1_3genE2ELNS1_11target_archE906ELNS1_3gpuE6ELNS1_3repE0EEENS1_30default_config_static_selectorELNS0_4arch9wavefront6targetE1EEEvSW_, .Lfunc_end819-_ZN7rocprim17ROCPRIM_400000_NS6detail17trampoline_kernelINS0_14default_configENS1_22reduce_config_selectorIlEEZNS1_11reduce_implILb1ES3_N6thrust23THRUST_200600_302600_NS11hip_rocprim26transform_input_iterator_tIlNS8_12zip_iteratorINS8_5tupleINS8_6detail15normal_iteratorINS8_10device_ptrIyEEEESH_NS8_9null_typeESI_SI_SI_SI_SI_SI_SI_EEEENS9_21zip_adj_not_predicateINS8_8equal_toIyEEEEEEPllNS8_4plusIlEEEE10hipError_tPvRmT1_T2_T3_mT4_P12ihipStream_tbEUlT_E0_NS1_11comp_targetILNS1_3genE2ELNS1_11target_archE906ELNS1_3gpuE6ELNS1_3repE0EEENS1_30default_config_static_selectorELNS0_4arch9wavefront6targetE1EEEvSW_
                                        ; -- End function
	.set _ZN7rocprim17ROCPRIM_400000_NS6detail17trampoline_kernelINS0_14default_configENS1_22reduce_config_selectorIlEEZNS1_11reduce_implILb1ES3_N6thrust23THRUST_200600_302600_NS11hip_rocprim26transform_input_iterator_tIlNS8_12zip_iteratorINS8_5tupleINS8_6detail15normal_iteratorINS8_10device_ptrIyEEEESH_NS8_9null_typeESI_SI_SI_SI_SI_SI_SI_EEEENS9_21zip_adj_not_predicateINS8_8equal_toIyEEEEEEPllNS8_4plusIlEEEE10hipError_tPvRmT1_T2_T3_mT4_P12ihipStream_tbEUlT_E0_NS1_11comp_targetILNS1_3genE2ELNS1_11target_archE906ELNS1_3gpuE6ELNS1_3repE0EEENS1_30default_config_static_selectorELNS0_4arch9wavefront6targetE1EEEvSW_.num_vgpr, 15
	.set _ZN7rocprim17ROCPRIM_400000_NS6detail17trampoline_kernelINS0_14default_configENS1_22reduce_config_selectorIlEEZNS1_11reduce_implILb1ES3_N6thrust23THRUST_200600_302600_NS11hip_rocprim26transform_input_iterator_tIlNS8_12zip_iteratorINS8_5tupleINS8_6detail15normal_iteratorINS8_10device_ptrIyEEEESH_NS8_9null_typeESI_SI_SI_SI_SI_SI_SI_EEEENS9_21zip_adj_not_predicateINS8_8equal_toIyEEEEEEPllNS8_4plusIlEEEE10hipError_tPvRmT1_T2_T3_mT4_P12ihipStream_tbEUlT_E0_NS1_11comp_targetILNS1_3genE2ELNS1_11target_archE906ELNS1_3gpuE6ELNS1_3repE0EEENS1_30default_config_static_selectorELNS0_4arch9wavefront6targetE1EEEvSW_.num_agpr, 0
	.set _ZN7rocprim17ROCPRIM_400000_NS6detail17trampoline_kernelINS0_14default_configENS1_22reduce_config_selectorIlEEZNS1_11reduce_implILb1ES3_N6thrust23THRUST_200600_302600_NS11hip_rocprim26transform_input_iterator_tIlNS8_12zip_iteratorINS8_5tupleINS8_6detail15normal_iteratorINS8_10device_ptrIyEEEESH_NS8_9null_typeESI_SI_SI_SI_SI_SI_SI_EEEENS9_21zip_adj_not_predicateINS8_8equal_toIyEEEEEEPllNS8_4plusIlEEEE10hipError_tPvRmT1_T2_T3_mT4_P12ihipStream_tbEUlT_E0_NS1_11comp_targetILNS1_3genE2ELNS1_11target_archE906ELNS1_3gpuE6ELNS1_3repE0EEENS1_30default_config_static_selectorELNS0_4arch9wavefront6targetE1EEEvSW_.numbered_sgpr, 22
	.set _ZN7rocprim17ROCPRIM_400000_NS6detail17trampoline_kernelINS0_14default_configENS1_22reduce_config_selectorIlEEZNS1_11reduce_implILb1ES3_N6thrust23THRUST_200600_302600_NS11hip_rocprim26transform_input_iterator_tIlNS8_12zip_iteratorINS8_5tupleINS8_6detail15normal_iteratorINS8_10device_ptrIyEEEESH_NS8_9null_typeESI_SI_SI_SI_SI_SI_SI_EEEENS9_21zip_adj_not_predicateINS8_8equal_toIyEEEEEEPllNS8_4plusIlEEEE10hipError_tPvRmT1_T2_T3_mT4_P12ihipStream_tbEUlT_E0_NS1_11comp_targetILNS1_3genE2ELNS1_11target_archE906ELNS1_3gpuE6ELNS1_3repE0EEENS1_30default_config_static_selectorELNS0_4arch9wavefront6targetE1EEEvSW_.num_named_barrier, 0
	.set _ZN7rocprim17ROCPRIM_400000_NS6detail17trampoline_kernelINS0_14default_configENS1_22reduce_config_selectorIlEEZNS1_11reduce_implILb1ES3_N6thrust23THRUST_200600_302600_NS11hip_rocprim26transform_input_iterator_tIlNS8_12zip_iteratorINS8_5tupleINS8_6detail15normal_iteratorINS8_10device_ptrIyEEEESH_NS8_9null_typeESI_SI_SI_SI_SI_SI_SI_EEEENS9_21zip_adj_not_predicateINS8_8equal_toIyEEEEEEPllNS8_4plusIlEEEE10hipError_tPvRmT1_T2_T3_mT4_P12ihipStream_tbEUlT_E0_NS1_11comp_targetILNS1_3genE2ELNS1_11target_archE906ELNS1_3gpuE6ELNS1_3repE0EEENS1_30default_config_static_selectorELNS0_4arch9wavefront6targetE1EEEvSW_.private_seg_size, 0
	.set _ZN7rocprim17ROCPRIM_400000_NS6detail17trampoline_kernelINS0_14default_configENS1_22reduce_config_selectorIlEEZNS1_11reduce_implILb1ES3_N6thrust23THRUST_200600_302600_NS11hip_rocprim26transform_input_iterator_tIlNS8_12zip_iteratorINS8_5tupleINS8_6detail15normal_iteratorINS8_10device_ptrIyEEEESH_NS8_9null_typeESI_SI_SI_SI_SI_SI_SI_EEEENS9_21zip_adj_not_predicateINS8_8equal_toIyEEEEEEPllNS8_4plusIlEEEE10hipError_tPvRmT1_T2_T3_mT4_P12ihipStream_tbEUlT_E0_NS1_11comp_targetILNS1_3genE2ELNS1_11target_archE906ELNS1_3gpuE6ELNS1_3repE0EEENS1_30default_config_static_selectorELNS0_4arch9wavefront6targetE1EEEvSW_.uses_vcc, 1
	.set _ZN7rocprim17ROCPRIM_400000_NS6detail17trampoline_kernelINS0_14default_configENS1_22reduce_config_selectorIlEEZNS1_11reduce_implILb1ES3_N6thrust23THRUST_200600_302600_NS11hip_rocprim26transform_input_iterator_tIlNS8_12zip_iteratorINS8_5tupleINS8_6detail15normal_iteratorINS8_10device_ptrIyEEEESH_NS8_9null_typeESI_SI_SI_SI_SI_SI_SI_EEEENS9_21zip_adj_not_predicateINS8_8equal_toIyEEEEEEPllNS8_4plusIlEEEE10hipError_tPvRmT1_T2_T3_mT4_P12ihipStream_tbEUlT_E0_NS1_11comp_targetILNS1_3genE2ELNS1_11target_archE906ELNS1_3gpuE6ELNS1_3repE0EEENS1_30default_config_static_selectorELNS0_4arch9wavefront6targetE1EEEvSW_.uses_flat_scratch, 0
	.set _ZN7rocprim17ROCPRIM_400000_NS6detail17trampoline_kernelINS0_14default_configENS1_22reduce_config_selectorIlEEZNS1_11reduce_implILb1ES3_N6thrust23THRUST_200600_302600_NS11hip_rocprim26transform_input_iterator_tIlNS8_12zip_iteratorINS8_5tupleINS8_6detail15normal_iteratorINS8_10device_ptrIyEEEESH_NS8_9null_typeESI_SI_SI_SI_SI_SI_SI_EEEENS9_21zip_adj_not_predicateINS8_8equal_toIyEEEEEEPllNS8_4plusIlEEEE10hipError_tPvRmT1_T2_T3_mT4_P12ihipStream_tbEUlT_E0_NS1_11comp_targetILNS1_3genE2ELNS1_11target_archE906ELNS1_3gpuE6ELNS1_3repE0EEENS1_30default_config_static_selectorELNS0_4arch9wavefront6targetE1EEEvSW_.has_dyn_sized_stack, 0
	.set _ZN7rocprim17ROCPRIM_400000_NS6detail17trampoline_kernelINS0_14default_configENS1_22reduce_config_selectorIlEEZNS1_11reduce_implILb1ES3_N6thrust23THRUST_200600_302600_NS11hip_rocprim26transform_input_iterator_tIlNS8_12zip_iteratorINS8_5tupleINS8_6detail15normal_iteratorINS8_10device_ptrIyEEEESH_NS8_9null_typeESI_SI_SI_SI_SI_SI_SI_EEEENS9_21zip_adj_not_predicateINS8_8equal_toIyEEEEEEPllNS8_4plusIlEEEE10hipError_tPvRmT1_T2_T3_mT4_P12ihipStream_tbEUlT_E0_NS1_11comp_targetILNS1_3genE2ELNS1_11target_archE906ELNS1_3gpuE6ELNS1_3repE0EEENS1_30default_config_static_selectorELNS0_4arch9wavefront6targetE1EEEvSW_.has_recursion, 0
	.set _ZN7rocprim17ROCPRIM_400000_NS6detail17trampoline_kernelINS0_14default_configENS1_22reduce_config_selectorIlEEZNS1_11reduce_implILb1ES3_N6thrust23THRUST_200600_302600_NS11hip_rocprim26transform_input_iterator_tIlNS8_12zip_iteratorINS8_5tupleINS8_6detail15normal_iteratorINS8_10device_ptrIyEEEESH_NS8_9null_typeESI_SI_SI_SI_SI_SI_SI_EEEENS9_21zip_adj_not_predicateINS8_8equal_toIyEEEEEEPllNS8_4plusIlEEEE10hipError_tPvRmT1_T2_T3_mT4_P12ihipStream_tbEUlT_E0_NS1_11comp_targetILNS1_3genE2ELNS1_11target_archE906ELNS1_3gpuE6ELNS1_3repE0EEENS1_30default_config_static_selectorELNS0_4arch9wavefront6targetE1EEEvSW_.has_indirect_call, 0
	.section	.AMDGPU.csdata,"",@progbits
; Kernel info:
; codeLenInByte = 1616
; TotalNumSgprs: 26
; NumVgprs: 15
; ScratchSize: 0
; MemoryBound: 0
; FloatMode: 240
; IeeeMode: 1
; LDSByteSize: 64 bytes/workgroup (compile time only)
; SGPRBlocks: 3
; VGPRBlocks: 3
; NumSGPRsForWavesPerEU: 26
; NumVGPRsForWavesPerEU: 15
; Occupancy: 10
; WaveLimiterHint : 0
; COMPUTE_PGM_RSRC2:SCRATCH_EN: 0
; COMPUTE_PGM_RSRC2:USER_SGPR: 6
; COMPUTE_PGM_RSRC2:TRAP_HANDLER: 0
; COMPUTE_PGM_RSRC2:TGID_X_EN: 1
; COMPUTE_PGM_RSRC2:TGID_Y_EN: 0
; COMPUTE_PGM_RSRC2:TGID_Z_EN: 0
; COMPUTE_PGM_RSRC2:TIDIG_COMP_CNT: 0
	.section	.text._ZN7rocprim17ROCPRIM_400000_NS6detail17trampoline_kernelINS0_14default_configENS1_22reduce_config_selectorIlEEZNS1_11reduce_implILb1ES3_N6thrust23THRUST_200600_302600_NS11hip_rocprim26transform_input_iterator_tIlNS8_12zip_iteratorINS8_5tupleINS8_6detail15normal_iteratorINS8_10device_ptrIyEEEESH_NS8_9null_typeESI_SI_SI_SI_SI_SI_SI_EEEENS9_21zip_adj_not_predicateINS8_8equal_toIyEEEEEEPllNS8_4plusIlEEEE10hipError_tPvRmT1_T2_T3_mT4_P12ihipStream_tbEUlT_E0_NS1_11comp_targetILNS1_3genE10ELNS1_11target_archE1201ELNS1_3gpuE5ELNS1_3repE0EEENS1_30default_config_static_selectorELNS0_4arch9wavefront6targetE1EEEvSW_,"axG",@progbits,_ZN7rocprim17ROCPRIM_400000_NS6detail17trampoline_kernelINS0_14default_configENS1_22reduce_config_selectorIlEEZNS1_11reduce_implILb1ES3_N6thrust23THRUST_200600_302600_NS11hip_rocprim26transform_input_iterator_tIlNS8_12zip_iteratorINS8_5tupleINS8_6detail15normal_iteratorINS8_10device_ptrIyEEEESH_NS8_9null_typeESI_SI_SI_SI_SI_SI_SI_EEEENS9_21zip_adj_not_predicateINS8_8equal_toIyEEEEEEPllNS8_4plusIlEEEE10hipError_tPvRmT1_T2_T3_mT4_P12ihipStream_tbEUlT_E0_NS1_11comp_targetILNS1_3genE10ELNS1_11target_archE1201ELNS1_3gpuE5ELNS1_3repE0EEENS1_30default_config_static_selectorELNS0_4arch9wavefront6targetE1EEEvSW_,comdat
	.protected	_ZN7rocprim17ROCPRIM_400000_NS6detail17trampoline_kernelINS0_14default_configENS1_22reduce_config_selectorIlEEZNS1_11reduce_implILb1ES3_N6thrust23THRUST_200600_302600_NS11hip_rocprim26transform_input_iterator_tIlNS8_12zip_iteratorINS8_5tupleINS8_6detail15normal_iteratorINS8_10device_ptrIyEEEESH_NS8_9null_typeESI_SI_SI_SI_SI_SI_SI_EEEENS9_21zip_adj_not_predicateINS8_8equal_toIyEEEEEEPllNS8_4plusIlEEEE10hipError_tPvRmT1_T2_T3_mT4_P12ihipStream_tbEUlT_E0_NS1_11comp_targetILNS1_3genE10ELNS1_11target_archE1201ELNS1_3gpuE5ELNS1_3repE0EEENS1_30default_config_static_selectorELNS0_4arch9wavefront6targetE1EEEvSW_ ; -- Begin function _ZN7rocprim17ROCPRIM_400000_NS6detail17trampoline_kernelINS0_14default_configENS1_22reduce_config_selectorIlEEZNS1_11reduce_implILb1ES3_N6thrust23THRUST_200600_302600_NS11hip_rocprim26transform_input_iterator_tIlNS8_12zip_iteratorINS8_5tupleINS8_6detail15normal_iteratorINS8_10device_ptrIyEEEESH_NS8_9null_typeESI_SI_SI_SI_SI_SI_SI_EEEENS9_21zip_adj_not_predicateINS8_8equal_toIyEEEEEEPllNS8_4plusIlEEEE10hipError_tPvRmT1_T2_T3_mT4_P12ihipStream_tbEUlT_E0_NS1_11comp_targetILNS1_3genE10ELNS1_11target_archE1201ELNS1_3gpuE5ELNS1_3repE0EEENS1_30default_config_static_selectorELNS0_4arch9wavefront6targetE1EEEvSW_
	.globl	_ZN7rocprim17ROCPRIM_400000_NS6detail17trampoline_kernelINS0_14default_configENS1_22reduce_config_selectorIlEEZNS1_11reduce_implILb1ES3_N6thrust23THRUST_200600_302600_NS11hip_rocprim26transform_input_iterator_tIlNS8_12zip_iteratorINS8_5tupleINS8_6detail15normal_iteratorINS8_10device_ptrIyEEEESH_NS8_9null_typeESI_SI_SI_SI_SI_SI_SI_EEEENS9_21zip_adj_not_predicateINS8_8equal_toIyEEEEEEPllNS8_4plusIlEEEE10hipError_tPvRmT1_T2_T3_mT4_P12ihipStream_tbEUlT_E0_NS1_11comp_targetILNS1_3genE10ELNS1_11target_archE1201ELNS1_3gpuE5ELNS1_3repE0EEENS1_30default_config_static_selectorELNS0_4arch9wavefront6targetE1EEEvSW_
	.p2align	8
	.type	_ZN7rocprim17ROCPRIM_400000_NS6detail17trampoline_kernelINS0_14default_configENS1_22reduce_config_selectorIlEEZNS1_11reduce_implILb1ES3_N6thrust23THRUST_200600_302600_NS11hip_rocprim26transform_input_iterator_tIlNS8_12zip_iteratorINS8_5tupleINS8_6detail15normal_iteratorINS8_10device_ptrIyEEEESH_NS8_9null_typeESI_SI_SI_SI_SI_SI_SI_EEEENS9_21zip_adj_not_predicateINS8_8equal_toIyEEEEEEPllNS8_4plusIlEEEE10hipError_tPvRmT1_T2_T3_mT4_P12ihipStream_tbEUlT_E0_NS1_11comp_targetILNS1_3genE10ELNS1_11target_archE1201ELNS1_3gpuE5ELNS1_3repE0EEENS1_30default_config_static_selectorELNS0_4arch9wavefront6targetE1EEEvSW_,@function
_ZN7rocprim17ROCPRIM_400000_NS6detail17trampoline_kernelINS0_14default_configENS1_22reduce_config_selectorIlEEZNS1_11reduce_implILb1ES3_N6thrust23THRUST_200600_302600_NS11hip_rocprim26transform_input_iterator_tIlNS8_12zip_iteratorINS8_5tupleINS8_6detail15normal_iteratorINS8_10device_ptrIyEEEESH_NS8_9null_typeESI_SI_SI_SI_SI_SI_SI_EEEENS9_21zip_adj_not_predicateINS8_8equal_toIyEEEEEEPllNS8_4plusIlEEEE10hipError_tPvRmT1_T2_T3_mT4_P12ihipStream_tbEUlT_E0_NS1_11comp_targetILNS1_3genE10ELNS1_11target_archE1201ELNS1_3gpuE5ELNS1_3repE0EEENS1_30default_config_static_selectorELNS0_4arch9wavefront6targetE1EEEvSW_: ; @_ZN7rocprim17ROCPRIM_400000_NS6detail17trampoline_kernelINS0_14default_configENS1_22reduce_config_selectorIlEEZNS1_11reduce_implILb1ES3_N6thrust23THRUST_200600_302600_NS11hip_rocprim26transform_input_iterator_tIlNS8_12zip_iteratorINS8_5tupleINS8_6detail15normal_iteratorINS8_10device_ptrIyEEEESH_NS8_9null_typeESI_SI_SI_SI_SI_SI_SI_EEEENS9_21zip_adj_not_predicateINS8_8equal_toIyEEEEEEPllNS8_4plusIlEEEE10hipError_tPvRmT1_T2_T3_mT4_P12ihipStream_tbEUlT_E0_NS1_11comp_targetILNS1_3genE10ELNS1_11target_archE1201ELNS1_3gpuE5ELNS1_3repE0EEENS1_30default_config_static_selectorELNS0_4arch9wavefront6targetE1EEEvSW_
; %bb.0:
	.section	.rodata,"a",@progbits
	.p2align	6, 0x0
	.amdhsa_kernel _ZN7rocprim17ROCPRIM_400000_NS6detail17trampoline_kernelINS0_14default_configENS1_22reduce_config_selectorIlEEZNS1_11reduce_implILb1ES3_N6thrust23THRUST_200600_302600_NS11hip_rocprim26transform_input_iterator_tIlNS8_12zip_iteratorINS8_5tupleINS8_6detail15normal_iteratorINS8_10device_ptrIyEEEESH_NS8_9null_typeESI_SI_SI_SI_SI_SI_SI_EEEENS9_21zip_adj_not_predicateINS8_8equal_toIyEEEEEEPllNS8_4plusIlEEEE10hipError_tPvRmT1_T2_T3_mT4_P12ihipStream_tbEUlT_E0_NS1_11comp_targetILNS1_3genE10ELNS1_11target_archE1201ELNS1_3gpuE5ELNS1_3repE0EEENS1_30default_config_static_selectorELNS0_4arch9wavefront6targetE1EEEvSW_
		.amdhsa_group_segment_fixed_size 0
		.amdhsa_private_segment_fixed_size 0
		.amdhsa_kernarg_size 80
		.amdhsa_user_sgpr_count 6
		.amdhsa_user_sgpr_private_segment_buffer 1
		.amdhsa_user_sgpr_dispatch_ptr 0
		.amdhsa_user_sgpr_queue_ptr 0
		.amdhsa_user_sgpr_kernarg_segment_ptr 1
		.amdhsa_user_sgpr_dispatch_id 0
		.amdhsa_user_sgpr_flat_scratch_init 0
		.amdhsa_user_sgpr_private_segment_size 0
		.amdhsa_uses_dynamic_stack 0
		.amdhsa_system_sgpr_private_segment_wavefront_offset 0
		.amdhsa_system_sgpr_workgroup_id_x 1
		.amdhsa_system_sgpr_workgroup_id_y 0
		.amdhsa_system_sgpr_workgroup_id_z 0
		.amdhsa_system_sgpr_workgroup_info 0
		.amdhsa_system_vgpr_workitem_id 0
		.amdhsa_next_free_vgpr 1
		.amdhsa_next_free_sgpr 0
		.amdhsa_reserve_vcc 0
		.amdhsa_reserve_flat_scratch 0
		.amdhsa_float_round_mode_32 0
		.amdhsa_float_round_mode_16_64 0
		.amdhsa_float_denorm_mode_32 3
		.amdhsa_float_denorm_mode_16_64 3
		.amdhsa_dx10_clamp 1
		.amdhsa_ieee_mode 1
		.amdhsa_fp16_overflow 0
		.amdhsa_exception_fp_ieee_invalid_op 0
		.amdhsa_exception_fp_denorm_src 0
		.amdhsa_exception_fp_ieee_div_zero 0
		.amdhsa_exception_fp_ieee_overflow 0
		.amdhsa_exception_fp_ieee_underflow 0
		.amdhsa_exception_fp_ieee_inexact 0
		.amdhsa_exception_int_div_zero 0
	.end_amdhsa_kernel
	.section	.text._ZN7rocprim17ROCPRIM_400000_NS6detail17trampoline_kernelINS0_14default_configENS1_22reduce_config_selectorIlEEZNS1_11reduce_implILb1ES3_N6thrust23THRUST_200600_302600_NS11hip_rocprim26transform_input_iterator_tIlNS8_12zip_iteratorINS8_5tupleINS8_6detail15normal_iteratorINS8_10device_ptrIyEEEESH_NS8_9null_typeESI_SI_SI_SI_SI_SI_SI_EEEENS9_21zip_adj_not_predicateINS8_8equal_toIyEEEEEEPllNS8_4plusIlEEEE10hipError_tPvRmT1_T2_T3_mT4_P12ihipStream_tbEUlT_E0_NS1_11comp_targetILNS1_3genE10ELNS1_11target_archE1201ELNS1_3gpuE5ELNS1_3repE0EEENS1_30default_config_static_selectorELNS0_4arch9wavefront6targetE1EEEvSW_,"axG",@progbits,_ZN7rocprim17ROCPRIM_400000_NS6detail17trampoline_kernelINS0_14default_configENS1_22reduce_config_selectorIlEEZNS1_11reduce_implILb1ES3_N6thrust23THRUST_200600_302600_NS11hip_rocprim26transform_input_iterator_tIlNS8_12zip_iteratorINS8_5tupleINS8_6detail15normal_iteratorINS8_10device_ptrIyEEEESH_NS8_9null_typeESI_SI_SI_SI_SI_SI_SI_EEEENS9_21zip_adj_not_predicateINS8_8equal_toIyEEEEEEPllNS8_4plusIlEEEE10hipError_tPvRmT1_T2_T3_mT4_P12ihipStream_tbEUlT_E0_NS1_11comp_targetILNS1_3genE10ELNS1_11target_archE1201ELNS1_3gpuE5ELNS1_3repE0EEENS1_30default_config_static_selectorELNS0_4arch9wavefront6targetE1EEEvSW_,comdat
.Lfunc_end820:
	.size	_ZN7rocprim17ROCPRIM_400000_NS6detail17trampoline_kernelINS0_14default_configENS1_22reduce_config_selectorIlEEZNS1_11reduce_implILb1ES3_N6thrust23THRUST_200600_302600_NS11hip_rocprim26transform_input_iterator_tIlNS8_12zip_iteratorINS8_5tupleINS8_6detail15normal_iteratorINS8_10device_ptrIyEEEESH_NS8_9null_typeESI_SI_SI_SI_SI_SI_SI_EEEENS9_21zip_adj_not_predicateINS8_8equal_toIyEEEEEEPllNS8_4plusIlEEEE10hipError_tPvRmT1_T2_T3_mT4_P12ihipStream_tbEUlT_E0_NS1_11comp_targetILNS1_3genE10ELNS1_11target_archE1201ELNS1_3gpuE5ELNS1_3repE0EEENS1_30default_config_static_selectorELNS0_4arch9wavefront6targetE1EEEvSW_, .Lfunc_end820-_ZN7rocprim17ROCPRIM_400000_NS6detail17trampoline_kernelINS0_14default_configENS1_22reduce_config_selectorIlEEZNS1_11reduce_implILb1ES3_N6thrust23THRUST_200600_302600_NS11hip_rocprim26transform_input_iterator_tIlNS8_12zip_iteratorINS8_5tupleINS8_6detail15normal_iteratorINS8_10device_ptrIyEEEESH_NS8_9null_typeESI_SI_SI_SI_SI_SI_SI_EEEENS9_21zip_adj_not_predicateINS8_8equal_toIyEEEEEEPllNS8_4plusIlEEEE10hipError_tPvRmT1_T2_T3_mT4_P12ihipStream_tbEUlT_E0_NS1_11comp_targetILNS1_3genE10ELNS1_11target_archE1201ELNS1_3gpuE5ELNS1_3repE0EEENS1_30default_config_static_selectorELNS0_4arch9wavefront6targetE1EEEvSW_
                                        ; -- End function
	.set _ZN7rocprim17ROCPRIM_400000_NS6detail17trampoline_kernelINS0_14default_configENS1_22reduce_config_selectorIlEEZNS1_11reduce_implILb1ES3_N6thrust23THRUST_200600_302600_NS11hip_rocprim26transform_input_iterator_tIlNS8_12zip_iteratorINS8_5tupleINS8_6detail15normal_iteratorINS8_10device_ptrIyEEEESH_NS8_9null_typeESI_SI_SI_SI_SI_SI_SI_EEEENS9_21zip_adj_not_predicateINS8_8equal_toIyEEEEEEPllNS8_4plusIlEEEE10hipError_tPvRmT1_T2_T3_mT4_P12ihipStream_tbEUlT_E0_NS1_11comp_targetILNS1_3genE10ELNS1_11target_archE1201ELNS1_3gpuE5ELNS1_3repE0EEENS1_30default_config_static_selectorELNS0_4arch9wavefront6targetE1EEEvSW_.num_vgpr, 0
	.set _ZN7rocprim17ROCPRIM_400000_NS6detail17trampoline_kernelINS0_14default_configENS1_22reduce_config_selectorIlEEZNS1_11reduce_implILb1ES3_N6thrust23THRUST_200600_302600_NS11hip_rocprim26transform_input_iterator_tIlNS8_12zip_iteratorINS8_5tupleINS8_6detail15normal_iteratorINS8_10device_ptrIyEEEESH_NS8_9null_typeESI_SI_SI_SI_SI_SI_SI_EEEENS9_21zip_adj_not_predicateINS8_8equal_toIyEEEEEEPllNS8_4plusIlEEEE10hipError_tPvRmT1_T2_T3_mT4_P12ihipStream_tbEUlT_E0_NS1_11comp_targetILNS1_3genE10ELNS1_11target_archE1201ELNS1_3gpuE5ELNS1_3repE0EEENS1_30default_config_static_selectorELNS0_4arch9wavefront6targetE1EEEvSW_.num_agpr, 0
	.set _ZN7rocprim17ROCPRIM_400000_NS6detail17trampoline_kernelINS0_14default_configENS1_22reduce_config_selectorIlEEZNS1_11reduce_implILb1ES3_N6thrust23THRUST_200600_302600_NS11hip_rocprim26transform_input_iterator_tIlNS8_12zip_iteratorINS8_5tupleINS8_6detail15normal_iteratorINS8_10device_ptrIyEEEESH_NS8_9null_typeESI_SI_SI_SI_SI_SI_SI_EEEENS9_21zip_adj_not_predicateINS8_8equal_toIyEEEEEEPllNS8_4plusIlEEEE10hipError_tPvRmT1_T2_T3_mT4_P12ihipStream_tbEUlT_E0_NS1_11comp_targetILNS1_3genE10ELNS1_11target_archE1201ELNS1_3gpuE5ELNS1_3repE0EEENS1_30default_config_static_selectorELNS0_4arch9wavefront6targetE1EEEvSW_.numbered_sgpr, 0
	.set _ZN7rocprim17ROCPRIM_400000_NS6detail17trampoline_kernelINS0_14default_configENS1_22reduce_config_selectorIlEEZNS1_11reduce_implILb1ES3_N6thrust23THRUST_200600_302600_NS11hip_rocprim26transform_input_iterator_tIlNS8_12zip_iteratorINS8_5tupleINS8_6detail15normal_iteratorINS8_10device_ptrIyEEEESH_NS8_9null_typeESI_SI_SI_SI_SI_SI_SI_EEEENS9_21zip_adj_not_predicateINS8_8equal_toIyEEEEEEPllNS8_4plusIlEEEE10hipError_tPvRmT1_T2_T3_mT4_P12ihipStream_tbEUlT_E0_NS1_11comp_targetILNS1_3genE10ELNS1_11target_archE1201ELNS1_3gpuE5ELNS1_3repE0EEENS1_30default_config_static_selectorELNS0_4arch9wavefront6targetE1EEEvSW_.num_named_barrier, 0
	.set _ZN7rocprim17ROCPRIM_400000_NS6detail17trampoline_kernelINS0_14default_configENS1_22reduce_config_selectorIlEEZNS1_11reduce_implILb1ES3_N6thrust23THRUST_200600_302600_NS11hip_rocprim26transform_input_iterator_tIlNS8_12zip_iteratorINS8_5tupleINS8_6detail15normal_iteratorINS8_10device_ptrIyEEEESH_NS8_9null_typeESI_SI_SI_SI_SI_SI_SI_EEEENS9_21zip_adj_not_predicateINS8_8equal_toIyEEEEEEPllNS8_4plusIlEEEE10hipError_tPvRmT1_T2_T3_mT4_P12ihipStream_tbEUlT_E0_NS1_11comp_targetILNS1_3genE10ELNS1_11target_archE1201ELNS1_3gpuE5ELNS1_3repE0EEENS1_30default_config_static_selectorELNS0_4arch9wavefront6targetE1EEEvSW_.private_seg_size, 0
	.set _ZN7rocprim17ROCPRIM_400000_NS6detail17trampoline_kernelINS0_14default_configENS1_22reduce_config_selectorIlEEZNS1_11reduce_implILb1ES3_N6thrust23THRUST_200600_302600_NS11hip_rocprim26transform_input_iterator_tIlNS8_12zip_iteratorINS8_5tupleINS8_6detail15normal_iteratorINS8_10device_ptrIyEEEESH_NS8_9null_typeESI_SI_SI_SI_SI_SI_SI_EEEENS9_21zip_adj_not_predicateINS8_8equal_toIyEEEEEEPllNS8_4plusIlEEEE10hipError_tPvRmT1_T2_T3_mT4_P12ihipStream_tbEUlT_E0_NS1_11comp_targetILNS1_3genE10ELNS1_11target_archE1201ELNS1_3gpuE5ELNS1_3repE0EEENS1_30default_config_static_selectorELNS0_4arch9wavefront6targetE1EEEvSW_.uses_vcc, 0
	.set _ZN7rocprim17ROCPRIM_400000_NS6detail17trampoline_kernelINS0_14default_configENS1_22reduce_config_selectorIlEEZNS1_11reduce_implILb1ES3_N6thrust23THRUST_200600_302600_NS11hip_rocprim26transform_input_iterator_tIlNS8_12zip_iteratorINS8_5tupleINS8_6detail15normal_iteratorINS8_10device_ptrIyEEEESH_NS8_9null_typeESI_SI_SI_SI_SI_SI_SI_EEEENS9_21zip_adj_not_predicateINS8_8equal_toIyEEEEEEPllNS8_4plusIlEEEE10hipError_tPvRmT1_T2_T3_mT4_P12ihipStream_tbEUlT_E0_NS1_11comp_targetILNS1_3genE10ELNS1_11target_archE1201ELNS1_3gpuE5ELNS1_3repE0EEENS1_30default_config_static_selectorELNS0_4arch9wavefront6targetE1EEEvSW_.uses_flat_scratch, 0
	.set _ZN7rocprim17ROCPRIM_400000_NS6detail17trampoline_kernelINS0_14default_configENS1_22reduce_config_selectorIlEEZNS1_11reduce_implILb1ES3_N6thrust23THRUST_200600_302600_NS11hip_rocprim26transform_input_iterator_tIlNS8_12zip_iteratorINS8_5tupleINS8_6detail15normal_iteratorINS8_10device_ptrIyEEEESH_NS8_9null_typeESI_SI_SI_SI_SI_SI_SI_EEEENS9_21zip_adj_not_predicateINS8_8equal_toIyEEEEEEPllNS8_4plusIlEEEE10hipError_tPvRmT1_T2_T3_mT4_P12ihipStream_tbEUlT_E0_NS1_11comp_targetILNS1_3genE10ELNS1_11target_archE1201ELNS1_3gpuE5ELNS1_3repE0EEENS1_30default_config_static_selectorELNS0_4arch9wavefront6targetE1EEEvSW_.has_dyn_sized_stack, 0
	.set _ZN7rocprim17ROCPRIM_400000_NS6detail17trampoline_kernelINS0_14default_configENS1_22reduce_config_selectorIlEEZNS1_11reduce_implILb1ES3_N6thrust23THRUST_200600_302600_NS11hip_rocprim26transform_input_iterator_tIlNS8_12zip_iteratorINS8_5tupleINS8_6detail15normal_iteratorINS8_10device_ptrIyEEEESH_NS8_9null_typeESI_SI_SI_SI_SI_SI_SI_EEEENS9_21zip_adj_not_predicateINS8_8equal_toIyEEEEEEPllNS8_4plusIlEEEE10hipError_tPvRmT1_T2_T3_mT4_P12ihipStream_tbEUlT_E0_NS1_11comp_targetILNS1_3genE10ELNS1_11target_archE1201ELNS1_3gpuE5ELNS1_3repE0EEENS1_30default_config_static_selectorELNS0_4arch9wavefront6targetE1EEEvSW_.has_recursion, 0
	.set _ZN7rocprim17ROCPRIM_400000_NS6detail17trampoline_kernelINS0_14default_configENS1_22reduce_config_selectorIlEEZNS1_11reduce_implILb1ES3_N6thrust23THRUST_200600_302600_NS11hip_rocprim26transform_input_iterator_tIlNS8_12zip_iteratorINS8_5tupleINS8_6detail15normal_iteratorINS8_10device_ptrIyEEEESH_NS8_9null_typeESI_SI_SI_SI_SI_SI_SI_EEEENS9_21zip_adj_not_predicateINS8_8equal_toIyEEEEEEPllNS8_4plusIlEEEE10hipError_tPvRmT1_T2_T3_mT4_P12ihipStream_tbEUlT_E0_NS1_11comp_targetILNS1_3genE10ELNS1_11target_archE1201ELNS1_3gpuE5ELNS1_3repE0EEENS1_30default_config_static_selectorELNS0_4arch9wavefront6targetE1EEEvSW_.has_indirect_call, 0
	.section	.AMDGPU.csdata,"",@progbits
; Kernel info:
; codeLenInByte = 0
; TotalNumSgprs: 4
; NumVgprs: 0
; ScratchSize: 0
; MemoryBound: 0
; FloatMode: 240
; IeeeMode: 1
; LDSByteSize: 0 bytes/workgroup (compile time only)
; SGPRBlocks: 0
; VGPRBlocks: 0
; NumSGPRsForWavesPerEU: 4
; NumVGPRsForWavesPerEU: 1
; Occupancy: 10
; WaveLimiterHint : 0
; COMPUTE_PGM_RSRC2:SCRATCH_EN: 0
; COMPUTE_PGM_RSRC2:USER_SGPR: 6
; COMPUTE_PGM_RSRC2:TRAP_HANDLER: 0
; COMPUTE_PGM_RSRC2:TGID_X_EN: 1
; COMPUTE_PGM_RSRC2:TGID_Y_EN: 0
; COMPUTE_PGM_RSRC2:TGID_Z_EN: 0
; COMPUTE_PGM_RSRC2:TIDIG_COMP_CNT: 0
	.section	.text._ZN7rocprim17ROCPRIM_400000_NS6detail17trampoline_kernelINS0_14default_configENS1_22reduce_config_selectorIlEEZNS1_11reduce_implILb1ES3_N6thrust23THRUST_200600_302600_NS11hip_rocprim26transform_input_iterator_tIlNS8_12zip_iteratorINS8_5tupleINS8_6detail15normal_iteratorINS8_10device_ptrIyEEEESH_NS8_9null_typeESI_SI_SI_SI_SI_SI_SI_EEEENS9_21zip_adj_not_predicateINS8_8equal_toIyEEEEEEPllNS8_4plusIlEEEE10hipError_tPvRmT1_T2_T3_mT4_P12ihipStream_tbEUlT_E0_NS1_11comp_targetILNS1_3genE10ELNS1_11target_archE1200ELNS1_3gpuE4ELNS1_3repE0EEENS1_30default_config_static_selectorELNS0_4arch9wavefront6targetE1EEEvSW_,"axG",@progbits,_ZN7rocprim17ROCPRIM_400000_NS6detail17trampoline_kernelINS0_14default_configENS1_22reduce_config_selectorIlEEZNS1_11reduce_implILb1ES3_N6thrust23THRUST_200600_302600_NS11hip_rocprim26transform_input_iterator_tIlNS8_12zip_iteratorINS8_5tupleINS8_6detail15normal_iteratorINS8_10device_ptrIyEEEESH_NS8_9null_typeESI_SI_SI_SI_SI_SI_SI_EEEENS9_21zip_adj_not_predicateINS8_8equal_toIyEEEEEEPllNS8_4plusIlEEEE10hipError_tPvRmT1_T2_T3_mT4_P12ihipStream_tbEUlT_E0_NS1_11comp_targetILNS1_3genE10ELNS1_11target_archE1200ELNS1_3gpuE4ELNS1_3repE0EEENS1_30default_config_static_selectorELNS0_4arch9wavefront6targetE1EEEvSW_,comdat
	.protected	_ZN7rocprim17ROCPRIM_400000_NS6detail17trampoline_kernelINS0_14default_configENS1_22reduce_config_selectorIlEEZNS1_11reduce_implILb1ES3_N6thrust23THRUST_200600_302600_NS11hip_rocprim26transform_input_iterator_tIlNS8_12zip_iteratorINS8_5tupleINS8_6detail15normal_iteratorINS8_10device_ptrIyEEEESH_NS8_9null_typeESI_SI_SI_SI_SI_SI_SI_EEEENS9_21zip_adj_not_predicateINS8_8equal_toIyEEEEEEPllNS8_4plusIlEEEE10hipError_tPvRmT1_T2_T3_mT4_P12ihipStream_tbEUlT_E0_NS1_11comp_targetILNS1_3genE10ELNS1_11target_archE1200ELNS1_3gpuE4ELNS1_3repE0EEENS1_30default_config_static_selectorELNS0_4arch9wavefront6targetE1EEEvSW_ ; -- Begin function _ZN7rocprim17ROCPRIM_400000_NS6detail17trampoline_kernelINS0_14default_configENS1_22reduce_config_selectorIlEEZNS1_11reduce_implILb1ES3_N6thrust23THRUST_200600_302600_NS11hip_rocprim26transform_input_iterator_tIlNS8_12zip_iteratorINS8_5tupleINS8_6detail15normal_iteratorINS8_10device_ptrIyEEEESH_NS8_9null_typeESI_SI_SI_SI_SI_SI_SI_EEEENS9_21zip_adj_not_predicateINS8_8equal_toIyEEEEEEPllNS8_4plusIlEEEE10hipError_tPvRmT1_T2_T3_mT4_P12ihipStream_tbEUlT_E0_NS1_11comp_targetILNS1_3genE10ELNS1_11target_archE1200ELNS1_3gpuE4ELNS1_3repE0EEENS1_30default_config_static_selectorELNS0_4arch9wavefront6targetE1EEEvSW_
	.globl	_ZN7rocprim17ROCPRIM_400000_NS6detail17trampoline_kernelINS0_14default_configENS1_22reduce_config_selectorIlEEZNS1_11reduce_implILb1ES3_N6thrust23THRUST_200600_302600_NS11hip_rocprim26transform_input_iterator_tIlNS8_12zip_iteratorINS8_5tupleINS8_6detail15normal_iteratorINS8_10device_ptrIyEEEESH_NS8_9null_typeESI_SI_SI_SI_SI_SI_SI_EEEENS9_21zip_adj_not_predicateINS8_8equal_toIyEEEEEEPllNS8_4plusIlEEEE10hipError_tPvRmT1_T2_T3_mT4_P12ihipStream_tbEUlT_E0_NS1_11comp_targetILNS1_3genE10ELNS1_11target_archE1200ELNS1_3gpuE4ELNS1_3repE0EEENS1_30default_config_static_selectorELNS0_4arch9wavefront6targetE1EEEvSW_
	.p2align	8
	.type	_ZN7rocprim17ROCPRIM_400000_NS6detail17trampoline_kernelINS0_14default_configENS1_22reduce_config_selectorIlEEZNS1_11reduce_implILb1ES3_N6thrust23THRUST_200600_302600_NS11hip_rocprim26transform_input_iterator_tIlNS8_12zip_iteratorINS8_5tupleINS8_6detail15normal_iteratorINS8_10device_ptrIyEEEESH_NS8_9null_typeESI_SI_SI_SI_SI_SI_SI_EEEENS9_21zip_adj_not_predicateINS8_8equal_toIyEEEEEEPllNS8_4plusIlEEEE10hipError_tPvRmT1_T2_T3_mT4_P12ihipStream_tbEUlT_E0_NS1_11comp_targetILNS1_3genE10ELNS1_11target_archE1200ELNS1_3gpuE4ELNS1_3repE0EEENS1_30default_config_static_selectorELNS0_4arch9wavefront6targetE1EEEvSW_,@function
_ZN7rocprim17ROCPRIM_400000_NS6detail17trampoline_kernelINS0_14default_configENS1_22reduce_config_selectorIlEEZNS1_11reduce_implILb1ES3_N6thrust23THRUST_200600_302600_NS11hip_rocprim26transform_input_iterator_tIlNS8_12zip_iteratorINS8_5tupleINS8_6detail15normal_iteratorINS8_10device_ptrIyEEEESH_NS8_9null_typeESI_SI_SI_SI_SI_SI_SI_EEEENS9_21zip_adj_not_predicateINS8_8equal_toIyEEEEEEPllNS8_4plusIlEEEE10hipError_tPvRmT1_T2_T3_mT4_P12ihipStream_tbEUlT_E0_NS1_11comp_targetILNS1_3genE10ELNS1_11target_archE1200ELNS1_3gpuE4ELNS1_3repE0EEENS1_30default_config_static_selectorELNS0_4arch9wavefront6targetE1EEEvSW_: ; @_ZN7rocprim17ROCPRIM_400000_NS6detail17trampoline_kernelINS0_14default_configENS1_22reduce_config_selectorIlEEZNS1_11reduce_implILb1ES3_N6thrust23THRUST_200600_302600_NS11hip_rocprim26transform_input_iterator_tIlNS8_12zip_iteratorINS8_5tupleINS8_6detail15normal_iteratorINS8_10device_ptrIyEEEESH_NS8_9null_typeESI_SI_SI_SI_SI_SI_SI_EEEENS9_21zip_adj_not_predicateINS8_8equal_toIyEEEEEEPllNS8_4plusIlEEEE10hipError_tPvRmT1_T2_T3_mT4_P12ihipStream_tbEUlT_E0_NS1_11comp_targetILNS1_3genE10ELNS1_11target_archE1200ELNS1_3gpuE4ELNS1_3repE0EEENS1_30default_config_static_selectorELNS0_4arch9wavefront6targetE1EEEvSW_
; %bb.0:
	.section	.rodata,"a",@progbits
	.p2align	6, 0x0
	.amdhsa_kernel _ZN7rocprim17ROCPRIM_400000_NS6detail17trampoline_kernelINS0_14default_configENS1_22reduce_config_selectorIlEEZNS1_11reduce_implILb1ES3_N6thrust23THRUST_200600_302600_NS11hip_rocprim26transform_input_iterator_tIlNS8_12zip_iteratorINS8_5tupleINS8_6detail15normal_iteratorINS8_10device_ptrIyEEEESH_NS8_9null_typeESI_SI_SI_SI_SI_SI_SI_EEEENS9_21zip_adj_not_predicateINS8_8equal_toIyEEEEEEPllNS8_4plusIlEEEE10hipError_tPvRmT1_T2_T3_mT4_P12ihipStream_tbEUlT_E0_NS1_11comp_targetILNS1_3genE10ELNS1_11target_archE1200ELNS1_3gpuE4ELNS1_3repE0EEENS1_30default_config_static_selectorELNS0_4arch9wavefront6targetE1EEEvSW_
		.amdhsa_group_segment_fixed_size 0
		.amdhsa_private_segment_fixed_size 0
		.amdhsa_kernarg_size 80
		.amdhsa_user_sgpr_count 6
		.amdhsa_user_sgpr_private_segment_buffer 1
		.amdhsa_user_sgpr_dispatch_ptr 0
		.amdhsa_user_sgpr_queue_ptr 0
		.amdhsa_user_sgpr_kernarg_segment_ptr 1
		.amdhsa_user_sgpr_dispatch_id 0
		.amdhsa_user_sgpr_flat_scratch_init 0
		.amdhsa_user_sgpr_private_segment_size 0
		.amdhsa_uses_dynamic_stack 0
		.amdhsa_system_sgpr_private_segment_wavefront_offset 0
		.amdhsa_system_sgpr_workgroup_id_x 1
		.amdhsa_system_sgpr_workgroup_id_y 0
		.amdhsa_system_sgpr_workgroup_id_z 0
		.amdhsa_system_sgpr_workgroup_info 0
		.amdhsa_system_vgpr_workitem_id 0
		.amdhsa_next_free_vgpr 1
		.amdhsa_next_free_sgpr 0
		.amdhsa_reserve_vcc 0
		.amdhsa_reserve_flat_scratch 0
		.amdhsa_float_round_mode_32 0
		.amdhsa_float_round_mode_16_64 0
		.amdhsa_float_denorm_mode_32 3
		.amdhsa_float_denorm_mode_16_64 3
		.amdhsa_dx10_clamp 1
		.amdhsa_ieee_mode 1
		.amdhsa_fp16_overflow 0
		.amdhsa_exception_fp_ieee_invalid_op 0
		.amdhsa_exception_fp_denorm_src 0
		.amdhsa_exception_fp_ieee_div_zero 0
		.amdhsa_exception_fp_ieee_overflow 0
		.amdhsa_exception_fp_ieee_underflow 0
		.amdhsa_exception_fp_ieee_inexact 0
		.amdhsa_exception_int_div_zero 0
	.end_amdhsa_kernel
	.section	.text._ZN7rocprim17ROCPRIM_400000_NS6detail17trampoline_kernelINS0_14default_configENS1_22reduce_config_selectorIlEEZNS1_11reduce_implILb1ES3_N6thrust23THRUST_200600_302600_NS11hip_rocprim26transform_input_iterator_tIlNS8_12zip_iteratorINS8_5tupleINS8_6detail15normal_iteratorINS8_10device_ptrIyEEEESH_NS8_9null_typeESI_SI_SI_SI_SI_SI_SI_EEEENS9_21zip_adj_not_predicateINS8_8equal_toIyEEEEEEPllNS8_4plusIlEEEE10hipError_tPvRmT1_T2_T3_mT4_P12ihipStream_tbEUlT_E0_NS1_11comp_targetILNS1_3genE10ELNS1_11target_archE1200ELNS1_3gpuE4ELNS1_3repE0EEENS1_30default_config_static_selectorELNS0_4arch9wavefront6targetE1EEEvSW_,"axG",@progbits,_ZN7rocprim17ROCPRIM_400000_NS6detail17trampoline_kernelINS0_14default_configENS1_22reduce_config_selectorIlEEZNS1_11reduce_implILb1ES3_N6thrust23THRUST_200600_302600_NS11hip_rocprim26transform_input_iterator_tIlNS8_12zip_iteratorINS8_5tupleINS8_6detail15normal_iteratorINS8_10device_ptrIyEEEESH_NS8_9null_typeESI_SI_SI_SI_SI_SI_SI_EEEENS9_21zip_adj_not_predicateINS8_8equal_toIyEEEEEEPllNS8_4plusIlEEEE10hipError_tPvRmT1_T2_T3_mT4_P12ihipStream_tbEUlT_E0_NS1_11comp_targetILNS1_3genE10ELNS1_11target_archE1200ELNS1_3gpuE4ELNS1_3repE0EEENS1_30default_config_static_selectorELNS0_4arch9wavefront6targetE1EEEvSW_,comdat
.Lfunc_end821:
	.size	_ZN7rocprim17ROCPRIM_400000_NS6detail17trampoline_kernelINS0_14default_configENS1_22reduce_config_selectorIlEEZNS1_11reduce_implILb1ES3_N6thrust23THRUST_200600_302600_NS11hip_rocprim26transform_input_iterator_tIlNS8_12zip_iteratorINS8_5tupleINS8_6detail15normal_iteratorINS8_10device_ptrIyEEEESH_NS8_9null_typeESI_SI_SI_SI_SI_SI_SI_EEEENS9_21zip_adj_not_predicateINS8_8equal_toIyEEEEEEPllNS8_4plusIlEEEE10hipError_tPvRmT1_T2_T3_mT4_P12ihipStream_tbEUlT_E0_NS1_11comp_targetILNS1_3genE10ELNS1_11target_archE1200ELNS1_3gpuE4ELNS1_3repE0EEENS1_30default_config_static_selectorELNS0_4arch9wavefront6targetE1EEEvSW_, .Lfunc_end821-_ZN7rocprim17ROCPRIM_400000_NS6detail17trampoline_kernelINS0_14default_configENS1_22reduce_config_selectorIlEEZNS1_11reduce_implILb1ES3_N6thrust23THRUST_200600_302600_NS11hip_rocprim26transform_input_iterator_tIlNS8_12zip_iteratorINS8_5tupleINS8_6detail15normal_iteratorINS8_10device_ptrIyEEEESH_NS8_9null_typeESI_SI_SI_SI_SI_SI_SI_EEEENS9_21zip_adj_not_predicateINS8_8equal_toIyEEEEEEPllNS8_4plusIlEEEE10hipError_tPvRmT1_T2_T3_mT4_P12ihipStream_tbEUlT_E0_NS1_11comp_targetILNS1_3genE10ELNS1_11target_archE1200ELNS1_3gpuE4ELNS1_3repE0EEENS1_30default_config_static_selectorELNS0_4arch9wavefront6targetE1EEEvSW_
                                        ; -- End function
	.set _ZN7rocprim17ROCPRIM_400000_NS6detail17trampoline_kernelINS0_14default_configENS1_22reduce_config_selectorIlEEZNS1_11reduce_implILb1ES3_N6thrust23THRUST_200600_302600_NS11hip_rocprim26transform_input_iterator_tIlNS8_12zip_iteratorINS8_5tupleINS8_6detail15normal_iteratorINS8_10device_ptrIyEEEESH_NS8_9null_typeESI_SI_SI_SI_SI_SI_SI_EEEENS9_21zip_adj_not_predicateINS8_8equal_toIyEEEEEEPllNS8_4plusIlEEEE10hipError_tPvRmT1_T2_T3_mT4_P12ihipStream_tbEUlT_E0_NS1_11comp_targetILNS1_3genE10ELNS1_11target_archE1200ELNS1_3gpuE4ELNS1_3repE0EEENS1_30default_config_static_selectorELNS0_4arch9wavefront6targetE1EEEvSW_.num_vgpr, 0
	.set _ZN7rocprim17ROCPRIM_400000_NS6detail17trampoline_kernelINS0_14default_configENS1_22reduce_config_selectorIlEEZNS1_11reduce_implILb1ES3_N6thrust23THRUST_200600_302600_NS11hip_rocprim26transform_input_iterator_tIlNS8_12zip_iteratorINS8_5tupleINS8_6detail15normal_iteratorINS8_10device_ptrIyEEEESH_NS8_9null_typeESI_SI_SI_SI_SI_SI_SI_EEEENS9_21zip_adj_not_predicateINS8_8equal_toIyEEEEEEPllNS8_4plusIlEEEE10hipError_tPvRmT1_T2_T3_mT4_P12ihipStream_tbEUlT_E0_NS1_11comp_targetILNS1_3genE10ELNS1_11target_archE1200ELNS1_3gpuE4ELNS1_3repE0EEENS1_30default_config_static_selectorELNS0_4arch9wavefront6targetE1EEEvSW_.num_agpr, 0
	.set _ZN7rocprim17ROCPRIM_400000_NS6detail17trampoline_kernelINS0_14default_configENS1_22reduce_config_selectorIlEEZNS1_11reduce_implILb1ES3_N6thrust23THRUST_200600_302600_NS11hip_rocprim26transform_input_iterator_tIlNS8_12zip_iteratorINS8_5tupleINS8_6detail15normal_iteratorINS8_10device_ptrIyEEEESH_NS8_9null_typeESI_SI_SI_SI_SI_SI_SI_EEEENS9_21zip_adj_not_predicateINS8_8equal_toIyEEEEEEPllNS8_4plusIlEEEE10hipError_tPvRmT1_T2_T3_mT4_P12ihipStream_tbEUlT_E0_NS1_11comp_targetILNS1_3genE10ELNS1_11target_archE1200ELNS1_3gpuE4ELNS1_3repE0EEENS1_30default_config_static_selectorELNS0_4arch9wavefront6targetE1EEEvSW_.numbered_sgpr, 0
	.set _ZN7rocprim17ROCPRIM_400000_NS6detail17trampoline_kernelINS0_14default_configENS1_22reduce_config_selectorIlEEZNS1_11reduce_implILb1ES3_N6thrust23THRUST_200600_302600_NS11hip_rocprim26transform_input_iterator_tIlNS8_12zip_iteratorINS8_5tupleINS8_6detail15normal_iteratorINS8_10device_ptrIyEEEESH_NS8_9null_typeESI_SI_SI_SI_SI_SI_SI_EEEENS9_21zip_adj_not_predicateINS8_8equal_toIyEEEEEEPllNS8_4plusIlEEEE10hipError_tPvRmT1_T2_T3_mT4_P12ihipStream_tbEUlT_E0_NS1_11comp_targetILNS1_3genE10ELNS1_11target_archE1200ELNS1_3gpuE4ELNS1_3repE0EEENS1_30default_config_static_selectorELNS0_4arch9wavefront6targetE1EEEvSW_.num_named_barrier, 0
	.set _ZN7rocprim17ROCPRIM_400000_NS6detail17trampoline_kernelINS0_14default_configENS1_22reduce_config_selectorIlEEZNS1_11reduce_implILb1ES3_N6thrust23THRUST_200600_302600_NS11hip_rocprim26transform_input_iterator_tIlNS8_12zip_iteratorINS8_5tupleINS8_6detail15normal_iteratorINS8_10device_ptrIyEEEESH_NS8_9null_typeESI_SI_SI_SI_SI_SI_SI_EEEENS9_21zip_adj_not_predicateINS8_8equal_toIyEEEEEEPllNS8_4plusIlEEEE10hipError_tPvRmT1_T2_T3_mT4_P12ihipStream_tbEUlT_E0_NS1_11comp_targetILNS1_3genE10ELNS1_11target_archE1200ELNS1_3gpuE4ELNS1_3repE0EEENS1_30default_config_static_selectorELNS0_4arch9wavefront6targetE1EEEvSW_.private_seg_size, 0
	.set _ZN7rocprim17ROCPRIM_400000_NS6detail17trampoline_kernelINS0_14default_configENS1_22reduce_config_selectorIlEEZNS1_11reduce_implILb1ES3_N6thrust23THRUST_200600_302600_NS11hip_rocprim26transform_input_iterator_tIlNS8_12zip_iteratorINS8_5tupleINS8_6detail15normal_iteratorINS8_10device_ptrIyEEEESH_NS8_9null_typeESI_SI_SI_SI_SI_SI_SI_EEEENS9_21zip_adj_not_predicateINS8_8equal_toIyEEEEEEPllNS8_4plusIlEEEE10hipError_tPvRmT1_T2_T3_mT4_P12ihipStream_tbEUlT_E0_NS1_11comp_targetILNS1_3genE10ELNS1_11target_archE1200ELNS1_3gpuE4ELNS1_3repE0EEENS1_30default_config_static_selectorELNS0_4arch9wavefront6targetE1EEEvSW_.uses_vcc, 0
	.set _ZN7rocprim17ROCPRIM_400000_NS6detail17trampoline_kernelINS0_14default_configENS1_22reduce_config_selectorIlEEZNS1_11reduce_implILb1ES3_N6thrust23THRUST_200600_302600_NS11hip_rocprim26transform_input_iterator_tIlNS8_12zip_iteratorINS8_5tupleINS8_6detail15normal_iteratorINS8_10device_ptrIyEEEESH_NS8_9null_typeESI_SI_SI_SI_SI_SI_SI_EEEENS9_21zip_adj_not_predicateINS8_8equal_toIyEEEEEEPllNS8_4plusIlEEEE10hipError_tPvRmT1_T2_T3_mT4_P12ihipStream_tbEUlT_E0_NS1_11comp_targetILNS1_3genE10ELNS1_11target_archE1200ELNS1_3gpuE4ELNS1_3repE0EEENS1_30default_config_static_selectorELNS0_4arch9wavefront6targetE1EEEvSW_.uses_flat_scratch, 0
	.set _ZN7rocprim17ROCPRIM_400000_NS6detail17trampoline_kernelINS0_14default_configENS1_22reduce_config_selectorIlEEZNS1_11reduce_implILb1ES3_N6thrust23THRUST_200600_302600_NS11hip_rocprim26transform_input_iterator_tIlNS8_12zip_iteratorINS8_5tupleINS8_6detail15normal_iteratorINS8_10device_ptrIyEEEESH_NS8_9null_typeESI_SI_SI_SI_SI_SI_SI_EEEENS9_21zip_adj_not_predicateINS8_8equal_toIyEEEEEEPllNS8_4plusIlEEEE10hipError_tPvRmT1_T2_T3_mT4_P12ihipStream_tbEUlT_E0_NS1_11comp_targetILNS1_3genE10ELNS1_11target_archE1200ELNS1_3gpuE4ELNS1_3repE0EEENS1_30default_config_static_selectorELNS0_4arch9wavefront6targetE1EEEvSW_.has_dyn_sized_stack, 0
	.set _ZN7rocprim17ROCPRIM_400000_NS6detail17trampoline_kernelINS0_14default_configENS1_22reduce_config_selectorIlEEZNS1_11reduce_implILb1ES3_N6thrust23THRUST_200600_302600_NS11hip_rocprim26transform_input_iterator_tIlNS8_12zip_iteratorINS8_5tupleINS8_6detail15normal_iteratorINS8_10device_ptrIyEEEESH_NS8_9null_typeESI_SI_SI_SI_SI_SI_SI_EEEENS9_21zip_adj_not_predicateINS8_8equal_toIyEEEEEEPllNS8_4plusIlEEEE10hipError_tPvRmT1_T2_T3_mT4_P12ihipStream_tbEUlT_E0_NS1_11comp_targetILNS1_3genE10ELNS1_11target_archE1200ELNS1_3gpuE4ELNS1_3repE0EEENS1_30default_config_static_selectorELNS0_4arch9wavefront6targetE1EEEvSW_.has_recursion, 0
	.set _ZN7rocprim17ROCPRIM_400000_NS6detail17trampoline_kernelINS0_14default_configENS1_22reduce_config_selectorIlEEZNS1_11reduce_implILb1ES3_N6thrust23THRUST_200600_302600_NS11hip_rocprim26transform_input_iterator_tIlNS8_12zip_iteratorINS8_5tupleINS8_6detail15normal_iteratorINS8_10device_ptrIyEEEESH_NS8_9null_typeESI_SI_SI_SI_SI_SI_SI_EEEENS9_21zip_adj_not_predicateINS8_8equal_toIyEEEEEEPllNS8_4plusIlEEEE10hipError_tPvRmT1_T2_T3_mT4_P12ihipStream_tbEUlT_E0_NS1_11comp_targetILNS1_3genE10ELNS1_11target_archE1200ELNS1_3gpuE4ELNS1_3repE0EEENS1_30default_config_static_selectorELNS0_4arch9wavefront6targetE1EEEvSW_.has_indirect_call, 0
	.section	.AMDGPU.csdata,"",@progbits
; Kernel info:
; codeLenInByte = 0
; TotalNumSgprs: 4
; NumVgprs: 0
; ScratchSize: 0
; MemoryBound: 0
; FloatMode: 240
; IeeeMode: 1
; LDSByteSize: 0 bytes/workgroup (compile time only)
; SGPRBlocks: 0
; VGPRBlocks: 0
; NumSGPRsForWavesPerEU: 4
; NumVGPRsForWavesPerEU: 1
; Occupancy: 10
; WaveLimiterHint : 0
; COMPUTE_PGM_RSRC2:SCRATCH_EN: 0
; COMPUTE_PGM_RSRC2:USER_SGPR: 6
; COMPUTE_PGM_RSRC2:TRAP_HANDLER: 0
; COMPUTE_PGM_RSRC2:TGID_X_EN: 1
; COMPUTE_PGM_RSRC2:TGID_Y_EN: 0
; COMPUTE_PGM_RSRC2:TGID_Z_EN: 0
; COMPUTE_PGM_RSRC2:TIDIG_COMP_CNT: 0
	.section	.text._ZN7rocprim17ROCPRIM_400000_NS6detail17trampoline_kernelINS0_14default_configENS1_22reduce_config_selectorIlEEZNS1_11reduce_implILb1ES3_N6thrust23THRUST_200600_302600_NS11hip_rocprim26transform_input_iterator_tIlNS8_12zip_iteratorINS8_5tupleINS8_6detail15normal_iteratorINS8_10device_ptrIyEEEESH_NS8_9null_typeESI_SI_SI_SI_SI_SI_SI_EEEENS9_21zip_adj_not_predicateINS8_8equal_toIyEEEEEEPllNS8_4plusIlEEEE10hipError_tPvRmT1_T2_T3_mT4_P12ihipStream_tbEUlT_E0_NS1_11comp_targetILNS1_3genE9ELNS1_11target_archE1100ELNS1_3gpuE3ELNS1_3repE0EEENS1_30default_config_static_selectorELNS0_4arch9wavefront6targetE1EEEvSW_,"axG",@progbits,_ZN7rocprim17ROCPRIM_400000_NS6detail17trampoline_kernelINS0_14default_configENS1_22reduce_config_selectorIlEEZNS1_11reduce_implILb1ES3_N6thrust23THRUST_200600_302600_NS11hip_rocprim26transform_input_iterator_tIlNS8_12zip_iteratorINS8_5tupleINS8_6detail15normal_iteratorINS8_10device_ptrIyEEEESH_NS8_9null_typeESI_SI_SI_SI_SI_SI_SI_EEEENS9_21zip_adj_not_predicateINS8_8equal_toIyEEEEEEPllNS8_4plusIlEEEE10hipError_tPvRmT1_T2_T3_mT4_P12ihipStream_tbEUlT_E0_NS1_11comp_targetILNS1_3genE9ELNS1_11target_archE1100ELNS1_3gpuE3ELNS1_3repE0EEENS1_30default_config_static_selectorELNS0_4arch9wavefront6targetE1EEEvSW_,comdat
	.protected	_ZN7rocprim17ROCPRIM_400000_NS6detail17trampoline_kernelINS0_14default_configENS1_22reduce_config_selectorIlEEZNS1_11reduce_implILb1ES3_N6thrust23THRUST_200600_302600_NS11hip_rocprim26transform_input_iterator_tIlNS8_12zip_iteratorINS8_5tupleINS8_6detail15normal_iteratorINS8_10device_ptrIyEEEESH_NS8_9null_typeESI_SI_SI_SI_SI_SI_SI_EEEENS9_21zip_adj_not_predicateINS8_8equal_toIyEEEEEEPllNS8_4plusIlEEEE10hipError_tPvRmT1_T2_T3_mT4_P12ihipStream_tbEUlT_E0_NS1_11comp_targetILNS1_3genE9ELNS1_11target_archE1100ELNS1_3gpuE3ELNS1_3repE0EEENS1_30default_config_static_selectorELNS0_4arch9wavefront6targetE1EEEvSW_ ; -- Begin function _ZN7rocprim17ROCPRIM_400000_NS6detail17trampoline_kernelINS0_14default_configENS1_22reduce_config_selectorIlEEZNS1_11reduce_implILb1ES3_N6thrust23THRUST_200600_302600_NS11hip_rocprim26transform_input_iterator_tIlNS8_12zip_iteratorINS8_5tupleINS8_6detail15normal_iteratorINS8_10device_ptrIyEEEESH_NS8_9null_typeESI_SI_SI_SI_SI_SI_SI_EEEENS9_21zip_adj_not_predicateINS8_8equal_toIyEEEEEEPllNS8_4plusIlEEEE10hipError_tPvRmT1_T2_T3_mT4_P12ihipStream_tbEUlT_E0_NS1_11comp_targetILNS1_3genE9ELNS1_11target_archE1100ELNS1_3gpuE3ELNS1_3repE0EEENS1_30default_config_static_selectorELNS0_4arch9wavefront6targetE1EEEvSW_
	.globl	_ZN7rocprim17ROCPRIM_400000_NS6detail17trampoline_kernelINS0_14default_configENS1_22reduce_config_selectorIlEEZNS1_11reduce_implILb1ES3_N6thrust23THRUST_200600_302600_NS11hip_rocprim26transform_input_iterator_tIlNS8_12zip_iteratorINS8_5tupleINS8_6detail15normal_iteratorINS8_10device_ptrIyEEEESH_NS8_9null_typeESI_SI_SI_SI_SI_SI_SI_EEEENS9_21zip_adj_not_predicateINS8_8equal_toIyEEEEEEPllNS8_4plusIlEEEE10hipError_tPvRmT1_T2_T3_mT4_P12ihipStream_tbEUlT_E0_NS1_11comp_targetILNS1_3genE9ELNS1_11target_archE1100ELNS1_3gpuE3ELNS1_3repE0EEENS1_30default_config_static_selectorELNS0_4arch9wavefront6targetE1EEEvSW_
	.p2align	8
	.type	_ZN7rocprim17ROCPRIM_400000_NS6detail17trampoline_kernelINS0_14default_configENS1_22reduce_config_selectorIlEEZNS1_11reduce_implILb1ES3_N6thrust23THRUST_200600_302600_NS11hip_rocprim26transform_input_iterator_tIlNS8_12zip_iteratorINS8_5tupleINS8_6detail15normal_iteratorINS8_10device_ptrIyEEEESH_NS8_9null_typeESI_SI_SI_SI_SI_SI_SI_EEEENS9_21zip_adj_not_predicateINS8_8equal_toIyEEEEEEPllNS8_4plusIlEEEE10hipError_tPvRmT1_T2_T3_mT4_P12ihipStream_tbEUlT_E0_NS1_11comp_targetILNS1_3genE9ELNS1_11target_archE1100ELNS1_3gpuE3ELNS1_3repE0EEENS1_30default_config_static_selectorELNS0_4arch9wavefront6targetE1EEEvSW_,@function
_ZN7rocprim17ROCPRIM_400000_NS6detail17trampoline_kernelINS0_14default_configENS1_22reduce_config_selectorIlEEZNS1_11reduce_implILb1ES3_N6thrust23THRUST_200600_302600_NS11hip_rocprim26transform_input_iterator_tIlNS8_12zip_iteratorINS8_5tupleINS8_6detail15normal_iteratorINS8_10device_ptrIyEEEESH_NS8_9null_typeESI_SI_SI_SI_SI_SI_SI_EEEENS9_21zip_adj_not_predicateINS8_8equal_toIyEEEEEEPllNS8_4plusIlEEEE10hipError_tPvRmT1_T2_T3_mT4_P12ihipStream_tbEUlT_E0_NS1_11comp_targetILNS1_3genE9ELNS1_11target_archE1100ELNS1_3gpuE3ELNS1_3repE0EEENS1_30default_config_static_selectorELNS0_4arch9wavefront6targetE1EEEvSW_: ; @_ZN7rocprim17ROCPRIM_400000_NS6detail17trampoline_kernelINS0_14default_configENS1_22reduce_config_selectorIlEEZNS1_11reduce_implILb1ES3_N6thrust23THRUST_200600_302600_NS11hip_rocprim26transform_input_iterator_tIlNS8_12zip_iteratorINS8_5tupleINS8_6detail15normal_iteratorINS8_10device_ptrIyEEEESH_NS8_9null_typeESI_SI_SI_SI_SI_SI_SI_EEEENS9_21zip_adj_not_predicateINS8_8equal_toIyEEEEEEPllNS8_4plusIlEEEE10hipError_tPvRmT1_T2_T3_mT4_P12ihipStream_tbEUlT_E0_NS1_11comp_targetILNS1_3genE9ELNS1_11target_archE1100ELNS1_3gpuE3ELNS1_3repE0EEENS1_30default_config_static_selectorELNS0_4arch9wavefront6targetE1EEEvSW_
; %bb.0:
	.section	.rodata,"a",@progbits
	.p2align	6, 0x0
	.amdhsa_kernel _ZN7rocprim17ROCPRIM_400000_NS6detail17trampoline_kernelINS0_14default_configENS1_22reduce_config_selectorIlEEZNS1_11reduce_implILb1ES3_N6thrust23THRUST_200600_302600_NS11hip_rocprim26transform_input_iterator_tIlNS8_12zip_iteratorINS8_5tupleINS8_6detail15normal_iteratorINS8_10device_ptrIyEEEESH_NS8_9null_typeESI_SI_SI_SI_SI_SI_SI_EEEENS9_21zip_adj_not_predicateINS8_8equal_toIyEEEEEEPllNS8_4plusIlEEEE10hipError_tPvRmT1_T2_T3_mT4_P12ihipStream_tbEUlT_E0_NS1_11comp_targetILNS1_3genE9ELNS1_11target_archE1100ELNS1_3gpuE3ELNS1_3repE0EEENS1_30default_config_static_selectorELNS0_4arch9wavefront6targetE1EEEvSW_
		.amdhsa_group_segment_fixed_size 0
		.amdhsa_private_segment_fixed_size 0
		.amdhsa_kernarg_size 80
		.amdhsa_user_sgpr_count 6
		.amdhsa_user_sgpr_private_segment_buffer 1
		.amdhsa_user_sgpr_dispatch_ptr 0
		.amdhsa_user_sgpr_queue_ptr 0
		.amdhsa_user_sgpr_kernarg_segment_ptr 1
		.amdhsa_user_sgpr_dispatch_id 0
		.amdhsa_user_sgpr_flat_scratch_init 0
		.amdhsa_user_sgpr_private_segment_size 0
		.amdhsa_uses_dynamic_stack 0
		.amdhsa_system_sgpr_private_segment_wavefront_offset 0
		.amdhsa_system_sgpr_workgroup_id_x 1
		.amdhsa_system_sgpr_workgroup_id_y 0
		.amdhsa_system_sgpr_workgroup_id_z 0
		.amdhsa_system_sgpr_workgroup_info 0
		.amdhsa_system_vgpr_workitem_id 0
		.amdhsa_next_free_vgpr 1
		.amdhsa_next_free_sgpr 0
		.amdhsa_reserve_vcc 0
		.amdhsa_reserve_flat_scratch 0
		.amdhsa_float_round_mode_32 0
		.amdhsa_float_round_mode_16_64 0
		.amdhsa_float_denorm_mode_32 3
		.amdhsa_float_denorm_mode_16_64 3
		.amdhsa_dx10_clamp 1
		.amdhsa_ieee_mode 1
		.amdhsa_fp16_overflow 0
		.amdhsa_exception_fp_ieee_invalid_op 0
		.amdhsa_exception_fp_denorm_src 0
		.amdhsa_exception_fp_ieee_div_zero 0
		.amdhsa_exception_fp_ieee_overflow 0
		.amdhsa_exception_fp_ieee_underflow 0
		.amdhsa_exception_fp_ieee_inexact 0
		.amdhsa_exception_int_div_zero 0
	.end_amdhsa_kernel
	.section	.text._ZN7rocprim17ROCPRIM_400000_NS6detail17trampoline_kernelINS0_14default_configENS1_22reduce_config_selectorIlEEZNS1_11reduce_implILb1ES3_N6thrust23THRUST_200600_302600_NS11hip_rocprim26transform_input_iterator_tIlNS8_12zip_iteratorINS8_5tupleINS8_6detail15normal_iteratorINS8_10device_ptrIyEEEESH_NS8_9null_typeESI_SI_SI_SI_SI_SI_SI_EEEENS9_21zip_adj_not_predicateINS8_8equal_toIyEEEEEEPllNS8_4plusIlEEEE10hipError_tPvRmT1_T2_T3_mT4_P12ihipStream_tbEUlT_E0_NS1_11comp_targetILNS1_3genE9ELNS1_11target_archE1100ELNS1_3gpuE3ELNS1_3repE0EEENS1_30default_config_static_selectorELNS0_4arch9wavefront6targetE1EEEvSW_,"axG",@progbits,_ZN7rocprim17ROCPRIM_400000_NS6detail17trampoline_kernelINS0_14default_configENS1_22reduce_config_selectorIlEEZNS1_11reduce_implILb1ES3_N6thrust23THRUST_200600_302600_NS11hip_rocprim26transform_input_iterator_tIlNS8_12zip_iteratorINS8_5tupleINS8_6detail15normal_iteratorINS8_10device_ptrIyEEEESH_NS8_9null_typeESI_SI_SI_SI_SI_SI_SI_EEEENS9_21zip_adj_not_predicateINS8_8equal_toIyEEEEEEPllNS8_4plusIlEEEE10hipError_tPvRmT1_T2_T3_mT4_P12ihipStream_tbEUlT_E0_NS1_11comp_targetILNS1_3genE9ELNS1_11target_archE1100ELNS1_3gpuE3ELNS1_3repE0EEENS1_30default_config_static_selectorELNS0_4arch9wavefront6targetE1EEEvSW_,comdat
.Lfunc_end822:
	.size	_ZN7rocprim17ROCPRIM_400000_NS6detail17trampoline_kernelINS0_14default_configENS1_22reduce_config_selectorIlEEZNS1_11reduce_implILb1ES3_N6thrust23THRUST_200600_302600_NS11hip_rocprim26transform_input_iterator_tIlNS8_12zip_iteratorINS8_5tupleINS8_6detail15normal_iteratorINS8_10device_ptrIyEEEESH_NS8_9null_typeESI_SI_SI_SI_SI_SI_SI_EEEENS9_21zip_adj_not_predicateINS8_8equal_toIyEEEEEEPllNS8_4plusIlEEEE10hipError_tPvRmT1_T2_T3_mT4_P12ihipStream_tbEUlT_E0_NS1_11comp_targetILNS1_3genE9ELNS1_11target_archE1100ELNS1_3gpuE3ELNS1_3repE0EEENS1_30default_config_static_selectorELNS0_4arch9wavefront6targetE1EEEvSW_, .Lfunc_end822-_ZN7rocprim17ROCPRIM_400000_NS6detail17trampoline_kernelINS0_14default_configENS1_22reduce_config_selectorIlEEZNS1_11reduce_implILb1ES3_N6thrust23THRUST_200600_302600_NS11hip_rocprim26transform_input_iterator_tIlNS8_12zip_iteratorINS8_5tupleINS8_6detail15normal_iteratorINS8_10device_ptrIyEEEESH_NS8_9null_typeESI_SI_SI_SI_SI_SI_SI_EEEENS9_21zip_adj_not_predicateINS8_8equal_toIyEEEEEEPllNS8_4plusIlEEEE10hipError_tPvRmT1_T2_T3_mT4_P12ihipStream_tbEUlT_E0_NS1_11comp_targetILNS1_3genE9ELNS1_11target_archE1100ELNS1_3gpuE3ELNS1_3repE0EEENS1_30default_config_static_selectorELNS0_4arch9wavefront6targetE1EEEvSW_
                                        ; -- End function
	.set _ZN7rocprim17ROCPRIM_400000_NS6detail17trampoline_kernelINS0_14default_configENS1_22reduce_config_selectorIlEEZNS1_11reduce_implILb1ES3_N6thrust23THRUST_200600_302600_NS11hip_rocprim26transform_input_iterator_tIlNS8_12zip_iteratorINS8_5tupleINS8_6detail15normal_iteratorINS8_10device_ptrIyEEEESH_NS8_9null_typeESI_SI_SI_SI_SI_SI_SI_EEEENS9_21zip_adj_not_predicateINS8_8equal_toIyEEEEEEPllNS8_4plusIlEEEE10hipError_tPvRmT1_T2_T3_mT4_P12ihipStream_tbEUlT_E0_NS1_11comp_targetILNS1_3genE9ELNS1_11target_archE1100ELNS1_3gpuE3ELNS1_3repE0EEENS1_30default_config_static_selectorELNS0_4arch9wavefront6targetE1EEEvSW_.num_vgpr, 0
	.set _ZN7rocprim17ROCPRIM_400000_NS6detail17trampoline_kernelINS0_14default_configENS1_22reduce_config_selectorIlEEZNS1_11reduce_implILb1ES3_N6thrust23THRUST_200600_302600_NS11hip_rocprim26transform_input_iterator_tIlNS8_12zip_iteratorINS8_5tupleINS8_6detail15normal_iteratorINS8_10device_ptrIyEEEESH_NS8_9null_typeESI_SI_SI_SI_SI_SI_SI_EEEENS9_21zip_adj_not_predicateINS8_8equal_toIyEEEEEEPllNS8_4plusIlEEEE10hipError_tPvRmT1_T2_T3_mT4_P12ihipStream_tbEUlT_E0_NS1_11comp_targetILNS1_3genE9ELNS1_11target_archE1100ELNS1_3gpuE3ELNS1_3repE0EEENS1_30default_config_static_selectorELNS0_4arch9wavefront6targetE1EEEvSW_.num_agpr, 0
	.set _ZN7rocprim17ROCPRIM_400000_NS6detail17trampoline_kernelINS0_14default_configENS1_22reduce_config_selectorIlEEZNS1_11reduce_implILb1ES3_N6thrust23THRUST_200600_302600_NS11hip_rocprim26transform_input_iterator_tIlNS8_12zip_iteratorINS8_5tupleINS8_6detail15normal_iteratorINS8_10device_ptrIyEEEESH_NS8_9null_typeESI_SI_SI_SI_SI_SI_SI_EEEENS9_21zip_adj_not_predicateINS8_8equal_toIyEEEEEEPllNS8_4plusIlEEEE10hipError_tPvRmT1_T2_T3_mT4_P12ihipStream_tbEUlT_E0_NS1_11comp_targetILNS1_3genE9ELNS1_11target_archE1100ELNS1_3gpuE3ELNS1_3repE0EEENS1_30default_config_static_selectorELNS0_4arch9wavefront6targetE1EEEvSW_.numbered_sgpr, 0
	.set _ZN7rocprim17ROCPRIM_400000_NS6detail17trampoline_kernelINS0_14default_configENS1_22reduce_config_selectorIlEEZNS1_11reduce_implILb1ES3_N6thrust23THRUST_200600_302600_NS11hip_rocprim26transform_input_iterator_tIlNS8_12zip_iteratorINS8_5tupleINS8_6detail15normal_iteratorINS8_10device_ptrIyEEEESH_NS8_9null_typeESI_SI_SI_SI_SI_SI_SI_EEEENS9_21zip_adj_not_predicateINS8_8equal_toIyEEEEEEPllNS8_4plusIlEEEE10hipError_tPvRmT1_T2_T3_mT4_P12ihipStream_tbEUlT_E0_NS1_11comp_targetILNS1_3genE9ELNS1_11target_archE1100ELNS1_3gpuE3ELNS1_3repE0EEENS1_30default_config_static_selectorELNS0_4arch9wavefront6targetE1EEEvSW_.num_named_barrier, 0
	.set _ZN7rocprim17ROCPRIM_400000_NS6detail17trampoline_kernelINS0_14default_configENS1_22reduce_config_selectorIlEEZNS1_11reduce_implILb1ES3_N6thrust23THRUST_200600_302600_NS11hip_rocprim26transform_input_iterator_tIlNS8_12zip_iteratorINS8_5tupleINS8_6detail15normal_iteratorINS8_10device_ptrIyEEEESH_NS8_9null_typeESI_SI_SI_SI_SI_SI_SI_EEEENS9_21zip_adj_not_predicateINS8_8equal_toIyEEEEEEPllNS8_4plusIlEEEE10hipError_tPvRmT1_T2_T3_mT4_P12ihipStream_tbEUlT_E0_NS1_11comp_targetILNS1_3genE9ELNS1_11target_archE1100ELNS1_3gpuE3ELNS1_3repE0EEENS1_30default_config_static_selectorELNS0_4arch9wavefront6targetE1EEEvSW_.private_seg_size, 0
	.set _ZN7rocprim17ROCPRIM_400000_NS6detail17trampoline_kernelINS0_14default_configENS1_22reduce_config_selectorIlEEZNS1_11reduce_implILb1ES3_N6thrust23THRUST_200600_302600_NS11hip_rocprim26transform_input_iterator_tIlNS8_12zip_iteratorINS8_5tupleINS8_6detail15normal_iteratorINS8_10device_ptrIyEEEESH_NS8_9null_typeESI_SI_SI_SI_SI_SI_SI_EEEENS9_21zip_adj_not_predicateINS8_8equal_toIyEEEEEEPllNS8_4plusIlEEEE10hipError_tPvRmT1_T2_T3_mT4_P12ihipStream_tbEUlT_E0_NS1_11comp_targetILNS1_3genE9ELNS1_11target_archE1100ELNS1_3gpuE3ELNS1_3repE0EEENS1_30default_config_static_selectorELNS0_4arch9wavefront6targetE1EEEvSW_.uses_vcc, 0
	.set _ZN7rocprim17ROCPRIM_400000_NS6detail17trampoline_kernelINS0_14default_configENS1_22reduce_config_selectorIlEEZNS1_11reduce_implILb1ES3_N6thrust23THRUST_200600_302600_NS11hip_rocprim26transform_input_iterator_tIlNS8_12zip_iteratorINS8_5tupleINS8_6detail15normal_iteratorINS8_10device_ptrIyEEEESH_NS8_9null_typeESI_SI_SI_SI_SI_SI_SI_EEEENS9_21zip_adj_not_predicateINS8_8equal_toIyEEEEEEPllNS8_4plusIlEEEE10hipError_tPvRmT1_T2_T3_mT4_P12ihipStream_tbEUlT_E0_NS1_11comp_targetILNS1_3genE9ELNS1_11target_archE1100ELNS1_3gpuE3ELNS1_3repE0EEENS1_30default_config_static_selectorELNS0_4arch9wavefront6targetE1EEEvSW_.uses_flat_scratch, 0
	.set _ZN7rocprim17ROCPRIM_400000_NS6detail17trampoline_kernelINS0_14default_configENS1_22reduce_config_selectorIlEEZNS1_11reduce_implILb1ES3_N6thrust23THRUST_200600_302600_NS11hip_rocprim26transform_input_iterator_tIlNS8_12zip_iteratorINS8_5tupleINS8_6detail15normal_iteratorINS8_10device_ptrIyEEEESH_NS8_9null_typeESI_SI_SI_SI_SI_SI_SI_EEEENS9_21zip_adj_not_predicateINS8_8equal_toIyEEEEEEPllNS8_4plusIlEEEE10hipError_tPvRmT1_T2_T3_mT4_P12ihipStream_tbEUlT_E0_NS1_11comp_targetILNS1_3genE9ELNS1_11target_archE1100ELNS1_3gpuE3ELNS1_3repE0EEENS1_30default_config_static_selectorELNS0_4arch9wavefront6targetE1EEEvSW_.has_dyn_sized_stack, 0
	.set _ZN7rocprim17ROCPRIM_400000_NS6detail17trampoline_kernelINS0_14default_configENS1_22reduce_config_selectorIlEEZNS1_11reduce_implILb1ES3_N6thrust23THRUST_200600_302600_NS11hip_rocprim26transform_input_iterator_tIlNS8_12zip_iteratorINS8_5tupleINS8_6detail15normal_iteratorINS8_10device_ptrIyEEEESH_NS8_9null_typeESI_SI_SI_SI_SI_SI_SI_EEEENS9_21zip_adj_not_predicateINS8_8equal_toIyEEEEEEPllNS8_4plusIlEEEE10hipError_tPvRmT1_T2_T3_mT4_P12ihipStream_tbEUlT_E0_NS1_11comp_targetILNS1_3genE9ELNS1_11target_archE1100ELNS1_3gpuE3ELNS1_3repE0EEENS1_30default_config_static_selectorELNS0_4arch9wavefront6targetE1EEEvSW_.has_recursion, 0
	.set _ZN7rocprim17ROCPRIM_400000_NS6detail17trampoline_kernelINS0_14default_configENS1_22reduce_config_selectorIlEEZNS1_11reduce_implILb1ES3_N6thrust23THRUST_200600_302600_NS11hip_rocprim26transform_input_iterator_tIlNS8_12zip_iteratorINS8_5tupleINS8_6detail15normal_iteratorINS8_10device_ptrIyEEEESH_NS8_9null_typeESI_SI_SI_SI_SI_SI_SI_EEEENS9_21zip_adj_not_predicateINS8_8equal_toIyEEEEEEPllNS8_4plusIlEEEE10hipError_tPvRmT1_T2_T3_mT4_P12ihipStream_tbEUlT_E0_NS1_11comp_targetILNS1_3genE9ELNS1_11target_archE1100ELNS1_3gpuE3ELNS1_3repE0EEENS1_30default_config_static_selectorELNS0_4arch9wavefront6targetE1EEEvSW_.has_indirect_call, 0
	.section	.AMDGPU.csdata,"",@progbits
; Kernel info:
; codeLenInByte = 0
; TotalNumSgprs: 4
; NumVgprs: 0
; ScratchSize: 0
; MemoryBound: 0
; FloatMode: 240
; IeeeMode: 1
; LDSByteSize: 0 bytes/workgroup (compile time only)
; SGPRBlocks: 0
; VGPRBlocks: 0
; NumSGPRsForWavesPerEU: 4
; NumVGPRsForWavesPerEU: 1
; Occupancy: 10
; WaveLimiterHint : 0
; COMPUTE_PGM_RSRC2:SCRATCH_EN: 0
; COMPUTE_PGM_RSRC2:USER_SGPR: 6
; COMPUTE_PGM_RSRC2:TRAP_HANDLER: 0
; COMPUTE_PGM_RSRC2:TGID_X_EN: 1
; COMPUTE_PGM_RSRC2:TGID_Y_EN: 0
; COMPUTE_PGM_RSRC2:TGID_Z_EN: 0
; COMPUTE_PGM_RSRC2:TIDIG_COMP_CNT: 0
	.section	.text._ZN7rocprim17ROCPRIM_400000_NS6detail17trampoline_kernelINS0_14default_configENS1_22reduce_config_selectorIlEEZNS1_11reduce_implILb1ES3_N6thrust23THRUST_200600_302600_NS11hip_rocprim26transform_input_iterator_tIlNS8_12zip_iteratorINS8_5tupleINS8_6detail15normal_iteratorINS8_10device_ptrIyEEEESH_NS8_9null_typeESI_SI_SI_SI_SI_SI_SI_EEEENS9_21zip_adj_not_predicateINS8_8equal_toIyEEEEEEPllNS8_4plusIlEEEE10hipError_tPvRmT1_T2_T3_mT4_P12ihipStream_tbEUlT_E0_NS1_11comp_targetILNS1_3genE8ELNS1_11target_archE1030ELNS1_3gpuE2ELNS1_3repE0EEENS1_30default_config_static_selectorELNS0_4arch9wavefront6targetE1EEEvSW_,"axG",@progbits,_ZN7rocprim17ROCPRIM_400000_NS6detail17trampoline_kernelINS0_14default_configENS1_22reduce_config_selectorIlEEZNS1_11reduce_implILb1ES3_N6thrust23THRUST_200600_302600_NS11hip_rocprim26transform_input_iterator_tIlNS8_12zip_iteratorINS8_5tupleINS8_6detail15normal_iteratorINS8_10device_ptrIyEEEESH_NS8_9null_typeESI_SI_SI_SI_SI_SI_SI_EEEENS9_21zip_adj_not_predicateINS8_8equal_toIyEEEEEEPllNS8_4plusIlEEEE10hipError_tPvRmT1_T2_T3_mT4_P12ihipStream_tbEUlT_E0_NS1_11comp_targetILNS1_3genE8ELNS1_11target_archE1030ELNS1_3gpuE2ELNS1_3repE0EEENS1_30default_config_static_selectorELNS0_4arch9wavefront6targetE1EEEvSW_,comdat
	.protected	_ZN7rocprim17ROCPRIM_400000_NS6detail17trampoline_kernelINS0_14default_configENS1_22reduce_config_selectorIlEEZNS1_11reduce_implILb1ES3_N6thrust23THRUST_200600_302600_NS11hip_rocprim26transform_input_iterator_tIlNS8_12zip_iteratorINS8_5tupleINS8_6detail15normal_iteratorINS8_10device_ptrIyEEEESH_NS8_9null_typeESI_SI_SI_SI_SI_SI_SI_EEEENS9_21zip_adj_not_predicateINS8_8equal_toIyEEEEEEPllNS8_4plusIlEEEE10hipError_tPvRmT1_T2_T3_mT4_P12ihipStream_tbEUlT_E0_NS1_11comp_targetILNS1_3genE8ELNS1_11target_archE1030ELNS1_3gpuE2ELNS1_3repE0EEENS1_30default_config_static_selectorELNS0_4arch9wavefront6targetE1EEEvSW_ ; -- Begin function _ZN7rocprim17ROCPRIM_400000_NS6detail17trampoline_kernelINS0_14default_configENS1_22reduce_config_selectorIlEEZNS1_11reduce_implILb1ES3_N6thrust23THRUST_200600_302600_NS11hip_rocprim26transform_input_iterator_tIlNS8_12zip_iteratorINS8_5tupleINS8_6detail15normal_iteratorINS8_10device_ptrIyEEEESH_NS8_9null_typeESI_SI_SI_SI_SI_SI_SI_EEEENS9_21zip_adj_not_predicateINS8_8equal_toIyEEEEEEPllNS8_4plusIlEEEE10hipError_tPvRmT1_T2_T3_mT4_P12ihipStream_tbEUlT_E0_NS1_11comp_targetILNS1_3genE8ELNS1_11target_archE1030ELNS1_3gpuE2ELNS1_3repE0EEENS1_30default_config_static_selectorELNS0_4arch9wavefront6targetE1EEEvSW_
	.globl	_ZN7rocprim17ROCPRIM_400000_NS6detail17trampoline_kernelINS0_14default_configENS1_22reduce_config_selectorIlEEZNS1_11reduce_implILb1ES3_N6thrust23THRUST_200600_302600_NS11hip_rocprim26transform_input_iterator_tIlNS8_12zip_iteratorINS8_5tupleINS8_6detail15normal_iteratorINS8_10device_ptrIyEEEESH_NS8_9null_typeESI_SI_SI_SI_SI_SI_SI_EEEENS9_21zip_adj_not_predicateINS8_8equal_toIyEEEEEEPllNS8_4plusIlEEEE10hipError_tPvRmT1_T2_T3_mT4_P12ihipStream_tbEUlT_E0_NS1_11comp_targetILNS1_3genE8ELNS1_11target_archE1030ELNS1_3gpuE2ELNS1_3repE0EEENS1_30default_config_static_selectorELNS0_4arch9wavefront6targetE1EEEvSW_
	.p2align	8
	.type	_ZN7rocprim17ROCPRIM_400000_NS6detail17trampoline_kernelINS0_14default_configENS1_22reduce_config_selectorIlEEZNS1_11reduce_implILb1ES3_N6thrust23THRUST_200600_302600_NS11hip_rocprim26transform_input_iterator_tIlNS8_12zip_iteratorINS8_5tupleINS8_6detail15normal_iteratorINS8_10device_ptrIyEEEESH_NS8_9null_typeESI_SI_SI_SI_SI_SI_SI_EEEENS9_21zip_adj_not_predicateINS8_8equal_toIyEEEEEEPllNS8_4plusIlEEEE10hipError_tPvRmT1_T2_T3_mT4_P12ihipStream_tbEUlT_E0_NS1_11comp_targetILNS1_3genE8ELNS1_11target_archE1030ELNS1_3gpuE2ELNS1_3repE0EEENS1_30default_config_static_selectorELNS0_4arch9wavefront6targetE1EEEvSW_,@function
_ZN7rocprim17ROCPRIM_400000_NS6detail17trampoline_kernelINS0_14default_configENS1_22reduce_config_selectorIlEEZNS1_11reduce_implILb1ES3_N6thrust23THRUST_200600_302600_NS11hip_rocprim26transform_input_iterator_tIlNS8_12zip_iteratorINS8_5tupleINS8_6detail15normal_iteratorINS8_10device_ptrIyEEEESH_NS8_9null_typeESI_SI_SI_SI_SI_SI_SI_EEEENS9_21zip_adj_not_predicateINS8_8equal_toIyEEEEEEPllNS8_4plusIlEEEE10hipError_tPvRmT1_T2_T3_mT4_P12ihipStream_tbEUlT_E0_NS1_11comp_targetILNS1_3genE8ELNS1_11target_archE1030ELNS1_3gpuE2ELNS1_3repE0EEENS1_30default_config_static_selectorELNS0_4arch9wavefront6targetE1EEEvSW_: ; @_ZN7rocprim17ROCPRIM_400000_NS6detail17trampoline_kernelINS0_14default_configENS1_22reduce_config_selectorIlEEZNS1_11reduce_implILb1ES3_N6thrust23THRUST_200600_302600_NS11hip_rocprim26transform_input_iterator_tIlNS8_12zip_iteratorINS8_5tupleINS8_6detail15normal_iteratorINS8_10device_ptrIyEEEESH_NS8_9null_typeESI_SI_SI_SI_SI_SI_SI_EEEENS9_21zip_adj_not_predicateINS8_8equal_toIyEEEEEEPllNS8_4plusIlEEEE10hipError_tPvRmT1_T2_T3_mT4_P12ihipStream_tbEUlT_E0_NS1_11comp_targetILNS1_3genE8ELNS1_11target_archE1030ELNS1_3gpuE2ELNS1_3repE0EEENS1_30default_config_static_selectorELNS0_4arch9wavefront6targetE1EEEvSW_
; %bb.0:
	.section	.rodata,"a",@progbits
	.p2align	6, 0x0
	.amdhsa_kernel _ZN7rocprim17ROCPRIM_400000_NS6detail17trampoline_kernelINS0_14default_configENS1_22reduce_config_selectorIlEEZNS1_11reduce_implILb1ES3_N6thrust23THRUST_200600_302600_NS11hip_rocprim26transform_input_iterator_tIlNS8_12zip_iteratorINS8_5tupleINS8_6detail15normal_iteratorINS8_10device_ptrIyEEEESH_NS8_9null_typeESI_SI_SI_SI_SI_SI_SI_EEEENS9_21zip_adj_not_predicateINS8_8equal_toIyEEEEEEPllNS8_4plusIlEEEE10hipError_tPvRmT1_T2_T3_mT4_P12ihipStream_tbEUlT_E0_NS1_11comp_targetILNS1_3genE8ELNS1_11target_archE1030ELNS1_3gpuE2ELNS1_3repE0EEENS1_30default_config_static_selectorELNS0_4arch9wavefront6targetE1EEEvSW_
		.amdhsa_group_segment_fixed_size 0
		.amdhsa_private_segment_fixed_size 0
		.amdhsa_kernarg_size 80
		.amdhsa_user_sgpr_count 6
		.amdhsa_user_sgpr_private_segment_buffer 1
		.amdhsa_user_sgpr_dispatch_ptr 0
		.amdhsa_user_sgpr_queue_ptr 0
		.amdhsa_user_sgpr_kernarg_segment_ptr 1
		.amdhsa_user_sgpr_dispatch_id 0
		.amdhsa_user_sgpr_flat_scratch_init 0
		.amdhsa_user_sgpr_private_segment_size 0
		.amdhsa_uses_dynamic_stack 0
		.amdhsa_system_sgpr_private_segment_wavefront_offset 0
		.amdhsa_system_sgpr_workgroup_id_x 1
		.amdhsa_system_sgpr_workgroup_id_y 0
		.amdhsa_system_sgpr_workgroup_id_z 0
		.amdhsa_system_sgpr_workgroup_info 0
		.amdhsa_system_vgpr_workitem_id 0
		.amdhsa_next_free_vgpr 1
		.amdhsa_next_free_sgpr 0
		.amdhsa_reserve_vcc 0
		.amdhsa_reserve_flat_scratch 0
		.amdhsa_float_round_mode_32 0
		.amdhsa_float_round_mode_16_64 0
		.amdhsa_float_denorm_mode_32 3
		.amdhsa_float_denorm_mode_16_64 3
		.amdhsa_dx10_clamp 1
		.amdhsa_ieee_mode 1
		.amdhsa_fp16_overflow 0
		.amdhsa_exception_fp_ieee_invalid_op 0
		.amdhsa_exception_fp_denorm_src 0
		.amdhsa_exception_fp_ieee_div_zero 0
		.amdhsa_exception_fp_ieee_overflow 0
		.amdhsa_exception_fp_ieee_underflow 0
		.amdhsa_exception_fp_ieee_inexact 0
		.amdhsa_exception_int_div_zero 0
	.end_amdhsa_kernel
	.section	.text._ZN7rocprim17ROCPRIM_400000_NS6detail17trampoline_kernelINS0_14default_configENS1_22reduce_config_selectorIlEEZNS1_11reduce_implILb1ES3_N6thrust23THRUST_200600_302600_NS11hip_rocprim26transform_input_iterator_tIlNS8_12zip_iteratorINS8_5tupleINS8_6detail15normal_iteratorINS8_10device_ptrIyEEEESH_NS8_9null_typeESI_SI_SI_SI_SI_SI_SI_EEEENS9_21zip_adj_not_predicateINS8_8equal_toIyEEEEEEPllNS8_4plusIlEEEE10hipError_tPvRmT1_T2_T3_mT4_P12ihipStream_tbEUlT_E0_NS1_11comp_targetILNS1_3genE8ELNS1_11target_archE1030ELNS1_3gpuE2ELNS1_3repE0EEENS1_30default_config_static_selectorELNS0_4arch9wavefront6targetE1EEEvSW_,"axG",@progbits,_ZN7rocprim17ROCPRIM_400000_NS6detail17trampoline_kernelINS0_14default_configENS1_22reduce_config_selectorIlEEZNS1_11reduce_implILb1ES3_N6thrust23THRUST_200600_302600_NS11hip_rocprim26transform_input_iterator_tIlNS8_12zip_iteratorINS8_5tupleINS8_6detail15normal_iteratorINS8_10device_ptrIyEEEESH_NS8_9null_typeESI_SI_SI_SI_SI_SI_SI_EEEENS9_21zip_adj_not_predicateINS8_8equal_toIyEEEEEEPllNS8_4plusIlEEEE10hipError_tPvRmT1_T2_T3_mT4_P12ihipStream_tbEUlT_E0_NS1_11comp_targetILNS1_3genE8ELNS1_11target_archE1030ELNS1_3gpuE2ELNS1_3repE0EEENS1_30default_config_static_selectorELNS0_4arch9wavefront6targetE1EEEvSW_,comdat
.Lfunc_end823:
	.size	_ZN7rocprim17ROCPRIM_400000_NS6detail17trampoline_kernelINS0_14default_configENS1_22reduce_config_selectorIlEEZNS1_11reduce_implILb1ES3_N6thrust23THRUST_200600_302600_NS11hip_rocprim26transform_input_iterator_tIlNS8_12zip_iteratorINS8_5tupleINS8_6detail15normal_iteratorINS8_10device_ptrIyEEEESH_NS8_9null_typeESI_SI_SI_SI_SI_SI_SI_EEEENS9_21zip_adj_not_predicateINS8_8equal_toIyEEEEEEPllNS8_4plusIlEEEE10hipError_tPvRmT1_T2_T3_mT4_P12ihipStream_tbEUlT_E0_NS1_11comp_targetILNS1_3genE8ELNS1_11target_archE1030ELNS1_3gpuE2ELNS1_3repE0EEENS1_30default_config_static_selectorELNS0_4arch9wavefront6targetE1EEEvSW_, .Lfunc_end823-_ZN7rocprim17ROCPRIM_400000_NS6detail17trampoline_kernelINS0_14default_configENS1_22reduce_config_selectorIlEEZNS1_11reduce_implILb1ES3_N6thrust23THRUST_200600_302600_NS11hip_rocprim26transform_input_iterator_tIlNS8_12zip_iteratorINS8_5tupleINS8_6detail15normal_iteratorINS8_10device_ptrIyEEEESH_NS8_9null_typeESI_SI_SI_SI_SI_SI_SI_EEEENS9_21zip_adj_not_predicateINS8_8equal_toIyEEEEEEPllNS8_4plusIlEEEE10hipError_tPvRmT1_T2_T3_mT4_P12ihipStream_tbEUlT_E0_NS1_11comp_targetILNS1_3genE8ELNS1_11target_archE1030ELNS1_3gpuE2ELNS1_3repE0EEENS1_30default_config_static_selectorELNS0_4arch9wavefront6targetE1EEEvSW_
                                        ; -- End function
	.set _ZN7rocprim17ROCPRIM_400000_NS6detail17trampoline_kernelINS0_14default_configENS1_22reduce_config_selectorIlEEZNS1_11reduce_implILb1ES3_N6thrust23THRUST_200600_302600_NS11hip_rocprim26transform_input_iterator_tIlNS8_12zip_iteratorINS8_5tupleINS8_6detail15normal_iteratorINS8_10device_ptrIyEEEESH_NS8_9null_typeESI_SI_SI_SI_SI_SI_SI_EEEENS9_21zip_adj_not_predicateINS8_8equal_toIyEEEEEEPllNS8_4plusIlEEEE10hipError_tPvRmT1_T2_T3_mT4_P12ihipStream_tbEUlT_E0_NS1_11comp_targetILNS1_3genE8ELNS1_11target_archE1030ELNS1_3gpuE2ELNS1_3repE0EEENS1_30default_config_static_selectorELNS0_4arch9wavefront6targetE1EEEvSW_.num_vgpr, 0
	.set _ZN7rocprim17ROCPRIM_400000_NS6detail17trampoline_kernelINS0_14default_configENS1_22reduce_config_selectorIlEEZNS1_11reduce_implILb1ES3_N6thrust23THRUST_200600_302600_NS11hip_rocprim26transform_input_iterator_tIlNS8_12zip_iteratorINS8_5tupleINS8_6detail15normal_iteratorINS8_10device_ptrIyEEEESH_NS8_9null_typeESI_SI_SI_SI_SI_SI_SI_EEEENS9_21zip_adj_not_predicateINS8_8equal_toIyEEEEEEPllNS8_4plusIlEEEE10hipError_tPvRmT1_T2_T3_mT4_P12ihipStream_tbEUlT_E0_NS1_11comp_targetILNS1_3genE8ELNS1_11target_archE1030ELNS1_3gpuE2ELNS1_3repE0EEENS1_30default_config_static_selectorELNS0_4arch9wavefront6targetE1EEEvSW_.num_agpr, 0
	.set _ZN7rocprim17ROCPRIM_400000_NS6detail17trampoline_kernelINS0_14default_configENS1_22reduce_config_selectorIlEEZNS1_11reduce_implILb1ES3_N6thrust23THRUST_200600_302600_NS11hip_rocprim26transform_input_iterator_tIlNS8_12zip_iteratorINS8_5tupleINS8_6detail15normal_iteratorINS8_10device_ptrIyEEEESH_NS8_9null_typeESI_SI_SI_SI_SI_SI_SI_EEEENS9_21zip_adj_not_predicateINS8_8equal_toIyEEEEEEPllNS8_4plusIlEEEE10hipError_tPvRmT1_T2_T3_mT4_P12ihipStream_tbEUlT_E0_NS1_11comp_targetILNS1_3genE8ELNS1_11target_archE1030ELNS1_3gpuE2ELNS1_3repE0EEENS1_30default_config_static_selectorELNS0_4arch9wavefront6targetE1EEEvSW_.numbered_sgpr, 0
	.set _ZN7rocprim17ROCPRIM_400000_NS6detail17trampoline_kernelINS0_14default_configENS1_22reduce_config_selectorIlEEZNS1_11reduce_implILb1ES3_N6thrust23THRUST_200600_302600_NS11hip_rocprim26transform_input_iterator_tIlNS8_12zip_iteratorINS8_5tupleINS8_6detail15normal_iteratorINS8_10device_ptrIyEEEESH_NS8_9null_typeESI_SI_SI_SI_SI_SI_SI_EEEENS9_21zip_adj_not_predicateINS8_8equal_toIyEEEEEEPllNS8_4plusIlEEEE10hipError_tPvRmT1_T2_T3_mT4_P12ihipStream_tbEUlT_E0_NS1_11comp_targetILNS1_3genE8ELNS1_11target_archE1030ELNS1_3gpuE2ELNS1_3repE0EEENS1_30default_config_static_selectorELNS0_4arch9wavefront6targetE1EEEvSW_.num_named_barrier, 0
	.set _ZN7rocprim17ROCPRIM_400000_NS6detail17trampoline_kernelINS0_14default_configENS1_22reduce_config_selectorIlEEZNS1_11reduce_implILb1ES3_N6thrust23THRUST_200600_302600_NS11hip_rocprim26transform_input_iterator_tIlNS8_12zip_iteratorINS8_5tupleINS8_6detail15normal_iteratorINS8_10device_ptrIyEEEESH_NS8_9null_typeESI_SI_SI_SI_SI_SI_SI_EEEENS9_21zip_adj_not_predicateINS8_8equal_toIyEEEEEEPllNS8_4plusIlEEEE10hipError_tPvRmT1_T2_T3_mT4_P12ihipStream_tbEUlT_E0_NS1_11comp_targetILNS1_3genE8ELNS1_11target_archE1030ELNS1_3gpuE2ELNS1_3repE0EEENS1_30default_config_static_selectorELNS0_4arch9wavefront6targetE1EEEvSW_.private_seg_size, 0
	.set _ZN7rocprim17ROCPRIM_400000_NS6detail17trampoline_kernelINS0_14default_configENS1_22reduce_config_selectorIlEEZNS1_11reduce_implILb1ES3_N6thrust23THRUST_200600_302600_NS11hip_rocprim26transform_input_iterator_tIlNS8_12zip_iteratorINS8_5tupleINS8_6detail15normal_iteratorINS8_10device_ptrIyEEEESH_NS8_9null_typeESI_SI_SI_SI_SI_SI_SI_EEEENS9_21zip_adj_not_predicateINS8_8equal_toIyEEEEEEPllNS8_4plusIlEEEE10hipError_tPvRmT1_T2_T3_mT4_P12ihipStream_tbEUlT_E0_NS1_11comp_targetILNS1_3genE8ELNS1_11target_archE1030ELNS1_3gpuE2ELNS1_3repE0EEENS1_30default_config_static_selectorELNS0_4arch9wavefront6targetE1EEEvSW_.uses_vcc, 0
	.set _ZN7rocprim17ROCPRIM_400000_NS6detail17trampoline_kernelINS0_14default_configENS1_22reduce_config_selectorIlEEZNS1_11reduce_implILb1ES3_N6thrust23THRUST_200600_302600_NS11hip_rocprim26transform_input_iterator_tIlNS8_12zip_iteratorINS8_5tupleINS8_6detail15normal_iteratorINS8_10device_ptrIyEEEESH_NS8_9null_typeESI_SI_SI_SI_SI_SI_SI_EEEENS9_21zip_adj_not_predicateINS8_8equal_toIyEEEEEEPllNS8_4plusIlEEEE10hipError_tPvRmT1_T2_T3_mT4_P12ihipStream_tbEUlT_E0_NS1_11comp_targetILNS1_3genE8ELNS1_11target_archE1030ELNS1_3gpuE2ELNS1_3repE0EEENS1_30default_config_static_selectorELNS0_4arch9wavefront6targetE1EEEvSW_.uses_flat_scratch, 0
	.set _ZN7rocprim17ROCPRIM_400000_NS6detail17trampoline_kernelINS0_14default_configENS1_22reduce_config_selectorIlEEZNS1_11reduce_implILb1ES3_N6thrust23THRUST_200600_302600_NS11hip_rocprim26transform_input_iterator_tIlNS8_12zip_iteratorINS8_5tupleINS8_6detail15normal_iteratorINS8_10device_ptrIyEEEESH_NS8_9null_typeESI_SI_SI_SI_SI_SI_SI_EEEENS9_21zip_adj_not_predicateINS8_8equal_toIyEEEEEEPllNS8_4plusIlEEEE10hipError_tPvRmT1_T2_T3_mT4_P12ihipStream_tbEUlT_E0_NS1_11comp_targetILNS1_3genE8ELNS1_11target_archE1030ELNS1_3gpuE2ELNS1_3repE0EEENS1_30default_config_static_selectorELNS0_4arch9wavefront6targetE1EEEvSW_.has_dyn_sized_stack, 0
	.set _ZN7rocprim17ROCPRIM_400000_NS6detail17trampoline_kernelINS0_14default_configENS1_22reduce_config_selectorIlEEZNS1_11reduce_implILb1ES3_N6thrust23THRUST_200600_302600_NS11hip_rocprim26transform_input_iterator_tIlNS8_12zip_iteratorINS8_5tupleINS8_6detail15normal_iteratorINS8_10device_ptrIyEEEESH_NS8_9null_typeESI_SI_SI_SI_SI_SI_SI_EEEENS9_21zip_adj_not_predicateINS8_8equal_toIyEEEEEEPllNS8_4plusIlEEEE10hipError_tPvRmT1_T2_T3_mT4_P12ihipStream_tbEUlT_E0_NS1_11comp_targetILNS1_3genE8ELNS1_11target_archE1030ELNS1_3gpuE2ELNS1_3repE0EEENS1_30default_config_static_selectorELNS0_4arch9wavefront6targetE1EEEvSW_.has_recursion, 0
	.set _ZN7rocprim17ROCPRIM_400000_NS6detail17trampoline_kernelINS0_14default_configENS1_22reduce_config_selectorIlEEZNS1_11reduce_implILb1ES3_N6thrust23THRUST_200600_302600_NS11hip_rocprim26transform_input_iterator_tIlNS8_12zip_iteratorINS8_5tupleINS8_6detail15normal_iteratorINS8_10device_ptrIyEEEESH_NS8_9null_typeESI_SI_SI_SI_SI_SI_SI_EEEENS9_21zip_adj_not_predicateINS8_8equal_toIyEEEEEEPllNS8_4plusIlEEEE10hipError_tPvRmT1_T2_T3_mT4_P12ihipStream_tbEUlT_E0_NS1_11comp_targetILNS1_3genE8ELNS1_11target_archE1030ELNS1_3gpuE2ELNS1_3repE0EEENS1_30default_config_static_selectorELNS0_4arch9wavefront6targetE1EEEvSW_.has_indirect_call, 0
	.section	.AMDGPU.csdata,"",@progbits
; Kernel info:
; codeLenInByte = 0
; TotalNumSgprs: 4
; NumVgprs: 0
; ScratchSize: 0
; MemoryBound: 0
; FloatMode: 240
; IeeeMode: 1
; LDSByteSize: 0 bytes/workgroup (compile time only)
; SGPRBlocks: 0
; VGPRBlocks: 0
; NumSGPRsForWavesPerEU: 4
; NumVGPRsForWavesPerEU: 1
; Occupancy: 10
; WaveLimiterHint : 0
; COMPUTE_PGM_RSRC2:SCRATCH_EN: 0
; COMPUTE_PGM_RSRC2:USER_SGPR: 6
; COMPUTE_PGM_RSRC2:TRAP_HANDLER: 0
; COMPUTE_PGM_RSRC2:TGID_X_EN: 1
; COMPUTE_PGM_RSRC2:TGID_Y_EN: 0
; COMPUTE_PGM_RSRC2:TGID_Z_EN: 0
; COMPUTE_PGM_RSRC2:TIDIG_COMP_CNT: 0
	.section	.text._ZN7rocprim17ROCPRIM_400000_NS6detail17trampoline_kernelINS0_14default_configENS1_22reduce_config_selectorIlEEZNS1_11reduce_implILb1ES3_N6thrust23THRUST_200600_302600_NS11hip_rocprim26transform_input_iterator_tIlNS8_12zip_iteratorINS8_5tupleINS8_6detail15normal_iteratorINS8_10device_ptrIyEEEESH_NS8_9null_typeESI_SI_SI_SI_SI_SI_SI_EEEENS9_21zip_adj_not_predicateINS8_8equal_toIyEEEEEEPllNS8_4plusIlEEEE10hipError_tPvRmT1_T2_T3_mT4_P12ihipStream_tbEUlT_E1_NS1_11comp_targetILNS1_3genE0ELNS1_11target_archE4294967295ELNS1_3gpuE0ELNS1_3repE0EEENS1_30default_config_static_selectorELNS0_4arch9wavefront6targetE1EEEvSW_,"axG",@progbits,_ZN7rocprim17ROCPRIM_400000_NS6detail17trampoline_kernelINS0_14default_configENS1_22reduce_config_selectorIlEEZNS1_11reduce_implILb1ES3_N6thrust23THRUST_200600_302600_NS11hip_rocprim26transform_input_iterator_tIlNS8_12zip_iteratorINS8_5tupleINS8_6detail15normal_iteratorINS8_10device_ptrIyEEEESH_NS8_9null_typeESI_SI_SI_SI_SI_SI_SI_EEEENS9_21zip_adj_not_predicateINS8_8equal_toIyEEEEEEPllNS8_4plusIlEEEE10hipError_tPvRmT1_T2_T3_mT4_P12ihipStream_tbEUlT_E1_NS1_11comp_targetILNS1_3genE0ELNS1_11target_archE4294967295ELNS1_3gpuE0ELNS1_3repE0EEENS1_30default_config_static_selectorELNS0_4arch9wavefront6targetE1EEEvSW_,comdat
	.protected	_ZN7rocprim17ROCPRIM_400000_NS6detail17trampoline_kernelINS0_14default_configENS1_22reduce_config_selectorIlEEZNS1_11reduce_implILb1ES3_N6thrust23THRUST_200600_302600_NS11hip_rocprim26transform_input_iterator_tIlNS8_12zip_iteratorINS8_5tupleINS8_6detail15normal_iteratorINS8_10device_ptrIyEEEESH_NS8_9null_typeESI_SI_SI_SI_SI_SI_SI_EEEENS9_21zip_adj_not_predicateINS8_8equal_toIyEEEEEEPllNS8_4plusIlEEEE10hipError_tPvRmT1_T2_T3_mT4_P12ihipStream_tbEUlT_E1_NS1_11comp_targetILNS1_3genE0ELNS1_11target_archE4294967295ELNS1_3gpuE0ELNS1_3repE0EEENS1_30default_config_static_selectorELNS0_4arch9wavefront6targetE1EEEvSW_ ; -- Begin function _ZN7rocprim17ROCPRIM_400000_NS6detail17trampoline_kernelINS0_14default_configENS1_22reduce_config_selectorIlEEZNS1_11reduce_implILb1ES3_N6thrust23THRUST_200600_302600_NS11hip_rocprim26transform_input_iterator_tIlNS8_12zip_iteratorINS8_5tupleINS8_6detail15normal_iteratorINS8_10device_ptrIyEEEESH_NS8_9null_typeESI_SI_SI_SI_SI_SI_SI_EEEENS9_21zip_adj_not_predicateINS8_8equal_toIyEEEEEEPllNS8_4plusIlEEEE10hipError_tPvRmT1_T2_T3_mT4_P12ihipStream_tbEUlT_E1_NS1_11comp_targetILNS1_3genE0ELNS1_11target_archE4294967295ELNS1_3gpuE0ELNS1_3repE0EEENS1_30default_config_static_selectorELNS0_4arch9wavefront6targetE1EEEvSW_
	.globl	_ZN7rocprim17ROCPRIM_400000_NS6detail17trampoline_kernelINS0_14default_configENS1_22reduce_config_selectorIlEEZNS1_11reduce_implILb1ES3_N6thrust23THRUST_200600_302600_NS11hip_rocprim26transform_input_iterator_tIlNS8_12zip_iteratorINS8_5tupleINS8_6detail15normal_iteratorINS8_10device_ptrIyEEEESH_NS8_9null_typeESI_SI_SI_SI_SI_SI_SI_EEEENS9_21zip_adj_not_predicateINS8_8equal_toIyEEEEEEPllNS8_4plusIlEEEE10hipError_tPvRmT1_T2_T3_mT4_P12ihipStream_tbEUlT_E1_NS1_11comp_targetILNS1_3genE0ELNS1_11target_archE4294967295ELNS1_3gpuE0ELNS1_3repE0EEENS1_30default_config_static_selectorELNS0_4arch9wavefront6targetE1EEEvSW_
	.p2align	8
	.type	_ZN7rocprim17ROCPRIM_400000_NS6detail17trampoline_kernelINS0_14default_configENS1_22reduce_config_selectorIlEEZNS1_11reduce_implILb1ES3_N6thrust23THRUST_200600_302600_NS11hip_rocprim26transform_input_iterator_tIlNS8_12zip_iteratorINS8_5tupleINS8_6detail15normal_iteratorINS8_10device_ptrIyEEEESH_NS8_9null_typeESI_SI_SI_SI_SI_SI_SI_EEEENS9_21zip_adj_not_predicateINS8_8equal_toIyEEEEEEPllNS8_4plusIlEEEE10hipError_tPvRmT1_T2_T3_mT4_P12ihipStream_tbEUlT_E1_NS1_11comp_targetILNS1_3genE0ELNS1_11target_archE4294967295ELNS1_3gpuE0ELNS1_3repE0EEENS1_30default_config_static_selectorELNS0_4arch9wavefront6targetE1EEEvSW_,@function
_ZN7rocprim17ROCPRIM_400000_NS6detail17trampoline_kernelINS0_14default_configENS1_22reduce_config_selectorIlEEZNS1_11reduce_implILb1ES3_N6thrust23THRUST_200600_302600_NS11hip_rocprim26transform_input_iterator_tIlNS8_12zip_iteratorINS8_5tupleINS8_6detail15normal_iteratorINS8_10device_ptrIyEEEESH_NS8_9null_typeESI_SI_SI_SI_SI_SI_SI_EEEENS9_21zip_adj_not_predicateINS8_8equal_toIyEEEEEEPllNS8_4plusIlEEEE10hipError_tPvRmT1_T2_T3_mT4_P12ihipStream_tbEUlT_E1_NS1_11comp_targetILNS1_3genE0ELNS1_11target_archE4294967295ELNS1_3gpuE0ELNS1_3repE0EEENS1_30default_config_static_selectorELNS0_4arch9wavefront6targetE1EEEvSW_: ; @_ZN7rocprim17ROCPRIM_400000_NS6detail17trampoline_kernelINS0_14default_configENS1_22reduce_config_selectorIlEEZNS1_11reduce_implILb1ES3_N6thrust23THRUST_200600_302600_NS11hip_rocprim26transform_input_iterator_tIlNS8_12zip_iteratorINS8_5tupleINS8_6detail15normal_iteratorINS8_10device_ptrIyEEEESH_NS8_9null_typeESI_SI_SI_SI_SI_SI_SI_EEEENS9_21zip_adj_not_predicateINS8_8equal_toIyEEEEEEPllNS8_4plusIlEEEE10hipError_tPvRmT1_T2_T3_mT4_P12ihipStream_tbEUlT_E1_NS1_11comp_targetILNS1_3genE0ELNS1_11target_archE4294967295ELNS1_3gpuE0ELNS1_3repE0EEENS1_30default_config_static_selectorELNS0_4arch9wavefront6targetE1EEEvSW_
; %bb.0:
	.section	.rodata,"a",@progbits
	.p2align	6, 0x0
	.amdhsa_kernel _ZN7rocprim17ROCPRIM_400000_NS6detail17trampoline_kernelINS0_14default_configENS1_22reduce_config_selectorIlEEZNS1_11reduce_implILb1ES3_N6thrust23THRUST_200600_302600_NS11hip_rocprim26transform_input_iterator_tIlNS8_12zip_iteratorINS8_5tupleINS8_6detail15normal_iteratorINS8_10device_ptrIyEEEESH_NS8_9null_typeESI_SI_SI_SI_SI_SI_SI_EEEENS9_21zip_adj_not_predicateINS8_8equal_toIyEEEEEEPllNS8_4plusIlEEEE10hipError_tPvRmT1_T2_T3_mT4_P12ihipStream_tbEUlT_E1_NS1_11comp_targetILNS1_3genE0ELNS1_11target_archE4294967295ELNS1_3gpuE0ELNS1_3repE0EEENS1_30default_config_static_selectorELNS0_4arch9wavefront6targetE1EEEvSW_
		.amdhsa_group_segment_fixed_size 0
		.amdhsa_private_segment_fixed_size 0
		.amdhsa_kernarg_size 64
		.amdhsa_user_sgpr_count 6
		.amdhsa_user_sgpr_private_segment_buffer 1
		.amdhsa_user_sgpr_dispatch_ptr 0
		.amdhsa_user_sgpr_queue_ptr 0
		.amdhsa_user_sgpr_kernarg_segment_ptr 1
		.amdhsa_user_sgpr_dispatch_id 0
		.amdhsa_user_sgpr_flat_scratch_init 0
		.amdhsa_user_sgpr_private_segment_size 0
		.amdhsa_uses_dynamic_stack 0
		.amdhsa_system_sgpr_private_segment_wavefront_offset 0
		.amdhsa_system_sgpr_workgroup_id_x 1
		.amdhsa_system_sgpr_workgroup_id_y 0
		.amdhsa_system_sgpr_workgroup_id_z 0
		.amdhsa_system_sgpr_workgroup_info 0
		.amdhsa_system_vgpr_workitem_id 0
		.amdhsa_next_free_vgpr 1
		.amdhsa_next_free_sgpr 0
		.amdhsa_reserve_vcc 0
		.amdhsa_reserve_flat_scratch 0
		.amdhsa_float_round_mode_32 0
		.amdhsa_float_round_mode_16_64 0
		.amdhsa_float_denorm_mode_32 3
		.amdhsa_float_denorm_mode_16_64 3
		.amdhsa_dx10_clamp 1
		.amdhsa_ieee_mode 1
		.amdhsa_fp16_overflow 0
		.amdhsa_exception_fp_ieee_invalid_op 0
		.amdhsa_exception_fp_denorm_src 0
		.amdhsa_exception_fp_ieee_div_zero 0
		.amdhsa_exception_fp_ieee_overflow 0
		.amdhsa_exception_fp_ieee_underflow 0
		.amdhsa_exception_fp_ieee_inexact 0
		.amdhsa_exception_int_div_zero 0
	.end_amdhsa_kernel
	.section	.text._ZN7rocprim17ROCPRIM_400000_NS6detail17trampoline_kernelINS0_14default_configENS1_22reduce_config_selectorIlEEZNS1_11reduce_implILb1ES3_N6thrust23THRUST_200600_302600_NS11hip_rocprim26transform_input_iterator_tIlNS8_12zip_iteratorINS8_5tupleINS8_6detail15normal_iteratorINS8_10device_ptrIyEEEESH_NS8_9null_typeESI_SI_SI_SI_SI_SI_SI_EEEENS9_21zip_adj_not_predicateINS8_8equal_toIyEEEEEEPllNS8_4plusIlEEEE10hipError_tPvRmT1_T2_T3_mT4_P12ihipStream_tbEUlT_E1_NS1_11comp_targetILNS1_3genE0ELNS1_11target_archE4294967295ELNS1_3gpuE0ELNS1_3repE0EEENS1_30default_config_static_selectorELNS0_4arch9wavefront6targetE1EEEvSW_,"axG",@progbits,_ZN7rocprim17ROCPRIM_400000_NS6detail17trampoline_kernelINS0_14default_configENS1_22reduce_config_selectorIlEEZNS1_11reduce_implILb1ES3_N6thrust23THRUST_200600_302600_NS11hip_rocprim26transform_input_iterator_tIlNS8_12zip_iteratorINS8_5tupleINS8_6detail15normal_iteratorINS8_10device_ptrIyEEEESH_NS8_9null_typeESI_SI_SI_SI_SI_SI_SI_EEEENS9_21zip_adj_not_predicateINS8_8equal_toIyEEEEEEPllNS8_4plusIlEEEE10hipError_tPvRmT1_T2_T3_mT4_P12ihipStream_tbEUlT_E1_NS1_11comp_targetILNS1_3genE0ELNS1_11target_archE4294967295ELNS1_3gpuE0ELNS1_3repE0EEENS1_30default_config_static_selectorELNS0_4arch9wavefront6targetE1EEEvSW_,comdat
.Lfunc_end824:
	.size	_ZN7rocprim17ROCPRIM_400000_NS6detail17trampoline_kernelINS0_14default_configENS1_22reduce_config_selectorIlEEZNS1_11reduce_implILb1ES3_N6thrust23THRUST_200600_302600_NS11hip_rocprim26transform_input_iterator_tIlNS8_12zip_iteratorINS8_5tupleINS8_6detail15normal_iteratorINS8_10device_ptrIyEEEESH_NS8_9null_typeESI_SI_SI_SI_SI_SI_SI_EEEENS9_21zip_adj_not_predicateINS8_8equal_toIyEEEEEEPllNS8_4plusIlEEEE10hipError_tPvRmT1_T2_T3_mT4_P12ihipStream_tbEUlT_E1_NS1_11comp_targetILNS1_3genE0ELNS1_11target_archE4294967295ELNS1_3gpuE0ELNS1_3repE0EEENS1_30default_config_static_selectorELNS0_4arch9wavefront6targetE1EEEvSW_, .Lfunc_end824-_ZN7rocprim17ROCPRIM_400000_NS6detail17trampoline_kernelINS0_14default_configENS1_22reduce_config_selectorIlEEZNS1_11reduce_implILb1ES3_N6thrust23THRUST_200600_302600_NS11hip_rocprim26transform_input_iterator_tIlNS8_12zip_iteratorINS8_5tupleINS8_6detail15normal_iteratorINS8_10device_ptrIyEEEESH_NS8_9null_typeESI_SI_SI_SI_SI_SI_SI_EEEENS9_21zip_adj_not_predicateINS8_8equal_toIyEEEEEEPllNS8_4plusIlEEEE10hipError_tPvRmT1_T2_T3_mT4_P12ihipStream_tbEUlT_E1_NS1_11comp_targetILNS1_3genE0ELNS1_11target_archE4294967295ELNS1_3gpuE0ELNS1_3repE0EEENS1_30default_config_static_selectorELNS0_4arch9wavefront6targetE1EEEvSW_
                                        ; -- End function
	.set _ZN7rocprim17ROCPRIM_400000_NS6detail17trampoline_kernelINS0_14default_configENS1_22reduce_config_selectorIlEEZNS1_11reduce_implILb1ES3_N6thrust23THRUST_200600_302600_NS11hip_rocprim26transform_input_iterator_tIlNS8_12zip_iteratorINS8_5tupleINS8_6detail15normal_iteratorINS8_10device_ptrIyEEEESH_NS8_9null_typeESI_SI_SI_SI_SI_SI_SI_EEEENS9_21zip_adj_not_predicateINS8_8equal_toIyEEEEEEPllNS8_4plusIlEEEE10hipError_tPvRmT1_T2_T3_mT4_P12ihipStream_tbEUlT_E1_NS1_11comp_targetILNS1_3genE0ELNS1_11target_archE4294967295ELNS1_3gpuE0ELNS1_3repE0EEENS1_30default_config_static_selectorELNS0_4arch9wavefront6targetE1EEEvSW_.num_vgpr, 0
	.set _ZN7rocprim17ROCPRIM_400000_NS6detail17trampoline_kernelINS0_14default_configENS1_22reduce_config_selectorIlEEZNS1_11reduce_implILb1ES3_N6thrust23THRUST_200600_302600_NS11hip_rocprim26transform_input_iterator_tIlNS8_12zip_iteratorINS8_5tupleINS8_6detail15normal_iteratorINS8_10device_ptrIyEEEESH_NS8_9null_typeESI_SI_SI_SI_SI_SI_SI_EEEENS9_21zip_adj_not_predicateINS8_8equal_toIyEEEEEEPllNS8_4plusIlEEEE10hipError_tPvRmT1_T2_T3_mT4_P12ihipStream_tbEUlT_E1_NS1_11comp_targetILNS1_3genE0ELNS1_11target_archE4294967295ELNS1_3gpuE0ELNS1_3repE0EEENS1_30default_config_static_selectorELNS0_4arch9wavefront6targetE1EEEvSW_.num_agpr, 0
	.set _ZN7rocprim17ROCPRIM_400000_NS6detail17trampoline_kernelINS0_14default_configENS1_22reduce_config_selectorIlEEZNS1_11reduce_implILb1ES3_N6thrust23THRUST_200600_302600_NS11hip_rocprim26transform_input_iterator_tIlNS8_12zip_iteratorINS8_5tupleINS8_6detail15normal_iteratorINS8_10device_ptrIyEEEESH_NS8_9null_typeESI_SI_SI_SI_SI_SI_SI_EEEENS9_21zip_adj_not_predicateINS8_8equal_toIyEEEEEEPllNS8_4plusIlEEEE10hipError_tPvRmT1_T2_T3_mT4_P12ihipStream_tbEUlT_E1_NS1_11comp_targetILNS1_3genE0ELNS1_11target_archE4294967295ELNS1_3gpuE0ELNS1_3repE0EEENS1_30default_config_static_selectorELNS0_4arch9wavefront6targetE1EEEvSW_.numbered_sgpr, 0
	.set _ZN7rocprim17ROCPRIM_400000_NS6detail17trampoline_kernelINS0_14default_configENS1_22reduce_config_selectorIlEEZNS1_11reduce_implILb1ES3_N6thrust23THRUST_200600_302600_NS11hip_rocprim26transform_input_iterator_tIlNS8_12zip_iteratorINS8_5tupleINS8_6detail15normal_iteratorINS8_10device_ptrIyEEEESH_NS8_9null_typeESI_SI_SI_SI_SI_SI_SI_EEEENS9_21zip_adj_not_predicateINS8_8equal_toIyEEEEEEPllNS8_4plusIlEEEE10hipError_tPvRmT1_T2_T3_mT4_P12ihipStream_tbEUlT_E1_NS1_11comp_targetILNS1_3genE0ELNS1_11target_archE4294967295ELNS1_3gpuE0ELNS1_3repE0EEENS1_30default_config_static_selectorELNS0_4arch9wavefront6targetE1EEEvSW_.num_named_barrier, 0
	.set _ZN7rocprim17ROCPRIM_400000_NS6detail17trampoline_kernelINS0_14default_configENS1_22reduce_config_selectorIlEEZNS1_11reduce_implILb1ES3_N6thrust23THRUST_200600_302600_NS11hip_rocprim26transform_input_iterator_tIlNS8_12zip_iteratorINS8_5tupleINS8_6detail15normal_iteratorINS8_10device_ptrIyEEEESH_NS8_9null_typeESI_SI_SI_SI_SI_SI_SI_EEEENS9_21zip_adj_not_predicateINS8_8equal_toIyEEEEEEPllNS8_4plusIlEEEE10hipError_tPvRmT1_T2_T3_mT4_P12ihipStream_tbEUlT_E1_NS1_11comp_targetILNS1_3genE0ELNS1_11target_archE4294967295ELNS1_3gpuE0ELNS1_3repE0EEENS1_30default_config_static_selectorELNS0_4arch9wavefront6targetE1EEEvSW_.private_seg_size, 0
	.set _ZN7rocprim17ROCPRIM_400000_NS6detail17trampoline_kernelINS0_14default_configENS1_22reduce_config_selectorIlEEZNS1_11reduce_implILb1ES3_N6thrust23THRUST_200600_302600_NS11hip_rocprim26transform_input_iterator_tIlNS8_12zip_iteratorINS8_5tupleINS8_6detail15normal_iteratorINS8_10device_ptrIyEEEESH_NS8_9null_typeESI_SI_SI_SI_SI_SI_SI_EEEENS9_21zip_adj_not_predicateINS8_8equal_toIyEEEEEEPllNS8_4plusIlEEEE10hipError_tPvRmT1_T2_T3_mT4_P12ihipStream_tbEUlT_E1_NS1_11comp_targetILNS1_3genE0ELNS1_11target_archE4294967295ELNS1_3gpuE0ELNS1_3repE0EEENS1_30default_config_static_selectorELNS0_4arch9wavefront6targetE1EEEvSW_.uses_vcc, 0
	.set _ZN7rocprim17ROCPRIM_400000_NS6detail17trampoline_kernelINS0_14default_configENS1_22reduce_config_selectorIlEEZNS1_11reduce_implILb1ES3_N6thrust23THRUST_200600_302600_NS11hip_rocprim26transform_input_iterator_tIlNS8_12zip_iteratorINS8_5tupleINS8_6detail15normal_iteratorINS8_10device_ptrIyEEEESH_NS8_9null_typeESI_SI_SI_SI_SI_SI_SI_EEEENS9_21zip_adj_not_predicateINS8_8equal_toIyEEEEEEPllNS8_4plusIlEEEE10hipError_tPvRmT1_T2_T3_mT4_P12ihipStream_tbEUlT_E1_NS1_11comp_targetILNS1_3genE0ELNS1_11target_archE4294967295ELNS1_3gpuE0ELNS1_3repE0EEENS1_30default_config_static_selectorELNS0_4arch9wavefront6targetE1EEEvSW_.uses_flat_scratch, 0
	.set _ZN7rocprim17ROCPRIM_400000_NS6detail17trampoline_kernelINS0_14default_configENS1_22reduce_config_selectorIlEEZNS1_11reduce_implILb1ES3_N6thrust23THRUST_200600_302600_NS11hip_rocprim26transform_input_iterator_tIlNS8_12zip_iteratorINS8_5tupleINS8_6detail15normal_iteratorINS8_10device_ptrIyEEEESH_NS8_9null_typeESI_SI_SI_SI_SI_SI_SI_EEEENS9_21zip_adj_not_predicateINS8_8equal_toIyEEEEEEPllNS8_4plusIlEEEE10hipError_tPvRmT1_T2_T3_mT4_P12ihipStream_tbEUlT_E1_NS1_11comp_targetILNS1_3genE0ELNS1_11target_archE4294967295ELNS1_3gpuE0ELNS1_3repE0EEENS1_30default_config_static_selectorELNS0_4arch9wavefront6targetE1EEEvSW_.has_dyn_sized_stack, 0
	.set _ZN7rocprim17ROCPRIM_400000_NS6detail17trampoline_kernelINS0_14default_configENS1_22reduce_config_selectorIlEEZNS1_11reduce_implILb1ES3_N6thrust23THRUST_200600_302600_NS11hip_rocprim26transform_input_iterator_tIlNS8_12zip_iteratorINS8_5tupleINS8_6detail15normal_iteratorINS8_10device_ptrIyEEEESH_NS8_9null_typeESI_SI_SI_SI_SI_SI_SI_EEEENS9_21zip_adj_not_predicateINS8_8equal_toIyEEEEEEPllNS8_4plusIlEEEE10hipError_tPvRmT1_T2_T3_mT4_P12ihipStream_tbEUlT_E1_NS1_11comp_targetILNS1_3genE0ELNS1_11target_archE4294967295ELNS1_3gpuE0ELNS1_3repE0EEENS1_30default_config_static_selectorELNS0_4arch9wavefront6targetE1EEEvSW_.has_recursion, 0
	.set _ZN7rocprim17ROCPRIM_400000_NS6detail17trampoline_kernelINS0_14default_configENS1_22reduce_config_selectorIlEEZNS1_11reduce_implILb1ES3_N6thrust23THRUST_200600_302600_NS11hip_rocprim26transform_input_iterator_tIlNS8_12zip_iteratorINS8_5tupleINS8_6detail15normal_iteratorINS8_10device_ptrIyEEEESH_NS8_9null_typeESI_SI_SI_SI_SI_SI_SI_EEEENS9_21zip_adj_not_predicateINS8_8equal_toIyEEEEEEPllNS8_4plusIlEEEE10hipError_tPvRmT1_T2_T3_mT4_P12ihipStream_tbEUlT_E1_NS1_11comp_targetILNS1_3genE0ELNS1_11target_archE4294967295ELNS1_3gpuE0ELNS1_3repE0EEENS1_30default_config_static_selectorELNS0_4arch9wavefront6targetE1EEEvSW_.has_indirect_call, 0
	.section	.AMDGPU.csdata,"",@progbits
; Kernel info:
; codeLenInByte = 0
; TotalNumSgprs: 4
; NumVgprs: 0
; ScratchSize: 0
; MemoryBound: 0
; FloatMode: 240
; IeeeMode: 1
; LDSByteSize: 0 bytes/workgroup (compile time only)
; SGPRBlocks: 0
; VGPRBlocks: 0
; NumSGPRsForWavesPerEU: 4
; NumVGPRsForWavesPerEU: 1
; Occupancy: 10
; WaveLimiterHint : 0
; COMPUTE_PGM_RSRC2:SCRATCH_EN: 0
; COMPUTE_PGM_RSRC2:USER_SGPR: 6
; COMPUTE_PGM_RSRC2:TRAP_HANDLER: 0
; COMPUTE_PGM_RSRC2:TGID_X_EN: 1
; COMPUTE_PGM_RSRC2:TGID_Y_EN: 0
; COMPUTE_PGM_RSRC2:TGID_Z_EN: 0
; COMPUTE_PGM_RSRC2:TIDIG_COMP_CNT: 0
	.section	.text._ZN7rocprim17ROCPRIM_400000_NS6detail17trampoline_kernelINS0_14default_configENS1_22reduce_config_selectorIlEEZNS1_11reduce_implILb1ES3_N6thrust23THRUST_200600_302600_NS11hip_rocprim26transform_input_iterator_tIlNS8_12zip_iteratorINS8_5tupleINS8_6detail15normal_iteratorINS8_10device_ptrIyEEEESH_NS8_9null_typeESI_SI_SI_SI_SI_SI_SI_EEEENS9_21zip_adj_not_predicateINS8_8equal_toIyEEEEEEPllNS8_4plusIlEEEE10hipError_tPvRmT1_T2_T3_mT4_P12ihipStream_tbEUlT_E1_NS1_11comp_targetILNS1_3genE5ELNS1_11target_archE942ELNS1_3gpuE9ELNS1_3repE0EEENS1_30default_config_static_selectorELNS0_4arch9wavefront6targetE1EEEvSW_,"axG",@progbits,_ZN7rocprim17ROCPRIM_400000_NS6detail17trampoline_kernelINS0_14default_configENS1_22reduce_config_selectorIlEEZNS1_11reduce_implILb1ES3_N6thrust23THRUST_200600_302600_NS11hip_rocprim26transform_input_iterator_tIlNS8_12zip_iteratorINS8_5tupleINS8_6detail15normal_iteratorINS8_10device_ptrIyEEEESH_NS8_9null_typeESI_SI_SI_SI_SI_SI_SI_EEEENS9_21zip_adj_not_predicateINS8_8equal_toIyEEEEEEPllNS8_4plusIlEEEE10hipError_tPvRmT1_T2_T3_mT4_P12ihipStream_tbEUlT_E1_NS1_11comp_targetILNS1_3genE5ELNS1_11target_archE942ELNS1_3gpuE9ELNS1_3repE0EEENS1_30default_config_static_selectorELNS0_4arch9wavefront6targetE1EEEvSW_,comdat
	.protected	_ZN7rocprim17ROCPRIM_400000_NS6detail17trampoline_kernelINS0_14default_configENS1_22reduce_config_selectorIlEEZNS1_11reduce_implILb1ES3_N6thrust23THRUST_200600_302600_NS11hip_rocprim26transform_input_iterator_tIlNS8_12zip_iteratorINS8_5tupleINS8_6detail15normal_iteratorINS8_10device_ptrIyEEEESH_NS8_9null_typeESI_SI_SI_SI_SI_SI_SI_EEEENS9_21zip_adj_not_predicateINS8_8equal_toIyEEEEEEPllNS8_4plusIlEEEE10hipError_tPvRmT1_T2_T3_mT4_P12ihipStream_tbEUlT_E1_NS1_11comp_targetILNS1_3genE5ELNS1_11target_archE942ELNS1_3gpuE9ELNS1_3repE0EEENS1_30default_config_static_selectorELNS0_4arch9wavefront6targetE1EEEvSW_ ; -- Begin function _ZN7rocprim17ROCPRIM_400000_NS6detail17trampoline_kernelINS0_14default_configENS1_22reduce_config_selectorIlEEZNS1_11reduce_implILb1ES3_N6thrust23THRUST_200600_302600_NS11hip_rocprim26transform_input_iterator_tIlNS8_12zip_iteratorINS8_5tupleINS8_6detail15normal_iteratorINS8_10device_ptrIyEEEESH_NS8_9null_typeESI_SI_SI_SI_SI_SI_SI_EEEENS9_21zip_adj_not_predicateINS8_8equal_toIyEEEEEEPllNS8_4plusIlEEEE10hipError_tPvRmT1_T2_T3_mT4_P12ihipStream_tbEUlT_E1_NS1_11comp_targetILNS1_3genE5ELNS1_11target_archE942ELNS1_3gpuE9ELNS1_3repE0EEENS1_30default_config_static_selectorELNS0_4arch9wavefront6targetE1EEEvSW_
	.globl	_ZN7rocprim17ROCPRIM_400000_NS6detail17trampoline_kernelINS0_14default_configENS1_22reduce_config_selectorIlEEZNS1_11reduce_implILb1ES3_N6thrust23THRUST_200600_302600_NS11hip_rocprim26transform_input_iterator_tIlNS8_12zip_iteratorINS8_5tupleINS8_6detail15normal_iteratorINS8_10device_ptrIyEEEESH_NS8_9null_typeESI_SI_SI_SI_SI_SI_SI_EEEENS9_21zip_adj_not_predicateINS8_8equal_toIyEEEEEEPllNS8_4plusIlEEEE10hipError_tPvRmT1_T2_T3_mT4_P12ihipStream_tbEUlT_E1_NS1_11comp_targetILNS1_3genE5ELNS1_11target_archE942ELNS1_3gpuE9ELNS1_3repE0EEENS1_30default_config_static_selectorELNS0_4arch9wavefront6targetE1EEEvSW_
	.p2align	8
	.type	_ZN7rocprim17ROCPRIM_400000_NS6detail17trampoline_kernelINS0_14default_configENS1_22reduce_config_selectorIlEEZNS1_11reduce_implILb1ES3_N6thrust23THRUST_200600_302600_NS11hip_rocprim26transform_input_iterator_tIlNS8_12zip_iteratorINS8_5tupleINS8_6detail15normal_iteratorINS8_10device_ptrIyEEEESH_NS8_9null_typeESI_SI_SI_SI_SI_SI_SI_EEEENS9_21zip_adj_not_predicateINS8_8equal_toIyEEEEEEPllNS8_4plusIlEEEE10hipError_tPvRmT1_T2_T3_mT4_P12ihipStream_tbEUlT_E1_NS1_11comp_targetILNS1_3genE5ELNS1_11target_archE942ELNS1_3gpuE9ELNS1_3repE0EEENS1_30default_config_static_selectorELNS0_4arch9wavefront6targetE1EEEvSW_,@function
_ZN7rocprim17ROCPRIM_400000_NS6detail17trampoline_kernelINS0_14default_configENS1_22reduce_config_selectorIlEEZNS1_11reduce_implILb1ES3_N6thrust23THRUST_200600_302600_NS11hip_rocprim26transform_input_iterator_tIlNS8_12zip_iteratorINS8_5tupleINS8_6detail15normal_iteratorINS8_10device_ptrIyEEEESH_NS8_9null_typeESI_SI_SI_SI_SI_SI_SI_EEEENS9_21zip_adj_not_predicateINS8_8equal_toIyEEEEEEPllNS8_4plusIlEEEE10hipError_tPvRmT1_T2_T3_mT4_P12ihipStream_tbEUlT_E1_NS1_11comp_targetILNS1_3genE5ELNS1_11target_archE942ELNS1_3gpuE9ELNS1_3repE0EEENS1_30default_config_static_selectorELNS0_4arch9wavefront6targetE1EEEvSW_: ; @_ZN7rocprim17ROCPRIM_400000_NS6detail17trampoline_kernelINS0_14default_configENS1_22reduce_config_selectorIlEEZNS1_11reduce_implILb1ES3_N6thrust23THRUST_200600_302600_NS11hip_rocprim26transform_input_iterator_tIlNS8_12zip_iteratorINS8_5tupleINS8_6detail15normal_iteratorINS8_10device_ptrIyEEEESH_NS8_9null_typeESI_SI_SI_SI_SI_SI_SI_EEEENS9_21zip_adj_not_predicateINS8_8equal_toIyEEEEEEPllNS8_4plusIlEEEE10hipError_tPvRmT1_T2_T3_mT4_P12ihipStream_tbEUlT_E1_NS1_11comp_targetILNS1_3genE5ELNS1_11target_archE942ELNS1_3gpuE9ELNS1_3repE0EEENS1_30default_config_static_selectorELNS0_4arch9wavefront6targetE1EEEvSW_
; %bb.0:
	.section	.rodata,"a",@progbits
	.p2align	6, 0x0
	.amdhsa_kernel _ZN7rocprim17ROCPRIM_400000_NS6detail17trampoline_kernelINS0_14default_configENS1_22reduce_config_selectorIlEEZNS1_11reduce_implILb1ES3_N6thrust23THRUST_200600_302600_NS11hip_rocprim26transform_input_iterator_tIlNS8_12zip_iteratorINS8_5tupleINS8_6detail15normal_iteratorINS8_10device_ptrIyEEEESH_NS8_9null_typeESI_SI_SI_SI_SI_SI_SI_EEEENS9_21zip_adj_not_predicateINS8_8equal_toIyEEEEEEPllNS8_4plusIlEEEE10hipError_tPvRmT1_T2_T3_mT4_P12ihipStream_tbEUlT_E1_NS1_11comp_targetILNS1_3genE5ELNS1_11target_archE942ELNS1_3gpuE9ELNS1_3repE0EEENS1_30default_config_static_selectorELNS0_4arch9wavefront6targetE1EEEvSW_
		.amdhsa_group_segment_fixed_size 0
		.amdhsa_private_segment_fixed_size 0
		.amdhsa_kernarg_size 64
		.amdhsa_user_sgpr_count 6
		.amdhsa_user_sgpr_private_segment_buffer 1
		.amdhsa_user_sgpr_dispatch_ptr 0
		.amdhsa_user_sgpr_queue_ptr 0
		.amdhsa_user_sgpr_kernarg_segment_ptr 1
		.amdhsa_user_sgpr_dispatch_id 0
		.amdhsa_user_sgpr_flat_scratch_init 0
		.amdhsa_user_sgpr_private_segment_size 0
		.amdhsa_uses_dynamic_stack 0
		.amdhsa_system_sgpr_private_segment_wavefront_offset 0
		.amdhsa_system_sgpr_workgroup_id_x 1
		.amdhsa_system_sgpr_workgroup_id_y 0
		.amdhsa_system_sgpr_workgroup_id_z 0
		.amdhsa_system_sgpr_workgroup_info 0
		.amdhsa_system_vgpr_workitem_id 0
		.amdhsa_next_free_vgpr 1
		.amdhsa_next_free_sgpr 0
		.amdhsa_reserve_vcc 0
		.amdhsa_reserve_flat_scratch 0
		.amdhsa_float_round_mode_32 0
		.amdhsa_float_round_mode_16_64 0
		.amdhsa_float_denorm_mode_32 3
		.amdhsa_float_denorm_mode_16_64 3
		.amdhsa_dx10_clamp 1
		.amdhsa_ieee_mode 1
		.amdhsa_fp16_overflow 0
		.amdhsa_exception_fp_ieee_invalid_op 0
		.amdhsa_exception_fp_denorm_src 0
		.amdhsa_exception_fp_ieee_div_zero 0
		.amdhsa_exception_fp_ieee_overflow 0
		.amdhsa_exception_fp_ieee_underflow 0
		.amdhsa_exception_fp_ieee_inexact 0
		.amdhsa_exception_int_div_zero 0
	.end_amdhsa_kernel
	.section	.text._ZN7rocprim17ROCPRIM_400000_NS6detail17trampoline_kernelINS0_14default_configENS1_22reduce_config_selectorIlEEZNS1_11reduce_implILb1ES3_N6thrust23THRUST_200600_302600_NS11hip_rocprim26transform_input_iterator_tIlNS8_12zip_iteratorINS8_5tupleINS8_6detail15normal_iteratorINS8_10device_ptrIyEEEESH_NS8_9null_typeESI_SI_SI_SI_SI_SI_SI_EEEENS9_21zip_adj_not_predicateINS8_8equal_toIyEEEEEEPllNS8_4plusIlEEEE10hipError_tPvRmT1_T2_T3_mT4_P12ihipStream_tbEUlT_E1_NS1_11comp_targetILNS1_3genE5ELNS1_11target_archE942ELNS1_3gpuE9ELNS1_3repE0EEENS1_30default_config_static_selectorELNS0_4arch9wavefront6targetE1EEEvSW_,"axG",@progbits,_ZN7rocprim17ROCPRIM_400000_NS6detail17trampoline_kernelINS0_14default_configENS1_22reduce_config_selectorIlEEZNS1_11reduce_implILb1ES3_N6thrust23THRUST_200600_302600_NS11hip_rocprim26transform_input_iterator_tIlNS8_12zip_iteratorINS8_5tupleINS8_6detail15normal_iteratorINS8_10device_ptrIyEEEESH_NS8_9null_typeESI_SI_SI_SI_SI_SI_SI_EEEENS9_21zip_adj_not_predicateINS8_8equal_toIyEEEEEEPllNS8_4plusIlEEEE10hipError_tPvRmT1_T2_T3_mT4_P12ihipStream_tbEUlT_E1_NS1_11comp_targetILNS1_3genE5ELNS1_11target_archE942ELNS1_3gpuE9ELNS1_3repE0EEENS1_30default_config_static_selectorELNS0_4arch9wavefront6targetE1EEEvSW_,comdat
.Lfunc_end825:
	.size	_ZN7rocprim17ROCPRIM_400000_NS6detail17trampoline_kernelINS0_14default_configENS1_22reduce_config_selectorIlEEZNS1_11reduce_implILb1ES3_N6thrust23THRUST_200600_302600_NS11hip_rocprim26transform_input_iterator_tIlNS8_12zip_iteratorINS8_5tupleINS8_6detail15normal_iteratorINS8_10device_ptrIyEEEESH_NS8_9null_typeESI_SI_SI_SI_SI_SI_SI_EEEENS9_21zip_adj_not_predicateINS8_8equal_toIyEEEEEEPllNS8_4plusIlEEEE10hipError_tPvRmT1_T2_T3_mT4_P12ihipStream_tbEUlT_E1_NS1_11comp_targetILNS1_3genE5ELNS1_11target_archE942ELNS1_3gpuE9ELNS1_3repE0EEENS1_30default_config_static_selectorELNS0_4arch9wavefront6targetE1EEEvSW_, .Lfunc_end825-_ZN7rocprim17ROCPRIM_400000_NS6detail17trampoline_kernelINS0_14default_configENS1_22reduce_config_selectorIlEEZNS1_11reduce_implILb1ES3_N6thrust23THRUST_200600_302600_NS11hip_rocprim26transform_input_iterator_tIlNS8_12zip_iteratorINS8_5tupleINS8_6detail15normal_iteratorINS8_10device_ptrIyEEEESH_NS8_9null_typeESI_SI_SI_SI_SI_SI_SI_EEEENS9_21zip_adj_not_predicateINS8_8equal_toIyEEEEEEPllNS8_4plusIlEEEE10hipError_tPvRmT1_T2_T3_mT4_P12ihipStream_tbEUlT_E1_NS1_11comp_targetILNS1_3genE5ELNS1_11target_archE942ELNS1_3gpuE9ELNS1_3repE0EEENS1_30default_config_static_selectorELNS0_4arch9wavefront6targetE1EEEvSW_
                                        ; -- End function
	.set _ZN7rocprim17ROCPRIM_400000_NS6detail17trampoline_kernelINS0_14default_configENS1_22reduce_config_selectorIlEEZNS1_11reduce_implILb1ES3_N6thrust23THRUST_200600_302600_NS11hip_rocprim26transform_input_iterator_tIlNS8_12zip_iteratorINS8_5tupleINS8_6detail15normal_iteratorINS8_10device_ptrIyEEEESH_NS8_9null_typeESI_SI_SI_SI_SI_SI_SI_EEEENS9_21zip_adj_not_predicateINS8_8equal_toIyEEEEEEPllNS8_4plusIlEEEE10hipError_tPvRmT1_T2_T3_mT4_P12ihipStream_tbEUlT_E1_NS1_11comp_targetILNS1_3genE5ELNS1_11target_archE942ELNS1_3gpuE9ELNS1_3repE0EEENS1_30default_config_static_selectorELNS0_4arch9wavefront6targetE1EEEvSW_.num_vgpr, 0
	.set _ZN7rocprim17ROCPRIM_400000_NS6detail17trampoline_kernelINS0_14default_configENS1_22reduce_config_selectorIlEEZNS1_11reduce_implILb1ES3_N6thrust23THRUST_200600_302600_NS11hip_rocprim26transform_input_iterator_tIlNS8_12zip_iteratorINS8_5tupleINS8_6detail15normal_iteratorINS8_10device_ptrIyEEEESH_NS8_9null_typeESI_SI_SI_SI_SI_SI_SI_EEEENS9_21zip_adj_not_predicateINS8_8equal_toIyEEEEEEPllNS8_4plusIlEEEE10hipError_tPvRmT1_T2_T3_mT4_P12ihipStream_tbEUlT_E1_NS1_11comp_targetILNS1_3genE5ELNS1_11target_archE942ELNS1_3gpuE9ELNS1_3repE0EEENS1_30default_config_static_selectorELNS0_4arch9wavefront6targetE1EEEvSW_.num_agpr, 0
	.set _ZN7rocprim17ROCPRIM_400000_NS6detail17trampoline_kernelINS0_14default_configENS1_22reduce_config_selectorIlEEZNS1_11reduce_implILb1ES3_N6thrust23THRUST_200600_302600_NS11hip_rocprim26transform_input_iterator_tIlNS8_12zip_iteratorINS8_5tupleINS8_6detail15normal_iteratorINS8_10device_ptrIyEEEESH_NS8_9null_typeESI_SI_SI_SI_SI_SI_SI_EEEENS9_21zip_adj_not_predicateINS8_8equal_toIyEEEEEEPllNS8_4plusIlEEEE10hipError_tPvRmT1_T2_T3_mT4_P12ihipStream_tbEUlT_E1_NS1_11comp_targetILNS1_3genE5ELNS1_11target_archE942ELNS1_3gpuE9ELNS1_3repE0EEENS1_30default_config_static_selectorELNS0_4arch9wavefront6targetE1EEEvSW_.numbered_sgpr, 0
	.set _ZN7rocprim17ROCPRIM_400000_NS6detail17trampoline_kernelINS0_14default_configENS1_22reduce_config_selectorIlEEZNS1_11reduce_implILb1ES3_N6thrust23THRUST_200600_302600_NS11hip_rocprim26transform_input_iterator_tIlNS8_12zip_iteratorINS8_5tupleINS8_6detail15normal_iteratorINS8_10device_ptrIyEEEESH_NS8_9null_typeESI_SI_SI_SI_SI_SI_SI_EEEENS9_21zip_adj_not_predicateINS8_8equal_toIyEEEEEEPllNS8_4plusIlEEEE10hipError_tPvRmT1_T2_T3_mT4_P12ihipStream_tbEUlT_E1_NS1_11comp_targetILNS1_3genE5ELNS1_11target_archE942ELNS1_3gpuE9ELNS1_3repE0EEENS1_30default_config_static_selectorELNS0_4arch9wavefront6targetE1EEEvSW_.num_named_barrier, 0
	.set _ZN7rocprim17ROCPRIM_400000_NS6detail17trampoline_kernelINS0_14default_configENS1_22reduce_config_selectorIlEEZNS1_11reduce_implILb1ES3_N6thrust23THRUST_200600_302600_NS11hip_rocprim26transform_input_iterator_tIlNS8_12zip_iteratorINS8_5tupleINS8_6detail15normal_iteratorINS8_10device_ptrIyEEEESH_NS8_9null_typeESI_SI_SI_SI_SI_SI_SI_EEEENS9_21zip_adj_not_predicateINS8_8equal_toIyEEEEEEPllNS8_4plusIlEEEE10hipError_tPvRmT1_T2_T3_mT4_P12ihipStream_tbEUlT_E1_NS1_11comp_targetILNS1_3genE5ELNS1_11target_archE942ELNS1_3gpuE9ELNS1_3repE0EEENS1_30default_config_static_selectorELNS0_4arch9wavefront6targetE1EEEvSW_.private_seg_size, 0
	.set _ZN7rocprim17ROCPRIM_400000_NS6detail17trampoline_kernelINS0_14default_configENS1_22reduce_config_selectorIlEEZNS1_11reduce_implILb1ES3_N6thrust23THRUST_200600_302600_NS11hip_rocprim26transform_input_iterator_tIlNS8_12zip_iteratorINS8_5tupleINS8_6detail15normal_iteratorINS8_10device_ptrIyEEEESH_NS8_9null_typeESI_SI_SI_SI_SI_SI_SI_EEEENS9_21zip_adj_not_predicateINS8_8equal_toIyEEEEEEPllNS8_4plusIlEEEE10hipError_tPvRmT1_T2_T3_mT4_P12ihipStream_tbEUlT_E1_NS1_11comp_targetILNS1_3genE5ELNS1_11target_archE942ELNS1_3gpuE9ELNS1_3repE0EEENS1_30default_config_static_selectorELNS0_4arch9wavefront6targetE1EEEvSW_.uses_vcc, 0
	.set _ZN7rocprim17ROCPRIM_400000_NS6detail17trampoline_kernelINS0_14default_configENS1_22reduce_config_selectorIlEEZNS1_11reduce_implILb1ES3_N6thrust23THRUST_200600_302600_NS11hip_rocprim26transform_input_iterator_tIlNS8_12zip_iteratorINS8_5tupleINS8_6detail15normal_iteratorINS8_10device_ptrIyEEEESH_NS8_9null_typeESI_SI_SI_SI_SI_SI_SI_EEEENS9_21zip_adj_not_predicateINS8_8equal_toIyEEEEEEPllNS8_4plusIlEEEE10hipError_tPvRmT1_T2_T3_mT4_P12ihipStream_tbEUlT_E1_NS1_11comp_targetILNS1_3genE5ELNS1_11target_archE942ELNS1_3gpuE9ELNS1_3repE0EEENS1_30default_config_static_selectorELNS0_4arch9wavefront6targetE1EEEvSW_.uses_flat_scratch, 0
	.set _ZN7rocprim17ROCPRIM_400000_NS6detail17trampoline_kernelINS0_14default_configENS1_22reduce_config_selectorIlEEZNS1_11reduce_implILb1ES3_N6thrust23THRUST_200600_302600_NS11hip_rocprim26transform_input_iterator_tIlNS8_12zip_iteratorINS8_5tupleINS8_6detail15normal_iteratorINS8_10device_ptrIyEEEESH_NS8_9null_typeESI_SI_SI_SI_SI_SI_SI_EEEENS9_21zip_adj_not_predicateINS8_8equal_toIyEEEEEEPllNS8_4plusIlEEEE10hipError_tPvRmT1_T2_T3_mT4_P12ihipStream_tbEUlT_E1_NS1_11comp_targetILNS1_3genE5ELNS1_11target_archE942ELNS1_3gpuE9ELNS1_3repE0EEENS1_30default_config_static_selectorELNS0_4arch9wavefront6targetE1EEEvSW_.has_dyn_sized_stack, 0
	.set _ZN7rocprim17ROCPRIM_400000_NS6detail17trampoline_kernelINS0_14default_configENS1_22reduce_config_selectorIlEEZNS1_11reduce_implILb1ES3_N6thrust23THRUST_200600_302600_NS11hip_rocprim26transform_input_iterator_tIlNS8_12zip_iteratorINS8_5tupleINS8_6detail15normal_iteratorINS8_10device_ptrIyEEEESH_NS8_9null_typeESI_SI_SI_SI_SI_SI_SI_EEEENS9_21zip_adj_not_predicateINS8_8equal_toIyEEEEEEPllNS8_4plusIlEEEE10hipError_tPvRmT1_T2_T3_mT4_P12ihipStream_tbEUlT_E1_NS1_11comp_targetILNS1_3genE5ELNS1_11target_archE942ELNS1_3gpuE9ELNS1_3repE0EEENS1_30default_config_static_selectorELNS0_4arch9wavefront6targetE1EEEvSW_.has_recursion, 0
	.set _ZN7rocprim17ROCPRIM_400000_NS6detail17trampoline_kernelINS0_14default_configENS1_22reduce_config_selectorIlEEZNS1_11reduce_implILb1ES3_N6thrust23THRUST_200600_302600_NS11hip_rocprim26transform_input_iterator_tIlNS8_12zip_iteratorINS8_5tupleINS8_6detail15normal_iteratorINS8_10device_ptrIyEEEESH_NS8_9null_typeESI_SI_SI_SI_SI_SI_SI_EEEENS9_21zip_adj_not_predicateINS8_8equal_toIyEEEEEEPllNS8_4plusIlEEEE10hipError_tPvRmT1_T2_T3_mT4_P12ihipStream_tbEUlT_E1_NS1_11comp_targetILNS1_3genE5ELNS1_11target_archE942ELNS1_3gpuE9ELNS1_3repE0EEENS1_30default_config_static_selectorELNS0_4arch9wavefront6targetE1EEEvSW_.has_indirect_call, 0
	.section	.AMDGPU.csdata,"",@progbits
; Kernel info:
; codeLenInByte = 0
; TotalNumSgprs: 4
; NumVgprs: 0
; ScratchSize: 0
; MemoryBound: 0
; FloatMode: 240
; IeeeMode: 1
; LDSByteSize: 0 bytes/workgroup (compile time only)
; SGPRBlocks: 0
; VGPRBlocks: 0
; NumSGPRsForWavesPerEU: 4
; NumVGPRsForWavesPerEU: 1
; Occupancy: 10
; WaveLimiterHint : 0
; COMPUTE_PGM_RSRC2:SCRATCH_EN: 0
; COMPUTE_PGM_RSRC2:USER_SGPR: 6
; COMPUTE_PGM_RSRC2:TRAP_HANDLER: 0
; COMPUTE_PGM_RSRC2:TGID_X_EN: 1
; COMPUTE_PGM_RSRC2:TGID_Y_EN: 0
; COMPUTE_PGM_RSRC2:TGID_Z_EN: 0
; COMPUTE_PGM_RSRC2:TIDIG_COMP_CNT: 0
	.section	.text._ZN7rocprim17ROCPRIM_400000_NS6detail17trampoline_kernelINS0_14default_configENS1_22reduce_config_selectorIlEEZNS1_11reduce_implILb1ES3_N6thrust23THRUST_200600_302600_NS11hip_rocprim26transform_input_iterator_tIlNS8_12zip_iteratorINS8_5tupleINS8_6detail15normal_iteratorINS8_10device_ptrIyEEEESH_NS8_9null_typeESI_SI_SI_SI_SI_SI_SI_EEEENS9_21zip_adj_not_predicateINS8_8equal_toIyEEEEEEPllNS8_4plusIlEEEE10hipError_tPvRmT1_T2_T3_mT4_P12ihipStream_tbEUlT_E1_NS1_11comp_targetILNS1_3genE4ELNS1_11target_archE910ELNS1_3gpuE8ELNS1_3repE0EEENS1_30default_config_static_selectorELNS0_4arch9wavefront6targetE1EEEvSW_,"axG",@progbits,_ZN7rocprim17ROCPRIM_400000_NS6detail17trampoline_kernelINS0_14default_configENS1_22reduce_config_selectorIlEEZNS1_11reduce_implILb1ES3_N6thrust23THRUST_200600_302600_NS11hip_rocprim26transform_input_iterator_tIlNS8_12zip_iteratorINS8_5tupleINS8_6detail15normal_iteratorINS8_10device_ptrIyEEEESH_NS8_9null_typeESI_SI_SI_SI_SI_SI_SI_EEEENS9_21zip_adj_not_predicateINS8_8equal_toIyEEEEEEPllNS8_4plusIlEEEE10hipError_tPvRmT1_T2_T3_mT4_P12ihipStream_tbEUlT_E1_NS1_11comp_targetILNS1_3genE4ELNS1_11target_archE910ELNS1_3gpuE8ELNS1_3repE0EEENS1_30default_config_static_selectorELNS0_4arch9wavefront6targetE1EEEvSW_,comdat
	.protected	_ZN7rocprim17ROCPRIM_400000_NS6detail17trampoline_kernelINS0_14default_configENS1_22reduce_config_selectorIlEEZNS1_11reduce_implILb1ES3_N6thrust23THRUST_200600_302600_NS11hip_rocprim26transform_input_iterator_tIlNS8_12zip_iteratorINS8_5tupleINS8_6detail15normal_iteratorINS8_10device_ptrIyEEEESH_NS8_9null_typeESI_SI_SI_SI_SI_SI_SI_EEEENS9_21zip_adj_not_predicateINS8_8equal_toIyEEEEEEPllNS8_4plusIlEEEE10hipError_tPvRmT1_T2_T3_mT4_P12ihipStream_tbEUlT_E1_NS1_11comp_targetILNS1_3genE4ELNS1_11target_archE910ELNS1_3gpuE8ELNS1_3repE0EEENS1_30default_config_static_selectorELNS0_4arch9wavefront6targetE1EEEvSW_ ; -- Begin function _ZN7rocprim17ROCPRIM_400000_NS6detail17trampoline_kernelINS0_14default_configENS1_22reduce_config_selectorIlEEZNS1_11reduce_implILb1ES3_N6thrust23THRUST_200600_302600_NS11hip_rocprim26transform_input_iterator_tIlNS8_12zip_iteratorINS8_5tupleINS8_6detail15normal_iteratorINS8_10device_ptrIyEEEESH_NS8_9null_typeESI_SI_SI_SI_SI_SI_SI_EEEENS9_21zip_adj_not_predicateINS8_8equal_toIyEEEEEEPllNS8_4plusIlEEEE10hipError_tPvRmT1_T2_T3_mT4_P12ihipStream_tbEUlT_E1_NS1_11comp_targetILNS1_3genE4ELNS1_11target_archE910ELNS1_3gpuE8ELNS1_3repE0EEENS1_30default_config_static_selectorELNS0_4arch9wavefront6targetE1EEEvSW_
	.globl	_ZN7rocprim17ROCPRIM_400000_NS6detail17trampoline_kernelINS0_14default_configENS1_22reduce_config_selectorIlEEZNS1_11reduce_implILb1ES3_N6thrust23THRUST_200600_302600_NS11hip_rocprim26transform_input_iterator_tIlNS8_12zip_iteratorINS8_5tupleINS8_6detail15normal_iteratorINS8_10device_ptrIyEEEESH_NS8_9null_typeESI_SI_SI_SI_SI_SI_SI_EEEENS9_21zip_adj_not_predicateINS8_8equal_toIyEEEEEEPllNS8_4plusIlEEEE10hipError_tPvRmT1_T2_T3_mT4_P12ihipStream_tbEUlT_E1_NS1_11comp_targetILNS1_3genE4ELNS1_11target_archE910ELNS1_3gpuE8ELNS1_3repE0EEENS1_30default_config_static_selectorELNS0_4arch9wavefront6targetE1EEEvSW_
	.p2align	8
	.type	_ZN7rocprim17ROCPRIM_400000_NS6detail17trampoline_kernelINS0_14default_configENS1_22reduce_config_selectorIlEEZNS1_11reduce_implILb1ES3_N6thrust23THRUST_200600_302600_NS11hip_rocprim26transform_input_iterator_tIlNS8_12zip_iteratorINS8_5tupleINS8_6detail15normal_iteratorINS8_10device_ptrIyEEEESH_NS8_9null_typeESI_SI_SI_SI_SI_SI_SI_EEEENS9_21zip_adj_not_predicateINS8_8equal_toIyEEEEEEPllNS8_4plusIlEEEE10hipError_tPvRmT1_T2_T3_mT4_P12ihipStream_tbEUlT_E1_NS1_11comp_targetILNS1_3genE4ELNS1_11target_archE910ELNS1_3gpuE8ELNS1_3repE0EEENS1_30default_config_static_selectorELNS0_4arch9wavefront6targetE1EEEvSW_,@function
_ZN7rocprim17ROCPRIM_400000_NS6detail17trampoline_kernelINS0_14default_configENS1_22reduce_config_selectorIlEEZNS1_11reduce_implILb1ES3_N6thrust23THRUST_200600_302600_NS11hip_rocprim26transform_input_iterator_tIlNS8_12zip_iteratorINS8_5tupleINS8_6detail15normal_iteratorINS8_10device_ptrIyEEEESH_NS8_9null_typeESI_SI_SI_SI_SI_SI_SI_EEEENS9_21zip_adj_not_predicateINS8_8equal_toIyEEEEEEPllNS8_4plusIlEEEE10hipError_tPvRmT1_T2_T3_mT4_P12ihipStream_tbEUlT_E1_NS1_11comp_targetILNS1_3genE4ELNS1_11target_archE910ELNS1_3gpuE8ELNS1_3repE0EEENS1_30default_config_static_selectorELNS0_4arch9wavefront6targetE1EEEvSW_: ; @_ZN7rocprim17ROCPRIM_400000_NS6detail17trampoline_kernelINS0_14default_configENS1_22reduce_config_selectorIlEEZNS1_11reduce_implILb1ES3_N6thrust23THRUST_200600_302600_NS11hip_rocprim26transform_input_iterator_tIlNS8_12zip_iteratorINS8_5tupleINS8_6detail15normal_iteratorINS8_10device_ptrIyEEEESH_NS8_9null_typeESI_SI_SI_SI_SI_SI_SI_EEEENS9_21zip_adj_not_predicateINS8_8equal_toIyEEEEEEPllNS8_4plusIlEEEE10hipError_tPvRmT1_T2_T3_mT4_P12ihipStream_tbEUlT_E1_NS1_11comp_targetILNS1_3genE4ELNS1_11target_archE910ELNS1_3gpuE8ELNS1_3repE0EEENS1_30default_config_static_selectorELNS0_4arch9wavefront6targetE1EEEvSW_
; %bb.0:
	.section	.rodata,"a",@progbits
	.p2align	6, 0x0
	.amdhsa_kernel _ZN7rocprim17ROCPRIM_400000_NS6detail17trampoline_kernelINS0_14default_configENS1_22reduce_config_selectorIlEEZNS1_11reduce_implILb1ES3_N6thrust23THRUST_200600_302600_NS11hip_rocprim26transform_input_iterator_tIlNS8_12zip_iteratorINS8_5tupleINS8_6detail15normal_iteratorINS8_10device_ptrIyEEEESH_NS8_9null_typeESI_SI_SI_SI_SI_SI_SI_EEEENS9_21zip_adj_not_predicateINS8_8equal_toIyEEEEEEPllNS8_4plusIlEEEE10hipError_tPvRmT1_T2_T3_mT4_P12ihipStream_tbEUlT_E1_NS1_11comp_targetILNS1_3genE4ELNS1_11target_archE910ELNS1_3gpuE8ELNS1_3repE0EEENS1_30default_config_static_selectorELNS0_4arch9wavefront6targetE1EEEvSW_
		.amdhsa_group_segment_fixed_size 0
		.amdhsa_private_segment_fixed_size 0
		.amdhsa_kernarg_size 64
		.amdhsa_user_sgpr_count 6
		.amdhsa_user_sgpr_private_segment_buffer 1
		.amdhsa_user_sgpr_dispatch_ptr 0
		.amdhsa_user_sgpr_queue_ptr 0
		.amdhsa_user_sgpr_kernarg_segment_ptr 1
		.amdhsa_user_sgpr_dispatch_id 0
		.amdhsa_user_sgpr_flat_scratch_init 0
		.amdhsa_user_sgpr_private_segment_size 0
		.amdhsa_uses_dynamic_stack 0
		.amdhsa_system_sgpr_private_segment_wavefront_offset 0
		.amdhsa_system_sgpr_workgroup_id_x 1
		.amdhsa_system_sgpr_workgroup_id_y 0
		.amdhsa_system_sgpr_workgroup_id_z 0
		.amdhsa_system_sgpr_workgroup_info 0
		.amdhsa_system_vgpr_workitem_id 0
		.amdhsa_next_free_vgpr 1
		.amdhsa_next_free_sgpr 0
		.amdhsa_reserve_vcc 0
		.amdhsa_reserve_flat_scratch 0
		.amdhsa_float_round_mode_32 0
		.amdhsa_float_round_mode_16_64 0
		.amdhsa_float_denorm_mode_32 3
		.amdhsa_float_denorm_mode_16_64 3
		.amdhsa_dx10_clamp 1
		.amdhsa_ieee_mode 1
		.amdhsa_fp16_overflow 0
		.amdhsa_exception_fp_ieee_invalid_op 0
		.amdhsa_exception_fp_denorm_src 0
		.amdhsa_exception_fp_ieee_div_zero 0
		.amdhsa_exception_fp_ieee_overflow 0
		.amdhsa_exception_fp_ieee_underflow 0
		.amdhsa_exception_fp_ieee_inexact 0
		.amdhsa_exception_int_div_zero 0
	.end_amdhsa_kernel
	.section	.text._ZN7rocprim17ROCPRIM_400000_NS6detail17trampoline_kernelINS0_14default_configENS1_22reduce_config_selectorIlEEZNS1_11reduce_implILb1ES3_N6thrust23THRUST_200600_302600_NS11hip_rocprim26transform_input_iterator_tIlNS8_12zip_iteratorINS8_5tupleINS8_6detail15normal_iteratorINS8_10device_ptrIyEEEESH_NS8_9null_typeESI_SI_SI_SI_SI_SI_SI_EEEENS9_21zip_adj_not_predicateINS8_8equal_toIyEEEEEEPllNS8_4plusIlEEEE10hipError_tPvRmT1_T2_T3_mT4_P12ihipStream_tbEUlT_E1_NS1_11comp_targetILNS1_3genE4ELNS1_11target_archE910ELNS1_3gpuE8ELNS1_3repE0EEENS1_30default_config_static_selectorELNS0_4arch9wavefront6targetE1EEEvSW_,"axG",@progbits,_ZN7rocprim17ROCPRIM_400000_NS6detail17trampoline_kernelINS0_14default_configENS1_22reduce_config_selectorIlEEZNS1_11reduce_implILb1ES3_N6thrust23THRUST_200600_302600_NS11hip_rocprim26transform_input_iterator_tIlNS8_12zip_iteratorINS8_5tupleINS8_6detail15normal_iteratorINS8_10device_ptrIyEEEESH_NS8_9null_typeESI_SI_SI_SI_SI_SI_SI_EEEENS9_21zip_adj_not_predicateINS8_8equal_toIyEEEEEEPllNS8_4plusIlEEEE10hipError_tPvRmT1_T2_T3_mT4_P12ihipStream_tbEUlT_E1_NS1_11comp_targetILNS1_3genE4ELNS1_11target_archE910ELNS1_3gpuE8ELNS1_3repE0EEENS1_30default_config_static_selectorELNS0_4arch9wavefront6targetE1EEEvSW_,comdat
.Lfunc_end826:
	.size	_ZN7rocprim17ROCPRIM_400000_NS6detail17trampoline_kernelINS0_14default_configENS1_22reduce_config_selectorIlEEZNS1_11reduce_implILb1ES3_N6thrust23THRUST_200600_302600_NS11hip_rocprim26transform_input_iterator_tIlNS8_12zip_iteratorINS8_5tupleINS8_6detail15normal_iteratorINS8_10device_ptrIyEEEESH_NS8_9null_typeESI_SI_SI_SI_SI_SI_SI_EEEENS9_21zip_adj_not_predicateINS8_8equal_toIyEEEEEEPllNS8_4plusIlEEEE10hipError_tPvRmT1_T2_T3_mT4_P12ihipStream_tbEUlT_E1_NS1_11comp_targetILNS1_3genE4ELNS1_11target_archE910ELNS1_3gpuE8ELNS1_3repE0EEENS1_30default_config_static_selectorELNS0_4arch9wavefront6targetE1EEEvSW_, .Lfunc_end826-_ZN7rocprim17ROCPRIM_400000_NS6detail17trampoline_kernelINS0_14default_configENS1_22reduce_config_selectorIlEEZNS1_11reduce_implILb1ES3_N6thrust23THRUST_200600_302600_NS11hip_rocprim26transform_input_iterator_tIlNS8_12zip_iteratorINS8_5tupleINS8_6detail15normal_iteratorINS8_10device_ptrIyEEEESH_NS8_9null_typeESI_SI_SI_SI_SI_SI_SI_EEEENS9_21zip_adj_not_predicateINS8_8equal_toIyEEEEEEPllNS8_4plusIlEEEE10hipError_tPvRmT1_T2_T3_mT4_P12ihipStream_tbEUlT_E1_NS1_11comp_targetILNS1_3genE4ELNS1_11target_archE910ELNS1_3gpuE8ELNS1_3repE0EEENS1_30default_config_static_selectorELNS0_4arch9wavefront6targetE1EEEvSW_
                                        ; -- End function
	.set _ZN7rocprim17ROCPRIM_400000_NS6detail17trampoline_kernelINS0_14default_configENS1_22reduce_config_selectorIlEEZNS1_11reduce_implILb1ES3_N6thrust23THRUST_200600_302600_NS11hip_rocprim26transform_input_iterator_tIlNS8_12zip_iteratorINS8_5tupleINS8_6detail15normal_iteratorINS8_10device_ptrIyEEEESH_NS8_9null_typeESI_SI_SI_SI_SI_SI_SI_EEEENS9_21zip_adj_not_predicateINS8_8equal_toIyEEEEEEPllNS8_4plusIlEEEE10hipError_tPvRmT1_T2_T3_mT4_P12ihipStream_tbEUlT_E1_NS1_11comp_targetILNS1_3genE4ELNS1_11target_archE910ELNS1_3gpuE8ELNS1_3repE0EEENS1_30default_config_static_selectorELNS0_4arch9wavefront6targetE1EEEvSW_.num_vgpr, 0
	.set _ZN7rocprim17ROCPRIM_400000_NS6detail17trampoline_kernelINS0_14default_configENS1_22reduce_config_selectorIlEEZNS1_11reduce_implILb1ES3_N6thrust23THRUST_200600_302600_NS11hip_rocprim26transform_input_iterator_tIlNS8_12zip_iteratorINS8_5tupleINS8_6detail15normal_iteratorINS8_10device_ptrIyEEEESH_NS8_9null_typeESI_SI_SI_SI_SI_SI_SI_EEEENS9_21zip_adj_not_predicateINS8_8equal_toIyEEEEEEPllNS8_4plusIlEEEE10hipError_tPvRmT1_T2_T3_mT4_P12ihipStream_tbEUlT_E1_NS1_11comp_targetILNS1_3genE4ELNS1_11target_archE910ELNS1_3gpuE8ELNS1_3repE0EEENS1_30default_config_static_selectorELNS0_4arch9wavefront6targetE1EEEvSW_.num_agpr, 0
	.set _ZN7rocprim17ROCPRIM_400000_NS6detail17trampoline_kernelINS0_14default_configENS1_22reduce_config_selectorIlEEZNS1_11reduce_implILb1ES3_N6thrust23THRUST_200600_302600_NS11hip_rocprim26transform_input_iterator_tIlNS8_12zip_iteratorINS8_5tupleINS8_6detail15normal_iteratorINS8_10device_ptrIyEEEESH_NS8_9null_typeESI_SI_SI_SI_SI_SI_SI_EEEENS9_21zip_adj_not_predicateINS8_8equal_toIyEEEEEEPllNS8_4plusIlEEEE10hipError_tPvRmT1_T2_T3_mT4_P12ihipStream_tbEUlT_E1_NS1_11comp_targetILNS1_3genE4ELNS1_11target_archE910ELNS1_3gpuE8ELNS1_3repE0EEENS1_30default_config_static_selectorELNS0_4arch9wavefront6targetE1EEEvSW_.numbered_sgpr, 0
	.set _ZN7rocprim17ROCPRIM_400000_NS6detail17trampoline_kernelINS0_14default_configENS1_22reduce_config_selectorIlEEZNS1_11reduce_implILb1ES3_N6thrust23THRUST_200600_302600_NS11hip_rocprim26transform_input_iterator_tIlNS8_12zip_iteratorINS8_5tupleINS8_6detail15normal_iteratorINS8_10device_ptrIyEEEESH_NS8_9null_typeESI_SI_SI_SI_SI_SI_SI_EEEENS9_21zip_adj_not_predicateINS8_8equal_toIyEEEEEEPllNS8_4plusIlEEEE10hipError_tPvRmT1_T2_T3_mT4_P12ihipStream_tbEUlT_E1_NS1_11comp_targetILNS1_3genE4ELNS1_11target_archE910ELNS1_3gpuE8ELNS1_3repE0EEENS1_30default_config_static_selectorELNS0_4arch9wavefront6targetE1EEEvSW_.num_named_barrier, 0
	.set _ZN7rocprim17ROCPRIM_400000_NS6detail17trampoline_kernelINS0_14default_configENS1_22reduce_config_selectorIlEEZNS1_11reduce_implILb1ES3_N6thrust23THRUST_200600_302600_NS11hip_rocprim26transform_input_iterator_tIlNS8_12zip_iteratorINS8_5tupleINS8_6detail15normal_iteratorINS8_10device_ptrIyEEEESH_NS8_9null_typeESI_SI_SI_SI_SI_SI_SI_EEEENS9_21zip_adj_not_predicateINS8_8equal_toIyEEEEEEPllNS8_4plusIlEEEE10hipError_tPvRmT1_T2_T3_mT4_P12ihipStream_tbEUlT_E1_NS1_11comp_targetILNS1_3genE4ELNS1_11target_archE910ELNS1_3gpuE8ELNS1_3repE0EEENS1_30default_config_static_selectorELNS0_4arch9wavefront6targetE1EEEvSW_.private_seg_size, 0
	.set _ZN7rocprim17ROCPRIM_400000_NS6detail17trampoline_kernelINS0_14default_configENS1_22reduce_config_selectorIlEEZNS1_11reduce_implILb1ES3_N6thrust23THRUST_200600_302600_NS11hip_rocprim26transform_input_iterator_tIlNS8_12zip_iteratorINS8_5tupleINS8_6detail15normal_iteratorINS8_10device_ptrIyEEEESH_NS8_9null_typeESI_SI_SI_SI_SI_SI_SI_EEEENS9_21zip_adj_not_predicateINS8_8equal_toIyEEEEEEPllNS8_4plusIlEEEE10hipError_tPvRmT1_T2_T3_mT4_P12ihipStream_tbEUlT_E1_NS1_11comp_targetILNS1_3genE4ELNS1_11target_archE910ELNS1_3gpuE8ELNS1_3repE0EEENS1_30default_config_static_selectorELNS0_4arch9wavefront6targetE1EEEvSW_.uses_vcc, 0
	.set _ZN7rocprim17ROCPRIM_400000_NS6detail17trampoline_kernelINS0_14default_configENS1_22reduce_config_selectorIlEEZNS1_11reduce_implILb1ES3_N6thrust23THRUST_200600_302600_NS11hip_rocprim26transform_input_iterator_tIlNS8_12zip_iteratorINS8_5tupleINS8_6detail15normal_iteratorINS8_10device_ptrIyEEEESH_NS8_9null_typeESI_SI_SI_SI_SI_SI_SI_EEEENS9_21zip_adj_not_predicateINS8_8equal_toIyEEEEEEPllNS8_4plusIlEEEE10hipError_tPvRmT1_T2_T3_mT4_P12ihipStream_tbEUlT_E1_NS1_11comp_targetILNS1_3genE4ELNS1_11target_archE910ELNS1_3gpuE8ELNS1_3repE0EEENS1_30default_config_static_selectorELNS0_4arch9wavefront6targetE1EEEvSW_.uses_flat_scratch, 0
	.set _ZN7rocprim17ROCPRIM_400000_NS6detail17trampoline_kernelINS0_14default_configENS1_22reduce_config_selectorIlEEZNS1_11reduce_implILb1ES3_N6thrust23THRUST_200600_302600_NS11hip_rocprim26transform_input_iterator_tIlNS8_12zip_iteratorINS8_5tupleINS8_6detail15normal_iteratorINS8_10device_ptrIyEEEESH_NS8_9null_typeESI_SI_SI_SI_SI_SI_SI_EEEENS9_21zip_adj_not_predicateINS8_8equal_toIyEEEEEEPllNS8_4plusIlEEEE10hipError_tPvRmT1_T2_T3_mT4_P12ihipStream_tbEUlT_E1_NS1_11comp_targetILNS1_3genE4ELNS1_11target_archE910ELNS1_3gpuE8ELNS1_3repE0EEENS1_30default_config_static_selectorELNS0_4arch9wavefront6targetE1EEEvSW_.has_dyn_sized_stack, 0
	.set _ZN7rocprim17ROCPRIM_400000_NS6detail17trampoline_kernelINS0_14default_configENS1_22reduce_config_selectorIlEEZNS1_11reduce_implILb1ES3_N6thrust23THRUST_200600_302600_NS11hip_rocprim26transform_input_iterator_tIlNS8_12zip_iteratorINS8_5tupleINS8_6detail15normal_iteratorINS8_10device_ptrIyEEEESH_NS8_9null_typeESI_SI_SI_SI_SI_SI_SI_EEEENS9_21zip_adj_not_predicateINS8_8equal_toIyEEEEEEPllNS8_4plusIlEEEE10hipError_tPvRmT1_T2_T3_mT4_P12ihipStream_tbEUlT_E1_NS1_11comp_targetILNS1_3genE4ELNS1_11target_archE910ELNS1_3gpuE8ELNS1_3repE0EEENS1_30default_config_static_selectorELNS0_4arch9wavefront6targetE1EEEvSW_.has_recursion, 0
	.set _ZN7rocprim17ROCPRIM_400000_NS6detail17trampoline_kernelINS0_14default_configENS1_22reduce_config_selectorIlEEZNS1_11reduce_implILb1ES3_N6thrust23THRUST_200600_302600_NS11hip_rocprim26transform_input_iterator_tIlNS8_12zip_iteratorINS8_5tupleINS8_6detail15normal_iteratorINS8_10device_ptrIyEEEESH_NS8_9null_typeESI_SI_SI_SI_SI_SI_SI_EEEENS9_21zip_adj_not_predicateINS8_8equal_toIyEEEEEEPllNS8_4plusIlEEEE10hipError_tPvRmT1_T2_T3_mT4_P12ihipStream_tbEUlT_E1_NS1_11comp_targetILNS1_3genE4ELNS1_11target_archE910ELNS1_3gpuE8ELNS1_3repE0EEENS1_30default_config_static_selectorELNS0_4arch9wavefront6targetE1EEEvSW_.has_indirect_call, 0
	.section	.AMDGPU.csdata,"",@progbits
; Kernel info:
; codeLenInByte = 0
; TotalNumSgprs: 4
; NumVgprs: 0
; ScratchSize: 0
; MemoryBound: 0
; FloatMode: 240
; IeeeMode: 1
; LDSByteSize: 0 bytes/workgroup (compile time only)
; SGPRBlocks: 0
; VGPRBlocks: 0
; NumSGPRsForWavesPerEU: 4
; NumVGPRsForWavesPerEU: 1
; Occupancy: 10
; WaveLimiterHint : 0
; COMPUTE_PGM_RSRC2:SCRATCH_EN: 0
; COMPUTE_PGM_RSRC2:USER_SGPR: 6
; COMPUTE_PGM_RSRC2:TRAP_HANDLER: 0
; COMPUTE_PGM_RSRC2:TGID_X_EN: 1
; COMPUTE_PGM_RSRC2:TGID_Y_EN: 0
; COMPUTE_PGM_RSRC2:TGID_Z_EN: 0
; COMPUTE_PGM_RSRC2:TIDIG_COMP_CNT: 0
	.section	.text._ZN7rocprim17ROCPRIM_400000_NS6detail17trampoline_kernelINS0_14default_configENS1_22reduce_config_selectorIlEEZNS1_11reduce_implILb1ES3_N6thrust23THRUST_200600_302600_NS11hip_rocprim26transform_input_iterator_tIlNS8_12zip_iteratorINS8_5tupleINS8_6detail15normal_iteratorINS8_10device_ptrIyEEEESH_NS8_9null_typeESI_SI_SI_SI_SI_SI_SI_EEEENS9_21zip_adj_not_predicateINS8_8equal_toIyEEEEEEPllNS8_4plusIlEEEE10hipError_tPvRmT1_T2_T3_mT4_P12ihipStream_tbEUlT_E1_NS1_11comp_targetILNS1_3genE3ELNS1_11target_archE908ELNS1_3gpuE7ELNS1_3repE0EEENS1_30default_config_static_selectorELNS0_4arch9wavefront6targetE1EEEvSW_,"axG",@progbits,_ZN7rocprim17ROCPRIM_400000_NS6detail17trampoline_kernelINS0_14default_configENS1_22reduce_config_selectorIlEEZNS1_11reduce_implILb1ES3_N6thrust23THRUST_200600_302600_NS11hip_rocprim26transform_input_iterator_tIlNS8_12zip_iteratorINS8_5tupleINS8_6detail15normal_iteratorINS8_10device_ptrIyEEEESH_NS8_9null_typeESI_SI_SI_SI_SI_SI_SI_EEEENS9_21zip_adj_not_predicateINS8_8equal_toIyEEEEEEPllNS8_4plusIlEEEE10hipError_tPvRmT1_T2_T3_mT4_P12ihipStream_tbEUlT_E1_NS1_11comp_targetILNS1_3genE3ELNS1_11target_archE908ELNS1_3gpuE7ELNS1_3repE0EEENS1_30default_config_static_selectorELNS0_4arch9wavefront6targetE1EEEvSW_,comdat
	.protected	_ZN7rocprim17ROCPRIM_400000_NS6detail17trampoline_kernelINS0_14default_configENS1_22reduce_config_selectorIlEEZNS1_11reduce_implILb1ES3_N6thrust23THRUST_200600_302600_NS11hip_rocprim26transform_input_iterator_tIlNS8_12zip_iteratorINS8_5tupleINS8_6detail15normal_iteratorINS8_10device_ptrIyEEEESH_NS8_9null_typeESI_SI_SI_SI_SI_SI_SI_EEEENS9_21zip_adj_not_predicateINS8_8equal_toIyEEEEEEPllNS8_4plusIlEEEE10hipError_tPvRmT1_T2_T3_mT4_P12ihipStream_tbEUlT_E1_NS1_11comp_targetILNS1_3genE3ELNS1_11target_archE908ELNS1_3gpuE7ELNS1_3repE0EEENS1_30default_config_static_selectorELNS0_4arch9wavefront6targetE1EEEvSW_ ; -- Begin function _ZN7rocprim17ROCPRIM_400000_NS6detail17trampoline_kernelINS0_14default_configENS1_22reduce_config_selectorIlEEZNS1_11reduce_implILb1ES3_N6thrust23THRUST_200600_302600_NS11hip_rocprim26transform_input_iterator_tIlNS8_12zip_iteratorINS8_5tupleINS8_6detail15normal_iteratorINS8_10device_ptrIyEEEESH_NS8_9null_typeESI_SI_SI_SI_SI_SI_SI_EEEENS9_21zip_adj_not_predicateINS8_8equal_toIyEEEEEEPllNS8_4plusIlEEEE10hipError_tPvRmT1_T2_T3_mT4_P12ihipStream_tbEUlT_E1_NS1_11comp_targetILNS1_3genE3ELNS1_11target_archE908ELNS1_3gpuE7ELNS1_3repE0EEENS1_30default_config_static_selectorELNS0_4arch9wavefront6targetE1EEEvSW_
	.globl	_ZN7rocprim17ROCPRIM_400000_NS6detail17trampoline_kernelINS0_14default_configENS1_22reduce_config_selectorIlEEZNS1_11reduce_implILb1ES3_N6thrust23THRUST_200600_302600_NS11hip_rocprim26transform_input_iterator_tIlNS8_12zip_iteratorINS8_5tupleINS8_6detail15normal_iteratorINS8_10device_ptrIyEEEESH_NS8_9null_typeESI_SI_SI_SI_SI_SI_SI_EEEENS9_21zip_adj_not_predicateINS8_8equal_toIyEEEEEEPllNS8_4plusIlEEEE10hipError_tPvRmT1_T2_T3_mT4_P12ihipStream_tbEUlT_E1_NS1_11comp_targetILNS1_3genE3ELNS1_11target_archE908ELNS1_3gpuE7ELNS1_3repE0EEENS1_30default_config_static_selectorELNS0_4arch9wavefront6targetE1EEEvSW_
	.p2align	8
	.type	_ZN7rocprim17ROCPRIM_400000_NS6detail17trampoline_kernelINS0_14default_configENS1_22reduce_config_selectorIlEEZNS1_11reduce_implILb1ES3_N6thrust23THRUST_200600_302600_NS11hip_rocprim26transform_input_iterator_tIlNS8_12zip_iteratorINS8_5tupleINS8_6detail15normal_iteratorINS8_10device_ptrIyEEEESH_NS8_9null_typeESI_SI_SI_SI_SI_SI_SI_EEEENS9_21zip_adj_not_predicateINS8_8equal_toIyEEEEEEPllNS8_4plusIlEEEE10hipError_tPvRmT1_T2_T3_mT4_P12ihipStream_tbEUlT_E1_NS1_11comp_targetILNS1_3genE3ELNS1_11target_archE908ELNS1_3gpuE7ELNS1_3repE0EEENS1_30default_config_static_selectorELNS0_4arch9wavefront6targetE1EEEvSW_,@function
_ZN7rocprim17ROCPRIM_400000_NS6detail17trampoline_kernelINS0_14default_configENS1_22reduce_config_selectorIlEEZNS1_11reduce_implILb1ES3_N6thrust23THRUST_200600_302600_NS11hip_rocprim26transform_input_iterator_tIlNS8_12zip_iteratorINS8_5tupleINS8_6detail15normal_iteratorINS8_10device_ptrIyEEEESH_NS8_9null_typeESI_SI_SI_SI_SI_SI_SI_EEEENS9_21zip_adj_not_predicateINS8_8equal_toIyEEEEEEPllNS8_4plusIlEEEE10hipError_tPvRmT1_T2_T3_mT4_P12ihipStream_tbEUlT_E1_NS1_11comp_targetILNS1_3genE3ELNS1_11target_archE908ELNS1_3gpuE7ELNS1_3repE0EEENS1_30default_config_static_selectorELNS0_4arch9wavefront6targetE1EEEvSW_: ; @_ZN7rocprim17ROCPRIM_400000_NS6detail17trampoline_kernelINS0_14default_configENS1_22reduce_config_selectorIlEEZNS1_11reduce_implILb1ES3_N6thrust23THRUST_200600_302600_NS11hip_rocprim26transform_input_iterator_tIlNS8_12zip_iteratorINS8_5tupleINS8_6detail15normal_iteratorINS8_10device_ptrIyEEEESH_NS8_9null_typeESI_SI_SI_SI_SI_SI_SI_EEEENS9_21zip_adj_not_predicateINS8_8equal_toIyEEEEEEPllNS8_4plusIlEEEE10hipError_tPvRmT1_T2_T3_mT4_P12ihipStream_tbEUlT_E1_NS1_11comp_targetILNS1_3genE3ELNS1_11target_archE908ELNS1_3gpuE7ELNS1_3repE0EEENS1_30default_config_static_selectorELNS0_4arch9wavefront6targetE1EEEvSW_
; %bb.0:
	.section	.rodata,"a",@progbits
	.p2align	6, 0x0
	.amdhsa_kernel _ZN7rocprim17ROCPRIM_400000_NS6detail17trampoline_kernelINS0_14default_configENS1_22reduce_config_selectorIlEEZNS1_11reduce_implILb1ES3_N6thrust23THRUST_200600_302600_NS11hip_rocprim26transform_input_iterator_tIlNS8_12zip_iteratorINS8_5tupleINS8_6detail15normal_iteratorINS8_10device_ptrIyEEEESH_NS8_9null_typeESI_SI_SI_SI_SI_SI_SI_EEEENS9_21zip_adj_not_predicateINS8_8equal_toIyEEEEEEPllNS8_4plusIlEEEE10hipError_tPvRmT1_T2_T3_mT4_P12ihipStream_tbEUlT_E1_NS1_11comp_targetILNS1_3genE3ELNS1_11target_archE908ELNS1_3gpuE7ELNS1_3repE0EEENS1_30default_config_static_selectorELNS0_4arch9wavefront6targetE1EEEvSW_
		.amdhsa_group_segment_fixed_size 0
		.amdhsa_private_segment_fixed_size 0
		.amdhsa_kernarg_size 64
		.amdhsa_user_sgpr_count 6
		.amdhsa_user_sgpr_private_segment_buffer 1
		.amdhsa_user_sgpr_dispatch_ptr 0
		.amdhsa_user_sgpr_queue_ptr 0
		.amdhsa_user_sgpr_kernarg_segment_ptr 1
		.amdhsa_user_sgpr_dispatch_id 0
		.amdhsa_user_sgpr_flat_scratch_init 0
		.amdhsa_user_sgpr_private_segment_size 0
		.amdhsa_uses_dynamic_stack 0
		.amdhsa_system_sgpr_private_segment_wavefront_offset 0
		.amdhsa_system_sgpr_workgroup_id_x 1
		.amdhsa_system_sgpr_workgroup_id_y 0
		.amdhsa_system_sgpr_workgroup_id_z 0
		.amdhsa_system_sgpr_workgroup_info 0
		.amdhsa_system_vgpr_workitem_id 0
		.amdhsa_next_free_vgpr 1
		.amdhsa_next_free_sgpr 0
		.amdhsa_reserve_vcc 0
		.amdhsa_reserve_flat_scratch 0
		.amdhsa_float_round_mode_32 0
		.amdhsa_float_round_mode_16_64 0
		.amdhsa_float_denorm_mode_32 3
		.amdhsa_float_denorm_mode_16_64 3
		.amdhsa_dx10_clamp 1
		.amdhsa_ieee_mode 1
		.amdhsa_fp16_overflow 0
		.amdhsa_exception_fp_ieee_invalid_op 0
		.amdhsa_exception_fp_denorm_src 0
		.amdhsa_exception_fp_ieee_div_zero 0
		.amdhsa_exception_fp_ieee_overflow 0
		.amdhsa_exception_fp_ieee_underflow 0
		.amdhsa_exception_fp_ieee_inexact 0
		.amdhsa_exception_int_div_zero 0
	.end_amdhsa_kernel
	.section	.text._ZN7rocprim17ROCPRIM_400000_NS6detail17trampoline_kernelINS0_14default_configENS1_22reduce_config_selectorIlEEZNS1_11reduce_implILb1ES3_N6thrust23THRUST_200600_302600_NS11hip_rocprim26transform_input_iterator_tIlNS8_12zip_iteratorINS8_5tupleINS8_6detail15normal_iteratorINS8_10device_ptrIyEEEESH_NS8_9null_typeESI_SI_SI_SI_SI_SI_SI_EEEENS9_21zip_adj_not_predicateINS8_8equal_toIyEEEEEEPllNS8_4plusIlEEEE10hipError_tPvRmT1_T2_T3_mT4_P12ihipStream_tbEUlT_E1_NS1_11comp_targetILNS1_3genE3ELNS1_11target_archE908ELNS1_3gpuE7ELNS1_3repE0EEENS1_30default_config_static_selectorELNS0_4arch9wavefront6targetE1EEEvSW_,"axG",@progbits,_ZN7rocprim17ROCPRIM_400000_NS6detail17trampoline_kernelINS0_14default_configENS1_22reduce_config_selectorIlEEZNS1_11reduce_implILb1ES3_N6thrust23THRUST_200600_302600_NS11hip_rocprim26transform_input_iterator_tIlNS8_12zip_iteratorINS8_5tupleINS8_6detail15normal_iteratorINS8_10device_ptrIyEEEESH_NS8_9null_typeESI_SI_SI_SI_SI_SI_SI_EEEENS9_21zip_adj_not_predicateINS8_8equal_toIyEEEEEEPllNS8_4plusIlEEEE10hipError_tPvRmT1_T2_T3_mT4_P12ihipStream_tbEUlT_E1_NS1_11comp_targetILNS1_3genE3ELNS1_11target_archE908ELNS1_3gpuE7ELNS1_3repE0EEENS1_30default_config_static_selectorELNS0_4arch9wavefront6targetE1EEEvSW_,comdat
.Lfunc_end827:
	.size	_ZN7rocprim17ROCPRIM_400000_NS6detail17trampoline_kernelINS0_14default_configENS1_22reduce_config_selectorIlEEZNS1_11reduce_implILb1ES3_N6thrust23THRUST_200600_302600_NS11hip_rocprim26transform_input_iterator_tIlNS8_12zip_iteratorINS8_5tupleINS8_6detail15normal_iteratorINS8_10device_ptrIyEEEESH_NS8_9null_typeESI_SI_SI_SI_SI_SI_SI_EEEENS9_21zip_adj_not_predicateINS8_8equal_toIyEEEEEEPllNS8_4plusIlEEEE10hipError_tPvRmT1_T2_T3_mT4_P12ihipStream_tbEUlT_E1_NS1_11comp_targetILNS1_3genE3ELNS1_11target_archE908ELNS1_3gpuE7ELNS1_3repE0EEENS1_30default_config_static_selectorELNS0_4arch9wavefront6targetE1EEEvSW_, .Lfunc_end827-_ZN7rocprim17ROCPRIM_400000_NS6detail17trampoline_kernelINS0_14default_configENS1_22reduce_config_selectorIlEEZNS1_11reduce_implILb1ES3_N6thrust23THRUST_200600_302600_NS11hip_rocprim26transform_input_iterator_tIlNS8_12zip_iteratorINS8_5tupleINS8_6detail15normal_iteratorINS8_10device_ptrIyEEEESH_NS8_9null_typeESI_SI_SI_SI_SI_SI_SI_EEEENS9_21zip_adj_not_predicateINS8_8equal_toIyEEEEEEPllNS8_4plusIlEEEE10hipError_tPvRmT1_T2_T3_mT4_P12ihipStream_tbEUlT_E1_NS1_11comp_targetILNS1_3genE3ELNS1_11target_archE908ELNS1_3gpuE7ELNS1_3repE0EEENS1_30default_config_static_selectorELNS0_4arch9wavefront6targetE1EEEvSW_
                                        ; -- End function
	.set _ZN7rocprim17ROCPRIM_400000_NS6detail17trampoline_kernelINS0_14default_configENS1_22reduce_config_selectorIlEEZNS1_11reduce_implILb1ES3_N6thrust23THRUST_200600_302600_NS11hip_rocprim26transform_input_iterator_tIlNS8_12zip_iteratorINS8_5tupleINS8_6detail15normal_iteratorINS8_10device_ptrIyEEEESH_NS8_9null_typeESI_SI_SI_SI_SI_SI_SI_EEEENS9_21zip_adj_not_predicateINS8_8equal_toIyEEEEEEPllNS8_4plusIlEEEE10hipError_tPvRmT1_T2_T3_mT4_P12ihipStream_tbEUlT_E1_NS1_11comp_targetILNS1_3genE3ELNS1_11target_archE908ELNS1_3gpuE7ELNS1_3repE0EEENS1_30default_config_static_selectorELNS0_4arch9wavefront6targetE1EEEvSW_.num_vgpr, 0
	.set _ZN7rocprim17ROCPRIM_400000_NS6detail17trampoline_kernelINS0_14default_configENS1_22reduce_config_selectorIlEEZNS1_11reduce_implILb1ES3_N6thrust23THRUST_200600_302600_NS11hip_rocprim26transform_input_iterator_tIlNS8_12zip_iteratorINS8_5tupleINS8_6detail15normal_iteratorINS8_10device_ptrIyEEEESH_NS8_9null_typeESI_SI_SI_SI_SI_SI_SI_EEEENS9_21zip_adj_not_predicateINS8_8equal_toIyEEEEEEPllNS8_4plusIlEEEE10hipError_tPvRmT1_T2_T3_mT4_P12ihipStream_tbEUlT_E1_NS1_11comp_targetILNS1_3genE3ELNS1_11target_archE908ELNS1_3gpuE7ELNS1_3repE0EEENS1_30default_config_static_selectorELNS0_4arch9wavefront6targetE1EEEvSW_.num_agpr, 0
	.set _ZN7rocprim17ROCPRIM_400000_NS6detail17trampoline_kernelINS0_14default_configENS1_22reduce_config_selectorIlEEZNS1_11reduce_implILb1ES3_N6thrust23THRUST_200600_302600_NS11hip_rocprim26transform_input_iterator_tIlNS8_12zip_iteratorINS8_5tupleINS8_6detail15normal_iteratorINS8_10device_ptrIyEEEESH_NS8_9null_typeESI_SI_SI_SI_SI_SI_SI_EEEENS9_21zip_adj_not_predicateINS8_8equal_toIyEEEEEEPllNS8_4plusIlEEEE10hipError_tPvRmT1_T2_T3_mT4_P12ihipStream_tbEUlT_E1_NS1_11comp_targetILNS1_3genE3ELNS1_11target_archE908ELNS1_3gpuE7ELNS1_3repE0EEENS1_30default_config_static_selectorELNS0_4arch9wavefront6targetE1EEEvSW_.numbered_sgpr, 0
	.set _ZN7rocprim17ROCPRIM_400000_NS6detail17trampoline_kernelINS0_14default_configENS1_22reduce_config_selectorIlEEZNS1_11reduce_implILb1ES3_N6thrust23THRUST_200600_302600_NS11hip_rocprim26transform_input_iterator_tIlNS8_12zip_iteratorINS8_5tupleINS8_6detail15normal_iteratorINS8_10device_ptrIyEEEESH_NS8_9null_typeESI_SI_SI_SI_SI_SI_SI_EEEENS9_21zip_adj_not_predicateINS8_8equal_toIyEEEEEEPllNS8_4plusIlEEEE10hipError_tPvRmT1_T2_T3_mT4_P12ihipStream_tbEUlT_E1_NS1_11comp_targetILNS1_3genE3ELNS1_11target_archE908ELNS1_3gpuE7ELNS1_3repE0EEENS1_30default_config_static_selectorELNS0_4arch9wavefront6targetE1EEEvSW_.num_named_barrier, 0
	.set _ZN7rocprim17ROCPRIM_400000_NS6detail17trampoline_kernelINS0_14default_configENS1_22reduce_config_selectorIlEEZNS1_11reduce_implILb1ES3_N6thrust23THRUST_200600_302600_NS11hip_rocprim26transform_input_iterator_tIlNS8_12zip_iteratorINS8_5tupleINS8_6detail15normal_iteratorINS8_10device_ptrIyEEEESH_NS8_9null_typeESI_SI_SI_SI_SI_SI_SI_EEEENS9_21zip_adj_not_predicateINS8_8equal_toIyEEEEEEPllNS8_4plusIlEEEE10hipError_tPvRmT1_T2_T3_mT4_P12ihipStream_tbEUlT_E1_NS1_11comp_targetILNS1_3genE3ELNS1_11target_archE908ELNS1_3gpuE7ELNS1_3repE0EEENS1_30default_config_static_selectorELNS0_4arch9wavefront6targetE1EEEvSW_.private_seg_size, 0
	.set _ZN7rocprim17ROCPRIM_400000_NS6detail17trampoline_kernelINS0_14default_configENS1_22reduce_config_selectorIlEEZNS1_11reduce_implILb1ES3_N6thrust23THRUST_200600_302600_NS11hip_rocprim26transform_input_iterator_tIlNS8_12zip_iteratorINS8_5tupleINS8_6detail15normal_iteratorINS8_10device_ptrIyEEEESH_NS8_9null_typeESI_SI_SI_SI_SI_SI_SI_EEEENS9_21zip_adj_not_predicateINS8_8equal_toIyEEEEEEPllNS8_4plusIlEEEE10hipError_tPvRmT1_T2_T3_mT4_P12ihipStream_tbEUlT_E1_NS1_11comp_targetILNS1_3genE3ELNS1_11target_archE908ELNS1_3gpuE7ELNS1_3repE0EEENS1_30default_config_static_selectorELNS0_4arch9wavefront6targetE1EEEvSW_.uses_vcc, 0
	.set _ZN7rocprim17ROCPRIM_400000_NS6detail17trampoline_kernelINS0_14default_configENS1_22reduce_config_selectorIlEEZNS1_11reduce_implILb1ES3_N6thrust23THRUST_200600_302600_NS11hip_rocprim26transform_input_iterator_tIlNS8_12zip_iteratorINS8_5tupleINS8_6detail15normal_iteratorINS8_10device_ptrIyEEEESH_NS8_9null_typeESI_SI_SI_SI_SI_SI_SI_EEEENS9_21zip_adj_not_predicateINS8_8equal_toIyEEEEEEPllNS8_4plusIlEEEE10hipError_tPvRmT1_T2_T3_mT4_P12ihipStream_tbEUlT_E1_NS1_11comp_targetILNS1_3genE3ELNS1_11target_archE908ELNS1_3gpuE7ELNS1_3repE0EEENS1_30default_config_static_selectorELNS0_4arch9wavefront6targetE1EEEvSW_.uses_flat_scratch, 0
	.set _ZN7rocprim17ROCPRIM_400000_NS6detail17trampoline_kernelINS0_14default_configENS1_22reduce_config_selectorIlEEZNS1_11reduce_implILb1ES3_N6thrust23THRUST_200600_302600_NS11hip_rocprim26transform_input_iterator_tIlNS8_12zip_iteratorINS8_5tupleINS8_6detail15normal_iteratorINS8_10device_ptrIyEEEESH_NS8_9null_typeESI_SI_SI_SI_SI_SI_SI_EEEENS9_21zip_adj_not_predicateINS8_8equal_toIyEEEEEEPllNS8_4plusIlEEEE10hipError_tPvRmT1_T2_T3_mT4_P12ihipStream_tbEUlT_E1_NS1_11comp_targetILNS1_3genE3ELNS1_11target_archE908ELNS1_3gpuE7ELNS1_3repE0EEENS1_30default_config_static_selectorELNS0_4arch9wavefront6targetE1EEEvSW_.has_dyn_sized_stack, 0
	.set _ZN7rocprim17ROCPRIM_400000_NS6detail17trampoline_kernelINS0_14default_configENS1_22reduce_config_selectorIlEEZNS1_11reduce_implILb1ES3_N6thrust23THRUST_200600_302600_NS11hip_rocprim26transform_input_iterator_tIlNS8_12zip_iteratorINS8_5tupleINS8_6detail15normal_iteratorINS8_10device_ptrIyEEEESH_NS8_9null_typeESI_SI_SI_SI_SI_SI_SI_EEEENS9_21zip_adj_not_predicateINS8_8equal_toIyEEEEEEPllNS8_4plusIlEEEE10hipError_tPvRmT1_T2_T3_mT4_P12ihipStream_tbEUlT_E1_NS1_11comp_targetILNS1_3genE3ELNS1_11target_archE908ELNS1_3gpuE7ELNS1_3repE0EEENS1_30default_config_static_selectorELNS0_4arch9wavefront6targetE1EEEvSW_.has_recursion, 0
	.set _ZN7rocprim17ROCPRIM_400000_NS6detail17trampoline_kernelINS0_14default_configENS1_22reduce_config_selectorIlEEZNS1_11reduce_implILb1ES3_N6thrust23THRUST_200600_302600_NS11hip_rocprim26transform_input_iterator_tIlNS8_12zip_iteratorINS8_5tupleINS8_6detail15normal_iteratorINS8_10device_ptrIyEEEESH_NS8_9null_typeESI_SI_SI_SI_SI_SI_SI_EEEENS9_21zip_adj_not_predicateINS8_8equal_toIyEEEEEEPllNS8_4plusIlEEEE10hipError_tPvRmT1_T2_T3_mT4_P12ihipStream_tbEUlT_E1_NS1_11comp_targetILNS1_3genE3ELNS1_11target_archE908ELNS1_3gpuE7ELNS1_3repE0EEENS1_30default_config_static_selectorELNS0_4arch9wavefront6targetE1EEEvSW_.has_indirect_call, 0
	.section	.AMDGPU.csdata,"",@progbits
; Kernel info:
; codeLenInByte = 0
; TotalNumSgprs: 4
; NumVgprs: 0
; ScratchSize: 0
; MemoryBound: 0
; FloatMode: 240
; IeeeMode: 1
; LDSByteSize: 0 bytes/workgroup (compile time only)
; SGPRBlocks: 0
; VGPRBlocks: 0
; NumSGPRsForWavesPerEU: 4
; NumVGPRsForWavesPerEU: 1
; Occupancy: 10
; WaveLimiterHint : 0
; COMPUTE_PGM_RSRC2:SCRATCH_EN: 0
; COMPUTE_PGM_RSRC2:USER_SGPR: 6
; COMPUTE_PGM_RSRC2:TRAP_HANDLER: 0
; COMPUTE_PGM_RSRC2:TGID_X_EN: 1
; COMPUTE_PGM_RSRC2:TGID_Y_EN: 0
; COMPUTE_PGM_RSRC2:TGID_Z_EN: 0
; COMPUTE_PGM_RSRC2:TIDIG_COMP_CNT: 0
	.section	.text._ZN7rocprim17ROCPRIM_400000_NS6detail17trampoline_kernelINS0_14default_configENS1_22reduce_config_selectorIlEEZNS1_11reduce_implILb1ES3_N6thrust23THRUST_200600_302600_NS11hip_rocprim26transform_input_iterator_tIlNS8_12zip_iteratorINS8_5tupleINS8_6detail15normal_iteratorINS8_10device_ptrIyEEEESH_NS8_9null_typeESI_SI_SI_SI_SI_SI_SI_EEEENS9_21zip_adj_not_predicateINS8_8equal_toIyEEEEEEPllNS8_4plusIlEEEE10hipError_tPvRmT1_T2_T3_mT4_P12ihipStream_tbEUlT_E1_NS1_11comp_targetILNS1_3genE2ELNS1_11target_archE906ELNS1_3gpuE6ELNS1_3repE0EEENS1_30default_config_static_selectorELNS0_4arch9wavefront6targetE1EEEvSW_,"axG",@progbits,_ZN7rocprim17ROCPRIM_400000_NS6detail17trampoline_kernelINS0_14default_configENS1_22reduce_config_selectorIlEEZNS1_11reduce_implILb1ES3_N6thrust23THRUST_200600_302600_NS11hip_rocprim26transform_input_iterator_tIlNS8_12zip_iteratorINS8_5tupleINS8_6detail15normal_iteratorINS8_10device_ptrIyEEEESH_NS8_9null_typeESI_SI_SI_SI_SI_SI_SI_EEEENS9_21zip_adj_not_predicateINS8_8equal_toIyEEEEEEPllNS8_4plusIlEEEE10hipError_tPvRmT1_T2_T3_mT4_P12ihipStream_tbEUlT_E1_NS1_11comp_targetILNS1_3genE2ELNS1_11target_archE906ELNS1_3gpuE6ELNS1_3repE0EEENS1_30default_config_static_selectorELNS0_4arch9wavefront6targetE1EEEvSW_,comdat
	.protected	_ZN7rocprim17ROCPRIM_400000_NS6detail17trampoline_kernelINS0_14default_configENS1_22reduce_config_selectorIlEEZNS1_11reduce_implILb1ES3_N6thrust23THRUST_200600_302600_NS11hip_rocprim26transform_input_iterator_tIlNS8_12zip_iteratorINS8_5tupleINS8_6detail15normal_iteratorINS8_10device_ptrIyEEEESH_NS8_9null_typeESI_SI_SI_SI_SI_SI_SI_EEEENS9_21zip_adj_not_predicateINS8_8equal_toIyEEEEEEPllNS8_4plusIlEEEE10hipError_tPvRmT1_T2_T3_mT4_P12ihipStream_tbEUlT_E1_NS1_11comp_targetILNS1_3genE2ELNS1_11target_archE906ELNS1_3gpuE6ELNS1_3repE0EEENS1_30default_config_static_selectorELNS0_4arch9wavefront6targetE1EEEvSW_ ; -- Begin function _ZN7rocprim17ROCPRIM_400000_NS6detail17trampoline_kernelINS0_14default_configENS1_22reduce_config_selectorIlEEZNS1_11reduce_implILb1ES3_N6thrust23THRUST_200600_302600_NS11hip_rocprim26transform_input_iterator_tIlNS8_12zip_iteratorINS8_5tupleINS8_6detail15normal_iteratorINS8_10device_ptrIyEEEESH_NS8_9null_typeESI_SI_SI_SI_SI_SI_SI_EEEENS9_21zip_adj_not_predicateINS8_8equal_toIyEEEEEEPllNS8_4plusIlEEEE10hipError_tPvRmT1_T2_T3_mT4_P12ihipStream_tbEUlT_E1_NS1_11comp_targetILNS1_3genE2ELNS1_11target_archE906ELNS1_3gpuE6ELNS1_3repE0EEENS1_30default_config_static_selectorELNS0_4arch9wavefront6targetE1EEEvSW_
	.globl	_ZN7rocprim17ROCPRIM_400000_NS6detail17trampoline_kernelINS0_14default_configENS1_22reduce_config_selectorIlEEZNS1_11reduce_implILb1ES3_N6thrust23THRUST_200600_302600_NS11hip_rocprim26transform_input_iterator_tIlNS8_12zip_iteratorINS8_5tupleINS8_6detail15normal_iteratorINS8_10device_ptrIyEEEESH_NS8_9null_typeESI_SI_SI_SI_SI_SI_SI_EEEENS9_21zip_adj_not_predicateINS8_8equal_toIyEEEEEEPllNS8_4plusIlEEEE10hipError_tPvRmT1_T2_T3_mT4_P12ihipStream_tbEUlT_E1_NS1_11comp_targetILNS1_3genE2ELNS1_11target_archE906ELNS1_3gpuE6ELNS1_3repE0EEENS1_30default_config_static_selectorELNS0_4arch9wavefront6targetE1EEEvSW_
	.p2align	8
	.type	_ZN7rocprim17ROCPRIM_400000_NS6detail17trampoline_kernelINS0_14default_configENS1_22reduce_config_selectorIlEEZNS1_11reduce_implILb1ES3_N6thrust23THRUST_200600_302600_NS11hip_rocprim26transform_input_iterator_tIlNS8_12zip_iteratorINS8_5tupleINS8_6detail15normal_iteratorINS8_10device_ptrIyEEEESH_NS8_9null_typeESI_SI_SI_SI_SI_SI_SI_EEEENS9_21zip_adj_not_predicateINS8_8equal_toIyEEEEEEPllNS8_4plusIlEEEE10hipError_tPvRmT1_T2_T3_mT4_P12ihipStream_tbEUlT_E1_NS1_11comp_targetILNS1_3genE2ELNS1_11target_archE906ELNS1_3gpuE6ELNS1_3repE0EEENS1_30default_config_static_selectorELNS0_4arch9wavefront6targetE1EEEvSW_,@function
_ZN7rocprim17ROCPRIM_400000_NS6detail17trampoline_kernelINS0_14default_configENS1_22reduce_config_selectorIlEEZNS1_11reduce_implILb1ES3_N6thrust23THRUST_200600_302600_NS11hip_rocprim26transform_input_iterator_tIlNS8_12zip_iteratorINS8_5tupleINS8_6detail15normal_iteratorINS8_10device_ptrIyEEEESH_NS8_9null_typeESI_SI_SI_SI_SI_SI_SI_EEEENS9_21zip_adj_not_predicateINS8_8equal_toIyEEEEEEPllNS8_4plusIlEEEE10hipError_tPvRmT1_T2_T3_mT4_P12ihipStream_tbEUlT_E1_NS1_11comp_targetILNS1_3genE2ELNS1_11target_archE906ELNS1_3gpuE6ELNS1_3repE0EEENS1_30default_config_static_selectorELNS0_4arch9wavefront6targetE1EEEvSW_: ; @_ZN7rocprim17ROCPRIM_400000_NS6detail17trampoline_kernelINS0_14default_configENS1_22reduce_config_selectorIlEEZNS1_11reduce_implILb1ES3_N6thrust23THRUST_200600_302600_NS11hip_rocprim26transform_input_iterator_tIlNS8_12zip_iteratorINS8_5tupleINS8_6detail15normal_iteratorINS8_10device_ptrIyEEEESH_NS8_9null_typeESI_SI_SI_SI_SI_SI_SI_EEEENS9_21zip_adj_not_predicateINS8_8equal_toIyEEEEEEPllNS8_4plusIlEEEE10hipError_tPvRmT1_T2_T3_mT4_P12ihipStream_tbEUlT_E1_NS1_11comp_targetILNS1_3genE2ELNS1_11target_archE906ELNS1_3gpuE6ELNS1_3repE0EEENS1_30default_config_static_selectorELNS0_4arch9wavefront6targetE1EEEvSW_
; %bb.0:
	s_load_dword s33, s[4:5], 0x4
	s_load_dwordx4 s[24:27], s[4:5], 0x8
	s_load_dwordx4 s[20:23], s[4:5], 0x20
	s_waitcnt lgkmcnt(0)
	s_cmp_lt_i32 s33, 4
	s_cbranch_scc1 .LBB828_10
; %bb.1:
	s_cmp_gt_i32 s33, 7
	s_cbranch_scc0 .LBB828_11
; %bb.2:
	s_cmp_gt_i32 s33, 15
	s_cbranch_scc0 .LBB828_12
; %bb.3:
	s_mov_b64 s[28:29], 0
	s_cmp_eq_u32 s33, 16
	s_mov_b64 s[0:1], 0
                                        ; implicit-def: $vgpr1_vgpr2
                                        ; implicit-def: $vgpr3_vgpr4
	s_cbranch_scc0 .LBB828_13
; %bb.4:
	s_mov_b32 s7, 0
	s_lshl_b32 s36, s6, 12
	s_mov_b32 s37, s7
	s_lshr_b64 s[0:1], s[20:21], 12
	s_lshl_b64 s[2:3], s[36:37], 3
	s_add_u32 s30, s24, s2
	s_addc_u32 s31, s25, s3
	s_add_u32 s34, s26, s2
	s_addc_u32 s35, s27, s3
	s_cmp_lg_u64 s[0:1], s[6:7]
	s_cbranch_scc0 .LBB828_21
; %bb.5:
	v_lshlrev_b32_e32 v33, 3, v0
	v_mov_b32_e32 v1, s31
	v_add_co_u32_e32 v31, vcc, s30, v33
	v_addc_co_u32_e32 v32, vcc, 0, v1, vcc
	v_mov_b32_e32 v1, s35
	v_add_co_u32_e32 v34, vcc, s34, v33
	v_addc_co_u32_e32 v35, vcc, 0, v1, vcc
	v_add_co_u32_e32 v1, vcc, 0x1000, v31
	v_addc_co_u32_e32 v2, vcc, 0, v32, vcc
	;; [unrolled: 2-line block ×4, first 2 shown]
	global_load_dwordx2 v[5:6], v[1:2], off offset:2048
	global_load_dwordx2 v[7:8], v[3:4], off offset:2048
	v_add_co_u32_e32 v13, vcc, 0x2000, v34
	v_addc_co_u32_e32 v14, vcc, 0, v35, vcc
	global_load_dwordx2 v[11:12], v[9:10], off
	global_load_dwordx2 v[15:16], v[13:14], off
	v_add_co_u32_e32 v17, vcc, 0x3000, v31
	v_addc_co_u32_e32 v18, vcc, 0, v32, vcc
	v_add_co_u32_e32 v19, vcc, 0x3000, v34
	v_addc_co_u32_e32 v20, vcc, 0, v35, vcc
	global_load_dwordx2 v[21:22], v[19:20], off
	global_load_dwordx2 v[23:24], v[17:18], off
	global_load_dwordx2 v[25:26], v[17:18], off offset:2048
	global_load_dwordx2 v[27:28], v[19:20], off offset:2048
	global_load_dwordx2 v[29:30], v[1:2], off
                                        ; kill: killed $vgpr1 killed $vgpr2
                                        ; kill: killed $vgpr19 killed $vgpr20
                                        ; kill: killed $vgpr17 killed $vgpr18
	s_nop 0
	global_load_dwordx2 v[1:2], v[3:4], off
	global_load_dwordx2 v[17:18], v[9:10], off offset:2048
	global_load_dwordx2 v[19:20], v[13:14], off offset:2048
	v_add_co_u32_e32 v3, vcc, 0x4000, v31
	v_addc_co_u32_e32 v4, vcc, 0, v32, vcc
	s_waitcnt vmcnt(10)
	v_cmp_ne_u64_e64 s[0:1], v[5:6], v[7:8]
	v_add_co_u32_e32 v5, vcc, 0x4000, v34
	v_addc_co_u32_e32 v6, vcc, 0, v35, vcc
	global_load_dwordx2 v[7:8], v[3:4], off
	s_waitcnt vmcnt(9)
	v_cmp_ne_u64_e64 s[2:3], v[11:12], v[15:16]
	global_load_dwordx2 v[11:12], v[5:6], off
	v_add_co_u32_e32 v9, vcc, 0x5000, v31
	v_addc_co_u32_e32 v10, vcc, 0, v32, vcc
	s_waitcnt vmcnt(8)
	v_cmp_ne_u64_e64 s[8:9], v[23:24], v[21:22]
	v_add_co_u32_e32 v13, vcc, 0x5000, v34
	global_load_dwordx2 v[15:16], v[9:10], off
	global_load_dwordx2 v[21:22], v[9:10], off offset:2048
	v_addc_co_u32_e32 v14, vcc, 0, v35, vcc
	s_waitcnt vmcnt(8)
	v_cmp_ne_u64_e64 s[10:11], v[25:26], v[27:28]
	global_load_dwordx2 v[9:10], v[13:14], off
	global_load_dwordx2 v[23:24], v[13:14], off offset:2048
	global_load_dwordx2 v[25:26], v[3:4], off offset:2048
	;; [unrolled: 1-line block ×3, first 2 shown]
	v_add_co_u32_e32 v3, vcc, 0x6000, v31
	v_addc_co_u32_e32 v4, vcc, 0, v32, vcc
	v_add_co_u32_e32 v5, vcc, 0x6000, v34
	v_addc_co_u32_e32 v6, vcc, 0, v35, vcc
	s_waitcnt vmcnt(6)
	v_cmp_ne_u64_e64 s[12:13], v[7:8], v[11:12]
	v_add_co_u32_e32 v11, vcc, 0x7000, v31
	v_addc_co_u32_e32 v12, vcc, 0, v32, vcc
	global_load_dwordx2 v[7:8], v[3:4], off
	global_load_dwordx2 v[13:14], v[11:12], off
	s_waitcnt vmcnt(5)
	v_cmp_ne_u64_e64 s[14:15], v[15:16], v[9:10]
	global_load_dwordx2 v[9:10], v[5:6], off
	v_add_co_u32_e32 v15, vcc, 0x7000, v34
	v_addc_co_u32_e32 v16, vcc, 0, v35, vcc
	s_waitcnt vmcnt(5)
	v_cmp_ne_u64_e64 s[16:17], v[21:22], v[23:24]
	global_load_dwordx2 v[21:22], v[15:16], off
	global_load_dwordx2 v[23:24], v[3:4], off offset:2048
	global_load_dwordx2 v[31:32], v[5:6], off offset:2048
	s_nop 0
	global_load_dwordx2 v[3:4], v[11:12], off offset:2048
	global_load_dwordx2 v[5:6], v[15:16], off offset:2048
	v_cndmask_b32_e64 v16, 0, 1, s[0:1]
	v_cmp_ne_u64_e64 s[0:1], v[17:18], v[19:20]
	v_cndmask_b32_e64 v18, 0, 1, s[8:9]
	v_cndmask_b32_e64 v17, 0, 1, s[0:1]
	s_waitcnt vmcnt(8)
	v_cmp_ne_u64_e64 s[0:1], v[25:26], v[27:28]
	v_cndmask_b32_e64 v19, 0, 1, s[10:11]
	v_cndmask_b32_e64 v20, 0, 1, s[12:13]
	;; [unrolled: 1-line block ×4, first 2 shown]
	v_mov_b32_e32 v15, 0
	s_waitcnt vmcnt(5)
	v_cmp_ne_u64_e32 vcc, v[7:8], v[9:10]
	v_cndmask_b32_e64 v27, 0, 1, vcc
	s_waitcnt vmcnt(4)
	v_cmp_ne_u64_e64 s[18:19], v[13:14], v[21:22]
	global_load_dwordx2 v[7:8], v33, s[34:35] offset:2048
	global_load_dwordx2 v[9:10], v33, s[30:31] offset:2048
	global_load_dwordx2 v[11:12], v33, s[34:35]
	global_load_dwordx2 v[13:14], v33, s[30:31]
	s_waitcnt vmcnt(6)
	v_cmp_ne_u64_e32 vcc, v[23:24], v[31:32]
	v_cndmask_b32_e64 v21, 0, 1, s[2:3]
	v_cndmask_b32_e64 v23, 0, 1, vcc
	s_waitcnt vmcnt(4)
	v_cmp_ne_u64_e32 vcc, v[3:4], v[5:6]
	v_cndmask_b32_e64 v22, 0, 1, s[0:1]
	v_cndmask_b32_e64 v3, 0, 1, vcc
	v_cndmask_b32_e64 v24, 0, 1, s[18:19]
	s_waitcnt vmcnt(2)
	v_cmp_ne_u64_e32 vcc, v[9:10], v[7:8]
	v_cndmask_b32_e64 v4, 0, 1, vcc
	s_waitcnt vmcnt(0)
	v_cmp_ne_u64_e32 vcc, v[13:14], v[11:12]
	v_cndmask_b32_e64 v5, 0, 1, vcc
	v_cmp_ne_u64_e32 vcc, v[29:30], v[1:2]
	v_addc_co_u32_e32 v1, vcc, v4, v5, vcc
	v_add_co_u32_e32 v1, vcc, v1, v16
	v_addc_co_u32_e64 v2, s[0:1], 0, 0, vcc
	v_add_co_u32_e32 v1, vcc, v1, v21
	v_addc_co_u32_e32 v2, vcc, 0, v2, vcc
	v_add_co_u32_e32 v1, vcc, v1, v17
	v_addc_co_u32_e32 v2, vcc, 0, v2, vcc
	;; [unrolled: 2-line block ×12, first 2 shown]
	s_nop 0
	v_mov_b32_dpp v4, v1 quad_perm:[1,0,3,2] row_mask:0xf bank_mask:0xf bound_ctrl:1
	v_add_co_u32_e32 v1, vcc, v1, v4
	v_addc_co_u32_e32 v2, vcc, 0, v2, vcc
	v_mov_b32_dpp v5, v15 quad_perm:[1,0,3,2] row_mask:0xf bank_mask:0xf bound_ctrl:1
	v_add_co_u32_e32 v4, vcc, 0, v1
	v_addc_co_u32_e32 v2, vcc, v5, v2, vcc
	v_mov_b32_dpp v1, v1 quad_perm:[2,3,0,1] row_mask:0xf bank_mask:0xf bound_ctrl:1
	v_add_co_u32_e32 v1, vcc, v4, v1
	v_mov_b32_dpp v5, v2 quad_perm:[2,3,0,1] row_mask:0xf bank_mask:0xf bound_ctrl:1
	v_addc_co_u32_e32 v2, vcc, 0, v2, vcc
	v_add_co_u32_e32 v4, vcc, 0, v1
	v_addc_co_u32_e32 v2, vcc, v2, v5, vcc
	v_mov_b32_dpp v1, v1 row_ror:4 row_mask:0xf bank_mask:0xf bound_ctrl:1
	v_add_co_u32_e32 v1, vcc, v4, v1
	v_mov_b32_dpp v5, v2 row_ror:4 row_mask:0xf bank_mask:0xf bound_ctrl:1
	v_addc_co_u32_e32 v2, vcc, 0, v2, vcc
	v_add_co_u32_e32 v4, vcc, 0, v1
	v_addc_co_u32_e32 v2, vcc, v2, v5, vcc
	v_mov_b32_dpp v1, v1 row_ror:8 row_mask:0xf bank_mask:0xf bound_ctrl:1
	v_add_co_u32_e32 v1, vcc, v4, v1
	v_mov_b32_dpp v5, v2 row_ror:8 row_mask:0xf bank_mask:0xf bound_ctrl:1
	v_addc_co_u32_e32 v2, vcc, 0, v2, vcc
	v_add_co_u32_e32 v4, vcc, 0, v1
	v_addc_co_u32_e32 v2, vcc, v2, v5, vcc
	v_mov_b32_dpp v1, v1 row_bcast:15 row_mask:0xf bank_mask:0xf bound_ctrl:1
	v_add_co_u32_e32 v1, vcc, v4, v1
	v_mov_b32_dpp v5, v2 row_bcast:15 row_mask:0xf bank_mask:0xf bound_ctrl:1
	v_addc_co_u32_e32 v2, vcc, 0, v2, vcc
	v_add_co_u32_e32 v4, vcc, 0, v1
	v_addc_co_u32_e32 v2, vcc, v2, v5, vcc
	v_mov_b32_dpp v1, v1 row_bcast:31 row_mask:0xf bank_mask:0xf bound_ctrl:1
	v_mbcnt_lo_u32_b32 v3, -1, 0
	v_add_co_u32_e32 v1, vcc, v4, v1
	v_mbcnt_hi_u32_b32 v3, -1, v3
	v_addc_co_u32_e32 v4, vcc, 0, v2, vcc
	v_cmp_eq_u32_e32 vcc, 0, v3
	s_nop 0
	v_add_u32_dpp v2, v2, v4 row_bcast:31 row_mask:0xf bank_mask:0xf bound_ctrl:1
	v_lshlrev_b32_e32 v4, 2, v3
	v_or_b32_e32 v5, 0xfc, v4
	ds_bpermute_b32 v1, v5, v1
	ds_bpermute_b32 v2, v5, v2
	s_and_saveexec_b64 s[0:1], vcc
	s_cbranch_execz .LBB828_7
; %bb.6:
	v_lshrrev_b32_e32 v5, 3, v0
	v_and_b32_e32 v5, 24, v5
	s_waitcnt lgkmcnt(0)
	ds_write_b64 v5, v[1:2]
.LBB828_7:
	s_or_b64 exec, exec, s[0:1]
	v_cmp_gt_u32_e32 vcc, 64, v0
	s_waitcnt lgkmcnt(0)
	s_barrier
	s_and_saveexec_b64 s[0:1], vcc
	s_cbranch_execz .LBB828_9
; %bb.8:
	v_and_b32_e32 v5, 3, v3
	v_lshlrev_b32_e32 v1, 3, v5
	ds_read_b64 v[1:2], v1
	v_cmp_ne_u32_e32 vcc, 3, v5
	v_addc_co_u32_e32 v3, vcc, 0, v3, vcc
	v_lshlrev_b32_e32 v3, 2, v3
	s_waitcnt lgkmcnt(0)
	ds_bpermute_b32 v5, v3, v1
	ds_bpermute_b32 v3, v3, v2
	v_or_b32_e32 v4, 8, v4
	s_waitcnt lgkmcnt(1)
	v_add_co_u32_e32 v1, vcc, v1, v5
	v_addc_co_u32_e32 v2, vcc, 0, v2, vcc
	ds_bpermute_b32 v5, v4, v1
	v_add_co_u32_e32 v1, vcc, 0, v1
	s_waitcnt lgkmcnt(1)
	v_addc_co_u32_e32 v2, vcc, v3, v2, vcc
	ds_bpermute_b32 v3, v4, v2
	s_waitcnt lgkmcnt(1)
	v_add_co_u32_e32 v1, vcc, v1, v5
	v_addc_co_u32_e32 v2, vcc, 0, v2, vcc
	v_add_co_u32_e32 v1, vcc, 0, v1
	s_waitcnt lgkmcnt(0)
	v_addc_co_u32_e32 v2, vcc, v2, v3, vcc
.LBB828_9:
	s_or_b64 exec, exec, s[0:1]
	s_mov_b64 s[0:1], 0
	s_branch .LBB828_22
.LBB828_10:
	s_mov_b64 s[0:1], 0
                                        ; implicit-def: $vgpr1_vgpr2
                                        ; implicit-def: $vgpr3_vgpr4
	s_cbranch_execnz .LBB828_145
	s_branch .LBB828_206
.LBB828_11:
	s_mov_b64 s[0:1], 0
                                        ; implicit-def: $vgpr1_vgpr2
                                        ; implicit-def: $vgpr3_vgpr4
	s_cbranch_execnz .LBB828_110
	s_branch .LBB828_144
.LBB828_12:
	s_mov_b64 s[28:29], -1
	s_mov_b64 s[0:1], 0
                                        ; implicit-def: $vgpr1_vgpr2
                                        ; implicit-def: $vgpr3_vgpr4
.LBB828_13:
	s_and_b64 vcc, exec, s[28:29]
	s_cbranch_vccz .LBB828_109
.LBB828_14:
	s_cmp_eq_u32 s33, 8
                                        ; implicit-def: $vgpr1_vgpr2
                                        ; implicit-def: $vgpr3_vgpr4
	s_cbranch_scc0 .LBB828_109
; %bb.15:
	s_mov_b32 s7, 0
	s_lshl_b32 s0, s6, 11
	s_mov_b32 s1, s7
	s_lshr_b64 s[2:3], s[20:21], 11
	s_lshl_b64 s[8:9], s[0:1], 3
	s_add_u32 s16, s24, s8
	s_addc_u32 s17, s25, s9
	s_add_u32 s18, s26, s8
	s_addc_u32 s19, s27, s9
	s_cmp_lg_u64 s[2:3], s[6:7]
	s_cbranch_scc0 .LBB828_73
; %bb.16:
	v_lshlrev_b32_e32 v9, 3, v0
	global_load_dwordx2 v[1:2], v9, s[18:19] offset:2048
	global_load_dwordx2 v[3:4], v9, s[16:17] offset:2048
	v_mov_b32_e32 v10, s17
	v_add_co_u32_e32 v25, vcc, s16, v9
	v_addc_co_u32_e32 v29, vcc, 0, v10, vcc
	v_mov_b32_e32 v11, s19
	v_add_co_u32_e32 v30, vcc, s18, v9
	v_addc_co_u32_e32 v31, vcc, 0, v11, vcc
	global_load_dwordx2 v[5:6], v9, s[18:19]
	global_load_dwordx2 v[7:8], v9, s[16:17]
	v_add_co_u32_e32 v9, vcc, 0x1000, v25
	v_addc_co_u32_e32 v10, vcc, 0, v29, vcc
	v_add_co_u32_e32 v11, vcc, 0x1000, v30
	v_addc_co_u32_e32 v12, vcc, 0, v31, vcc
	global_load_dwordx2 v[13:14], v[9:10], off
	global_load_dwordx2 v[15:16], v[9:10], off offset:2048
	global_load_dwordx2 v[17:18], v[11:12], off
	global_load_dwordx2 v[19:20], v[11:12], off offset:2048
	v_add_co_u32_e32 v9, vcc, 0x2000, v25
	v_addc_co_u32_e32 v10, vcc, 0, v29, vcc
	v_add_co_u32_e32 v11, vcc, 0x2000, v30
	v_addc_co_u32_e32 v12, vcc, 0, v31, vcc
	global_load_dwordx2 v[21:22], v[9:10], off
	global_load_dwordx2 v[23:24], v[9:10], off offset:2048
	v_add_co_u32_e32 v9, vcc, 0x3000, v25
	global_load_dwordx2 v[25:26], v[11:12], off
	global_load_dwordx2 v[27:28], v[11:12], off offset:2048
	v_addc_co_u32_e32 v10, vcc, 0, v29, vcc
	v_add_co_u32_e32 v11, vcc, 0x3000, v30
	v_addc_co_u32_e32 v12, vcc, 0, v31, vcc
	global_load_dwordx2 v[29:30], v[11:12], off
	s_waitcnt vmcnt(11)
	v_cmp_ne_u64_e32 vcc, v[3:4], v[1:2]
	global_load_dwordx2 v[1:2], v[9:10], off
	global_load_dwordx2 v[3:4], v[9:10], off offset:2048
	global_load_dwordx2 v[31:32], v[11:12], off offset:2048
	v_cndmask_b32_e64 v10, 0, 1, vcc
	v_mov_b32_e32 v9, 0
	s_waitcnt vmcnt(12)
	v_cmp_ne_u64_e32 vcc, v[7:8], v[5:6]
	v_cndmask_b32_e64 v5, 0, 1, vcc
	s_waitcnt vmcnt(8)
	v_cmp_ne_u64_e32 vcc, v[15:16], v[19:20]
	v_cndmask_b32_e64 v6, 0, 1, vcc
	v_cmp_ne_u64_e32 vcc, v[13:14], v[17:18]
	v_addc_co_u32_e32 v5, vcc, v10, v5, vcc
	v_add_co_u32_e32 v5, vcc, v5, v6
	v_addc_co_u32_e64 v6, s[2:3], 0, 0, vcc
	s_waitcnt vmcnt(5)
	v_cmp_ne_u64_e32 vcc, v[21:22], v[25:26]
	v_cndmask_b32_e64 v7, 0, 1, vcc
	s_waitcnt vmcnt(4)
	v_cmp_ne_u64_e32 vcc, v[23:24], v[27:28]
	v_cndmask_b32_e64 v8, 0, 1, vcc
	v_add_co_u32_e32 v5, vcc, v5, v7
	v_addc_co_u32_e32 v6, vcc, 0, v6, vcc
	s_waitcnt vmcnt(2)
	v_cmp_ne_u64_e32 vcc, v[1:2], v[29:30]
	v_cndmask_b32_e64 v1, 0, 1, vcc
	s_waitcnt vmcnt(0)
	v_cmp_ne_u64_e32 vcc, v[3:4], v[31:32]
	v_cndmask_b32_e64 v2, 0, 1, vcc
	v_add_co_u32_e32 v3, vcc, v5, v8
	v_addc_co_u32_e32 v4, vcc, 0, v6, vcc
	v_add_co_u32_e32 v1, vcc, v3, v1
	v_addc_co_u32_e32 v3, vcc, 0, v4, vcc
	;; [unrolled: 2-line block ×3, first 2 shown]
	s_nop 0
	v_mov_b32_dpp v4, v1 quad_perm:[1,0,3,2] row_mask:0xf bank_mask:0xf bound_ctrl:1
	v_add_co_u32_e32 v1, vcc, v1, v4
	v_addc_co_u32_e32 v2, vcc, 0, v2, vcc
	v_mov_b32_dpp v5, v9 quad_perm:[1,0,3,2] row_mask:0xf bank_mask:0xf bound_ctrl:1
	v_add_co_u32_e32 v4, vcc, 0, v1
	v_addc_co_u32_e32 v2, vcc, v5, v2, vcc
	v_mov_b32_dpp v1, v1 quad_perm:[2,3,0,1] row_mask:0xf bank_mask:0xf bound_ctrl:1
	v_add_co_u32_e32 v1, vcc, v4, v1
	v_mov_b32_dpp v5, v2 quad_perm:[2,3,0,1] row_mask:0xf bank_mask:0xf bound_ctrl:1
	v_addc_co_u32_e32 v2, vcc, 0, v2, vcc
	v_add_co_u32_e32 v4, vcc, 0, v1
	v_addc_co_u32_e32 v2, vcc, v2, v5, vcc
	v_mov_b32_dpp v1, v1 row_ror:4 row_mask:0xf bank_mask:0xf bound_ctrl:1
	v_add_co_u32_e32 v1, vcc, v4, v1
	v_mov_b32_dpp v5, v2 row_ror:4 row_mask:0xf bank_mask:0xf bound_ctrl:1
	v_addc_co_u32_e32 v2, vcc, 0, v2, vcc
	v_add_co_u32_e32 v4, vcc, 0, v1
	v_addc_co_u32_e32 v2, vcc, v2, v5, vcc
	v_mov_b32_dpp v1, v1 row_ror:8 row_mask:0xf bank_mask:0xf bound_ctrl:1
	v_add_co_u32_e32 v1, vcc, v4, v1
	v_mov_b32_dpp v5, v2 row_ror:8 row_mask:0xf bank_mask:0xf bound_ctrl:1
	v_addc_co_u32_e32 v2, vcc, 0, v2, vcc
	v_add_co_u32_e32 v4, vcc, 0, v1
	v_addc_co_u32_e32 v2, vcc, v2, v5, vcc
	v_mov_b32_dpp v1, v1 row_bcast:15 row_mask:0xf bank_mask:0xf bound_ctrl:1
	v_add_co_u32_e32 v1, vcc, v4, v1
	v_mov_b32_dpp v5, v2 row_bcast:15 row_mask:0xf bank_mask:0xf bound_ctrl:1
	v_addc_co_u32_e32 v2, vcc, 0, v2, vcc
	v_add_co_u32_e32 v4, vcc, 0, v1
	v_addc_co_u32_e32 v2, vcc, v2, v5, vcc
	v_mov_b32_dpp v1, v1 row_bcast:31 row_mask:0xf bank_mask:0xf bound_ctrl:1
	v_mbcnt_lo_u32_b32 v3, -1, 0
	v_add_co_u32_e32 v1, vcc, v4, v1
	v_mbcnt_hi_u32_b32 v3, -1, v3
	v_addc_co_u32_e32 v4, vcc, 0, v2, vcc
	v_cmp_eq_u32_e32 vcc, 0, v3
	s_nop 0
	v_add_u32_dpp v2, v2, v4 row_bcast:31 row_mask:0xf bank_mask:0xf bound_ctrl:1
	v_lshlrev_b32_e32 v4, 2, v3
	v_or_b32_e32 v5, 0xfc, v4
	ds_bpermute_b32 v1, v5, v1
	ds_bpermute_b32 v2, v5, v2
	s_and_saveexec_b64 s[2:3], vcc
	s_cbranch_execz .LBB828_18
; %bb.17:
	v_lshrrev_b32_e32 v5, 3, v0
	v_and_b32_e32 v5, 24, v5
	s_waitcnt lgkmcnt(0)
	ds_write_b64 v5, v[1:2] offset:128
.LBB828_18:
	s_or_b64 exec, exec, s[2:3]
	v_cmp_gt_u32_e32 vcc, 64, v0
	s_waitcnt lgkmcnt(0)
	s_barrier
	s_and_saveexec_b64 s[2:3], vcc
	s_cbranch_execz .LBB828_20
; %bb.19:
	v_and_b32_e32 v5, 3, v3
	v_lshlrev_b32_e32 v1, 3, v5
	ds_read_b64 v[1:2], v1 offset:128
	v_cmp_ne_u32_e32 vcc, 3, v5
	v_addc_co_u32_e32 v3, vcc, 0, v3, vcc
	v_lshlrev_b32_e32 v3, 2, v3
	s_waitcnt lgkmcnt(0)
	ds_bpermute_b32 v5, v3, v1
	ds_bpermute_b32 v3, v3, v2
	v_or_b32_e32 v4, 8, v4
	s_waitcnt lgkmcnt(1)
	v_add_co_u32_e32 v1, vcc, v1, v5
	v_addc_co_u32_e32 v2, vcc, 0, v2, vcc
	ds_bpermute_b32 v5, v4, v1
	v_add_co_u32_e32 v1, vcc, 0, v1
	s_waitcnt lgkmcnt(1)
	v_addc_co_u32_e32 v2, vcc, v3, v2, vcc
	ds_bpermute_b32 v3, v4, v2
	s_waitcnt lgkmcnt(1)
	v_add_co_u32_e32 v1, vcc, v1, v5
	v_addc_co_u32_e32 v2, vcc, 0, v2, vcc
	v_add_co_u32_e32 v1, vcc, 0, v1
	s_waitcnt lgkmcnt(0)
	v_addc_co_u32_e32 v2, vcc, v2, v3, vcc
.LBB828_20:
	s_or_b64 exec, exec, s[2:3]
	s_mov_b64 s[2:3], 0
	s_branch .LBB828_74
.LBB828_21:
	s_mov_b64 s[0:1], -1
                                        ; implicit-def: $vgpr1_vgpr2
.LBB828_22:
	s_and_b64 vcc, exec, s[0:1]
	s_cbranch_vccz .LBB828_72
; %bb.23:
	s_sub_i32 s2, s20, s36
	v_cmp_gt_u32_e32 vcc, s2, v0
                                        ; implicit-def: $vgpr1_vgpr2
	s_and_saveexec_b64 s[0:1], vcc
	s_cbranch_execz .LBB828_25
; %bb.24:
	v_lshlrev_b32_e32 v5, 3, v0
	global_load_dwordx2 v[1:2], v5, s[30:31]
	global_load_dwordx2 v[3:4], v5, s[34:35]
	s_mov_b32 s3, 0
	s_waitcnt vmcnt(0)
	v_cmp_ne_u64_e32 vcc, v[1:2], v[3:4]
	v_mov_b32_e32 v2, s3
	v_cndmask_b32_e64 v1, 0, 1, vcc
.LBB828_25:
	s_or_b64 exec, exec, s[0:1]
	v_or_b32_e32 v7, 0x100, v0
	v_mov_b32_e32 v3, 0
	v_mov_b32_e32 v5, 0
	v_mov_b32_e32 v4, 0
	v_mov_b32_e32 v6, 0
	v_cmp_gt_u32_e32 vcc, s2, v7
	s_and_saveexec_b64 s[0:1], vcc
	s_cbranch_execz .LBB828_27
; %bb.26:
	v_lshlrev_b32_e32 v9, 3, v0
	global_load_dwordx2 v[5:6], v9, s[30:31] offset:2048
	global_load_dwordx2 v[7:8], v9, s[34:35] offset:2048
	s_mov_b32 s3, 0
	s_waitcnt vmcnt(0)
	v_cmp_ne_u64_e32 vcc, v[5:6], v[7:8]
	v_mov_b32_e32 v6, s3
	v_cndmask_b32_e64 v5, 0, 1, vcc
.LBB828_27:
	s_or_b64 exec, exec, s[0:1]
	v_or_b32_e32 v7, 0x200, v0
	v_cmp_gt_u32_e32 vcc, s2, v7
	s_and_saveexec_b64 s[0:1], vcc
	s_cbranch_execz .LBB828_29
; %bb.28:
	v_lshlrev_b32_e32 v9, 3, v7
	global_load_dwordx2 v[3:4], v9, s[30:31]
	global_load_dwordx2 v[7:8], v9, s[34:35]
	s_mov_b32 s3, 0
	s_waitcnt vmcnt(0)
	v_cmp_ne_u64_e32 vcc, v[3:4], v[7:8]
	v_mov_b32_e32 v4, s3
	v_cndmask_b32_e64 v3, 0, 1, vcc
.LBB828_29:
	s_or_b64 exec, exec, s[0:1]
	v_or_b32_e32 v11, 0x300, v0
	v_mov_b32_e32 v7, 0
	v_mov_b32_e32 v9, 0
	v_mov_b32_e32 v8, 0
	v_mov_b32_e32 v10, 0
	v_cmp_gt_u32_e32 vcc, s2, v11
	s_and_saveexec_b64 s[0:1], vcc
	s_cbranch_execz .LBB828_31
; %bb.30:
	v_lshlrev_b32_e32 v13, 3, v11
	global_load_dwordx2 v[9:10], v13, s[30:31]
	global_load_dwordx2 v[11:12], v13, s[34:35]
	s_mov_b32 s3, 0
	s_waitcnt vmcnt(0)
	v_cmp_ne_u64_e32 vcc, v[9:10], v[11:12]
	v_mov_b32_e32 v10, s3
	v_cndmask_b32_e64 v9, 0, 1, vcc
.LBB828_31:
	s_or_b64 exec, exec, s[0:1]
	v_or_b32_e32 v11, 0x400, v0
	v_cmp_gt_u32_e32 vcc, s2, v11
	s_and_saveexec_b64 s[0:1], vcc
	s_cbranch_execz .LBB828_33
; %bb.32:
	v_lshlrev_b32_e32 v13, 3, v11
	global_load_dwordx2 v[7:8], v13, s[30:31]
	global_load_dwordx2 v[11:12], v13, s[34:35]
	s_mov_b32 s3, 0
	s_waitcnt vmcnt(0)
	v_cmp_ne_u64_e32 vcc, v[7:8], v[11:12]
	v_mov_b32_e32 v8, s3
	v_cndmask_b32_e64 v7, 0, 1, vcc
.LBB828_33:
	s_or_b64 exec, exec, s[0:1]
	v_or_b32_e32 v15, 0x500, v0
	v_mov_b32_e32 v11, 0
	v_mov_b32_e32 v13, 0
	v_mov_b32_e32 v12, 0
	v_mov_b32_e32 v14, 0
	v_cmp_gt_u32_e32 vcc, s2, v15
	s_and_saveexec_b64 s[0:1], vcc
	s_cbranch_execz .LBB828_35
; %bb.34:
	v_lshlrev_b32_e32 v17, 3, v15
	global_load_dwordx2 v[13:14], v17, s[30:31]
	global_load_dwordx2 v[15:16], v17, s[34:35]
	s_mov_b32 s3, 0
	s_waitcnt vmcnt(0)
	v_cmp_ne_u64_e32 vcc, v[13:14], v[15:16]
	v_mov_b32_e32 v14, s3
	v_cndmask_b32_e64 v13, 0, 1, vcc
.LBB828_35:
	;; [unrolled: 34-line block ×6, first 2 shown]
	s_or_b64 exec, exec, s[0:1]
	v_or_b32_e32 v31, 0xe00, v0
	v_cmp_gt_u32_e32 vcc, s2, v31
	s_and_saveexec_b64 s[0:1], vcc
	s_cbranch_execz .LBB828_53
; %bb.52:
	v_lshlrev_b32_e32 v33, 3, v31
	global_load_dwordx2 v[27:28], v33, s[30:31]
	global_load_dwordx2 v[31:32], v33, s[34:35]
	s_mov_b32 s3, 0
	s_waitcnt vmcnt(0)
	v_cmp_ne_u64_e32 vcc, v[27:28], v[31:32]
	v_mov_b32_e32 v28, s3
	v_cndmask_b32_e64 v27, 0, 1, vcc
.LBB828_53:
	s_or_b64 exec, exec, s[0:1]
	v_or_b32_e32 v33, 0xf00, v0
	v_mov_b32_e32 v31, 0
	v_mov_b32_e32 v32, 0
	v_cmp_gt_u32_e32 vcc, s2, v33
	s_and_saveexec_b64 s[0:1], vcc
	s_cbranch_execz .LBB828_55
; %bb.54:
	v_lshlrev_b32_e32 v35, 3, v33
	global_load_dwordx2 v[31:32], v35, s[30:31]
	global_load_dwordx2 v[33:34], v35, s[34:35]
	s_mov_b32 s3, 0
	s_waitcnt vmcnt(0)
	v_cmp_ne_u64_e32 vcc, v[31:32], v[33:34]
	v_mov_b32_e32 v32, s3
	v_cndmask_b32_e64 v31, 0, 1, vcc
.LBB828_55:
	s_or_b64 exec, exec, s[0:1]
	v_add_co_u32_e32 v1, vcc, v5, v1
	v_addc_co_u32_e32 v2, vcc, v6, v2, vcc
	v_add_co_u32_e32 v1, vcc, v1, v3
	v_addc_co_u32_e32 v2, vcc, v2, v4, vcc
	;; [unrolled: 2-line block ×14, first 2 shown]
	v_mbcnt_lo_u32_b32 v3, -1, 0
	v_add_co_u32_e32 v1, vcc, v1, v31
	v_mbcnt_hi_u32_b32 v3, -1, v3
	v_addc_co_u32_e32 v2, vcc, v2, v32, vcc
	v_and_b32_e32 v4, 63, v3
	v_cmp_ne_u32_e32 vcc, 63, v4
	v_addc_co_u32_e32 v6, vcc, 0, v3, vcc
	v_lshlrev_b32_e32 v6, 2, v6
	ds_bpermute_b32 v8, v6, v1
	ds_bpermute_b32 v7, v6, v2
	s_min_u32 s2, s2, 0x100
	v_and_b32_e32 v5, 0xc0, v0
	v_sub_u32_e64 v5, s2, v5 clamp
	v_add_u32_e32 v6, 1, v4
	v_cmp_lt_u32_e32 vcc, v6, v5
	v_mov_b32_e32 v6, v1
	s_and_saveexec_b64 s[0:1], vcc
	s_cbranch_execz .LBB828_57
; %bb.56:
	s_waitcnt lgkmcnt(1)
	v_add_co_u32_e32 v6, vcc, v1, v8
	v_addc_co_u32_e32 v2, vcc, 0, v2, vcc
	v_add_co_u32_e32 v1, vcc, 0, v6
	s_waitcnt lgkmcnt(0)
	v_addc_co_u32_e32 v2, vcc, v7, v2, vcc
.LBB828_57:
	s_or_b64 exec, exec, s[0:1]
	v_cmp_gt_u32_e32 vcc, 62, v4
	s_waitcnt lgkmcnt(0)
	v_cndmask_b32_e64 v7, 0, 2, vcc
	v_add_lshl_u32 v7, v7, v3, 2
	ds_bpermute_b32 v8, v7, v6
	ds_bpermute_b32 v7, v7, v2
	v_add_u32_e32 v9, 2, v4
	v_cmp_lt_u32_e32 vcc, v9, v5
	s_and_saveexec_b64 s[0:1], vcc
	s_cbranch_execz .LBB828_59
; %bb.58:
	s_waitcnt lgkmcnt(1)
	v_add_co_u32_e32 v6, vcc, v1, v8
	v_addc_co_u32_e32 v2, vcc, 0, v2, vcc
	v_add_co_u32_e32 v1, vcc, 0, v6
	s_waitcnt lgkmcnt(0)
	v_addc_co_u32_e32 v2, vcc, v7, v2, vcc
.LBB828_59:
	s_or_b64 exec, exec, s[0:1]
	v_cmp_gt_u32_e32 vcc, 60, v4
	s_waitcnt lgkmcnt(0)
	v_cndmask_b32_e64 v7, 0, 4, vcc
	v_add_lshl_u32 v7, v7, v3, 2
	ds_bpermute_b32 v8, v7, v6
	ds_bpermute_b32 v7, v7, v2
	v_add_u32_e32 v9, 4, v4
	v_cmp_lt_u32_e32 vcc, v9, v5
	;; [unrolled: 19-line block ×4, first 2 shown]
	s_and_saveexec_b64 s[0:1], vcc
	s_cbranch_execz .LBB828_65
; %bb.64:
	s_waitcnt lgkmcnt(1)
	v_add_co_u32_e32 v6, vcc, v1, v8
	v_addc_co_u32_e32 v2, vcc, 0, v2, vcc
	v_add_co_u32_e32 v1, vcc, 0, v6
	s_waitcnt lgkmcnt(0)
	v_addc_co_u32_e32 v2, vcc, v7, v2, vcc
.LBB828_65:
	s_or_b64 exec, exec, s[0:1]
	s_waitcnt lgkmcnt(0)
	v_lshlrev_b32_e32 v7, 2, v3
	v_or_b32_e32 v8, 0x80, v7
	ds_bpermute_b32 v6, v8, v6
	ds_bpermute_b32 v8, v8, v2
	v_add_u32_e32 v4, 32, v4
	s_waitcnt lgkmcnt(1)
	v_add_co_u32_e32 v6, vcc, v1, v6
	v_addc_co_u32_e32 v9, vcc, 0, v2, vcc
	v_add_co_u32_e32 v6, vcc, 0, v6
	s_waitcnt lgkmcnt(0)
	v_addc_co_u32_e32 v8, vcc, v9, v8, vcc
	v_cmp_lt_u32_e32 vcc, v4, v5
	v_cndmask_b32_e32 v2, v2, v8, vcc
	v_cndmask_b32_e32 v1, v1, v6, vcc
	v_cmp_eq_u32_e32 vcc, 0, v3
	s_and_saveexec_b64 s[0:1], vcc
; %bb.66:
	v_lshrrev_b32_e32 v4, 3, v0
	v_and_b32_e32 v4, 24, v4
	ds_write_b64 v4, v[1:2] offset:160
; %bb.67:
	s_or_b64 exec, exec, s[0:1]
	v_cmp_gt_u32_e32 vcc, 4, v0
	s_waitcnt lgkmcnt(0)
	s_barrier
	s_and_saveexec_b64 s[0:1], vcc
	s_cbranch_execz .LBB828_71
; %bb.68:
	v_lshlrev_b32_e32 v1, 3, v3
	ds_read_b64 v[1:2], v1 offset:160
	v_and_b32_e32 v4, 3, v3
	v_cmp_ne_u32_e32 vcc, 3, v4
	v_addc_co_u32_e32 v3, vcc, 0, v3, vcc
	v_lshlrev_b32_e32 v3, 2, v3
	s_waitcnt lgkmcnt(0)
	ds_bpermute_b32 v6, v3, v1
	ds_bpermute_b32 v5, v3, v2
	s_add_i32 s2, s2, 63
	s_lshr_b32 s8, s2, 6
	v_add_u32_e32 v3, 1, v4
	v_cmp_gt_u32_e32 vcc, s8, v3
	v_mov_b32_e32 v3, v1
	s_and_saveexec_b64 s[2:3], vcc
	s_cbranch_execz .LBB828_70
; %bb.69:
	s_waitcnt lgkmcnt(1)
	v_add_co_u32_e32 v3, vcc, v1, v6
	v_addc_co_u32_e32 v2, vcc, 0, v2, vcc
	v_add_co_u32_e32 v1, vcc, 0, v3
	s_waitcnt lgkmcnt(0)
	v_addc_co_u32_e32 v2, vcc, v5, v2, vcc
.LBB828_70:
	s_or_b64 exec, exec, s[2:3]
	s_waitcnt lgkmcnt(0)
	v_or_b32_e32 v5, 8, v7
	ds_bpermute_b32 v3, v5, v3
	ds_bpermute_b32 v5, v5, v2
	v_add_u32_e32 v4, 2, v4
	s_waitcnt lgkmcnt(1)
	v_add_co_u32_e32 v3, vcc, v1, v3
	v_addc_co_u32_e32 v6, vcc, 0, v2, vcc
	v_add_co_u32_e32 v3, vcc, 0, v3
	s_waitcnt lgkmcnt(0)
	v_addc_co_u32_e32 v5, vcc, v6, v5, vcc
	v_cmp_gt_u32_e32 vcc, s8, v4
	v_cndmask_b32_e32 v2, v2, v5, vcc
	v_cndmask_b32_e32 v1, v1, v3, vcc
.LBB828_71:
	s_or_b64 exec, exec, s[0:1]
.LBB828_72:
	v_mov_b32_e32 v3, s6
	v_cmp_eq_u32_e64 s[0:1], 0, v0
	v_mov_b32_e32 v4, s7
	s_and_b64 vcc, exec, s[28:29]
	s_cbranch_vccnz .LBB828_14
	s_branch .LBB828_109
.LBB828_73:
	s_mov_b64 s[2:3], -1
                                        ; implicit-def: $vgpr1_vgpr2
.LBB828_74:
	s_and_b64 vcc, exec, s[2:3]
	s_cbranch_vccz .LBB828_108
; %bb.75:
	s_sub_i32 s30, s20, s0
	v_mov_b32_e32 v1, 0
	v_cmp_gt_u32_e32 vcc, s30, v0
	v_mov_b32_e32 v2, v1
	v_mov_b32_e32 v3, v1
	;; [unrolled: 1-line block ×15, first 2 shown]
	s_and_saveexec_b64 s[0:1], vcc
	s_cbranch_execz .LBB828_77
; %bb.76:
	v_mov_b32_e32 v2, v1
	v_mov_b32_e32 v3, v1
	;; [unrolled: 1-line block ×15, first 2 shown]
	v_lshlrev_b32_e32 v1, 3, v0
	global_load_dwordx2 v[17:18], v1, s[16:17]
	global_load_dwordx2 v[19:20], v1, s[18:19]
	s_waitcnt vmcnt(0)
	v_cmp_ne_u64_e32 vcc, v[17:18], v[19:20]
	v_cndmask_b32_e64 v1, 0, 1, vcc
	v_and_b32_e32 v1, 0xffff, v1
.LBB828_77:
	s_or_b64 exec, exec, s[0:1]
	v_or_b32_e32 v17, 0x100, v0
	v_cmp_gt_u32_e32 vcc, s30, v17
	s_and_saveexec_b64 s[2:3], vcc
	s_cbranch_execz .LBB828_79
; %bb.78:
	v_lshlrev_b32_e32 v19, 3, v0
	global_load_dwordx2 v[3:4], v19, s[16:17] offset:2048
	global_load_dwordx2 v[17:18], v19, s[18:19] offset:2048
	s_mov_b32 s8, 0
	s_waitcnt vmcnt(0)
	v_cmp_ne_u64_e64 s[0:1], v[3:4], v[17:18]
	v_mov_b32_e32 v4, s8
	v_cndmask_b32_e64 v3, 0, 1, s[0:1]
.LBB828_79:
	s_or_b64 exec, exec, s[2:3]
	v_or_b32_e32 v17, 0x200, v0
	v_cmp_gt_u32_e64 s[0:1], s30, v17
	s_and_saveexec_b64 s[8:9], s[0:1]
	s_cbranch_execz .LBB828_81
; %bb.80:
	v_lshlrev_b32_e32 v19, 3, v17
	global_load_dwordx2 v[5:6], v19, s[16:17]
	global_load_dwordx2 v[17:18], v19, s[18:19]
	s_mov_b32 s10, 0
	s_waitcnt vmcnt(0)
	v_cmp_ne_u64_e64 s[2:3], v[5:6], v[17:18]
	v_mov_b32_e32 v6, s10
	v_cndmask_b32_e64 v5, 0, 1, s[2:3]
.LBB828_81:
	s_or_b64 exec, exec, s[8:9]
	v_or_b32_e32 v17, 0x300, v0
	v_cmp_gt_u32_e64 s[2:3], s30, v17
	s_and_saveexec_b64 s[10:11], s[2:3]
	s_cbranch_execz .LBB828_83
; %bb.82:
	v_lshlrev_b32_e32 v19, 3, v17
	global_load_dwordx2 v[7:8], v19, s[16:17]
	global_load_dwordx2 v[17:18], v19, s[18:19]
	s_mov_b32 s12, 0
	s_waitcnt vmcnt(0)
	v_cmp_ne_u64_e64 s[8:9], v[7:8], v[17:18]
	v_mov_b32_e32 v8, s12
	v_cndmask_b32_e64 v7, 0, 1, s[8:9]
.LBB828_83:
	;; [unrolled: 15-line block ×6, first 2 shown]
	s_or_b64 exec, exec, s[28:29]
	v_cndmask_b32_e32 v3, 0, v3, vcc
	v_cndmask_b32_e32 v4, 0, v4, vcc
	v_add_co_u32_e32 v1, vcc, v3, v1
	v_addc_co_u32_e32 v2, vcc, v4, v2, vcc
	v_cndmask_b32_e64 v4, 0, v5, s[0:1]
	v_cndmask_b32_e64 v3, 0, v6, s[0:1]
	v_add_co_u32_e32 v1, vcc, v1, v4
	v_addc_co_u32_e32 v2, vcc, v2, v3, vcc
	v_cndmask_b32_e64 v4, 0, v7, s[2:3]
	v_cndmask_b32_e64 v3, 0, v8, s[2:3]
	;; [unrolled: 4-line block ×6, first 2 shown]
	v_add_co_u32_e32 v1, vcc, v1, v4
	v_addc_co_u32_e32 v2, vcc, v2, v3, vcc
	v_mbcnt_lo_u32_b32 v3, -1, 0
	v_mbcnt_hi_u32_b32 v3, -1, v3
	v_and_b32_e32 v4, 63, v3
	v_cmp_ne_u32_e32 vcc, 63, v4
	v_addc_co_u32_e32 v6, vcc, 0, v3, vcc
	v_lshlrev_b32_e32 v6, 2, v6
	ds_bpermute_b32 v8, v6, v1
	ds_bpermute_b32 v7, v6, v2
	s_min_u32 s2, s30, 0x100
	v_and_b32_e32 v5, 0xc0, v0
	v_sub_u32_e64 v5, s2, v5 clamp
	v_add_u32_e32 v6, 1, v4
	v_cmp_lt_u32_e32 vcc, v6, v5
	v_mov_b32_e32 v6, v1
	s_and_saveexec_b64 s[0:1], vcc
	s_cbranch_execz .LBB828_93
; %bb.92:
	s_waitcnt lgkmcnt(1)
	v_add_co_u32_e32 v6, vcc, v1, v8
	v_addc_co_u32_e32 v2, vcc, 0, v2, vcc
	v_add_co_u32_e32 v1, vcc, 0, v6
	s_waitcnt lgkmcnt(0)
	v_addc_co_u32_e32 v2, vcc, v2, v7, vcc
.LBB828_93:
	s_or_b64 exec, exec, s[0:1]
	v_cmp_gt_u32_e32 vcc, 62, v4
	s_waitcnt lgkmcnt(0)
	v_cndmask_b32_e64 v7, 0, 2, vcc
	v_add_lshl_u32 v7, v7, v3, 2
	ds_bpermute_b32 v8, v7, v6
	ds_bpermute_b32 v7, v7, v2
	v_add_u32_e32 v9, 2, v4
	v_cmp_lt_u32_e32 vcc, v9, v5
	s_and_saveexec_b64 s[0:1], vcc
	s_cbranch_execz .LBB828_95
; %bb.94:
	s_waitcnt lgkmcnt(1)
	v_add_co_u32_e32 v6, vcc, v1, v8
	v_addc_co_u32_e32 v2, vcc, 0, v2, vcc
	v_add_co_u32_e32 v1, vcc, 0, v6
	s_waitcnt lgkmcnt(0)
	v_addc_co_u32_e32 v2, vcc, v7, v2, vcc
.LBB828_95:
	s_or_b64 exec, exec, s[0:1]
	v_cmp_gt_u32_e32 vcc, 60, v4
	s_waitcnt lgkmcnt(0)
	v_cndmask_b32_e64 v7, 0, 4, vcc
	v_add_lshl_u32 v7, v7, v3, 2
	ds_bpermute_b32 v8, v7, v6
	ds_bpermute_b32 v7, v7, v2
	v_add_u32_e32 v9, 4, v4
	v_cmp_lt_u32_e32 vcc, v9, v5
	;; [unrolled: 19-line block ×4, first 2 shown]
	s_and_saveexec_b64 s[0:1], vcc
	s_cbranch_execz .LBB828_101
; %bb.100:
	s_waitcnt lgkmcnt(1)
	v_add_co_u32_e32 v6, vcc, v1, v8
	v_addc_co_u32_e32 v2, vcc, 0, v2, vcc
	v_add_co_u32_e32 v1, vcc, 0, v6
	s_waitcnt lgkmcnt(0)
	v_addc_co_u32_e32 v2, vcc, v7, v2, vcc
.LBB828_101:
	s_or_b64 exec, exec, s[0:1]
	s_waitcnt lgkmcnt(0)
	v_lshlrev_b32_e32 v7, 2, v3
	v_or_b32_e32 v8, 0x80, v7
	ds_bpermute_b32 v6, v8, v6
	ds_bpermute_b32 v8, v8, v2
	v_add_u32_e32 v4, 32, v4
	s_waitcnt lgkmcnt(1)
	v_add_co_u32_e32 v6, vcc, v1, v6
	v_addc_co_u32_e32 v9, vcc, 0, v2, vcc
	v_add_co_u32_e32 v6, vcc, 0, v6
	s_waitcnt lgkmcnt(0)
	v_addc_co_u32_e32 v8, vcc, v9, v8, vcc
	v_cmp_lt_u32_e32 vcc, v4, v5
	v_cndmask_b32_e32 v2, v2, v8, vcc
	v_cndmask_b32_e32 v1, v1, v6, vcc
	v_cmp_eq_u32_e32 vcc, 0, v3
	s_and_saveexec_b64 s[0:1], vcc
; %bb.102:
	v_lshrrev_b32_e32 v4, 3, v0
	v_and_b32_e32 v4, 24, v4
	ds_write_b64 v4, v[1:2] offset:160
; %bb.103:
	s_or_b64 exec, exec, s[0:1]
	v_cmp_gt_u32_e32 vcc, 4, v0
	s_waitcnt lgkmcnt(0)
	s_barrier
	s_and_saveexec_b64 s[0:1], vcc
	s_cbranch_execz .LBB828_107
; %bb.104:
	v_lshlrev_b32_e32 v1, 3, v3
	ds_read_b64 v[1:2], v1 offset:160
	v_and_b32_e32 v4, 3, v3
	v_cmp_ne_u32_e32 vcc, 3, v4
	v_addc_co_u32_e32 v3, vcc, 0, v3, vcc
	v_lshlrev_b32_e32 v3, 2, v3
	s_waitcnt lgkmcnt(0)
	ds_bpermute_b32 v6, v3, v1
	ds_bpermute_b32 v5, v3, v2
	s_add_i32 s2, s2, 63
	s_lshr_b32 s8, s2, 6
	v_add_u32_e32 v3, 1, v4
	v_cmp_gt_u32_e32 vcc, s8, v3
	v_mov_b32_e32 v3, v1
	s_and_saveexec_b64 s[2:3], vcc
	s_cbranch_execz .LBB828_106
; %bb.105:
	s_waitcnt lgkmcnt(1)
	v_add_co_u32_e32 v3, vcc, v1, v6
	v_addc_co_u32_e32 v2, vcc, 0, v2, vcc
	v_add_co_u32_e32 v1, vcc, 0, v3
	s_waitcnt lgkmcnt(0)
	v_addc_co_u32_e32 v2, vcc, v5, v2, vcc
.LBB828_106:
	s_or_b64 exec, exec, s[2:3]
	s_waitcnt lgkmcnt(0)
	v_or_b32_e32 v5, 8, v7
	ds_bpermute_b32 v3, v5, v3
	ds_bpermute_b32 v5, v5, v2
	v_add_u32_e32 v4, 2, v4
	s_waitcnt lgkmcnt(1)
	v_add_co_u32_e32 v3, vcc, v1, v3
	v_addc_co_u32_e32 v6, vcc, 0, v2, vcc
	v_add_co_u32_e32 v3, vcc, 0, v3
	s_waitcnt lgkmcnt(0)
	v_addc_co_u32_e32 v5, vcc, v6, v5, vcc
	v_cmp_gt_u32_e32 vcc, s8, v4
	v_cndmask_b32_e32 v2, v2, v5, vcc
	v_cndmask_b32_e32 v1, v1, v3, vcc
.LBB828_107:
	s_or_b64 exec, exec, s[0:1]
.LBB828_108:
	v_mov_b32_e32 v3, s6
	v_cmp_eq_u32_e64 s[0:1], 0, v0
	v_mov_b32_e32 v4, s7
.LBB828_109:
	s_branch .LBB828_144
.LBB828_110:
	s_cmp_eq_u32 s33, 4
                                        ; implicit-def: $vgpr1_vgpr2
                                        ; implicit-def: $vgpr3_vgpr4
	s_cbranch_scc0 .LBB828_144
; %bb.111:
	s_mov_b32 s7, 0
	s_lshl_b32 s0, s6, 10
	s_mov_b32 s1, s7
	s_lshr_b64 s[2:3], s[20:21], 10
	s_lshl_b64 s[10:11], s[0:1], 3
	s_add_u32 s8, s24, s10
	s_addc_u32 s9, s25, s11
	s_add_u32 s10, s26, s10
	s_addc_u32 s11, s27, s11
	s_cmp_lg_u64 s[2:3], s[6:7]
	s_cbranch_scc0 .LBB828_117
; %bb.112:
	v_lshlrev_b32_e32 v3, 3, v0
	v_mov_b32_e32 v1, s9
	v_add_co_u32_e32 v10, vcc, s8, v3
	v_addc_co_u32_e32 v11, vcc, 0, v1, vcc
	v_mov_b32_e32 v1, s11
	v_add_co_u32_e32 v12, vcc, s10, v3
	v_addc_co_u32_e32 v13, vcc, 0, v1, vcc
	global_load_dwordx2 v[1:2], v3, s[8:9]
	global_load_dwordx2 v[4:5], v3, s[10:11]
	global_load_dwordx2 v[6:7], v3, s[10:11] offset:2048
	global_load_dwordx2 v[8:9], v3, s[8:9] offset:2048
	v_add_co_u32_e32 v10, vcc, 0x1000, v10
	v_addc_co_u32_e32 v11, vcc, 0, v11, vcc
	v_add_co_u32_e32 v12, vcc, 0x1000, v12
	v_addc_co_u32_e32 v13, vcc, 0, v13, vcc
	global_load_dwordx2 v[14:15], v[12:13], off offset:2048
	global_load_dwordx2 v[16:17], v[10:11], off offset:2048
	global_load_dwordx2 v[18:19], v[10:11], off
	global_load_dwordx2 v[20:21], v[12:13], off
	v_mov_b32_e32 v10, 0
	v_mbcnt_lo_u32_b32 v3, -1, 0
	v_mbcnt_hi_u32_b32 v3, -1, v3
	v_mov_b32_dpp v10, v10 quad_perm:[1,0,3,2] row_mask:0xf bank_mask:0xf bound_ctrl:1
	s_waitcnt vmcnt(4)
	v_cmp_ne_u64_e32 vcc, v[8:9], v[6:7]
	v_cndmask_b32_e64 v6, 0, 1, vcc
	v_cmp_ne_u64_e32 vcc, v[1:2], v[4:5]
	v_cndmask_b32_e64 v1, 0, 1, vcc
	s_waitcnt vmcnt(2)
	v_cmp_ne_u64_e32 vcc, v[16:17], v[14:15]
	v_cndmask_b32_e64 v2, 0, 1, vcc
	s_waitcnt vmcnt(0)
	v_cmp_ne_u64_e32 vcc, v[18:19], v[20:21]
	v_addc_co_u32_e32 v1, vcc, v6, v1, vcc
	v_add_co_u32_e32 v1, vcc, v1, v2
	v_addc_co_u32_e64 v2, s[2:3], 0, 0, vcc
	s_nop 0
	v_mov_b32_dpp v4, v1 quad_perm:[1,0,3,2] row_mask:0xf bank_mask:0xf bound_ctrl:1
	v_add_co_u32_e32 v1, vcc, v1, v4
	v_addc_co_u32_e32 v2, vcc, 0, v2, vcc
	v_add_co_u32_e32 v4, vcc, 0, v1
	v_addc_co_u32_e32 v2, vcc, v10, v2, vcc
	v_mov_b32_dpp v1, v1 quad_perm:[2,3,0,1] row_mask:0xf bank_mask:0xf bound_ctrl:1
	v_add_co_u32_e32 v1, vcc, v4, v1
	v_mov_b32_dpp v5, v2 quad_perm:[2,3,0,1] row_mask:0xf bank_mask:0xf bound_ctrl:1
	v_addc_co_u32_e32 v2, vcc, 0, v2, vcc
	v_add_co_u32_e32 v4, vcc, 0, v1
	v_addc_co_u32_e32 v2, vcc, v2, v5, vcc
	v_mov_b32_dpp v1, v1 row_ror:4 row_mask:0xf bank_mask:0xf bound_ctrl:1
	v_add_co_u32_e32 v1, vcc, v4, v1
	v_mov_b32_dpp v5, v2 row_ror:4 row_mask:0xf bank_mask:0xf bound_ctrl:1
	v_addc_co_u32_e32 v2, vcc, 0, v2, vcc
	v_add_co_u32_e32 v4, vcc, 0, v1
	v_addc_co_u32_e32 v2, vcc, v2, v5, vcc
	v_mov_b32_dpp v1, v1 row_ror:8 row_mask:0xf bank_mask:0xf bound_ctrl:1
	v_add_co_u32_e32 v1, vcc, v4, v1
	v_mov_b32_dpp v5, v2 row_ror:8 row_mask:0xf bank_mask:0xf bound_ctrl:1
	v_addc_co_u32_e32 v2, vcc, 0, v2, vcc
	v_add_co_u32_e32 v4, vcc, 0, v1
	v_addc_co_u32_e32 v2, vcc, v2, v5, vcc
	v_mov_b32_dpp v1, v1 row_bcast:15 row_mask:0xf bank_mask:0xf bound_ctrl:1
	v_add_co_u32_e32 v1, vcc, v4, v1
	v_mov_b32_dpp v5, v2 row_bcast:15 row_mask:0xf bank_mask:0xf bound_ctrl:1
	v_addc_co_u32_e32 v2, vcc, 0, v2, vcc
	v_add_co_u32_e32 v4, vcc, 0, v1
	v_addc_co_u32_e32 v2, vcc, v2, v5, vcc
	v_mov_b32_dpp v1, v1 row_bcast:31 row_mask:0xf bank_mask:0xf bound_ctrl:1
	v_add_co_u32_e32 v1, vcc, v4, v1
	v_addc_co_u32_e32 v4, vcc, 0, v2, vcc
	v_cmp_eq_u32_e32 vcc, 0, v3
	s_nop 0
	v_add_u32_dpp v2, v2, v4 row_bcast:31 row_mask:0xf bank_mask:0xf bound_ctrl:1
	v_lshlrev_b32_e32 v4, 2, v3
	v_or_b32_e32 v5, 0xfc, v4
	ds_bpermute_b32 v1, v5, v1
	ds_bpermute_b32 v2, v5, v2
	s_and_saveexec_b64 s[2:3], vcc
	s_cbranch_execz .LBB828_114
; %bb.113:
	v_lshrrev_b32_e32 v5, 3, v0
	v_and_b32_e32 v5, 24, v5
	s_waitcnt lgkmcnt(0)
	ds_write_b64 v5, v[1:2] offset:96
.LBB828_114:
	s_or_b64 exec, exec, s[2:3]
	v_cmp_gt_u32_e32 vcc, 64, v0
	s_waitcnt lgkmcnt(0)
	s_barrier
	s_and_saveexec_b64 s[2:3], vcc
	s_cbranch_execz .LBB828_116
; %bb.115:
	v_and_b32_e32 v5, 3, v3
	v_lshlrev_b32_e32 v1, 3, v5
	ds_read_b64 v[1:2], v1 offset:96
	v_cmp_ne_u32_e32 vcc, 3, v5
	v_addc_co_u32_e32 v3, vcc, 0, v3, vcc
	v_lshlrev_b32_e32 v3, 2, v3
	s_waitcnt lgkmcnt(0)
	ds_bpermute_b32 v5, v3, v1
	ds_bpermute_b32 v3, v3, v2
	v_or_b32_e32 v4, 8, v4
	s_waitcnt lgkmcnt(1)
	v_add_co_u32_e32 v1, vcc, v1, v5
	v_addc_co_u32_e32 v2, vcc, 0, v2, vcc
	ds_bpermute_b32 v5, v4, v1
	v_add_co_u32_e32 v1, vcc, 0, v1
	s_waitcnt lgkmcnt(1)
	v_addc_co_u32_e32 v2, vcc, v3, v2, vcc
	ds_bpermute_b32 v3, v4, v2
	s_waitcnt lgkmcnt(1)
	v_add_co_u32_e32 v1, vcc, v1, v5
	v_addc_co_u32_e32 v2, vcc, 0, v2, vcc
	v_add_co_u32_e32 v1, vcc, 0, v1
	s_waitcnt lgkmcnt(0)
	v_addc_co_u32_e32 v2, vcc, v2, v3, vcc
.LBB828_116:
	s_or_b64 exec, exec, s[2:3]
	s_branch .LBB828_143
.LBB828_117:
                                        ; implicit-def: $vgpr1_vgpr2
	s_cbranch_execz .LBB828_143
; %bb.118:
	s_sub_i32 s14, s20, s0
	v_mov_b32_e32 v1, 0
	v_cmp_gt_u32_e32 vcc, s14, v0
	v_mov_b32_e32 v2, v1
	v_mov_b32_e32 v3, v1
	;; [unrolled: 1-line block ×7, first 2 shown]
	s_and_saveexec_b64 s[0:1], vcc
	s_cbranch_execz .LBB828_120
; %bb.119:
	v_lshlrev_b32_e32 v2, 3, v0
	global_load_dwordx2 v[9:10], v2, s[8:9]
	global_load_dwordx2 v[11:12], v2, s[10:11]
	v_mov_b32_e32 v3, v1
	v_mov_b32_e32 v4, v1
	;; [unrolled: 1-line block ×6, first 2 shown]
	s_waitcnt vmcnt(0)
	v_cmp_ne_u64_e32 vcc, v[9:10], v[11:12]
	v_mov_b32_e32 v9, v1
	v_cndmask_b32_e64 v2, 0, 1, vcc
	v_and_b32_e32 v2, 0xffff, v2
	v_mov_b32_e32 v1, v2
	v_mov_b32_e32 v2, v3
	;; [unrolled: 1-line block ×8, first 2 shown]
.LBB828_120:
	s_or_b64 exec, exec, s[0:1]
	v_or_b32_e32 v9, 0x100, v0
	v_cmp_gt_u32_e32 vcc, s14, v9
	s_and_saveexec_b64 s[2:3], vcc
	s_cbranch_execz .LBB828_122
; %bb.121:
	v_lshlrev_b32_e32 v11, 3, v0
	global_load_dwordx2 v[3:4], v11, s[8:9] offset:2048
	global_load_dwordx2 v[9:10], v11, s[10:11] offset:2048
	s_mov_b32 s12, 0
	s_waitcnt vmcnt(0)
	v_cmp_ne_u64_e64 s[0:1], v[3:4], v[9:10]
	v_mov_b32_e32 v4, s12
	v_cndmask_b32_e64 v3, 0, 1, s[0:1]
.LBB828_122:
	s_or_b64 exec, exec, s[2:3]
	v_or_b32_e32 v9, 0x200, v0
	v_cmp_gt_u32_e64 s[0:1], s14, v9
	s_and_saveexec_b64 s[12:13], s[0:1]
	s_cbranch_execz .LBB828_124
; %bb.123:
	v_lshlrev_b32_e32 v11, 3, v9
	global_load_dwordx2 v[5:6], v11, s[8:9]
	global_load_dwordx2 v[9:10], v11, s[10:11]
	s_mov_b32 s15, 0
	s_waitcnt vmcnt(0)
	v_cmp_ne_u64_e64 s[2:3], v[5:6], v[9:10]
	v_mov_b32_e32 v6, s15
	v_cndmask_b32_e64 v5, 0, 1, s[2:3]
.LBB828_124:
	s_or_b64 exec, exec, s[12:13]
	v_or_b32_e32 v9, 0x300, v0
	v_cmp_gt_u32_e64 s[2:3], s14, v9
	s_and_saveexec_b64 s[12:13], s[2:3]
	s_cbranch_execz .LBB828_126
; %bb.125:
	v_lshlrev_b32_e32 v11, 3, v9
	global_load_dwordx2 v[7:8], v11, s[8:9]
	global_load_dwordx2 v[9:10], v11, s[10:11]
	s_mov_b32 s10, 0
	s_waitcnt vmcnt(0)
	v_cmp_ne_u64_e64 s[8:9], v[7:8], v[9:10]
	v_mov_b32_e32 v8, s10
	v_cndmask_b32_e64 v7, 0, 1, s[8:9]
.LBB828_126:
	s_or_b64 exec, exec, s[12:13]
	v_cndmask_b32_e32 v3, 0, v3, vcc
	v_cndmask_b32_e32 v4, 0, v4, vcc
	v_add_co_u32_e32 v1, vcc, v3, v1
	v_addc_co_u32_e32 v2, vcc, v4, v2, vcc
	v_cndmask_b32_e64 v4, 0, v5, s[0:1]
	v_cndmask_b32_e64 v3, 0, v6, s[0:1]
	v_add_co_u32_e32 v1, vcc, v1, v4
	v_addc_co_u32_e32 v2, vcc, v2, v3, vcc
	v_cndmask_b32_e64 v4, 0, v7, s[2:3]
	v_cndmask_b32_e64 v3, 0, v8, s[2:3]
	v_add_co_u32_e32 v1, vcc, v1, v4
	v_addc_co_u32_e32 v2, vcc, v2, v3, vcc
	v_mbcnt_lo_u32_b32 v3, -1, 0
	v_mbcnt_hi_u32_b32 v3, -1, v3
	v_and_b32_e32 v4, 63, v3
	v_cmp_ne_u32_e32 vcc, 63, v4
	v_addc_co_u32_e32 v6, vcc, 0, v3, vcc
	v_lshlrev_b32_e32 v6, 2, v6
	ds_bpermute_b32 v8, v6, v1
	ds_bpermute_b32 v7, v6, v2
	s_min_u32 s2, s14, 0x100
	v_and_b32_e32 v5, 0xc0, v0
	v_sub_u32_e64 v5, s2, v5 clamp
	v_add_u32_e32 v6, 1, v4
	v_cmp_lt_u32_e32 vcc, v6, v5
	v_mov_b32_e32 v6, v1
	s_and_saveexec_b64 s[0:1], vcc
	s_cbranch_execz .LBB828_128
; %bb.127:
	s_waitcnt lgkmcnt(1)
	v_add_co_u32_e32 v6, vcc, v1, v8
	v_addc_co_u32_e32 v2, vcc, 0, v2, vcc
	v_add_co_u32_e32 v1, vcc, 0, v6
	s_waitcnt lgkmcnt(0)
	v_addc_co_u32_e32 v2, vcc, v7, v2, vcc
.LBB828_128:
	s_or_b64 exec, exec, s[0:1]
	v_cmp_gt_u32_e32 vcc, 62, v4
	s_waitcnt lgkmcnt(0)
	v_cndmask_b32_e64 v7, 0, 2, vcc
	v_add_lshl_u32 v7, v7, v3, 2
	ds_bpermute_b32 v8, v7, v6
	ds_bpermute_b32 v7, v7, v2
	v_add_u32_e32 v9, 2, v4
	v_cmp_lt_u32_e32 vcc, v9, v5
	s_and_saveexec_b64 s[0:1], vcc
	s_cbranch_execz .LBB828_130
; %bb.129:
	s_waitcnt lgkmcnt(1)
	v_add_co_u32_e32 v6, vcc, v1, v8
	v_addc_co_u32_e32 v2, vcc, 0, v2, vcc
	v_add_co_u32_e32 v1, vcc, 0, v6
	s_waitcnt lgkmcnt(0)
	v_addc_co_u32_e32 v2, vcc, v7, v2, vcc
.LBB828_130:
	s_or_b64 exec, exec, s[0:1]
	v_cmp_gt_u32_e32 vcc, 60, v4
	s_waitcnt lgkmcnt(0)
	v_cndmask_b32_e64 v7, 0, 4, vcc
	v_add_lshl_u32 v7, v7, v3, 2
	ds_bpermute_b32 v8, v7, v6
	ds_bpermute_b32 v7, v7, v2
	v_add_u32_e32 v9, 4, v4
	v_cmp_lt_u32_e32 vcc, v9, v5
	;; [unrolled: 19-line block ×4, first 2 shown]
	s_and_saveexec_b64 s[0:1], vcc
	s_cbranch_execz .LBB828_136
; %bb.135:
	s_waitcnt lgkmcnt(1)
	v_add_co_u32_e32 v6, vcc, v1, v8
	v_addc_co_u32_e32 v2, vcc, 0, v2, vcc
	v_add_co_u32_e32 v1, vcc, 0, v6
	s_waitcnt lgkmcnt(0)
	v_addc_co_u32_e32 v2, vcc, v7, v2, vcc
.LBB828_136:
	s_or_b64 exec, exec, s[0:1]
	s_waitcnt lgkmcnt(0)
	v_lshlrev_b32_e32 v7, 2, v3
	v_or_b32_e32 v8, 0x80, v7
	ds_bpermute_b32 v6, v8, v6
	ds_bpermute_b32 v8, v8, v2
	v_add_u32_e32 v4, 32, v4
	s_waitcnt lgkmcnt(1)
	v_add_co_u32_e32 v6, vcc, v1, v6
	v_addc_co_u32_e32 v9, vcc, 0, v2, vcc
	v_add_co_u32_e32 v6, vcc, 0, v6
	s_waitcnt lgkmcnt(0)
	v_addc_co_u32_e32 v8, vcc, v9, v8, vcc
	v_cmp_lt_u32_e32 vcc, v4, v5
	v_cndmask_b32_e32 v2, v2, v8, vcc
	v_cndmask_b32_e32 v1, v1, v6, vcc
	v_cmp_eq_u32_e32 vcc, 0, v3
	s_and_saveexec_b64 s[0:1], vcc
; %bb.137:
	v_lshrrev_b32_e32 v4, 3, v0
	v_and_b32_e32 v4, 24, v4
	ds_write_b64 v4, v[1:2] offset:160
; %bb.138:
	s_or_b64 exec, exec, s[0:1]
	v_cmp_gt_u32_e32 vcc, 4, v0
	s_waitcnt lgkmcnt(0)
	s_barrier
	s_and_saveexec_b64 s[0:1], vcc
	s_cbranch_execz .LBB828_142
; %bb.139:
	v_lshlrev_b32_e32 v1, 3, v3
	ds_read_b64 v[1:2], v1 offset:160
	v_and_b32_e32 v4, 3, v3
	v_cmp_ne_u32_e32 vcc, 3, v4
	v_addc_co_u32_e32 v3, vcc, 0, v3, vcc
	v_lshlrev_b32_e32 v3, 2, v3
	s_waitcnt lgkmcnt(0)
	ds_bpermute_b32 v6, v3, v1
	ds_bpermute_b32 v5, v3, v2
	s_add_i32 s2, s2, 63
	s_lshr_b32 s8, s2, 6
	v_add_u32_e32 v3, 1, v4
	v_cmp_gt_u32_e32 vcc, s8, v3
	v_mov_b32_e32 v3, v1
	s_and_saveexec_b64 s[2:3], vcc
	s_cbranch_execz .LBB828_141
; %bb.140:
	s_waitcnt lgkmcnt(1)
	v_add_co_u32_e32 v3, vcc, v1, v6
	v_addc_co_u32_e32 v2, vcc, 0, v2, vcc
	v_add_co_u32_e32 v1, vcc, 0, v3
	s_waitcnt lgkmcnt(0)
	v_addc_co_u32_e32 v2, vcc, v5, v2, vcc
.LBB828_141:
	s_or_b64 exec, exec, s[2:3]
	s_waitcnt lgkmcnt(0)
	v_or_b32_e32 v5, 8, v7
	ds_bpermute_b32 v3, v5, v3
	ds_bpermute_b32 v5, v5, v2
	v_add_u32_e32 v4, 2, v4
	s_waitcnt lgkmcnt(1)
	v_add_co_u32_e32 v3, vcc, v1, v3
	v_addc_co_u32_e32 v6, vcc, 0, v2, vcc
	v_add_co_u32_e32 v3, vcc, 0, v3
	s_waitcnt lgkmcnt(0)
	v_addc_co_u32_e32 v5, vcc, v6, v5, vcc
	v_cmp_gt_u32_e32 vcc, s8, v4
	v_cndmask_b32_e32 v2, v2, v5, vcc
	v_cndmask_b32_e32 v1, v1, v3, vcc
.LBB828_142:
	s_or_b64 exec, exec, s[0:1]
.LBB828_143:
	v_mov_b32_e32 v3, s6
	v_cmp_eq_u32_e64 s[0:1], 0, v0
	v_mov_b32_e32 v4, s7
.LBB828_144:
	s_branch .LBB828_206
.LBB828_145:
	s_cmp_gt_i32 s33, 1
	s_cbranch_scc0 .LBB828_153
; %bb.146:
	s_cmp_eq_u32 s33, 2
                                        ; implicit-def: $vgpr1_vgpr2
                                        ; implicit-def: $vgpr3_vgpr4
	s_cbranch_scc0 .LBB828_154
; %bb.147:
	s_mov_b32 s7, 0
	s_lshl_b32 s8, s6, 9
	s_mov_b32 s9, s7
	s_lshr_b64 s[10:11], s[20:21], 9
	s_lshl_b64 s[2:3], s[8:9], 3
	s_add_u32 s0, s24, s2
	s_addc_u32 s1, s25, s3
	s_add_u32 s2, s26, s2
	s_addc_u32 s3, s27, s3
	s_cmp_lg_u64 s[10:11], s[6:7]
	s_cbranch_scc0 .LBB828_155
; %bb.148:
	v_lshlrev_b32_e32 v3, 3, v0
	global_load_dwordx2 v[1:2], v3, s[0:1]
	global_load_dwordx2 v[5:6], v3, s[2:3]
	global_load_dwordx2 v[7:8], v3, s[2:3] offset:2048
	global_load_dwordx2 v[9:10], v3, s[0:1] offset:2048
	v_mov_b32_e32 v4, 0
	v_mbcnt_lo_u32_b32 v3, -1, 0
	v_mbcnt_hi_u32_b32 v3, -1, v3
	v_mov_b32_dpp v11, v4 quad_perm:[1,0,3,2] row_mask:0xf bank_mask:0xf bound_ctrl:1
	v_lshlrev_b32_e32 v4, 2, v3
	v_or_b32_e32 v12, 0xfc, v4
	s_waitcnt vmcnt(2)
	v_cmp_ne_u64_e32 vcc, v[1:2], v[5:6]
	v_cndmask_b32_e64 v1, 0, 1, vcc
	s_waitcnt vmcnt(0)
	v_cmp_ne_u64_e32 vcc, v[9:10], v[7:8]
	v_addc_co_u32_e32 v1, vcc, 0, v1, vcc
	s_nop 1
	v_mov_b32_dpp v2, v1 quad_perm:[1,0,3,2] row_mask:0xf bank_mask:0xf bound_ctrl:1
	v_add_co_u32_e32 v1, vcc, v1, v2
	v_addc_co_u32_e64 v2, s[10:11], 0, 0, vcc
	v_add_co_u32_e32 v5, vcc, 0, v1
	v_addc_co_u32_e32 v2, vcc, v11, v2, vcc
	v_mov_b32_dpp v1, v1 quad_perm:[2,3,0,1] row_mask:0xf bank_mask:0xf bound_ctrl:1
	v_add_co_u32_e32 v1, vcc, v5, v1
	v_mov_b32_dpp v6, v2 quad_perm:[2,3,0,1] row_mask:0xf bank_mask:0xf bound_ctrl:1
	v_addc_co_u32_e32 v2, vcc, 0, v2, vcc
	v_add_co_u32_e32 v5, vcc, 0, v1
	v_addc_co_u32_e32 v2, vcc, v2, v6, vcc
	v_mov_b32_dpp v1, v1 row_ror:4 row_mask:0xf bank_mask:0xf bound_ctrl:1
	v_add_co_u32_e32 v1, vcc, v5, v1
	v_mov_b32_dpp v6, v2 row_ror:4 row_mask:0xf bank_mask:0xf bound_ctrl:1
	v_addc_co_u32_e32 v2, vcc, 0, v2, vcc
	v_add_co_u32_e32 v5, vcc, 0, v1
	v_addc_co_u32_e32 v2, vcc, v2, v6, vcc
	v_mov_b32_dpp v1, v1 row_ror:8 row_mask:0xf bank_mask:0xf bound_ctrl:1
	v_add_co_u32_e32 v1, vcc, v5, v1
	v_mov_b32_dpp v6, v2 row_ror:8 row_mask:0xf bank_mask:0xf bound_ctrl:1
	v_addc_co_u32_e32 v2, vcc, 0, v2, vcc
	v_add_co_u32_e32 v5, vcc, 0, v1
	v_addc_co_u32_e32 v2, vcc, v2, v6, vcc
	v_mov_b32_dpp v1, v1 row_bcast:15 row_mask:0xf bank_mask:0xf bound_ctrl:1
	v_add_co_u32_e32 v1, vcc, v5, v1
	v_mov_b32_dpp v6, v2 row_bcast:15 row_mask:0xf bank_mask:0xf bound_ctrl:1
	v_addc_co_u32_e32 v2, vcc, 0, v2, vcc
	v_add_co_u32_e32 v5, vcc, 0, v1
	v_addc_co_u32_e32 v2, vcc, v2, v6, vcc
	v_mov_b32_dpp v1, v1 row_bcast:31 row_mask:0xf bank_mask:0xf bound_ctrl:1
	v_add_co_u32_e32 v1, vcc, v5, v1
	v_addc_co_u32_e32 v5, vcc, 0, v2, vcc
	ds_bpermute_b32 v1, v12, v1
	s_nop 0
	v_add_u32_dpp v2, v2, v5 row_bcast:31 row_mask:0xf bank_mask:0xf bound_ctrl:1
	ds_bpermute_b32 v2, v12, v2
	v_cmp_eq_u32_e32 vcc, 0, v3
	s_and_saveexec_b64 s[10:11], vcc
	s_cbranch_execz .LBB828_150
; %bb.149:
	v_lshrrev_b32_e32 v5, 3, v0
	v_and_b32_e32 v5, 24, v5
	s_waitcnt lgkmcnt(0)
	ds_write_b64 v5, v[1:2] offset:64
.LBB828_150:
	s_or_b64 exec, exec, s[10:11]
	v_cmp_gt_u32_e32 vcc, 64, v0
	s_waitcnt lgkmcnt(0)
	s_barrier
	s_and_saveexec_b64 s[10:11], vcc
	s_cbranch_execz .LBB828_152
; %bb.151:
	v_and_b32_e32 v5, 3, v3
	v_lshlrev_b32_e32 v1, 3, v5
	ds_read_b64 v[1:2], v1 offset:64
	v_cmp_ne_u32_e32 vcc, 3, v5
	v_addc_co_u32_e32 v3, vcc, 0, v3, vcc
	v_lshlrev_b32_e32 v3, 2, v3
	s_waitcnt lgkmcnt(0)
	ds_bpermute_b32 v5, v3, v1
	ds_bpermute_b32 v3, v3, v2
	v_or_b32_e32 v4, 8, v4
	s_waitcnt lgkmcnt(1)
	v_add_co_u32_e32 v1, vcc, v1, v5
	v_addc_co_u32_e32 v2, vcc, 0, v2, vcc
	ds_bpermute_b32 v5, v4, v1
	v_add_co_u32_e32 v1, vcc, 0, v1
	s_waitcnt lgkmcnt(1)
	v_addc_co_u32_e32 v2, vcc, v3, v2, vcc
	ds_bpermute_b32 v3, v4, v2
	s_waitcnt lgkmcnt(1)
	v_add_co_u32_e32 v1, vcc, v1, v5
	v_addc_co_u32_e32 v2, vcc, 0, v2, vcc
	v_add_co_u32_e32 v1, vcc, 0, v1
	s_waitcnt lgkmcnt(0)
	v_addc_co_u32_e32 v2, vcc, v2, v3, vcc
.LBB828_152:
	s_or_b64 exec, exec, s[10:11]
	s_branch .LBB828_177
.LBB828_153:
                                        ; implicit-def: $vgpr1_vgpr2
                                        ; implicit-def: $vgpr3_vgpr4
	s_cbranch_execnz .LBB828_178
	s_branch .LBB828_206
.LBB828_154:
	s_branch .LBB828_206
.LBB828_155:
                                        ; implicit-def: $vgpr1_vgpr2
	s_cbranch_execz .LBB828_177
; %bb.156:
	s_sub_i32 s10, s20, s8
	v_mov_b32_e32 v1, 0
	v_cmp_gt_u32_e32 vcc, s10, v0
	v_mov_b32_e32 v2, v1
	v_mov_b32_e32 v3, v1
	;; [unrolled: 1-line block ×3, first 2 shown]
	s_and_saveexec_b64 s[8:9], vcc
	s_cbranch_execz .LBB828_158
; %bb.157:
	v_lshlrev_b32_e32 v2, 3, v0
	global_load_dwordx2 v[5:6], v2, s[0:1]
	global_load_dwordx2 v[7:8], v2, s[2:3]
	v_mov_b32_e32 v3, v1
	v_mov_b32_e32 v4, v1
	s_waitcnt vmcnt(0)
	v_cmp_ne_u64_e32 vcc, v[5:6], v[7:8]
	v_mov_b32_e32 v5, v1
	v_cndmask_b32_e64 v2, 0, 1, vcc
	v_and_b32_e32 v2, 0xffff, v2
	v_mov_b32_e32 v1, v2
	v_mov_b32_e32 v2, v3
	;; [unrolled: 1-line block ×4, first 2 shown]
.LBB828_158:
	s_or_b64 exec, exec, s[8:9]
	v_or_b32_e32 v5, 0x100, v0
	v_cmp_gt_u32_e32 vcc, s10, v5
	s_and_saveexec_b64 s[8:9], vcc
	s_cbranch_execz .LBB828_160
; %bb.159:
	v_lshlrev_b32_e32 v7, 3, v0
	global_load_dwordx2 v[3:4], v7, s[0:1] offset:2048
	global_load_dwordx2 v[5:6], v7, s[2:3] offset:2048
	s_mov_b32 s2, 0
	s_waitcnt vmcnt(0)
	v_cmp_ne_u64_e64 s[0:1], v[3:4], v[5:6]
	v_mov_b32_e32 v4, s2
	v_cndmask_b32_e64 v3, 0, 1, s[0:1]
.LBB828_160:
	s_or_b64 exec, exec, s[8:9]
	v_cndmask_b32_e32 v3, 0, v3, vcc
	v_cndmask_b32_e32 v4, 0, v4, vcc
	v_add_co_u32_e32 v1, vcc, v3, v1
	v_mbcnt_lo_u32_b32 v3, -1, 0
	v_mbcnt_hi_u32_b32 v3, -1, v3
	v_addc_co_u32_e32 v2, vcc, v4, v2, vcc
	v_and_b32_e32 v4, 63, v3
	v_cmp_ne_u32_e32 vcc, 63, v4
	v_addc_co_u32_e32 v6, vcc, 0, v3, vcc
	v_lshlrev_b32_e32 v6, 2, v6
	ds_bpermute_b32 v8, v6, v1
	ds_bpermute_b32 v7, v6, v2
	s_min_u32 s2, s10, 0x100
	v_and_b32_e32 v5, 0xc0, v0
	v_sub_u32_e64 v5, s2, v5 clamp
	v_add_u32_e32 v6, 1, v4
	v_cmp_lt_u32_e32 vcc, v6, v5
	v_mov_b32_e32 v6, v1
	s_and_saveexec_b64 s[0:1], vcc
	s_cbranch_execz .LBB828_162
; %bb.161:
	s_waitcnt lgkmcnt(1)
	v_add_co_u32_e32 v6, vcc, v1, v8
	v_addc_co_u32_e32 v2, vcc, 0, v2, vcc
	v_add_co_u32_e32 v1, vcc, 0, v6
	s_waitcnt lgkmcnt(0)
	v_addc_co_u32_e32 v2, vcc, v7, v2, vcc
.LBB828_162:
	s_or_b64 exec, exec, s[0:1]
	v_cmp_gt_u32_e32 vcc, 62, v4
	s_waitcnt lgkmcnt(0)
	v_cndmask_b32_e64 v7, 0, 2, vcc
	v_add_lshl_u32 v7, v7, v3, 2
	ds_bpermute_b32 v8, v7, v6
	ds_bpermute_b32 v7, v7, v2
	v_add_u32_e32 v9, 2, v4
	v_cmp_lt_u32_e32 vcc, v9, v5
	s_and_saveexec_b64 s[0:1], vcc
	s_cbranch_execz .LBB828_164
; %bb.163:
	s_waitcnt lgkmcnt(1)
	v_add_co_u32_e32 v6, vcc, v1, v8
	v_addc_co_u32_e32 v2, vcc, 0, v2, vcc
	v_add_co_u32_e32 v1, vcc, 0, v6
	s_waitcnt lgkmcnt(0)
	v_addc_co_u32_e32 v2, vcc, v7, v2, vcc
.LBB828_164:
	s_or_b64 exec, exec, s[0:1]
	v_cmp_gt_u32_e32 vcc, 60, v4
	s_waitcnt lgkmcnt(0)
	v_cndmask_b32_e64 v7, 0, 4, vcc
	v_add_lshl_u32 v7, v7, v3, 2
	ds_bpermute_b32 v8, v7, v6
	ds_bpermute_b32 v7, v7, v2
	v_add_u32_e32 v9, 4, v4
	v_cmp_lt_u32_e32 vcc, v9, v5
	;; [unrolled: 19-line block ×4, first 2 shown]
	s_and_saveexec_b64 s[0:1], vcc
	s_cbranch_execz .LBB828_170
; %bb.169:
	s_waitcnt lgkmcnt(1)
	v_add_co_u32_e32 v6, vcc, v1, v8
	v_addc_co_u32_e32 v2, vcc, 0, v2, vcc
	v_add_co_u32_e32 v1, vcc, 0, v6
	s_waitcnt lgkmcnt(0)
	v_addc_co_u32_e32 v2, vcc, v7, v2, vcc
.LBB828_170:
	s_or_b64 exec, exec, s[0:1]
	s_waitcnt lgkmcnt(0)
	v_lshlrev_b32_e32 v7, 2, v3
	v_or_b32_e32 v8, 0x80, v7
	ds_bpermute_b32 v6, v8, v6
	ds_bpermute_b32 v8, v8, v2
	v_add_u32_e32 v4, 32, v4
	s_waitcnt lgkmcnt(1)
	v_add_co_u32_e32 v6, vcc, v1, v6
	v_addc_co_u32_e32 v9, vcc, 0, v2, vcc
	v_add_co_u32_e32 v6, vcc, 0, v6
	s_waitcnt lgkmcnt(0)
	v_addc_co_u32_e32 v8, vcc, v9, v8, vcc
	v_cmp_lt_u32_e32 vcc, v4, v5
	v_cndmask_b32_e32 v2, v2, v8, vcc
	v_cndmask_b32_e32 v1, v1, v6, vcc
	v_cmp_eq_u32_e32 vcc, 0, v3
	s_and_saveexec_b64 s[0:1], vcc
; %bb.171:
	v_lshrrev_b32_e32 v4, 3, v0
	v_and_b32_e32 v4, 24, v4
	ds_write_b64 v4, v[1:2] offset:160
; %bb.172:
	s_or_b64 exec, exec, s[0:1]
	v_cmp_gt_u32_e32 vcc, 4, v0
	s_waitcnt lgkmcnt(0)
	s_barrier
	s_and_saveexec_b64 s[0:1], vcc
	s_cbranch_execz .LBB828_176
; %bb.173:
	v_lshlrev_b32_e32 v1, 3, v3
	ds_read_b64 v[1:2], v1 offset:160
	v_and_b32_e32 v4, 3, v3
	v_cmp_ne_u32_e32 vcc, 3, v4
	v_addc_co_u32_e32 v3, vcc, 0, v3, vcc
	v_lshlrev_b32_e32 v3, 2, v3
	s_waitcnt lgkmcnt(0)
	ds_bpermute_b32 v6, v3, v1
	ds_bpermute_b32 v5, v3, v2
	s_add_i32 s2, s2, 63
	s_lshr_b32 s8, s2, 6
	v_add_u32_e32 v3, 1, v4
	v_cmp_gt_u32_e32 vcc, s8, v3
	v_mov_b32_e32 v3, v1
	s_and_saveexec_b64 s[2:3], vcc
	s_cbranch_execz .LBB828_175
; %bb.174:
	s_waitcnt lgkmcnt(1)
	v_add_co_u32_e32 v3, vcc, v1, v6
	v_addc_co_u32_e32 v2, vcc, 0, v2, vcc
	v_add_co_u32_e32 v1, vcc, 0, v3
	s_waitcnt lgkmcnt(0)
	v_addc_co_u32_e32 v2, vcc, v5, v2, vcc
.LBB828_175:
	s_or_b64 exec, exec, s[2:3]
	s_waitcnt lgkmcnt(0)
	v_or_b32_e32 v5, 8, v7
	ds_bpermute_b32 v3, v5, v3
	ds_bpermute_b32 v5, v5, v2
	v_add_u32_e32 v4, 2, v4
	s_waitcnt lgkmcnt(1)
	v_add_co_u32_e32 v3, vcc, v1, v3
	v_addc_co_u32_e32 v6, vcc, 0, v2, vcc
	v_add_co_u32_e32 v3, vcc, 0, v3
	s_waitcnt lgkmcnt(0)
	v_addc_co_u32_e32 v5, vcc, v6, v5, vcc
	v_cmp_gt_u32_e32 vcc, s8, v4
	v_cndmask_b32_e32 v2, v2, v5, vcc
	v_cndmask_b32_e32 v1, v1, v3, vcc
.LBB828_176:
	s_or_b64 exec, exec, s[0:1]
.LBB828_177:
	v_mov_b32_e32 v3, s6
	v_cmp_eq_u32_e64 s[0:1], 0, v0
	v_mov_b32_e32 v4, s7
	s_branch .LBB828_206
.LBB828_178:
	s_cmp_eq_u32 s33, 1
                                        ; implicit-def: $vgpr1_vgpr2
                                        ; implicit-def: $vgpr3_vgpr4
	s_cbranch_scc0 .LBB828_206
; %bb.179:
	s_mov_b32 s1, 0
	s_lshl_b32 s0, s6, 8
	s_mov_b32 s7, s1
	s_lshr_b64 s[2:3], s[20:21], 8
	s_cmp_lg_u64 s[2:3], s[6:7]
	v_mbcnt_lo_u32_b32 v3, -1, 0
	s_cbranch_scc0 .LBB828_185
; %bb.180:
	s_lshl_b64 s[2:3], s[0:1], 3
	s_add_u32 s8, s24, s2
	s_addc_u32 s9, s25, s3
	s_add_u32 s2, s26, s2
	v_lshlrev_b32_e32 v4, 3, v0
	s_addc_u32 s3, s27, s3
	global_load_dwordx2 v[1:2], v4, s[8:9]
	global_load_dwordx2 v[6:7], v4, s[2:3]
	v_mov_b32_e32 v5, 0
	v_mbcnt_hi_u32_b32 v4, -1, v3
	s_waitcnt vmcnt(0)
	v_cmp_ne_u64_e32 vcc, v[1:2], v[6:7]
	v_mov_b32_dpp v8, v5 quad_perm:[1,0,3,2] row_mask:0xf bank_mask:0xf bound_ctrl:1
	v_cndmask_b32_e64 v1, 0, 1, vcc
	v_lshlrev_b32_e32 v5, 2, v4
	v_or_b32_e32 v9, 0xfc, v5
	v_mov_b32_dpp v2, v1 quad_perm:[1,0,3,2] row_mask:0xf bank_mask:0xf bound_ctrl:1
	v_add_co_u32_e32 v1, vcc, v2, v1
	v_addc_co_u32_e64 v2, s[2:3], 0, 0, vcc
	v_add_co_u32_e32 v6, vcc, 0, v1
	v_addc_co_u32_e32 v2, vcc, v8, v2, vcc
	v_mov_b32_dpp v1, v1 quad_perm:[2,3,0,1] row_mask:0xf bank_mask:0xf bound_ctrl:1
	v_add_co_u32_e32 v1, vcc, v6, v1
	v_mov_b32_dpp v7, v2 quad_perm:[2,3,0,1] row_mask:0xf bank_mask:0xf bound_ctrl:1
	v_addc_co_u32_e32 v2, vcc, 0, v2, vcc
	v_add_co_u32_e32 v6, vcc, 0, v1
	v_addc_co_u32_e32 v2, vcc, v2, v7, vcc
	v_mov_b32_dpp v1, v1 row_ror:4 row_mask:0xf bank_mask:0xf bound_ctrl:1
	v_add_co_u32_e32 v1, vcc, v6, v1
	v_mov_b32_dpp v7, v2 row_ror:4 row_mask:0xf bank_mask:0xf bound_ctrl:1
	v_addc_co_u32_e32 v2, vcc, 0, v2, vcc
	v_add_co_u32_e32 v6, vcc, 0, v1
	v_addc_co_u32_e32 v2, vcc, v2, v7, vcc
	v_mov_b32_dpp v1, v1 row_ror:8 row_mask:0xf bank_mask:0xf bound_ctrl:1
	v_add_co_u32_e32 v1, vcc, v6, v1
	v_mov_b32_dpp v7, v2 row_ror:8 row_mask:0xf bank_mask:0xf bound_ctrl:1
	v_addc_co_u32_e32 v2, vcc, 0, v2, vcc
	v_add_co_u32_e32 v6, vcc, 0, v1
	v_addc_co_u32_e32 v2, vcc, v2, v7, vcc
	v_mov_b32_dpp v1, v1 row_bcast:15 row_mask:0xf bank_mask:0xf bound_ctrl:1
	v_add_co_u32_e32 v1, vcc, v6, v1
	v_mov_b32_dpp v7, v2 row_bcast:15 row_mask:0xf bank_mask:0xf bound_ctrl:1
	v_addc_co_u32_e32 v2, vcc, 0, v2, vcc
	v_add_co_u32_e32 v6, vcc, 0, v1
	v_addc_co_u32_e32 v2, vcc, v2, v7, vcc
	v_mov_b32_dpp v1, v1 row_bcast:31 row_mask:0xf bank_mask:0xf bound_ctrl:1
	v_add_co_u32_e32 v1, vcc, v6, v1
	v_addc_co_u32_e32 v6, vcc, 0, v2, vcc
	ds_bpermute_b32 v1, v9, v1
	s_nop 0
	v_add_u32_dpp v2, v2, v6 row_bcast:31 row_mask:0xf bank_mask:0xf bound_ctrl:1
	ds_bpermute_b32 v2, v9, v2
	v_cmp_eq_u32_e32 vcc, 0, v4
	s_and_saveexec_b64 s[2:3], vcc
	s_cbranch_execz .LBB828_182
; %bb.181:
	v_lshrrev_b32_e32 v6, 3, v0
	v_and_b32_e32 v6, 24, v6
	s_waitcnt lgkmcnt(0)
	ds_write_b64 v6, v[1:2] offset:32
.LBB828_182:
	s_or_b64 exec, exec, s[2:3]
	v_cmp_gt_u32_e32 vcc, 64, v0
	s_waitcnt lgkmcnt(0)
	s_barrier
	s_and_saveexec_b64 s[2:3], vcc
	s_cbranch_execz .LBB828_184
; %bb.183:
	v_and_b32_e32 v6, 3, v4
	v_lshlrev_b32_e32 v1, 3, v6
	ds_read_b64 v[1:2], v1 offset:32
	v_cmp_ne_u32_e32 vcc, 3, v6
	v_addc_co_u32_e32 v4, vcc, 0, v4, vcc
	v_lshlrev_b32_e32 v4, 2, v4
	s_waitcnt lgkmcnt(0)
	ds_bpermute_b32 v6, v4, v1
	ds_bpermute_b32 v4, v4, v2
	v_or_b32_e32 v5, 8, v5
	s_waitcnt lgkmcnt(1)
	v_add_co_u32_e32 v1, vcc, v1, v6
	v_addc_co_u32_e32 v2, vcc, 0, v2, vcc
	ds_bpermute_b32 v6, v5, v1
	v_add_co_u32_e32 v1, vcc, 0, v1
	s_waitcnt lgkmcnt(1)
	v_addc_co_u32_e32 v2, vcc, v4, v2, vcc
	ds_bpermute_b32 v4, v5, v2
	s_waitcnt lgkmcnt(1)
	v_add_co_u32_e32 v1, vcc, v1, v6
	v_addc_co_u32_e32 v2, vcc, 0, v2, vcc
	v_add_co_u32_e32 v1, vcc, 0, v1
	s_waitcnt lgkmcnt(0)
	v_addc_co_u32_e32 v2, vcc, v2, v4, vcc
.LBB828_184:
	s_or_b64 exec, exec, s[2:3]
	s_branch .LBB828_205
.LBB828_185:
                                        ; implicit-def: $vgpr1_vgpr2
	s_cbranch_execz .LBB828_205
; %bb.186:
	s_sub_i32 s8, s20, s0
	v_cmp_gt_u32_e32 vcc, s8, v0
                                        ; implicit-def: $vgpr1_vgpr2
	s_and_saveexec_b64 s[2:3], vcc
	s_cbranch_execz .LBB828_188
; %bb.187:
	s_lshl_b64 s[0:1], s[0:1], 3
	s_add_u32 s10, s26, s0
	s_addc_u32 s11, s27, s1
	s_add_u32 s0, s24, s0
	v_lshlrev_b32_e32 v6, 3, v0
	s_addc_u32 s1, s25, s1
	global_load_dwordx2 v[1:2], v6, s[0:1]
	global_load_dwordx2 v[4:5], v6, s[10:11]
	s_mov_b32 s0, 0
	s_waitcnt vmcnt(0)
	v_cmp_ne_u64_e32 vcc, v[1:2], v[4:5]
	v_mov_b32_e32 v2, s0
	v_cndmask_b32_e64 v1, 0, 1, vcc
.LBB828_188:
	s_or_b64 exec, exec, s[2:3]
	v_mbcnt_hi_u32_b32 v3, -1, v3
	v_and_b32_e32 v4, 63, v3
	v_cmp_ne_u32_e32 vcc, 63, v4
	v_addc_co_u32_e32 v6, vcc, 0, v3, vcc
	v_lshlrev_b32_e32 v6, 2, v6
	ds_bpermute_b32 v8, v6, v1
	ds_bpermute_b32 v7, v6, v2
	s_min_u32 s2, s8, 0x100
	v_and_b32_e32 v5, 0xc0, v0
	v_sub_u32_e64 v5, s2, v5 clamp
	v_add_u32_e32 v6, 1, v4
	v_cmp_lt_u32_e32 vcc, v6, v5
	v_mov_b32_e32 v6, v1
	s_and_saveexec_b64 s[0:1], vcc
	s_cbranch_execz .LBB828_190
; %bb.189:
	s_waitcnt lgkmcnt(1)
	v_add_co_u32_e32 v6, vcc, v1, v8
	v_addc_co_u32_e32 v2, vcc, 0, v2, vcc
	v_add_co_u32_e32 v1, vcc, 0, v6
	s_waitcnt lgkmcnt(0)
	v_addc_co_u32_e32 v2, vcc, v7, v2, vcc
.LBB828_190:
	s_or_b64 exec, exec, s[0:1]
	v_cmp_gt_u32_e32 vcc, 62, v4
	s_waitcnt lgkmcnt(0)
	v_cndmask_b32_e64 v7, 0, 2, vcc
	v_add_lshl_u32 v7, v7, v3, 2
	ds_bpermute_b32 v8, v7, v6
	ds_bpermute_b32 v7, v7, v2
	v_add_u32_e32 v9, 2, v4
	v_cmp_lt_u32_e32 vcc, v9, v5
	s_and_saveexec_b64 s[0:1], vcc
	s_cbranch_execz .LBB828_192
; %bb.191:
	s_waitcnt lgkmcnt(1)
	v_add_co_u32_e32 v6, vcc, v1, v8
	v_addc_co_u32_e32 v2, vcc, 0, v2, vcc
	v_add_co_u32_e32 v1, vcc, 0, v6
	s_waitcnt lgkmcnt(0)
	v_addc_co_u32_e32 v2, vcc, v7, v2, vcc
.LBB828_192:
	s_or_b64 exec, exec, s[0:1]
	v_cmp_gt_u32_e32 vcc, 60, v4
	s_waitcnt lgkmcnt(0)
	v_cndmask_b32_e64 v7, 0, 4, vcc
	v_add_lshl_u32 v7, v7, v3, 2
	ds_bpermute_b32 v8, v7, v6
	ds_bpermute_b32 v7, v7, v2
	v_add_u32_e32 v9, 4, v4
	v_cmp_lt_u32_e32 vcc, v9, v5
	;; [unrolled: 19-line block ×4, first 2 shown]
	s_and_saveexec_b64 s[0:1], vcc
	s_cbranch_execz .LBB828_198
; %bb.197:
	s_waitcnt lgkmcnt(1)
	v_add_co_u32_e32 v6, vcc, v1, v8
	v_addc_co_u32_e32 v2, vcc, 0, v2, vcc
	v_add_co_u32_e32 v1, vcc, 0, v6
	s_waitcnt lgkmcnt(0)
	v_addc_co_u32_e32 v2, vcc, v7, v2, vcc
.LBB828_198:
	s_or_b64 exec, exec, s[0:1]
	s_waitcnt lgkmcnt(0)
	v_lshlrev_b32_e32 v7, 2, v3
	v_or_b32_e32 v8, 0x80, v7
	ds_bpermute_b32 v6, v8, v6
	ds_bpermute_b32 v8, v8, v2
	v_add_u32_e32 v4, 32, v4
	s_waitcnt lgkmcnt(1)
	v_add_co_u32_e32 v6, vcc, v1, v6
	v_addc_co_u32_e32 v9, vcc, 0, v2, vcc
	v_add_co_u32_e32 v6, vcc, 0, v6
	s_waitcnt lgkmcnt(0)
	v_addc_co_u32_e32 v8, vcc, v9, v8, vcc
	v_cmp_lt_u32_e32 vcc, v4, v5
	v_cndmask_b32_e32 v2, v2, v8, vcc
	v_cndmask_b32_e32 v1, v1, v6, vcc
	v_cmp_eq_u32_e32 vcc, 0, v3
	s_and_saveexec_b64 s[0:1], vcc
; %bb.199:
	v_lshrrev_b32_e32 v4, 3, v0
	v_and_b32_e32 v4, 24, v4
	ds_write_b64 v4, v[1:2] offset:160
; %bb.200:
	s_or_b64 exec, exec, s[0:1]
	v_cmp_gt_u32_e32 vcc, 4, v0
	s_waitcnt lgkmcnt(0)
	s_barrier
	s_and_saveexec_b64 s[0:1], vcc
	s_cbranch_execz .LBB828_204
; %bb.201:
	v_lshlrev_b32_e32 v1, 3, v3
	ds_read_b64 v[1:2], v1 offset:160
	v_and_b32_e32 v4, 3, v3
	v_cmp_ne_u32_e32 vcc, 3, v4
	v_addc_co_u32_e32 v3, vcc, 0, v3, vcc
	v_lshlrev_b32_e32 v3, 2, v3
	s_waitcnt lgkmcnt(0)
	ds_bpermute_b32 v6, v3, v1
	ds_bpermute_b32 v5, v3, v2
	s_add_i32 s2, s2, 63
	s_lshr_b32 s8, s2, 6
	v_add_u32_e32 v3, 1, v4
	v_cmp_gt_u32_e32 vcc, s8, v3
	v_mov_b32_e32 v3, v1
	s_and_saveexec_b64 s[2:3], vcc
	s_cbranch_execz .LBB828_203
; %bb.202:
	s_waitcnt lgkmcnt(1)
	v_add_co_u32_e32 v3, vcc, v1, v6
	v_addc_co_u32_e32 v2, vcc, 0, v2, vcc
	v_add_co_u32_e32 v1, vcc, 0, v3
	s_waitcnt lgkmcnt(0)
	v_addc_co_u32_e32 v2, vcc, v5, v2, vcc
.LBB828_203:
	s_or_b64 exec, exec, s[2:3]
	s_waitcnt lgkmcnt(0)
	v_or_b32_e32 v5, 8, v7
	ds_bpermute_b32 v3, v5, v3
	ds_bpermute_b32 v5, v5, v2
	v_add_u32_e32 v4, 2, v4
	s_waitcnt lgkmcnt(1)
	v_add_co_u32_e32 v3, vcc, v1, v3
	v_addc_co_u32_e32 v6, vcc, 0, v2, vcc
	v_add_co_u32_e32 v3, vcc, 0, v3
	s_waitcnt lgkmcnt(0)
	v_addc_co_u32_e32 v5, vcc, v6, v5, vcc
	v_cmp_gt_u32_e32 vcc, s8, v4
	v_cndmask_b32_e32 v2, v2, v5, vcc
	v_cndmask_b32_e32 v1, v1, v3, vcc
.LBB828_204:
	s_or_b64 exec, exec, s[0:1]
.LBB828_205:
	v_mov_b32_e32 v3, s6
	v_cmp_eq_u32_e64 s[0:1], 0, v0
	v_mov_b32_e32 v4, s7
.LBB828_206:
	s_and_saveexec_b64 s[2:3], s[0:1]
	s_cbranch_execz .LBB828_208
; %bb.207:
	v_lshlrev_b64 v[3:4], 3, v[3:4]
	s_load_dwordx2 s[0:1], s[4:5], 0x30
	v_mov_b32_e32 v0, s23
	v_add_co_u32_e32 v3, vcc, s22, v3
	v_addc_co_u32_e32 v4, vcc, v0, v4, vcc
	s_cmp_lg_u64 s[20:21], 0
	s_cselect_b64 vcc, -1, 0
	v_cndmask_b32_e32 v0, 0, v1, vcc
	v_cndmask_b32_e32 v2, 0, v2, vcc
	s_waitcnt lgkmcnt(0)
	v_mov_b32_e32 v1, s1
	v_add_co_u32_e32 v0, vcc, s0, v0
	v_addc_co_u32_e32 v1, vcc, v2, v1, vcc
	global_store_dwordx2 v[3:4], v[0:1], off
.LBB828_208:
	s_endpgm
	.section	.rodata,"a",@progbits
	.p2align	6, 0x0
	.amdhsa_kernel _ZN7rocprim17ROCPRIM_400000_NS6detail17trampoline_kernelINS0_14default_configENS1_22reduce_config_selectorIlEEZNS1_11reduce_implILb1ES3_N6thrust23THRUST_200600_302600_NS11hip_rocprim26transform_input_iterator_tIlNS8_12zip_iteratorINS8_5tupleINS8_6detail15normal_iteratorINS8_10device_ptrIyEEEESH_NS8_9null_typeESI_SI_SI_SI_SI_SI_SI_EEEENS9_21zip_adj_not_predicateINS8_8equal_toIyEEEEEEPllNS8_4plusIlEEEE10hipError_tPvRmT1_T2_T3_mT4_P12ihipStream_tbEUlT_E1_NS1_11comp_targetILNS1_3genE2ELNS1_11target_archE906ELNS1_3gpuE6ELNS1_3repE0EEENS1_30default_config_static_selectorELNS0_4arch9wavefront6targetE1EEEvSW_
		.amdhsa_group_segment_fixed_size 192
		.amdhsa_private_segment_fixed_size 0
		.amdhsa_kernarg_size 64
		.amdhsa_user_sgpr_count 6
		.amdhsa_user_sgpr_private_segment_buffer 1
		.amdhsa_user_sgpr_dispatch_ptr 0
		.amdhsa_user_sgpr_queue_ptr 0
		.amdhsa_user_sgpr_kernarg_segment_ptr 1
		.amdhsa_user_sgpr_dispatch_id 0
		.amdhsa_user_sgpr_flat_scratch_init 0
		.amdhsa_user_sgpr_private_segment_size 0
		.amdhsa_uses_dynamic_stack 0
		.amdhsa_system_sgpr_private_segment_wavefront_offset 0
		.amdhsa_system_sgpr_workgroup_id_x 1
		.amdhsa_system_sgpr_workgroup_id_y 0
		.amdhsa_system_sgpr_workgroup_id_z 0
		.amdhsa_system_sgpr_workgroup_info 0
		.amdhsa_system_vgpr_workitem_id 0
		.amdhsa_next_free_vgpr 36
		.amdhsa_next_free_sgpr 38
		.amdhsa_reserve_vcc 1
		.amdhsa_reserve_flat_scratch 0
		.amdhsa_float_round_mode_32 0
		.amdhsa_float_round_mode_16_64 0
		.amdhsa_float_denorm_mode_32 3
		.amdhsa_float_denorm_mode_16_64 3
		.amdhsa_dx10_clamp 1
		.amdhsa_ieee_mode 1
		.amdhsa_fp16_overflow 0
		.amdhsa_exception_fp_ieee_invalid_op 0
		.amdhsa_exception_fp_denorm_src 0
		.amdhsa_exception_fp_ieee_div_zero 0
		.amdhsa_exception_fp_ieee_overflow 0
		.amdhsa_exception_fp_ieee_underflow 0
		.amdhsa_exception_fp_ieee_inexact 0
		.amdhsa_exception_int_div_zero 0
	.end_amdhsa_kernel
	.section	.text._ZN7rocprim17ROCPRIM_400000_NS6detail17trampoline_kernelINS0_14default_configENS1_22reduce_config_selectorIlEEZNS1_11reduce_implILb1ES3_N6thrust23THRUST_200600_302600_NS11hip_rocprim26transform_input_iterator_tIlNS8_12zip_iteratorINS8_5tupleINS8_6detail15normal_iteratorINS8_10device_ptrIyEEEESH_NS8_9null_typeESI_SI_SI_SI_SI_SI_SI_EEEENS9_21zip_adj_not_predicateINS8_8equal_toIyEEEEEEPllNS8_4plusIlEEEE10hipError_tPvRmT1_T2_T3_mT4_P12ihipStream_tbEUlT_E1_NS1_11comp_targetILNS1_3genE2ELNS1_11target_archE906ELNS1_3gpuE6ELNS1_3repE0EEENS1_30default_config_static_selectorELNS0_4arch9wavefront6targetE1EEEvSW_,"axG",@progbits,_ZN7rocprim17ROCPRIM_400000_NS6detail17trampoline_kernelINS0_14default_configENS1_22reduce_config_selectorIlEEZNS1_11reduce_implILb1ES3_N6thrust23THRUST_200600_302600_NS11hip_rocprim26transform_input_iterator_tIlNS8_12zip_iteratorINS8_5tupleINS8_6detail15normal_iteratorINS8_10device_ptrIyEEEESH_NS8_9null_typeESI_SI_SI_SI_SI_SI_SI_EEEENS9_21zip_adj_not_predicateINS8_8equal_toIyEEEEEEPllNS8_4plusIlEEEE10hipError_tPvRmT1_T2_T3_mT4_P12ihipStream_tbEUlT_E1_NS1_11comp_targetILNS1_3genE2ELNS1_11target_archE906ELNS1_3gpuE6ELNS1_3repE0EEENS1_30default_config_static_selectorELNS0_4arch9wavefront6targetE1EEEvSW_,comdat
.Lfunc_end828:
	.size	_ZN7rocprim17ROCPRIM_400000_NS6detail17trampoline_kernelINS0_14default_configENS1_22reduce_config_selectorIlEEZNS1_11reduce_implILb1ES3_N6thrust23THRUST_200600_302600_NS11hip_rocprim26transform_input_iterator_tIlNS8_12zip_iteratorINS8_5tupleINS8_6detail15normal_iteratorINS8_10device_ptrIyEEEESH_NS8_9null_typeESI_SI_SI_SI_SI_SI_SI_EEEENS9_21zip_adj_not_predicateINS8_8equal_toIyEEEEEEPllNS8_4plusIlEEEE10hipError_tPvRmT1_T2_T3_mT4_P12ihipStream_tbEUlT_E1_NS1_11comp_targetILNS1_3genE2ELNS1_11target_archE906ELNS1_3gpuE6ELNS1_3repE0EEENS1_30default_config_static_selectorELNS0_4arch9wavefront6targetE1EEEvSW_, .Lfunc_end828-_ZN7rocprim17ROCPRIM_400000_NS6detail17trampoline_kernelINS0_14default_configENS1_22reduce_config_selectorIlEEZNS1_11reduce_implILb1ES3_N6thrust23THRUST_200600_302600_NS11hip_rocprim26transform_input_iterator_tIlNS8_12zip_iteratorINS8_5tupleINS8_6detail15normal_iteratorINS8_10device_ptrIyEEEESH_NS8_9null_typeESI_SI_SI_SI_SI_SI_SI_EEEENS9_21zip_adj_not_predicateINS8_8equal_toIyEEEEEEPllNS8_4plusIlEEEE10hipError_tPvRmT1_T2_T3_mT4_P12ihipStream_tbEUlT_E1_NS1_11comp_targetILNS1_3genE2ELNS1_11target_archE906ELNS1_3gpuE6ELNS1_3repE0EEENS1_30default_config_static_selectorELNS0_4arch9wavefront6targetE1EEEvSW_
                                        ; -- End function
	.set _ZN7rocprim17ROCPRIM_400000_NS6detail17trampoline_kernelINS0_14default_configENS1_22reduce_config_selectorIlEEZNS1_11reduce_implILb1ES3_N6thrust23THRUST_200600_302600_NS11hip_rocprim26transform_input_iterator_tIlNS8_12zip_iteratorINS8_5tupleINS8_6detail15normal_iteratorINS8_10device_ptrIyEEEESH_NS8_9null_typeESI_SI_SI_SI_SI_SI_SI_EEEENS9_21zip_adj_not_predicateINS8_8equal_toIyEEEEEEPllNS8_4plusIlEEEE10hipError_tPvRmT1_T2_T3_mT4_P12ihipStream_tbEUlT_E1_NS1_11comp_targetILNS1_3genE2ELNS1_11target_archE906ELNS1_3gpuE6ELNS1_3repE0EEENS1_30default_config_static_selectorELNS0_4arch9wavefront6targetE1EEEvSW_.num_vgpr, 36
	.set _ZN7rocprim17ROCPRIM_400000_NS6detail17trampoline_kernelINS0_14default_configENS1_22reduce_config_selectorIlEEZNS1_11reduce_implILb1ES3_N6thrust23THRUST_200600_302600_NS11hip_rocprim26transform_input_iterator_tIlNS8_12zip_iteratorINS8_5tupleINS8_6detail15normal_iteratorINS8_10device_ptrIyEEEESH_NS8_9null_typeESI_SI_SI_SI_SI_SI_SI_EEEENS9_21zip_adj_not_predicateINS8_8equal_toIyEEEEEEPllNS8_4plusIlEEEE10hipError_tPvRmT1_T2_T3_mT4_P12ihipStream_tbEUlT_E1_NS1_11comp_targetILNS1_3genE2ELNS1_11target_archE906ELNS1_3gpuE6ELNS1_3repE0EEENS1_30default_config_static_selectorELNS0_4arch9wavefront6targetE1EEEvSW_.num_agpr, 0
	.set _ZN7rocprim17ROCPRIM_400000_NS6detail17trampoline_kernelINS0_14default_configENS1_22reduce_config_selectorIlEEZNS1_11reduce_implILb1ES3_N6thrust23THRUST_200600_302600_NS11hip_rocprim26transform_input_iterator_tIlNS8_12zip_iteratorINS8_5tupleINS8_6detail15normal_iteratorINS8_10device_ptrIyEEEESH_NS8_9null_typeESI_SI_SI_SI_SI_SI_SI_EEEENS9_21zip_adj_not_predicateINS8_8equal_toIyEEEEEEPllNS8_4plusIlEEEE10hipError_tPvRmT1_T2_T3_mT4_P12ihipStream_tbEUlT_E1_NS1_11comp_targetILNS1_3genE2ELNS1_11target_archE906ELNS1_3gpuE6ELNS1_3repE0EEENS1_30default_config_static_selectorELNS0_4arch9wavefront6targetE1EEEvSW_.numbered_sgpr, 38
	.set _ZN7rocprim17ROCPRIM_400000_NS6detail17trampoline_kernelINS0_14default_configENS1_22reduce_config_selectorIlEEZNS1_11reduce_implILb1ES3_N6thrust23THRUST_200600_302600_NS11hip_rocprim26transform_input_iterator_tIlNS8_12zip_iteratorINS8_5tupleINS8_6detail15normal_iteratorINS8_10device_ptrIyEEEESH_NS8_9null_typeESI_SI_SI_SI_SI_SI_SI_EEEENS9_21zip_adj_not_predicateINS8_8equal_toIyEEEEEEPllNS8_4plusIlEEEE10hipError_tPvRmT1_T2_T3_mT4_P12ihipStream_tbEUlT_E1_NS1_11comp_targetILNS1_3genE2ELNS1_11target_archE906ELNS1_3gpuE6ELNS1_3repE0EEENS1_30default_config_static_selectorELNS0_4arch9wavefront6targetE1EEEvSW_.num_named_barrier, 0
	.set _ZN7rocprim17ROCPRIM_400000_NS6detail17trampoline_kernelINS0_14default_configENS1_22reduce_config_selectorIlEEZNS1_11reduce_implILb1ES3_N6thrust23THRUST_200600_302600_NS11hip_rocprim26transform_input_iterator_tIlNS8_12zip_iteratorINS8_5tupleINS8_6detail15normal_iteratorINS8_10device_ptrIyEEEESH_NS8_9null_typeESI_SI_SI_SI_SI_SI_SI_EEEENS9_21zip_adj_not_predicateINS8_8equal_toIyEEEEEEPllNS8_4plusIlEEEE10hipError_tPvRmT1_T2_T3_mT4_P12ihipStream_tbEUlT_E1_NS1_11comp_targetILNS1_3genE2ELNS1_11target_archE906ELNS1_3gpuE6ELNS1_3repE0EEENS1_30default_config_static_selectorELNS0_4arch9wavefront6targetE1EEEvSW_.private_seg_size, 0
	.set _ZN7rocprim17ROCPRIM_400000_NS6detail17trampoline_kernelINS0_14default_configENS1_22reduce_config_selectorIlEEZNS1_11reduce_implILb1ES3_N6thrust23THRUST_200600_302600_NS11hip_rocprim26transform_input_iterator_tIlNS8_12zip_iteratorINS8_5tupleINS8_6detail15normal_iteratorINS8_10device_ptrIyEEEESH_NS8_9null_typeESI_SI_SI_SI_SI_SI_SI_EEEENS9_21zip_adj_not_predicateINS8_8equal_toIyEEEEEEPllNS8_4plusIlEEEE10hipError_tPvRmT1_T2_T3_mT4_P12ihipStream_tbEUlT_E1_NS1_11comp_targetILNS1_3genE2ELNS1_11target_archE906ELNS1_3gpuE6ELNS1_3repE0EEENS1_30default_config_static_selectorELNS0_4arch9wavefront6targetE1EEEvSW_.uses_vcc, 1
	.set _ZN7rocprim17ROCPRIM_400000_NS6detail17trampoline_kernelINS0_14default_configENS1_22reduce_config_selectorIlEEZNS1_11reduce_implILb1ES3_N6thrust23THRUST_200600_302600_NS11hip_rocprim26transform_input_iterator_tIlNS8_12zip_iteratorINS8_5tupleINS8_6detail15normal_iteratorINS8_10device_ptrIyEEEESH_NS8_9null_typeESI_SI_SI_SI_SI_SI_SI_EEEENS9_21zip_adj_not_predicateINS8_8equal_toIyEEEEEEPllNS8_4plusIlEEEE10hipError_tPvRmT1_T2_T3_mT4_P12ihipStream_tbEUlT_E1_NS1_11comp_targetILNS1_3genE2ELNS1_11target_archE906ELNS1_3gpuE6ELNS1_3repE0EEENS1_30default_config_static_selectorELNS0_4arch9wavefront6targetE1EEEvSW_.uses_flat_scratch, 0
	.set _ZN7rocprim17ROCPRIM_400000_NS6detail17trampoline_kernelINS0_14default_configENS1_22reduce_config_selectorIlEEZNS1_11reduce_implILb1ES3_N6thrust23THRUST_200600_302600_NS11hip_rocprim26transform_input_iterator_tIlNS8_12zip_iteratorINS8_5tupleINS8_6detail15normal_iteratorINS8_10device_ptrIyEEEESH_NS8_9null_typeESI_SI_SI_SI_SI_SI_SI_EEEENS9_21zip_adj_not_predicateINS8_8equal_toIyEEEEEEPllNS8_4plusIlEEEE10hipError_tPvRmT1_T2_T3_mT4_P12ihipStream_tbEUlT_E1_NS1_11comp_targetILNS1_3genE2ELNS1_11target_archE906ELNS1_3gpuE6ELNS1_3repE0EEENS1_30default_config_static_selectorELNS0_4arch9wavefront6targetE1EEEvSW_.has_dyn_sized_stack, 0
	.set _ZN7rocprim17ROCPRIM_400000_NS6detail17trampoline_kernelINS0_14default_configENS1_22reduce_config_selectorIlEEZNS1_11reduce_implILb1ES3_N6thrust23THRUST_200600_302600_NS11hip_rocprim26transform_input_iterator_tIlNS8_12zip_iteratorINS8_5tupleINS8_6detail15normal_iteratorINS8_10device_ptrIyEEEESH_NS8_9null_typeESI_SI_SI_SI_SI_SI_SI_EEEENS9_21zip_adj_not_predicateINS8_8equal_toIyEEEEEEPllNS8_4plusIlEEEE10hipError_tPvRmT1_T2_T3_mT4_P12ihipStream_tbEUlT_E1_NS1_11comp_targetILNS1_3genE2ELNS1_11target_archE906ELNS1_3gpuE6ELNS1_3repE0EEENS1_30default_config_static_selectorELNS0_4arch9wavefront6targetE1EEEvSW_.has_recursion, 0
	.set _ZN7rocprim17ROCPRIM_400000_NS6detail17trampoline_kernelINS0_14default_configENS1_22reduce_config_selectorIlEEZNS1_11reduce_implILb1ES3_N6thrust23THRUST_200600_302600_NS11hip_rocprim26transform_input_iterator_tIlNS8_12zip_iteratorINS8_5tupleINS8_6detail15normal_iteratorINS8_10device_ptrIyEEEESH_NS8_9null_typeESI_SI_SI_SI_SI_SI_SI_EEEENS9_21zip_adj_not_predicateINS8_8equal_toIyEEEEEEPllNS8_4plusIlEEEE10hipError_tPvRmT1_T2_T3_mT4_P12ihipStream_tbEUlT_E1_NS1_11comp_targetILNS1_3genE2ELNS1_11target_archE906ELNS1_3gpuE6ELNS1_3repE0EEENS1_30default_config_static_selectorELNS0_4arch9wavefront6targetE1EEEvSW_.has_indirect_call, 0
	.section	.AMDGPU.csdata,"",@progbits
; Kernel info:
; codeLenInByte = 10896
; TotalNumSgprs: 42
; NumVgprs: 36
; ScratchSize: 0
; MemoryBound: 0
; FloatMode: 240
; IeeeMode: 1
; LDSByteSize: 192 bytes/workgroup (compile time only)
; SGPRBlocks: 5
; VGPRBlocks: 8
; NumSGPRsForWavesPerEU: 42
; NumVGPRsForWavesPerEU: 36
; Occupancy: 7
; WaveLimiterHint : 0
; COMPUTE_PGM_RSRC2:SCRATCH_EN: 0
; COMPUTE_PGM_RSRC2:USER_SGPR: 6
; COMPUTE_PGM_RSRC2:TRAP_HANDLER: 0
; COMPUTE_PGM_RSRC2:TGID_X_EN: 1
; COMPUTE_PGM_RSRC2:TGID_Y_EN: 0
; COMPUTE_PGM_RSRC2:TGID_Z_EN: 0
; COMPUTE_PGM_RSRC2:TIDIG_COMP_CNT: 0
	.section	.text._ZN7rocprim17ROCPRIM_400000_NS6detail17trampoline_kernelINS0_14default_configENS1_22reduce_config_selectorIlEEZNS1_11reduce_implILb1ES3_N6thrust23THRUST_200600_302600_NS11hip_rocprim26transform_input_iterator_tIlNS8_12zip_iteratorINS8_5tupleINS8_6detail15normal_iteratorINS8_10device_ptrIyEEEESH_NS8_9null_typeESI_SI_SI_SI_SI_SI_SI_EEEENS9_21zip_adj_not_predicateINS8_8equal_toIyEEEEEEPllNS8_4plusIlEEEE10hipError_tPvRmT1_T2_T3_mT4_P12ihipStream_tbEUlT_E1_NS1_11comp_targetILNS1_3genE10ELNS1_11target_archE1201ELNS1_3gpuE5ELNS1_3repE0EEENS1_30default_config_static_selectorELNS0_4arch9wavefront6targetE1EEEvSW_,"axG",@progbits,_ZN7rocprim17ROCPRIM_400000_NS6detail17trampoline_kernelINS0_14default_configENS1_22reduce_config_selectorIlEEZNS1_11reduce_implILb1ES3_N6thrust23THRUST_200600_302600_NS11hip_rocprim26transform_input_iterator_tIlNS8_12zip_iteratorINS8_5tupleINS8_6detail15normal_iteratorINS8_10device_ptrIyEEEESH_NS8_9null_typeESI_SI_SI_SI_SI_SI_SI_EEEENS9_21zip_adj_not_predicateINS8_8equal_toIyEEEEEEPllNS8_4plusIlEEEE10hipError_tPvRmT1_T2_T3_mT4_P12ihipStream_tbEUlT_E1_NS1_11comp_targetILNS1_3genE10ELNS1_11target_archE1201ELNS1_3gpuE5ELNS1_3repE0EEENS1_30default_config_static_selectorELNS0_4arch9wavefront6targetE1EEEvSW_,comdat
	.protected	_ZN7rocprim17ROCPRIM_400000_NS6detail17trampoline_kernelINS0_14default_configENS1_22reduce_config_selectorIlEEZNS1_11reduce_implILb1ES3_N6thrust23THRUST_200600_302600_NS11hip_rocprim26transform_input_iterator_tIlNS8_12zip_iteratorINS8_5tupleINS8_6detail15normal_iteratorINS8_10device_ptrIyEEEESH_NS8_9null_typeESI_SI_SI_SI_SI_SI_SI_EEEENS9_21zip_adj_not_predicateINS8_8equal_toIyEEEEEEPllNS8_4plusIlEEEE10hipError_tPvRmT1_T2_T3_mT4_P12ihipStream_tbEUlT_E1_NS1_11comp_targetILNS1_3genE10ELNS1_11target_archE1201ELNS1_3gpuE5ELNS1_3repE0EEENS1_30default_config_static_selectorELNS0_4arch9wavefront6targetE1EEEvSW_ ; -- Begin function _ZN7rocprim17ROCPRIM_400000_NS6detail17trampoline_kernelINS0_14default_configENS1_22reduce_config_selectorIlEEZNS1_11reduce_implILb1ES3_N6thrust23THRUST_200600_302600_NS11hip_rocprim26transform_input_iterator_tIlNS8_12zip_iteratorINS8_5tupleINS8_6detail15normal_iteratorINS8_10device_ptrIyEEEESH_NS8_9null_typeESI_SI_SI_SI_SI_SI_SI_EEEENS9_21zip_adj_not_predicateINS8_8equal_toIyEEEEEEPllNS8_4plusIlEEEE10hipError_tPvRmT1_T2_T3_mT4_P12ihipStream_tbEUlT_E1_NS1_11comp_targetILNS1_3genE10ELNS1_11target_archE1201ELNS1_3gpuE5ELNS1_3repE0EEENS1_30default_config_static_selectorELNS0_4arch9wavefront6targetE1EEEvSW_
	.globl	_ZN7rocprim17ROCPRIM_400000_NS6detail17trampoline_kernelINS0_14default_configENS1_22reduce_config_selectorIlEEZNS1_11reduce_implILb1ES3_N6thrust23THRUST_200600_302600_NS11hip_rocprim26transform_input_iterator_tIlNS8_12zip_iteratorINS8_5tupleINS8_6detail15normal_iteratorINS8_10device_ptrIyEEEESH_NS8_9null_typeESI_SI_SI_SI_SI_SI_SI_EEEENS9_21zip_adj_not_predicateINS8_8equal_toIyEEEEEEPllNS8_4plusIlEEEE10hipError_tPvRmT1_T2_T3_mT4_P12ihipStream_tbEUlT_E1_NS1_11comp_targetILNS1_3genE10ELNS1_11target_archE1201ELNS1_3gpuE5ELNS1_3repE0EEENS1_30default_config_static_selectorELNS0_4arch9wavefront6targetE1EEEvSW_
	.p2align	8
	.type	_ZN7rocprim17ROCPRIM_400000_NS6detail17trampoline_kernelINS0_14default_configENS1_22reduce_config_selectorIlEEZNS1_11reduce_implILb1ES3_N6thrust23THRUST_200600_302600_NS11hip_rocprim26transform_input_iterator_tIlNS8_12zip_iteratorINS8_5tupleINS8_6detail15normal_iteratorINS8_10device_ptrIyEEEESH_NS8_9null_typeESI_SI_SI_SI_SI_SI_SI_EEEENS9_21zip_adj_not_predicateINS8_8equal_toIyEEEEEEPllNS8_4plusIlEEEE10hipError_tPvRmT1_T2_T3_mT4_P12ihipStream_tbEUlT_E1_NS1_11comp_targetILNS1_3genE10ELNS1_11target_archE1201ELNS1_3gpuE5ELNS1_3repE0EEENS1_30default_config_static_selectorELNS0_4arch9wavefront6targetE1EEEvSW_,@function
_ZN7rocprim17ROCPRIM_400000_NS6detail17trampoline_kernelINS0_14default_configENS1_22reduce_config_selectorIlEEZNS1_11reduce_implILb1ES3_N6thrust23THRUST_200600_302600_NS11hip_rocprim26transform_input_iterator_tIlNS8_12zip_iteratorINS8_5tupleINS8_6detail15normal_iteratorINS8_10device_ptrIyEEEESH_NS8_9null_typeESI_SI_SI_SI_SI_SI_SI_EEEENS9_21zip_adj_not_predicateINS8_8equal_toIyEEEEEEPllNS8_4plusIlEEEE10hipError_tPvRmT1_T2_T3_mT4_P12ihipStream_tbEUlT_E1_NS1_11comp_targetILNS1_3genE10ELNS1_11target_archE1201ELNS1_3gpuE5ELNS1_3repE0EEENS1_30default_config_static_selectorELNS0_4arch9wavefront6targetE1EEEvSW_: ; @_ZN7rocprim17ROCPRIM_400000_NS6detail17trampoline_kernelINS0_14default_configENS1_22reduce_config_selectorIlEEZNS1_11reduce_implILb1ES3_N6thrust23THRUST_200600_302600_NS11hip_rocprim26transform_input_iterator_tIlNS8_12zip_iteratorINS8_5tupleINS8_6detail15normal_iteratorINS8_10device_ptrIyEEEESH_NS8_9null_typeESI_SI_SI_SI_SI_SI_SI_EEEENS9_21zip_adj_not_predicateINS8_8equal_toIyEEEEEEPllNS8_4plusIlEEEE10hipError_tPvRmT1_T2_T3_mT4_P12ihipStream_tbEUlT_E1_NS1_11comp_targetILNS1_3genE10ELNS1_11target_archE1201ELNS1_3gpuE5ELNS1_3repE0EEENS1_30default_config_static_selectorELNS0_4arch9wavefront6targetE1EEEvSW_
; %bb.0:
	.section	.rodata,"a",@progbits
	.p2align	6, 0x0
	.amdhsa_kernel _ZN7rocprim17ROCPRIM_400000_NS6detail17trampoline_kernelINS0_14default_configENS1_22reduce_config_selectorIlEEZNS1_11reduce_implILb1ES3_N6thrust23THRUST_200600_302600_NS11hip_rocprim26transform_input_iterator_tIlNS8_12zip_iteratorINS8_5tupleINS8_6detail15normal_iteratorINS8_10device_ptrIyEEEESH_NS8_9null_typeESI_SI_SI_SI_SI_SI_SI_EEEENS9_21zip_adj_not_predicateINS8_8equal_toIyEEEEEEPllNS8_4plusIlEEEE10hipError_tPvRmT1_T2_T3_mT4_P12ihipStream_tbEUlT_E1_NS1_11comp_targetILNS1_3genE10ELNS1_11target_archE1201ELNS1_3gpuE5ELNS1_3repE0EEENS1_30default_config_static_selectorELNS0_4arch9wavefront6targetE1EEEvSW_
		.amdhsa_group_segment_fixed_size 0
		.amdhsa_private_segment_fixed_size 0
		.amdhsa_kernarg_size 64
		.amdhsa_user_sgpr_count 6
		.amdhsa_user_sgpr_private_segment_buffer 1
		.amdhsa_user_sgpr_dispatch_ptr 0
		.amdhsa_user_sgpr_queue_ptr 0
		.amdhsa_user_sgpr_kernarg_segment_ptr 1
		.amdhsa_user_sgpr_dispatch_id 0
		.amdhsa_user_sgpr_flat_scratch_init 0
		.amdhsa_user_sgpr_private_segment_size 0
		.amdhsa_uses_dynamic_stack 0
		.amdhsa_system_sgpr_private_segment_wavefront_offset 0
		.amdhsa_system_sgpr_workgroup_id_x 1
		.amdhsa_system_sgpr_workgroup_id_y 0
		.amdhsa_system_sgpr_workgroup_id_z 0
		.amdhsa_system_sgpr_workgroup_info 0
		.amdhsa_system_vgpr_workitem_id 0
		.amdhsa_next_free_vgpr 1
		.amdhsa_next_free_sgpr 0
		.amdhsa_reserve_vcc 0
		.amdhsa_reserve_flat_scratch 0
		.amdhsa_float_round_mode_32 0
		.amdhsa_float_round_mode_16_64 0
		.amdhsa_float_denorm_mode_32 3
		.amdhsa_float_denorm_mode_16_64 3
		.amdhsa_dx10_clamp 1
		.amdhsa_ieee_mode 1
		.amdhsa_fp16_overflow 0
		.amdhsa_exception_fp_ieee_invalid_op 0
		.amdhsa_exception_fp_denorm_src 0
		.amdhsa_exception_fp_ieee_div_zero 0
		.amdhsa_exception_fp_ieee_overflow 0
		.amdhsa_exception_fp_ieee_underflow 0
		.amdhsa_exception_fp_ieee_inexact 0
		.amdhsa_exception_int_div_zero 0
	.end_amdhsa_kernel
	.section	.text._ZN7rocprim17ROCPRIM_400000_NS6detail17trampoline_kernelINS0_14default_configENS1_22reduce_config_selectorIlEEZNS1_11reduce_implILb1ES3_N6thrust23THRUST_200600_302600_NS11hip_rocprim26transform_input_iterator_tIlNS8_12zip_iteratorINS8_5tupleINS8_6detail15normal_iteratorINS8_10device_ptrIyEEEESH_NS8_9null_typeESI_SI_SI_SI_SI_SI_SI_EEEENS9_21zip_adj_not_predicateINS8_8equal_toIyEEEEEEPllNS8_4plusIlEEEE10hipError_tPvRmT1_T2_T3_mT4_P12ihipStream_tbEUlT_E1_NS1_11comp_targetILNS1_3genE10ELNS1_11target_archE1201ELNS1_3gpuE5ELNS1_3repE0EEENS1_30default_config_static_selectorELNS0_4arch9wavefront6targetE1EEEvSW_,"axG",@progbits,_ZN7rocprim17ROCPRIM_400000_NS6detail17trampoline_kernelINS0_14default_configENS1_22reduce_config_selectorIlEEZNS1_11reduce_implILb1ES3_N6thrust23THRUST_200600_302600_NS11hip_rocprim26transform_input_iterator_tIlNS8_12zip_iteratorINS8_5tupleINS8_6detail15normal_iteratorINS8_10device_ptrIyEEEESH_NS8_9null_typeESI_SI_SI_SI_SI_SI_SI_EEEENS9_21zip_adj_not_predicateINS8_8equal_toIyEEEEEEPllNS8_4plusIlEEEE10hipError_tPvRmT1_T2_T3_mT4_P12ihipStream_tbEUlT_E1_NS1_11comp_targetILNS1_3genE10ELNS1_11target_archE1201ELNS1_3gpuE5ELNS1_3repE0EEENS1_30default_config_static_selectorELNS0_4arch9wavefront6targetE1EEEvSW_,comdat
.Lfunc_end829:
	.size	_ZN7rocprim17ROCPRIM_400000_NS6detail17trampoline_kernelINS0_14default_configENS1_22reduce_config_selectorIlEEZNS1_11reduce_implILb1ES3_N6thrust23THRUST_200600_302600_NS11hip_rocprim26transform_input_iterator_tIlNS8_12zip_iteratorINS8_5tupleINS8_6detail15normal_iteratorINS8_10device_ptrIyEEEESH_NS8_9null_typeESI_SI_SI_SI_SI_SI_SI_EEEENS9_21zip_adj_not_predicateINS8_8equal_toIyEEEEEEPllNS8_4plusIlEEEE10hipError_tPvRmT1_T2_T3_mT4_P12ihipStream_tbEUlT_E1_NS1_11comp_targetILNS1_3genE10ELNS1_11target_archE1201ELNS1_3gpuE5ELNS1_3repE0EEENS1_30default_config_static_selectorELNS0_4arch9wavefront6targetE1EEEvSW_, .Lfunc_end829-_ZN7rocprim17ROCPRIM_400000_NS6detail17trampoline_kernelINS0_14default_configENS1_22reduce_config_selectorIlEEZNS1_11reduce_implILb1ES3_N6thrust23THRUST_200600_302600_NS11hip_rocprim26transform_input_iterator_tIlNS8_12zip_iteratorINS8_5tupleINS8_6detail15normal_iteratorINS8_10device_ptrIyEEEESH_NS8_9null_typeESI_SI_SI_SI_SI_SI_SI_EEEENS9_21zip_adj_not_predicateINS8_8equal_toIyEEEEEEPllNS8_4plusIlEEEE10hipError_tPvRmT1_T2_T3_mT4_P12ihipStream_tbEUlT_E1_NS1_11comp_targetILNS1_3genE10ELNS1_11target_archE1201ELNS1_3gpuE5ELNS1_3repE0EEENS1_30default_config_static_selectorELNS0_4arch9wavefront6targetE1EEEvSW_
                                        ; -- End function
	.set _ZN7rocprim17ROCPRIM_400000_NS6detail17trampoline_kernelINS0_14default_configENS1_22reduce_config_selectorIlEEZNS1_11reduce_implILb1ES3_N6thrust23THRUST_200600_302600_NS11hip_rocprim26transform_input_iterator_tIlNS8_12zip_iteratorINS8_5tupleINS8_6detail15normal_iteratorINS8_10device_ptrIyEEEESH_NS8_9null_typeESI_SI_SI_SI_SI_SI_SI_EEEENS9_21zip_adj_not_predicateINS8_8equal_toIyEEEEEEPllNS8_4plusIlEEEE10hipError_tPvRmT1_T2_T3_mT4_P12ihipStream_tbEUlT_E1_NS1_11comp_targetILNS1_3genE10ELNS1_11target_archE1201ELNS1_3gpuE5ELNS1_3repE0EEENS1_30default_config_static_selectorELNS0_4arch9wavefront6targetE1EEEvSW_.num_vgpr, 0
	.set _ZN7rocprim17ROCPRIM_400000_NS6detail17trampoline_kernelINS0_14default_configENS1_22reduce_config_selectorIlEEZNS1_11reduce_implILb1ES3_N6thrust23THRUST_200600_302600_NS11hip_rocprim26transform_input_iterator_tIlNS8_12zip_iteratorINS8_5tupleINS8_6detail15normal_iteratorINS8_10device_ptrIyEEEESH_NS8_9null_typeESI_SI_SI_SI_SI_SI_SI_EEEENS9_21zip_adj_not_predicateINS8_8equal_toIyEEEEEEPllNS8_4plusIlEEEE10hipError_tPvRmT1_T2_T3_mT4_P12ihipStream_tbEUlT_E1_NS1_11comp_targetILNS1_3genE10ELNS1_11target_archE1201ELNS1_3gpuE5ELNS1_3repE0EEENS1_30default_config_static_selectorELNS0_4arch9wavefront6targetE1EEEvSW_.num_agpr, 0
	.set _ZN7rocprim17ROCPRIM_400000_NS6detail17trampoline_kernelINS0_14default_configENS1_22reduce_config_selectorIlEEZNS1_11reduce_implILb1ES3_N6thrust23THRUST_200600_302600_NS11hip_rocprim26transform_input_iterator_tIlNS8_12zip_iteratorINS8_5tupleINS8_6detail15normal_iteratorINS8_10device_ptrIyEEEESH_NS8_9null_typeESI_SI_SI_SI_SI_SI_SI_EEEENS9_21zip_adj_not_predicateINS8_8equal_toIyEEEEEEPllNS8_4plusIlEEEE10hipError_tPvRmT1_T2_T3_mT4_P12ihipStream_tbEUlT_E1_NS1_11comp_targetILNS1_3genE10ELNS1_11target_archE1201ELNS1_3gpuE5ELNS1_3repE0EEENS1_30default_config_static_selectorELNS0_4arch9wavefront6targetE1EEEvSW_.numbered_sgpr, 0
	.set _ZN7rocprim17ROCPRIM_400000_NS6detail17trampoline_kernelINS0_14default_configENS1_22reduce_config_selectorIlEEZNS1_11reduce_implILb1ES3_N6thrust23THRUST_200600_302600_NS11hip_rocprim26transform_input_iterator_tIlNS8_12zip_iteratorINS8_5tupleINS8_6detail15normal_iteratorINS8_10device_ptrIyEEEESH_NS8_9null_typeESI_SI_SI_SI_SI_SI_SI_EEEENS9_21zip_adj_not_predicateINS8_8equal_toIyEEEEEEPllNS8_4plusIlEEEE10hipError_tPvRmT1_T2_T3_mT4_P12ihipStream_tbEUlT_E1_NS1_11comp_targetILNS1_3genE10ELNS1_11target_archE1201ELNS1_3gpuE5ELNS1_3repE0EEENS1_30default_config_static_selectorELNS0_4arch9wavefront6targetE1EEEvSW_.num_named_barrier, 0
	.set _ZN7rocprim17ROCPRIM_400000_NS6detail17trampoline_kernelINS0_14default_configENS1_22reduce_config_selectorIlEEZNS1_11reduce_implILb1ES3_N6thrust23THRUST_200600_302600_NS11hip_rocprim26transform_input_iterator_tIlNS8_12zip_iteratorINS8_5tupleINS8_6detail15normal_iteratorINS8_10device_ptrIyEEEESH_NS8_9null_typeESI_SI_SI_SI_SI_SI_SI_EEEENS9_21zip_adj_not_predicateINS8_8equal_toIyEEEEEEPllNS8_4plusIlEEEE10hipError_tPvRmT1_T2_T3_mT4_P12ihipStream_tbEUlT_E1_NS1_11comp_targetILNS1_3genE10ELNS1_11target_archE1201ELNS1_3gpuE5ELNS1_3repE0EEENS1_30default_config_static_selectorELNS0_4arch9wavefront6targetE1EEEvSW_.private_seg_size, 0
	.set _ZN7rocprim17ROCPRIM_400000_NS6detail17trampoline_kernelINS0_14default_configENS1_22reduce_config_selectorIlEEZNS1_11reduce_implILb1ES3_N6thrust23THRUST_200600_302600_NS11hip_rocprim26transform_input_iterator_tIlNS8_12zip_iteratorINS8_5tupleINS8_6detail15normal_iteratorINS8_10device_ptrIyEEEESH_NS8_9null_typeESI_SI_SI_SI_SI_SI_SI_EEEENS9_21zip_adj_not_predicateINS8_8equal_toIyEEEEEEPllNS8_4plusIlEEEE10hipError_tPvRmT1_T2_T3_mT4_P12ihipStream_tbEUlT_E1_NS1_11comp_targetILNS1_3genE10ELNS1_11target_archE1201ELNS1_3gpuE5ELNS1_3repE0EEENS1_30default_config_static_selectorELNS0_4arch9wavefront6targetE1EEEvSW_.uses_vcc, 0
	.set _ZN7rocprim17ROCPRIM_400000_NS6detail17trampoline_kernelINS0_14default_configENS1_22reduce_config_selectorIlEEZNS1_11reduce_implILb1ES3_N6thrust23THRUST_200600_302600_NS11hip_rocprim26transform_input_iterator_tIlNS8_12zip_iteratorINS8_5tupleINS8_6detail15normal_iteratorINS8_10device_ptrIyEEEESH_NS8_9null_typeESI_SI_SI_SI_SI_SI_SI_EEEENS9_21zip_adj_not_predicateINS8_8equal_toIyEEEEEEPllNS8_4plusIlEEEE10hipError_tPvRmT1_T2_T3_mT4_P12ihipStream_tbEUlT_E1_NS1_11comp_targetILNS1_3genE10ELNS1_11target_archE1201ELNS1_3gpuE5ELNS1_3repE0EEENS1_30default_config_static_selectorELNS0_4arch9wavefront6targetE1EEEvSW_.uses_flat_scratch, 0
	.set _ZN7rocprim17ROCPRIM_400000_NS6detail17trampoline_kernelINS0_14default_configENS1_22reduce_config_selectorIlEEZNS1_11reduce_implILb1ES3_N6thrust23THRUST_200600_302600_NS11hip_rocprim26transform_input_iterator_tIlNS8_12zip_iteratorINS8_5tupleINS8_6detail15normal_iteratorINS8_10device_ptrIyEEEESH_NS8_9null_typeESI_SI_SI_SI_SI_SI_SI_EEEENS9_21zip_adj_not_predicateINS8_8equal_toIyEEEEEEPllNS8_4plusIlEEEE10hipError_tPvRmT1_T2_T3_mT4_P12ihipStream_tbEUlT_E1_NS1_11comp_targetILNS1_3genE10ELNS1_11target_archE1201ELNS1_3gpuE5ELNS1_3repE0EEENS1_30default_config_static_selectorELNS0_4arch9wavefront6targetE1EEEvSW_.has_dyn_sized_stack, 0
	.set _ZN7rocprim17ROCPRIM_400000_NS6detail17trampoline_kernelINS0_14default_configENS1_22reduce_config_selectorIlEEZNS1_11reduce_implILb1ES3_N6thrust23THRUST_200600_302600_NS11hip_rocprim26transform_input_iterator_tIlNS8_12zip_iteratorINS8_5tupleINS8_6detail15normal_iteratorINS8_10device_ptrIyEEEESH_NS8_9null_typeESI_SI_SI_SI_SI_SI_SI_EEEENS9_21zip_adj_not_predicateINS8_8equal_toIyEEEEEEPllNS8_4plusIlEEEE10hipError_tPvRmT1_T2_T3_mT4_P12ihipStream_tbEUlT_E1_NS1_11comp_targetILNS1_3genE10ELNS1_11target_archE1201ELNS1_3gpuE5ELNS1_3repE0EEENS1_30default_config_static_selectorELNS0_4arch9wavefront6targetE1EEEvSW_.has_recursion, 0
	.set _ZN7rocprim17ROCPRIM_400000_NS6detail17trampoline_kernelINS0_14default_configENS1_22reduce_config_selectorIlEEZNS1_11reduce_implILb1ES3_N6thrust23THRUST_200600_302600_NS11hip_rocprim26transform_input_iterator_tIlNS8_12zip_iteratorINS8_5tupleINS8_6detail15normal_iteratorINS8_10device_ptrIyEEEESH_NS8_9null_typeESI_SI_SI_SI_SI_SI_SI_EEEENS9_21zip_adj_not_predicateINS8_8equal_toIyEEEEEEPllNS8_4plusIlEEEE10hipError_tPvRmT1_T2_T3_mT4_P12ihipStream_tbEUlT_E1_NS1_11comp_targetILNS1_3genE10ELNS1_11target_archE1201ELNS1_3gpuE5ELNS1_3repE0EEENS1_30default_config_static_selectorELNS0_4arch9wavefront6targetE1EEEvSW_.has_indirect_call, 0
	.section	.AMDGPU.csdata,"",@progbits
; Kernel info:
; codeLenInByte = 0
; TotalNumSgprs: 4
; NumVgprs: 0
; ScratchSize: 0
; MemoryBound: 0
; FloatMode: 240
; IeeeMode: 1
; LDSByteSize: 0 bytes/workgroup (compile time only)
; SGPRBlocks: 0
; VGPRBlocks: 0
; NumSGPRsForWavesPerEU: 4
; NumVGPRsForWavesPerEU: 1
; Occupancy: 10
; WaveLimiterHint : 0
; COMPUTE_PGM_RSRC2:SCRATCH_EN: 0
; COMPUTE_PGM_RSRC2:USER_SGPR: 6
; COMPUTE_PGM_RSRC2:TRAP_HANDLER: 0
; COMPUTE_PGM_RSRC2:TGID_X_EN: 1
; COMPUTE_PGM_RSRC2:TGID_Y_EN: 0
; COMPUTE_PGM_RSRC2:TGID_Z_EN: 0
; COMPUTE_PGM_RSRC2:TIDIG_COMP_CNT: 0
	.section	.text._ZN7rocprim17ROCPRIM_400000_NS6detail17trampoline_kernelINS0_14default_configENS1_22reduce_config_selectorIlEEZNS1_11reduce_implILb1ES3_N6thrust23THRUST_200600_302600_NS11hip_rocprim26transform_input_iterator_tIlNS8_12zip_iteratorINS8_5tupleINS8_6detail15normal_iteratorINS8_10device_ptrIyEEEESH_NS8_9null_typeESI_SI_SI_SI_SI_SI_SI_EEEENS9_21zip_adj_not_predicateINS8_8equal_toIyEEEEEEPllNS8_4plusIlEEEE10hipError_tPvRmT1_T2_T3_mT4_P12ihipStream_tbEUlT_E1_NS1_11comp_targetILNS1_3genE10ELNS1_11target_archE1200ELNS1_3gpuE4ELNS1_3repE0EEENS1_30default_config_static_selectorELNS0_4arch9wavefront6targetE1EEEvSW_,"axG",@progbits,_ZN7rocprim17ROCPRIM_400000_NS6detail17trampoline_kernelINS0_14default_configENS1_22reduce_config_selectorIlEEZNS1_11reduce_implILb1ES3_N6thrust23THRUST_200600_302600_NS11hip_rocprim26transform_input_iterator_tIlNS8_12zip_iteratorINS8_5tupleINS8_6detail15normal_iteratorINS8_10device_ptrIyEEEESH_NS8_9null_typeESI_SI_SI_SI_SI_SI_SI_EEEENS9_21zip_adj_not_predicateINS8_8equal_toIyEEEEEEPllNS8_4plusIlEEEE10hipError_tPvRmT1_T2_T3_mT4_P12ihipStream_tbEUlT_E1_NS1_11comp_targetILNS1_3genE10ELNS1_11target_archE1200ELNS1_3gpuE4ELNS1_3repE0EEENS1_30default_config_static_selectorELNS0_4arch9wavefront6targetE1EEEvSW_,comdat
	.protected	_ZN7rocprim17ROCPRIM_400000_NS6detail17trampoline_kernelINS0_14default_configENS1_22reduce_config_selectorIlEEZNS1_11reduce_implILb1ES3_N6thrust23THRUST_200600_302600_NS11hip_rocprim26transform_input_iterator_tIlNS8_12zip_iteratorINS8_5tupleINS8_6detail15normal_iteratorINS8_10device_ptrIyEEEESH_NS8_9null_typeESI_SI_SI_SI_SI_SI_SI_EEEENS9_21zip_adj_not_predicateINS8_8equal_toIyEEEEEEPllNS8_4plusIlEEEE10hipError_tPvRmT1_T2_T3_mT4_P12ihipStream_tbEUlT_E1_NS1_11comp_targetILNS1_3genE10ELNS1_11target_archE1200ELNS1_3gpuE4ELNS1_3repE0EEENS1_30default_config_static_selectorELNS0_4arch9wavefront6targetE1EEEvSW_ ; -- Begin function _ZN7rocprim17ROCPRIM_400000_NS6detail17trampoline_kernelINS0_14default_configENS1_22reduce_config_selectorIlEEZNS1_11reduce_implILb1ES3_N6thrust23THRUST_200600_302600_NS11hip_rocprim26transform_input_iterator_tIlNS8_12zip_iteratorINS8_5tupleINS8_6detail15normal_iteratorINS8_10device_ptrIyEEEESH_NS8_9null_typeESI_SI_SI_SI_SI_SI_SI_EEEENS9_21zip_adj_not_predicateINS8_8equal_toIyEEEEEEPllNS8_4plusIlEEEE10hipError_tPvRmT1_T2_T3_mT4_P12ihipStream_tbEUlT_E1_NS1_11comp_targetILNS1_3genE10ELNS1_11target_archE1200ELNS1_3gpuE4ELNS1_3repE0EEENS1_30default_config_static_selectorELNS0_4arch9wavefront6targetE1EEEvSW_
	.globl	_ZN7rocprim17ROCPRIM_400000_NS6detail17trampoline_kernelINS0_14default_configENS1_22reduce_config_selectorIlEEZNS1_11reduce_implILb1ES3_N6thrust23THRUST_200600_302600_NS11hip_rocprim26transform_input_iterator_tIlNS8_12zip_iteratorINS8_5tupleINS8_6detail15normal_iteratorINS8_10device_ptrIyEEEESH_NS8_9null_typeESI_SI_SI_SI_SI_SI_SI_EEEENS9_21zip_adj_not_predicateINS8_8equal_toIyEEEEEEPllNS8_4plusIlEEEE10hipError_tPvRmT1_T2_T3_mT4_P12ihipStream_tbEUlT_E1_NS1_11comp_targetILNS1_3genE10ELNS1_11target_archE1200ELNS1_3gpuE4ELNS1_3repE0EEENS1_30default_config_static_selectorELNS0_4arch9wavefront6targetE1EEEvSW_
	.p2align	8
	.type	_ZN7rocprim17ROCPRIM_400000_NS6detail17trampoline_kernelINS0_14default_configENS1_22reduce_config_selectorIlEEZNS1_11reduce_implILb1ES3_N6thrust23THRUST_200600_302600_NS11hip_rocprim26transform_input_iterator_tIlNS8_12zip_iteratorINS8_5tupleINS8_6detail15normal_iteratorINS8_10device_ptrIyEEEESH_NS8_9null_typeESI_SI_SI_SI_SI_SI_SI_EEEENS9_21zip_adj_not_predicateINS8_8equal_toIyEEEEEEPllNS8_4plusIlEEEE10hipError_tPvRmT1_T2_T3_mT4_P12ihipStream_tbEUlT_E1_NS1_11comp_targetILNS1_3genE10ELNS1_11target_archE1200ELNS1_3gpuE4ELNS1_3repE0EEENS1_30default_config_static_selectorELNS0_4arch9wavefront6targetE1EEEvSW_,@function
_ZN7rocprim17ROCPRIM_400000_NS6detail17trampoline_kernelINS0_14default_configENS1_22reduce_config_selectorIlEEZNS1_11reduce_implILb1ES3_N6thrust23THRUST_200600_302600_NS11hip_rocprim26transform_input_iterator_tIlNS8_12zip_iteratorINS8_5tupleINS8_6detail15normal_iteratorINS8_10device_ptrIyEEEESH_NS8_9null_typeESI_SI_SI_SI_SI_SI_SI_EEEENS9_21zip_adj_not_predicateINS8_8equal_toIyEEEEEEPllNS8_4plusIlEEEE10hipError_tPvRmT1_T2_T3_mT4_P12ihipStream_tbEUlT_E1_NS1_11comp_targetILNS1_3genE10ELNS1_11target_archE1200ELNS1_3gpuE4ELNS1_3repE0EEENS1_30default_config_static_selectorELNS0_4arch9wavefront6targetE1EEEvSW_: ; @_ZN7rocprim17ROCPRIM_400000_NS6detail17trampoline_kernelINS0_14default_configENS1_22reduce_config_selectorIlEEZNS1_11reduce_implILb1ES3_N6thrust23THRUST_200600_302600_NS11hip_rocprim26transform_input_iterator_tIlNS8_12zip_iteratorINS8_5tupleINS8_6detail15normal_iteratorINS8_10device_ptrIyEEEESH_NS8_9null_typeESI_SI_SI_SI_SI_SI_SI_EEEENS9_21zip_adj_not_predicateINS8_8equal_toIyEEEEEEPllNS8_4plusIlEEEE10hipError_tPvRmT1_T2_T3_mT4_P12ihipStream_tbEUlT_E1_NS1_11comp_targetILNS1_3genE10ELNS1_11target_archE1200ELNS1_3gpuE4ELNS1_3repE0EEENS1_30default_config_static_selectorELNS0_4arch9wavefront6targetE1EEEvSW_
; %bb.0:
	.section	.rodata,"a",@progbits
	.p2align	6, 0x0
	.amdhsa_kernel _ZN7rocprim17ROCPRIM_400000_NS6detail17trampoline_kernelINS0_14default_configENS1_22reduce_config_selectorIlEEZNS1_11reduce_implILb1ES3_N6thrust23THRUST_200600_302600_NS11hip_rocprim26transform_input_iterator_tIlNS8_12zip_iteratorINS8_5tupleINS8_6detail15normal_iteratorINS8_10device_ptrIyEEEESH_NS8_9null_typeESI_SI_SI_SI_SI_SI_SI_EEEENS9_21zip_adj_not_predicateINS8_8equal_toIyEEEEEEPllNS8_4plusIlEEEE10hipError_tPvRmT1_T2_T3_mT4_P12ihipStream_tbEUlT_E1_NS1_11comp_targetILNS1_3genE10ELNS1_11target_archE1200ELNS1_3gpuE4ELNS1_3repE0EEENS1_30default_config_static_selectorELNS0_4arch9wavefront6targetE1EEEvSW_
		.amdhsa_group_segment_fixed_size 0
		.amdhsa_private_segment_fixed_size 0
		.amdhsa_kernarg_size 64
		.amdhsa_user_sgpr_count 6
		.amdhsa_user_sgpr_private_segment_buffer 1
		.amdhsa_user_sgpr_dispatch_ptr 0
		.amdhsa_user_sgpr_queue_ptr 0
		.amdhsa_user_sgpr_kernarg_segment_ptr 1
		.amdhsa_user_sgpr_dispatch_id 0
		.amdhsa_user_sgpr_flat_scratch_init 0
		.amdhsa_user_sgpr_private_segment_size 0
		.amdhsa_uses_dynamic_stack 0
		.amdhsa_system_sgpr_private_segment_wavefront_offset 0
		.amdhsa_system_sgpr_workgroup_id_x 1
		.amdhsa_system_sgpr_workgroup_id_y 0
		.amdhsa_system_sgpr_workgroup_id_z 0
		.amdhsa_system_sgpr_workgroup_info 0
		.amdhsa_system_vgpr_workitem_id 0
		.amdhsa_next_free_vgpr 1
		.amdhsa_next_free_sgpr 0
		.amdhsa_reserve_vcc 0
		.amdhsa_reserve_flat_scratch 0
		.amdhsa_float_round_mode_32 0
		.amdhsa_float_round_mode_16_64 0
		.amdhsa_float_denorm_mode_32 3
		.amdhsa_float_denorm_mode_16_64 3
		.amdhsa_dx10_clamp 1
		.amdhsa_ieee_mode 1
		.amdhsa_fp16_overflow 0
		.amdhsa_exception_fp_ieee_invalid_op 0
		.amdhsa_exception_fp_denorm_src 0
		.amdhsa_exception_fp_ieee_div_zero 0
		.amdhsa_exception_fp_ieee_overflow 0
		.amdhsa_exception_fp_ieee_underflow 0
		.amdhsa_exception_fp_ieee_inexact 0
		.amdhsa_exception_int_div_zero 0
	.end_amdhsa_kernel
	.section	.text._ZN7rocprim17ROCPRIM_400000_NS6detail17trampoline_kernelINS0_14default_configENS1_22reduce_config_selectorIlEEZNS1_11reduce_implILb1ES3_N6thrust23THRUST_200600_302600_NS11hip_rocprim26transform_input_iterator_tIlNS8_12zip_iteratorINS8_5tupleINS8_6detail15normal_iteratorINS8_10device_ptrIyEEEESH_NS8_9null_typeESI_SI_SI_SI_SI_SI_SI_EEEENS9_21zip_adj_not_predicateINS8_8equal_toIyEEEEEEPllNS8_4plusIlEEEE10hipError_tPvRmT1_T2_T3_mT4_P12ihipStream_tbEUlT_E1_NS1_11comp_targetILNS1_3genE10ELNS1_11target_archE1200ELNS1_3gpuE4ELNS1_3repE0EEENS1_30default_config_static_selectorELNS0_4arch9wavefront6targetE1EEEvSW_,"axG",@progbits,_ZN7rocprim17ROCPRIM_400000_NS6detail17trampoline_kernelINS0_14default_configENS1_22reduce_config_selectorIlEEZNS1_11reduce_implILb1ES3_N6thrust23THRUST_200600_302600_NS11hip_rocprim26transform_input_iterator_tIlNS8_12zip_iteratorINS8_5tupleINS8_6detail15normal_iteratorINS8_10device_ptrIyEEEESH_NS8_9null_typeESI_SI_SI_SI_SI_SI_SI_EEEENS9_21zip_adj_not_predicateINS8_8equal_toIyEEEEEEPllNS8_4plusIlEEEE10hipError_tPvRmT1_T2_T3_mT4_P12ihipStream_tbEUlT_E1_NS1_11comp_targetILNS1_3genE10ELNS1_11target_archE1200ELNS1_3gpuE4ELNS1_3repE0EEENS1_30default_config_static_selectorELNS0_4arch9wavefront6targetE1EEEvSW_,comdat
.Lfunc_end830:
	.size	_ZN7rocprim17ROCPRIM_400000_NS6detail17trampoline_kernelINS0_14default_configENS1_22reduce_config_selectorIlEEZNS1_11reduce_implILb1ES3_N6thrust23THRUST_200600_302600_NS11hip_rocprim26transform_input_iterator_tIlNS8_12zip_iteratorINS8_5tupleINS8_6detail15normal_iteratorINS8_10device_ptrIyEEEESH_NS8_9null_typeESI_SI_SI_SI_SI_SI_SI_EEEENS9_21zip_adj_not_predicateINS8_8equal_toIyEEEEEEPllNS8_4plusIlEEEE10hipError_tPvRmT1_T2_T3_mT4_P12ihipStream_tbEUlT_E1_NS1_11comp_targetILNS1_3genE10ELNS1_11target_archE1200ELNS1_3gpuE4ELNS1_3repE0EEENS1_30default_config_static_selectorELNS0_4arch9wavefront6targetE1EEEvSW_, .Lfunc_end830-_ZN7rocprim17ROCPRIM_400000_NS6detail17trampoline_kernelINS0_14default_configENS1_22reduce_config_selectorIlEEZNS1_11reduce_implILb1ES3_N6thrust23THRUST_200600_302600_NS11hip_rocprim26transform_input_iterator_tIlNS8_12zip_iteratorINS8_5tupleINS8_6detail15normal_iteratorINS8_10device_ptrIyEEEESH_NS8_9null_typeESI_SI_SI_SI_SI_SI_SI_EEEENS9_21zip_adj_not_predicateINS8_8equal_toIyEEEEEEPllNS8_4plusIlEEEE10hipError_tPvRmT1_T2_T3_mT4_P12ihipStream_tbEUlT_E1_NS1_11comp_targetILNS1_3genE10ELNS1_11target_archE1200ELNS1_3gpuE4ELNS1_3repE0EEENS1_30default_config_static_selectorELNS0_4arch9wavefront6targetE1EEEvSW_
                                        ; -- End function
	.set _ZN7rocprim17ROCPRIM_400000_NS6detail17trampoline_kernelINS0_14default_configENS1_22reduce_config_selectorIlEEZNS1_11reduce_implILb1ES3_N6thrust23THRUST_200600_302600_NS11hip_rocprim26transform_input_iterator_tIlNS8_12zip_iteratorINS8_5tupleINS8_6detail15normal_iteratorINS8_10device_ptrIyEEEESH_NS8_9null_typeESI_SI_SI_SI_SI_SI_SI_EEEENS9_21zip_adj_not_predicateINS8_8equal_toIyEEEEEEPllNS8_4plusIlEEEE10hipError_tPvRmT1_T2_T3_mT4_P12ihipStream_tbEUlT_E1_NS1_11comp_targetILNS1_3genE10ELNS1_11target_archE1200ELNS1_3gpuE4ELNS1_3repE0EEENS1_30default_config_static_selectorELNS0_4arch9wavefront6targetE1EEEvSW_.num_vgpr, 0
	.set _ZN7rocprim17ROCPRIM_400000_NS6detail17trampoline_kernelINS0_14default_configENS1_22reduce_config_selectorIlEEZNS1_11reduce_implILb1ES3_N6thrust23THRUST_200600_302600_NS11hip_rocprim26transform_input_iterator_tIlNS8_12zip_iteratorINS8_5tupleINS8_6detail15normal_iteratorINS8_10device_ptrIyEEEESH_NS8_9null_typeESI_SI_SI_SI_SI_SI_SI_EEEENS9_21zip_adj_not_predicateINS8_8equal_toIyEEEEEEPllNS8_4plusIlEEEE10hipError_tPvRmT1_T2_T3_mT4_P12ihipStream_tbEUlT_E1_NS1_11comp_targetILNS1_3genE10ELNS1_11target_archE1200ELNS1_3gpuE4ELNS1_3repE0EEENS1_30default_config_static_selectorELNS0_4arch9wavefront6targetE1EEEvSW_.num_agpr, 0
	.set _ZN7rocprim17ROCPRIM_400000_NS6detail17trampoline_kernelINS0_14default_configENS1_22reduce_config_selectorIlEEZNS1_11reduce_implILb1ES3_N6thrust23THRUST_200600_302600_NS11hip_rocprim26transform_input_iterator_tIlNS8_12zip_iteratorINS8_5tupleINS8_6detail15normal_iteratorINS8_10device_ptrIyEEEESH_NS8_9null_typeESI_SI_SI_SI_SI_SI_SI_EEEENS9_21zip_adj_not_predicateINS8_8equal_toIyEEEEEEPllNS8_4plusIlEEEE10hipError_tPvRmT1_T2_T3_mT4_P12ihipStream_tbEUlT_E1_NS1_11comp_targetILNS1_3genE10ELNS1_11target_archE1200ELNS1_3gpuE4ELNS1_3repE0EEENS1_30default_config_static_selectorELNS0_4arch9wavefront6targetE1EEEvSW_.numbered_sgpr, 0
	.set _ZN7rocprim17ROCPRIM_400000_NS6detail17trampoline_kernelINS0_14default_configENS1_22reduce_config_selectorIlEEZNS1_11reduce_implILb1ES3_N6thrust23THRUST_200600_302600_NS11hip_rocprim26transform_input_iterator_tIlNS8_12zip_iteratorINS8_5tupleINS8_6detail15normal_iteratorINS8_10device_ptrIyEEEESH_NS8_9null_typeESI_SI_SI_SI_SI_SI_SI_EEEENS9_21zip_adj_not_predicateINS8_8equal_toIyEEEEEEPllNS8_4plusIlEEEE10hipError_tPvRmT1_T2_T3_mT4_P12ihipStream_tbEUlT_E1_NS1_11comp_targetILNS1_3genE10ELNS1_11target_archE1200ELNS1_3gpuE4ELNS1_3repE0EEENS1_30default_config_static_selectorELNS0_4arch9wavefront6targetE1EEEvSW_.num_named_barrier, 0
	.set _ZN7rocprim17ROCPRIM_400000_NS6detail17trampoline_kernelINS0_14default_configENS1_22reduce_config_selectorIlEEZNS1_11reduce_implILb1ES3_N6thrust23THRUST_200600_302600_NS11hip_rocprim26transform_input_iterator_tIlNS8_12zip_iteratorINS8_5tupleINS8_6detail15normal_iteratorINS8_10device_ptrIyEEEESH_NS8_9null_typeESI_SI_SI_SI_SI_SI_SI_EEEENS9_21zip_adj_not_predicateINS8_8equal_toIyEEEEEEPllNS8_4plusIlEEEE10hipError_tPvRmT1_T2_T3_mT4_P12ihipStream_tbEUlT_E1_NS1_11comp_targetILNS1_3genE10ELNS1_11target_archE1200ELNS1_3gpuE4ELNS1_3repE0EEENS1_30default_config_static_selectorELNS0_4arch9wavefront6targetE1EEEvSW_.private_seg_size, 0
	.set _ZN7rocprim17ROCPRIM_400000_NS6detail17trampoline_kernelINS0_14default_configENS1_22reduce_config_selectorIlEEZNS1_11reduce_implILb1ES3_N6thrust23THRUST_200600_302600_NS11hip_rocprim26transform_input_iterator_tIlNS8_12zip_iteratorINS8_5tupleINS8_6detail15normal_iteratorINS8_10device_ptrIyEEEESH_NS8_9null_typeESI_SI_SI_SI_SI_SI_SI_EEEENS9_21zip_adj_not_predicateINS8_8equal_toIyEEEEEEPllNS8_4plusIlEEEE10hipError_tPvRmT1_T2_T3_mT4_P12ihipStream_tbEUlT_E1_NS1_11comp_targetILNS1_3genE10ELNS1_11target_archE1200ELNS1_3gpuE4ELNS1_3repE0EEENS1_30default_config_static_selectorELNS0_4arch9wavefront6targetE1EEEvSW_.uses_vcc, 0
	.set _ZN7rocprim17ROCPRIM_400000_NS6detail17trampoline_kernelINS0_14default_configENS1_22reduce_config_selectorIlEEZNS1_11reduce_implILb1ES3_N6thrust23THRUST_200600_302600_NS11hip_rocprim26transform_input_iterator_tIlNS8_12zip_iteratorINS8_5tupleINS8_6detail15normal_iteratorINS8_10device_ptrIyEEEESH_NS8_9null_typeESI_SI_SI_SI_SI_SI_SI_EEEENS9_21zip_adj_not_predicateINS8_8equal_toIyEEEEEEPllNS8_4plusIlEEEE10hipError_tPvRmT1_T2_T3_mT4_P12ihipStream_tbEUlT_E1_NS1_11comp_targetILNS1_3genE10ELNS1_11target_archE1200ELNS1_3gpuE4ELNS1_3repE0EEENS1_30default_config_static_selectorELNS0_4arch9wavefront6targetE1EEEvSW_.uses_flat_scratch, 0
	.set _ZN7rocprim17ROCPRIM_400000_NS6detail17trampoline_kernelINS0_14default_configENS1_22reduce_config_selectorIlEEZNS1_11reduce_implILb1ES3_N6thrust23THRUST_200600_302600_NS11hip_rocprim26transform_input_iterator_tIlNS8_12zip_iteratorINS8_5tupleINS8_6detail15normal_iteratorINS8_10device_ptrIyEEEESH_NS8_9null_typeESI_SI_SI_SI_SI_SI_SI_EEEENS9_21zip_adj_not_predicateINS8_8equal_toIyEEEEEEPllNS8_4plusIlEEEE10hipError_tPvRmT1_T2_T3_mT4_P12ihipStream_tbEUlT_E1_NS1_11comp_targetILNS1_3genE10ELNS1_11target_archE1200ELNS1_3gpuE4ELNS1_3repE0EEENS1_30default_config_static_selectorELNS0_4arch9wavefront6targetE1EEEvSW_.has_dyn_sized_stack, 0
	.set _ZN7rocprim17ROCPRIM_400000_NS6detail17trampoline_kernelINS0_14default_configENS1_22reduce_config_selectorIlEEZNS1_11reduce_implILb1ES3_N6thrust23THRUST_200600_302600_NS11hip_rocprim26transform_input_iterator_tIlNS8_12zip_iteratorINS8_5tupleINS8_6detail15normal_iteratorINS8_10device_ptrIyEEEESH_NS8_9null_typeESI_SI_SI_SI_SI_SI_SI_EEEENS9_21zip_adj_not_predicateINS8_8equal_toIyEEEEEEPllNS8_4plusIlEEEE10hipError_tPvRmT1_T2_T3_mT4_P12ihipStream_tbEUlT_E1_NS1_11comp_targetILNS1_3genE10ELNS1_11target_archE1200ELNS1_3gpuE4ELNS1_3repE0EEENS1_30default_config_static_selectorELNS0_4arch9wavefront6targetE1EEEvSW_.has_recursion, 0
	.set _ZN7rocprim17ROCPRIM_400000_NS6detail17trampoline_kernelINS0_14default_configENS1_22reduce_config_selectorIlEEZNS1_11reduce_implILb1ES3_N6thrust23THRUST_200600_302600_NS11hip_rocprim26transform_input_iterator_tIlNS8_12zip_iteratorINS8_5tupleINS8_6detail15normal_iteratorINS8_10device_ptrIyEEEESH_NS8_9null_typeESI_SI_SI_SI_SI_SI_SI_EEEENS9_21zip_adj_not_predicateINS8_8equal_toIyEEEEEEPllNS8_4plusIlEEEE10hipError_tPvRmT1_T2_T3_mT4_P12ihipStream_tbEUlT_E1_NS1_11comp_targetILNS1_3genE10ELNS1_11target_archE1200ELNS1_3gpuE4ELNS1_3repE0EEENS1_30default_config_static_selectorELNS0_4arch9wavefront6targetE1EEEvSW_.has_indirect_call, 0
	.section	.AMDGPU.csdata,"",@progbits
; Kernel info:
; codeLenInByte = 0
; TotalNumSgprs: 4
; NumVgprs: 0
; ScratchSize: 0
; MemoryBound: 0
; FloatMode: 240
; IeeeMode: 1
; LDSByteSize: 0 bytes/workgroup (compile time only)
; SGPRBlocks: 0
; VGPRBlocks: 0
; NumSGPRsForWavesPerEU: 4
; NumVGPRsForWavesPerEU: 1
; Occupancy: 10
; WaveLimiterHint : 0
; COMPUTE_PGM_RSRC2:SCRATCH_EN: 0
; COMPUTE_PGM_RSRC2:USER_SGPR: 6
; COMPUTE_PGM_RSRC2:TRAP_HANDLER: 0
; COMPUTE_PGM_RSRC2:TGID_X_EN: 1
; COMPUTE_PGM_RSRC2:TGID_Y_EN: 0
; COMPUTE_PGM_RSRC2:TGID_Z_EN: 0
; COMPUTE_PGM_RSRC2:TIDIG_COMP_CNT: 0
	.section	.text._ZN7rocprim17ROCPRIM_400000_NS6detail17trampoline_kernelINS0_14default_configENS1_22reduce_config_selectorIlEEZNS1_11reduce_implILb1ES3_N6thrust23THRUST_200600_302600_NS11hip_rocprim26transform_input_iterator_tIlNS8_12zip_iteratorINS8_5tupleINS8_6detail15normal_iteratorINS8_10device_ptrIyEEEESH_NS8_9null_typeESI_SI_SI_SI_SI_SI_SI_EEEENS9_21zip_adj_not_predicateINS8_8equal_toIyEEEEEEPllNS8_4plusIlEEEE10hipError_tPvRmT1_T2_T3_mT4_P12ihipStream_tbEUlT_E1_NS1_11comp_targetILNS1_3genE9ELNS1_11target_archE1100ELNS1_3gpuE3ELNS1_3repE0EEENS1_30default_config_static_selectorELNS0_4arch9wavefront6targetE1EEEvSW_,"axG",@progbits,_ZN7rocprim17ROCPRIM_400000_NS6detail17trampoline_kernelINS0_14default_configENS1_22reduce_config_selectorIlEEZNS1_11reduce_implILb1ES3_N6thrust23THRUST_200600_302600_NS11hip_rocprim26transform_input_iterator_tIlNS8_12zip_iteratorINS8_5tupleINS8_6detail15normal_iteratorINS8_10device_ptrIyEEEESH_NS8_9null_typeESI_SI_SI_SI_SI_SI_SI_EEEENS9_21zip_adj_not_predicateINS8_8equal_toIyEEEEEEPllNS8_4plusIlEEEE10hipError_tPvRmT1_T2_T3_mT4_P12ihipStream_tbEUlT_E1_NS1_11comp_targetILNS1_3genE9ELNS1_11target_archE1100ELNS1_3gpuE3ELNS1_3repE0EEENS1_30default_config_static_selectorELNS0_4arch9wavefront6targetE1EEEvSW_,comdat
	.protected	_ZN7rocprim17ROCPRIM_400000_NS6detail17trampoline_kernelINS0_14default_configENS1_22reduce_config_selectorIlEEZNS1_11reduce_implILb1ES3_N6thrust23THRUST_200600_302600_NS11hip_rocprim26transform_input_iterator_tIlNS8_12zip_iteratorINS8_5tupleINS8_6detail15normal_iteratorINS8_10device_ptrIyEEEESH_NS8_9null_typeESI_SI_SI_SI_SI_SI_SI_EEEENS9_21zip_adj_not_predicateINS8_8equal_toIyEEEEEEPllNS8_4plusIlEEEE10hipError_tPvRmT1_T2_T3_mT4_P12ihipStream_tbEUlT_E1_NS1_11comp_targetILNS1_3genE9ELNS1_11target_archE1100ELNS1_3gpuE3ELNS1_3repE0EEENS1_30default_config_static_selectorELNS0_4arch9wavefront6targetE1EEEvSW_ ; -- Begin function _ZN7rocprim17ROCPRIM_400000_NS6detail17trampoline_kernelINS0_14default_configENS1_22reduce_config_selectorIlEEZNS1_11reduce_implILb1ES3_N6thrust23THRUST_200600_302600_NS11hip_rocprim26transform_input_iterator_tIlNS8_12zip_iteratorINS8_5tupleINS8_6detail15normal_iteratorINS8_10device_ptrIyEEEESH_NS8_9null_typeESI_SI_SI_SI_SI_SI_SI_EEEENS9_21zip_adj_not_predicateINS8_8equal_toIyEEEEEEPllNS8_4plusIlEEEE10hipError_tPvRmT1_T2_T3_mT4_P12ihipStream_tbEUlT_E1_NS1_11comp_targetILNS1_3genE9ELNS1_11target_archE1100ELNS1_3gpuE3ELNS1_3repE0EEENS1_30default_config_static_selectorELNS0_4arch9wavefront6targetE1EEEvSW_
	.globl	_ZN7rocprim17ROCPRIM_400000_NS6detail17trampoline_kernelINS0_14default_configENS1_22reduce_config_selectorIlEEZNS1_11reduce_implILb1ES3_N6thrust23THRUST_200600_302600_NS11hip_rocprim26transform_input_iterator_tIlNS8_12zip_iteratorINS8_5tupleINS8_6detail15normal_iteratorINS8_10device_ptrIyEEEESH_NS8_9null_typeESI_SI_SI_SI_SI_SI_SI_EEEENS9_21zip_adj_not_predicateINS8_8equal_toIyEEEEEEPllNS8_4plusIlEEEE10hipError_tPvRmT1_T2_T3_mT4_P12ihipStream_tbEUlT_E1_NS1_11comp_targetILNS1_3genE9ELNS1_11target_archE1100ELNS1_3gpuE3ELNS1_3repE0EEENS1_30default_config_static_selectorELNS0_4arch9wavefront6targetE1EEEvSW_
	.p2align	8
	.type	_ZN7rocprim17ROCPRIM_400000_NS6detail17trampoline_kernelINS0_14default_configENS1_22reduce_config_selectorIlEEZNS1_11reduce_implILb1ES3_N6thrust23THRUST_200600_302600_NS11hip_rocprim26transform_input_iterator_tIlNS8_12zip_iteratorINS8_5tupleINS8_6detail15normal_iteratorINS8_10device_ptrIyEEEESH_NS8_9null_typeESI_SI_SI_SI_SI_SI_SI_EEEENS9_21zip_adj_not_predicateINS8_8equal_toIyEEEEEEPllNS8_4plusIlEEEE10hipError_tPvRmT1_T2_T3_mT4_P12ihipStream_tbEUlT_E1_NS1_11comp_targetILNS1_3genE9ELNS1_11target_archE1100ELNS1_3gpuE3ELNS1_3repE0EEENS1_30default_config_static_selectorELNS0_4arch9wavefront6targetE1EEEvSW_,@function
_ZN7rocprim17ROCPRIM_400000_NS6detail17trampoline_kernelINS0_14default_configENS1_22reduce_config_selectorIlEEZNS1_11reduce_implILb1ES3_N6thrust23THRUST_200600_302600_NS11hip_rocprim26transform_input_iterator_tIlNS8_12zip_iteratorINS8_5tupleINS8_6detail15normal_iteratorINS8_10device_ptrIyEEEESH_NS8_9null_typeESI_SI_SI_SI_SI_SI_SI_EEEENS9_21zip_adj_not_predicateINS8_8equal_toIyEEEEEEPllNS8_4plusIlEEEE10hipError_tPvRmT1_T2_T3_mT4_P12ihipStream_tbEUlT_E1_NS1_11comp_targetILNS1_3genE9ELNS1_11target_archE1100ELNS1_3gpuE3ELNS1_3repE0EEENS1_30default_config_static_selectorELNS0_4arch9wavefront6targetE1EEEvSW_: ; @_ZN7rocprim17ROCPRIM_400000_NS6detail17trampoline_kernelINS0_14default_configENS1_22reduce_config_selectorIlEEZNS1_11reduce_implILb1ES3_N6thrust23THRUST_200600_302600_NS11hip_rocprim26transform_input_iterator_tIlNS8_12zip_iteratorINS8_5tupleINS8_6detail15normal_iteratorINS8_10device_ptrIyEEEESH_NS8_9null_typeESI_SI_SI_SI_SI_SI_SI_EEEENS9_21zip_adj_not_predicateINS8_8equal_toIyEEEEEEPllNS8_4plusIlEEEE10hipError_tPvRmT1_T2_T3_mT4_P12ihipStream_tbEUlT_E1_NS1_11comp_targetILNS1_3genE9ELNS1_11target_archE1100ELNS1_3gpuE3ELNS1_3repE0EEENS1_30default_config_static_selectorELNS0_4arch9wavefront6targetE1EEEvSW_
; %bb.0:
	.section	.rodata,"a",@progbits
	.p2align	6, 0x0
	.amdhsa_kernel _ZN7rocprim17ROCPRIM_400000_NS6detail17trampoline_kernelINS0_14default_configENS1_22reduce_config_selectorIlEEZNS1_11reduce_implILb1ES3_N6thrust23THRUST_200600_302600_NS11hip_rocprim26transform_input_iterator_tIlNS8_12zip_iteratorINS8_5tupleINS8_6detail15normal_iteratorINS8_10device_ptrIyEEEESH_NS8_9null_typeESI_SI_SI_SI_SI_SI_SI_EEEENS9_21zip_adj_not_predicateINS8_8equal_toIyEEEEEEPllNS8_4plusIlEEEE10hipError_tPvRmT1_T2_T3_mT4_P12ihipStream_tbEUlT_E1_NS1_11comp_targetILNS1_3genE9ELNS1_11target_archE1100ELNS1_3gpuE3ELNS1_3repE0EEENS1_30default_config_static_selectorELNS0_4arch9wavefront6targetE1EEEvSW_
		.amdhsa_group_segment_fixed_size 0
		.amdhsa_private_segment_fixed_size 0
		.amdhsa_kernarg_size 64
		.amdhsa_user_sgpr_count 6
		.amdhsa_user_sgpr_private_segment_buffer 1
		.amdhsa_user_sgpr_dispatch_ptr 0
		.amdhsa_user_sgpr_queue_ptr 0
		.amdhsa_user_sgpr_kernarg_segment_ptr 1
		.amdhsa_user_sgpr_dispatch_id 0
		.amdhsa_user_sgpr_flat_scratch_init 0
		.amdhsa_user_sgpr_private_segment_size 0
		.amdhsa_uses_dynamic_stack 0
		.amdhsa_system_sgpr_private_segment_wavefront_offset 0
		.amdhsa_system_sgpr_workgroup_id_x 1
		.amdhsa_system_sgpr_workgroup_id_y 0
		.amdhsa_system_sgpr_workgroup_id_z 0
		.amdhsa_system_sgpr_workgroup_info 0
		.amdhsa_system_vgpr_workitem_id 0
		.amdhsa_next_free_vgpr 1
		.amdhsa_next_free_sgpr 0
		.amdhsa_reserve_vcc 0
		.amdhsa_reserve_flat_scratch 0
		.amdhsa_float_round_mode_32 0
		.amdhsa_float_round_mode_16_64 0
		.amdhsa_float_denorm_mode_32 3
		.amdhsa_float_denorm_mode_16_64 3
		.amdhsa_dx10_clamp 1
		.amdhsa_ieee_mode 1
		.amdhsa_fp16_overflow 0
		.amdhsa_exception_fp_ieee_invalid_op 0
		.amdhsa_exception_fp_denorm_src 0
		.amdhsa_exception_fp_ieee_div_zero 0
		.amdhsa_exception_fp_ieee_overflow 0
		.amdhsa_exception_fp_ieee_underflow 0
		.amdhsa_exception_fp_ieee_inexact 0
		.amdhsa_exception_int_div_zero 0
	.end_amdhsa_kernel
	.section	.text._ZN7rocprim17ROCPRIM_400000_NS6detail17trampoline_kernelINS0_14default_configENS1_22reduce_config_selectorIlEEZNS1_11reduce_implILb1ES3_N6thrust23THRUST_200600_302600_NS11hip_rocprim26transform_input_iterator_tIlNS8_12zip_iteratorINS8_5tupleINS8_6detail15normal_iteratorINS8_10device_ptrIyEEEESH_NS8_9null_typeESI_SI_SI_SI_SI_SI_SI_EEEENS9_21zip_adj_not_predicateINS8_8equal_toIyEEEEEEPllNS8_4plusIlEEEE10hipError_tPvRmT1_T2_T3_mT4_P12ihipStream_tbEUlT_E1_NS1_11comp_targetILNS1_3genE9ELNS1_11target_archE1100ELNS1_3gpuE3ELNS1_3repE0EEENS1_30default_config_static_selectorELNS0_4arch9wavefront6targetE1EEEvSW_,"axG",@progbits,_ZN7rocprim17ROCPRIM_400000_NS6detail17trampoline_kernelINS0_14default_configENS1_22reduce_config_selectorIlEEZNS1_11reduce_implILb1ES3_N6thrust23THRUST_200600_302600_NS11hip_rocprim26transform_input_iterator_tIlNS8_12zip_iteratorINS8_5tupleINS8_6detail15normal_iteratorINS8_10device_ptrIyEEEESH_NS8_9null_typeESI_SI_SI_SI_SI_SI_SI_EEEENS9_21zip_adj_not_predicateINS8_8equal_toIyEEEEEEPllNS8_4plusIlEEEE10hipError_tPvRmT1_T2_T3_mT4_P12ihipStream_tbEUlT_E1_NS1_11comp_targetILNS1_3genE9ELNS1_11target_archE1100ELNS1_3gpuE3ELNS1_3repE0EEENS1_30default_config_static_selectorELNS0_4arch9wavefront6targetE1EEEvSW_,comdat
.Lfunc_end831:
	.size	_ZN7rocprim17ROCPRIM_400000_NS6detail17trampoline_kernelINS0_14default_configENS1_22reduce_config_selectorIlEEZNS1_11reduce_implILb1ES3_N6thrust23THRUST_200600_302600_NS11hip_rocprim26transform_input_iterator_tIlNS8_12zip_iteratorINS8_5tupleINS8_6detail15normal_iteratorINS8_10device_ptrIyEEEESH_NS8_9null_typeESI_SI_SI_SI_SI_SI_SI_EEEENS9_21zip_adj_not_predicateINS8_8equal_toIyEEEEEEPllNS8_4plusIlEEEE10hipError_tPvRmT1_T2_T3_mT4_P12ihipStream_tbEUlT_E1_NS1_11comp_targetILNS1_3genE9ELNS1_11target_archE1100ELNS1_3gpuE3ELNS1_3repE0EEENS1_30default_config_static_selectorELNS0_4arch9wavefront6targetE1EEEvSW_, .Lfunc_end831-_ZN7rocprim17ROCPRIM_400000_NS6detail17trampoline_kernelINS0_14default_configENS1_22reduce_config_selectorIlEEZNS1_11reduce_implILb1ES3_N6thrust23THRUST_200600_302600_NS11hip_rocprim26transform_input_iterator_tIlNS8_12zip_iteratorINS8_5tupleINS8_6detail15normal_iteratorINS8_10device_ptrIyEEEESH_NS8_9null_typeESI_SI_SI_SI_SI_SI_SI_EEEENS9_21zip_adj_not_predicateINS8_8equal_toIyEEEEEEPllNS8_4plusIlEEEE10hipError_tPvRmT1_T2_T3_mT4_P12ihipStream_tbEUlT_E1_NS1_11comp_targetILNS1_3genE9ELNS1_11target_archE1100ELNS1_3gpuE3ELNS1_3repE0EEENS1_30default_config_static_selectorELNS0_4arch9wavefront6targetE1EEEvSW_
                                        ; -- End function
	.set _ZN7rocprim17ROCPRIM_400000_NS6detail17trampoline_kernelINS0_14default_configENS1_22reduce_config_selectorIlEEZNS1_11reduce_implILb1ES3_N6thrust23THRUST_200600_302600_NS11hip_rocprim26transform_input_iterator_tIlNS8_12zip_iteratorINS8_5tupleINS8_6detail15normal_iteratorINS8_10device_ptrIyEEEESH_NS8_9null_typeESI_SI_SI_SI_SI_SI_SI_EEEENS9_21zip_adj_not_predicateINS8_8equal_toIyEEEEEEPllNS8_4plusIlEEEE10hipError_tPvRmT1_T2_T3_mT4_P12ihipStream_tbEUlT_E1_NS1_11comp_targetILNS1_3genE9ELNS1_11target_archE1100ELNS1_3gpuE3ELNS1_3repE0EEENS1_30default_config_static_selectorELNS0_4arch9wavefront6targetE1EEEvSW_.num_vgpr, 0
	.set _ZN7rocprim17ROCPRIM_400000_NS6detail17trampoline_kernelINS0_14default_configENS1_22reduce_config_selectorIlEEZNS1_11reduce_implILb1ES3_N6thrust23THRUST_200600_302600_NS11hip_rocprim26transform_input_iterator_tIlNS8_12zip_iteratorINS8_5tupleINS8_6detail15normal_iteratorINS8_10device_ptrIyEEEESH_NS8_9null_typeESI_SI_SI_SI_SI_SI_SI_EEEENS9_21zip_adj_not_predicateINS8_8equal_toIyEEEEEEPllNS8_4plusIlEEEE10hipError_tPvRmT1_T2_T3_mT4_P12ihipStream_tbEUlT_E1_NS1_11comp_targetILNS1_3genE9ELNS1_11target_archE1100ELNS1_3gpuE3ELNS1_3repE0EEENS1_30default_config_static_selectorELNS0_4arch9wavefront6targetE1EEEvSW_.num_agpr, 0
	.set _ZN7rocprim17ROCPRIM_400000_NS6detail17trampoline_kernelINS0_14default_configENS1_22reduce_config_selectorIlEEZNS1_11reduce_implILb1ES3_N6thrust23THRUST_200600_302600_NS11hip_rocprim26transform_input_iterator_tIlNS8_12zip_iteratorINS8_5tupleINS8_6detail15normal_iteratorINS8_10device_ptrIyEEEESH_NS8_9null_typeESI_SI_SI_SI_SI_SI_SI_EEEENS9_21zip_adj_not_predicateINS8_8equal_toIyEEEEEEPllNS8_4plusIlEEEE10hipError_tPvRmT1_T2_T3_mT4_P12ihipStream_tbEUlT_E1_NS1_11comp_targetILNS1_3genE9ELNS1_11target_archE1100ELNS1_3gpuE3ELNS1_3repE0EEENS1_30default_config_static_selectorELNS0_4arch9wavefront6targetE1EEEvSW_.numbered_sgpr, 0
	.set _ZN7rocprim17ROCPRIM_400000_NS6detail17trampoline_kernelINS0_14default_configENS1_22reduce_config_selectorIlEEZNS1_11reduce_implILb1ES3_N6thrust23THRUST_200600_302600_NS11hip_rocprim26transform_input_iterator_tIlNS8_12zip_iteratorINS8_5tupleINS8_6detail15normal_iteratorINS8_10device_ptrIyEEEESH_NS8_9null_typeESI_SI_SI_SI_SI_SI_SI_EEEENS9_21zip_adj_not_predicateINS8_8equal_toIyEEEEEEPllNS8_4plusIlEEEE10hipError_tPvRmT1_T2_T3_mT4_P12ihipStream_tbEUlT_E1_NS1_11comp_targetILNS1_3genE9ELNS1_11target_archE1100ELNS1_3gpuE3ELNS1_3repE0EEENS1_30default_config_static_selectorELNS0_4arch9wavefront6targetE1EEEvSW_.num_named_barrier, 0
	.set _ZN7rocprim17ROCPRIM_400000_NS6detail17trampoline_kernelINS0_14default_configENS1_22reduce_config_selectorIlEEZNS1_11reduce_implILb1ES3_N6thrust23THRUST_200600_302600_NS11hip_rocprim26transform_input_iterator_tIlNS8_12zip_iteratorINS8_5tupleINS8_6detail15normal_iteratorINS8_10device_ptrIyEEEESH_NS8_9null_typeESI_SI_SI_SI_SI_SI_SI_EEEENS9_21zip_adj_not_predicateINS8_8equal_toIyEEEEEEPllNS8_4plusIlEEEE10hipError_tPvRmT1_T2_T3_mT4_P12ihipStream_tbEUlT_E1_NS1_11comp_targetILNS1_3genE9ELNS1_11target_archE1100ELNS1_3gpuE3ELNS1_3repE0EEENS1_30default_config_static_selectorELNS0_4arch9wavefront6targetE1EEEvSW_.private_seg_size, 0
	.set _ZN7rocprim17ROCPRIM_400000_NS6detail17trampoline_kernelINS0_14default_configENS1_22reduce_config_selectorIlEEZNS1_11reduce_implILb1ES3_N6thrust23THRUST_200600_302600_NS11hip_rocprim26transform_input_iterator_tIlNS8_12zip_iteratorINS8_5tupleINS8_6detail15normal_iteratorINS8_10device_ptrIyEEEESH_NS8_9null_typeESI_SI_SI_SI_SI_SI_SI_EEEENS9_21zip_adj_not_predicateINS8_8equal_toIyEEEEEEPllNS8_4plusIlEEEE10hipError_tPvRmT1_T2_T3_mT4_P12ihipStream_tbEUlT_E1_NS1_11comp_targetILNS1_3genE9ELNS1_11target_archE1100ELNS1_3gpuE3ELNS1_3repE0EEENS1_30default_config_static_selectorELNS0_4arch9wavefront6targetE1EEEvSW_.uses_vcc, 0
	.set _ZN7rocprim17ROCPRIM_400000_NS6detail17trampoline_kernelINS0_14default_configENS1_22reduce_config_selectorIlEEZNS1_11reduce_implILb1ES3_N6thrust23THRUST_200600_302600_NS11hip_rocprim26transform_input_iterator_tIlNS8_12zip_iteratorINS8_5tupleINS8_6detail15normal_iteratorINS8_10device_ptrIyEEEESH_NS8_9null_typeESI_SI_SI_SI_SI_SI_SI_EEEENS9_21zip_adj_not_predicateINS8_8equal_toIyEEEEEEPllNS8_4plusIlEEEE10hipError_tPvRmT1_T2_T3_mT4_P12ihipStream_tbEUlT_E1_NS1_11comp_targetILNS1_3genE9ELNS1_11target_archE1100ELNS1_3gpuE3ELNS1_3repE0EEENS1_30default_config_static_selectorELNS0_4arch9wavefront6targetE1EEEvSW_.uses_flat_scratch, 0
	.set _ZN7rocprim17ROCPRIM_400000_NS6detail17trampoline_kernelINS0_14default_configENS1_22reduce_config_selectorIlEEZNS1_11reduce_implILb1ES3_N6thrust23THRUST_200600_302600_NS11hip_rocprim26transform_input_iterator_tIlNS8_12zip_iteratorINS8_5tupleINS8_6detail15normal_iteratorINS8_10device_ptrIyEEEESH_NS8_9null_typeESI_SI_SI_SI_SI_SI_SI_EEEENS9_21zip_adj_not_predicateINS8_8equal_toIyEEEEEEPllNS8_4plusIlEEEE10hipError_tPvRmT1_T2_T3_mT4_P12ihipStream_tbEUlT_E1_NS1_11comp_targetILNS1_3genE9ELNS1_11target_archE1100ELNS1_3gpuE3ELNS1_3repE0EEENS1_30default_config_static_selectorELNS0_4arch9wavefront6targetE1EEEvSW_.has_dyn_sized_stack, 0
	.set _ZN7rocprim17ROCPRIM_400000_NS6detail17trampoline_kernelINS0_14default_configENS1_22reduce_config_selectorIlEEZNS1_11reduce_implILb1ES3_N6thrust23THRUST_200600_302600_NS11hip_rocprim26transform_input_iterator_tIlNS8_12zip_iteratorINS8_5tupleINS8_6detail15normal_iteratorINS8_10device_ptrIyEEEESH_NS8_9null_typeESI_SI_SI_SI_SI_SI_SI_EEEENS9_21zip_adj_not_predicateINS8_8equal_toIyEEEEEEPllNS8_4plusIlEEEE10hipError_tPvRmT1_T2_T3_mT4_P12ihipStream_tbEUlT_E1_NS1_11comp_targetILNS1_3genE9ELNS1_11target_archE1100ELNS1_3gpuE3ELNS1_3repE0EEENS1_30default_config_static_selectorELNS0_4arch9wavefront6targetE1EEEvSW_.has_recursion, 0
	.set _ZN7rocprim17ROCPRIM_400000_NS6detail17trampoline_kernelINS0_14default_configENS1_22reduce_config_selectorIlEEZNS1_11reduce_implILb1ES3_N6thrust23THRUST_200600_302600_NS11hip_rocprim26transform_input_iterator_tIlNS8_12zip_iteratorINS8_5tupleINS8_6detail15normal_iteratorINS8_10device_ptrIyEEEESH_NS8_9null_typeESI_SI_SI_SI_SI_SI_SI_EEEENS9_21zip_adj_not_predicateINS8_8equal_toIyEEEEEEPllNS8_4plusIlEEEE10hipError_tPvRmT1_T2_T3_mT4_P12ihipStream_tbEUlT_E1_NS1_11comp_targetILNS1_3genE9ELNS1_11target_archE1100ELNS1_3gpuE3ELNS1_3repE0EEENS1_30default_config_static_selectorELNS0_4arch9wavefront6targetE1EEEvSW_.has_indirect_call, 0
	.section	.AMDGPU.csdata,"",@progbits
; Kernel info:
; codeLenInByte = 0
; TotalNumSgprs: 4
; NumVgprs: 0
; ScratchSize: 0
; MemoryBound: 0
; FloatMode: 240
; IeeeMode: 1
; LDSByteSize: 0 bytes/workgroup (compile time only)
; SGPRBlocks: 0
; VGPRBlocks: 0
; NumSGPRsForWavesPerEU: 4
; NumVGPRsForWavesPerEU: 1
; Occupancy: 10
; WaveLimiterHint : 0
; COMPUTE_PGM_RSRC2:SCRATCH_EN: 0
; COMPUTE_PGM_RSRC2:USER_SGPR: 6
; COMPUTE_PGM_RSRC2:TRAP_HANDLER: 0
; COMPUTE_PGM_RSRC2:TGID_X_EN: 1
; COMPUTE_PGM_RSRC2:TGID_Y_EN: 0
; COMPUTE_PGM_RSRC2:TGID_Z_EN: 0
; COMPUTE_PGM_RSRC2:TIDIG_COMP_CNT: 0
	.section	.text._ZN7rocprim17ROCPRIM_400000_NS6detail17trampoline_kernelINS0_14default_configENS1_22reduce_config_selectorIlEEZNS1_11reduce_implILb1ES3_N6thrust23THRUST_200600_302600_NS11hip_rocprim26transform_input_iterator_tIlNS8_12zip_iteratorINS8_5tupleINS8_6detail15normal_iteratorINS8_10device_ptrIyEEEESH_NS8_9null_typeESI_SI_SI_SI_SI_SI_SI_EEEENS9_21zip_adj_not_predicateINS8_8equal_toIyEEEEEEPllNS8_4plusIlEEEE10hipError_tPvRmT1_T2_T3_mT4_P12ihipStream_tbEUlT_E1_NS1_11comp_targetILNS1_3genE8ELNS1_11target_archE1030ELNS1_3gpuE2ELNS1_3repE0EEENS1_30default_config_static_selectorELNS0_4arch9wavefront6targetE1EEEvSW_,"axG",@progbits,_ZN7rocprim17ROCPRIM_400000_NS6detail17trampoline_kernelINS0_14default_configENS1_22reduce_config_selectorIlEEZNS1_11reduce_implILb1ES3_N6thrust23THRUST_200600_302600_NS11hip_rocprim26transform_input_iterator_tIlNS8_12zip_iteratorINS8_5tupleINS8_6detail15normal_iteratorINS8_10device_ptrIyEEEESH_NS8_9null_typeESI_SI_SI_SI_SI_SI_SI_EEEENS9_21zip_adj_not_predicateINS8_8equal_toIyEEEEEEPllNS8_4plusIlEEEE10hipError_tPvRmT1_T2_T3_mT4_P12ihipStream_tbEUlT_E1_NS1_11comp_targetILNS1_3genE8ELNS1_11target_archE1030ELNS1_3gpuE2ELNS1_3repE0EEENS1_30default_config_static_selectorELNS0_4arch9wavefront6targetE1EEEvSW_,comdat
	.protected	_ZN7rocprim17ROCPRIM_400000_NS6detail17trampoline_kernelINS0_14default_configENS1_22reduce_config_selectorIlEEZNS1_11reduce_implILb1ES3_N6thrust23THRUST_200600_302600_NS11hip_rocprim26transform_input_iterator_tIlNS8_12zip_iteratorINS8_5tupleINS8_6detail15normal_iteratorINS8_10device_ptrIyEEEESH_NS8_9null_typeESI_SI_SI_SI_SI_SI_SI_EEEENS9_21zip_adj_not_predicateINS8_8equal_toIyEEEEEEPllNS8_4plusIlEEEE10hipError_tPvRmT1_T2_T3_mT4_P12ihipStream_tbEUlT_E1_NS1_11comp_targetILNS1_3genE8ELNS1_11target_archE1030ELNS1_3gpuE2ELNS1_3repE0EEENS1_30default_config_static_selectorELNS0_4arch9wavefront6targetE1EEEvSW_ ; -- Begin function _ZN7rocprim17ROCPRIM_400000_NS6detail17trampoline_kernelINS0_14default_configENS1_22reduce_config_selectorIlEEZNS1_11reduce_implILb1ES3_N6thrust23THRUST_200600_302600_NS11hip_rocprim26transform_input_iterator_tIlNS8_12zip_iteratorINS8_5tupleINS8_6detail15normal_iteratorINS8_10device_ptrIyEEEESH_NS8_9null_typeESI_SI_SI_SI_SI_SI_SI_EEEENS9_21zip_adj_not_predicateINS8_8equal_toIyEEEEEEPllNS8_4plusIlEEEE10hipError_tPvRmT1_T2_T3_mT4_P12ihipStream_tbEUlT_E1_NS1_11comp_targetILNS1_3genE8ELNS1_11target_archE1030ELNS1_3gpuE2ELNS1_3repE0EEENS1_30default_config_static_selectorELNS0_4arch9wavefront6targetE1EEEvSW_
	.globl	_ZN7rocprim17ROCPRIM_400000_NS6detail17trampoline_kernelINS0_14default_configENS1_22reduce_config_selectorIlEEZNS1_11reduce_implILb1ES3_N6thrust23THRUST_200600_302600_NS11hip_rocprim26transform_input_iterator_tIlNS8_12zip_iteratorINS8_5tupleINS8_6detail15normal_iteratorINS8_10device_ptrIyEEEESH_NS8_9null_typeESI_SI_SI_SI_SI_SI_SI_EEEENS9_21zip_adj_not_predicateINS8_8equal_toIyEEEEEEPllNS8_4plusIlEEEE10hipError_tPvRmT1_T2_T3_mT4_P12ihipStream_tbEUlT_E1_NS1_11comp_targetILNS1_3genE8ELNS1_11target_archE1030ELNS1_3gpuE2ELNS1_3repE0EEENS1_30default_config_static_selectorELNS0_4arch9wavefront6targetE1EEEvSW_
	.p2align	8
	.type	_ZN7rocprim17ROCPRIM_400000_NS6detail17trampoline_kernelINS0_14default_configENS1_22reduce_config_selectorIlEEZNS1_11reduce_implILb1ES3_N6thrust23THRUST_200600_302600_NS11hip_rocprim26transform_input_iterator_tIlNS8_12zip_iteratorINS8_5tupleINS8_6detail15normal_iteratorINS8_10device_ptrIyEEEESH_NS8_9null_typeESI_SI_SI_SI_SI_SI_SI_EEEENS9_21zip_adj_not_predicateINS8_8equal_toIyEEEEEEPllNS8_4plusIlEEEE10hipError_tPvRmT1_T2_T3_mT4_P12ihipStream_tbEUlT_E1_NS1_11comp_targetILNS1_3genE8ELNS1_11target_archE1030ELNS1_3gpuE2ELNS1_3repE0EEENS1_30default_config_static_selectorELNS0_4arch9wavefront6targetE1EEEvSW_,@function
_ZN7rocprim17ROCPRIM_400000_NS6detail17trampoline_kernelINS0_14default_configENS1_22reduce_config_selectorIlEEZNS1_11reduce_implILb1ES3_N6thrust23THRUST_200600_302600_NS11hip_rocprim26transform_input_iterator_tIlNS8_12zip_iteratorINS8_5tupleINS8_6detail15normal_iteratorINS8_10device_ptrIyEEEESH_NS8_9null_typeESI_SI_SI_SI_SI_SI_SI_EEEENS9_21zip_adj_not_predicateINS8_8equal_toIyEEEEEEPllNS8_4plusIlEEEE10hipError_tPvRmT1_T2_T3_mT4_P12ihipStream_tbEUlT_E1_NS1_11comp_targetILNS1_3genE8ELNS1_11target_archE1030ELNS1_3gpuE2ELNS1_3repE0EEENS1_30default_config_static_selectorELNS0_4arch9wavefront6targetE1EEEvSW_: ; @_ZN7rocprim17ROCPRIM_400000_NS6detail17trampoline_kernelINS0_14default_configENS1_22reduce_config_selectorIlEEZNS1_11reduce_implILb1ES3_N6thrust23THRUST_200600_302600_NS11hip_rocprim26transform_input_iterator_tIlNS8_12zip_iteratorINS8_5tupleINS8_6detail15normal_iteratorINS8_10device_ptrIyEEEESH_NS8_9null_typeESI_SI_SI_SI_SI_SI_SI_EEEENS9_21zip_adj_not_predicateINS8_8equal_toIyEEEEEEPllNS8_4plusIlEEEE10hipError_tPvRmT1_T2_T3_mT4_P12ihipStream_tbEUlT_E1_NS1_11comp_targetILNS1_3genE8ELNS1_11target_archE1030ELNS1_3gpuE2ELNS1_3repE0EEENS1_30default_config_static_selectorELNS0_4arch9wavefront6targetE1EEEvSW_
; %bb.0:
	.section	.rodata,"a",@progbits
	.p2align	6, 0x0
	.amdhsa_kernel _ZN7rocprim17ROCPRIM_400000_NS6detail17trampoline_kernelINS0_14default_configENS1_22reduce_config_selectorIlEEZNS1_11reduce_implILb1ES3_N6thrust23THRUST_200600_302600_NS11hip_rocprim26transform_input_iterator_tIlNS8_12zip_iteratorINS8_5tupleINS8_6detail15normal_iteratorINS8_10device_ptrIyEEEESH_NS8_9null_typeESI_SI_SI_SI_SI_SI_SI_EEEENS9_21zip_adj_not_predicateINS8_8equal_toIyEEEEEEPllNS8_4plusIlEEEE10hipError_tPvRmT1_T2_T3_mT4_P12ihipStream_tbEUlT_E1_NS1_11comp_targetILNS1_3genE8ELNS1_11target_archE1030ELNS1_3gpuE2ELNS1_3repE0EEENS1_30default_config_static_selectorELNS0_4arch9wavefront6targetE1EEEvSW_
		.amdhsa_group_segment_fixed_size 0
		.amdhsa_private_segment_fixed_size 0
		.amdhsa_kernarg_size 64
		.amdhsa_user_sgpr_count 6
		.amdhsa_user_sgpr_private_segment_buffer 1
		.amdhsa_user_sgpr_dispatch_ptr 0
		.amdhsa_user_sgpr_queue_ptr 0
		.amdhsa_user_sgpr_kernarg_segment_ptr 1
		.amdhsa_user_sgpr_dispatch_id 0
		.amdhsa_user_sgpr_flat_scratch_init 0
		.amdhsa_user_sgpr_private_segment_size 0
		.amdhsa_uses_dynamic_stack 0
		.amdhsa_system_sgpr_private_segment_wavefront_offset 0
		.amdhsa_system_sgpr_workgroup_id_x 1
		.amdhsa_system_sgpr_workgroup_id_y 0
		.amdhsa_system_sgpr_workgroup_id_z 0
		.amdhsa_system_sgpr_workgroup_info 0
		.amdhsa_system_vgpr_workitem_id 0
		.amdhsa_next_free_vgpr 1
		.amdhsa_next_free_sgpr 0
		.amdhsa_reserve_vcc 0
		.amdhsa_reserve_flat_scratch 0
		.amdhsa_float_round_mode_32 0
		.amdhsa_float_round_mode_16_64 0
		.amdhsa_float_denorm_mode_32 3
		.amdhsa_float_denorm_mode_16_64 3
		.amdhsa_dx10_clamp 1
		.amdhsa_ieee_mode 1
		.amdhsa_fp16_overflow 0
		.amdhsa_exception_fp_ieee_invalid_op 0
		.amdhsa_exception_fp_denorm_src 0
		.amdhsa_exception_fp_ieee_div_zero 0
		.amdhsa_exception_fp_ieee_overflow 0
		.amdhsa_exception_fp_ieee_underflow 0
		.amdhsa_exception_fp_ieee_inexact 0
		.amdhsa_exception_int_div_zero 0
	.end_amdhsa_kernel
	.section	.text._ZN7rocprim17ROCPRIM_400000_NS6detail17trampoline_kernelINS0_14default_configENS1_22reduce_config_selectorIlEEZNS1_11reduce_implILb1ES3_N6thrust23THRUST_200600_302600_NS11hip_rocprim26transform_input_iterator_tIlNS8_12zip_iteratorINS8_5tupleINS8_6detail15normal_iteratorINS8_10device_ptrIyEEEESH_NS8_9null_typeESI_SI_SI_SI_SI_SI_SI_EEEENS9_21zip_adj_not_predicateINS8_8equal_toIyEEEEEEPllNS8_4plusIlEEEE10hipError_tPvRmT1_T2_T3_mT4_P12ihipStream_tbEUlT_E1_NS1_11comp_targetILNS1_3genE8ELNS1_11target_archE1030ELNS1_3gpuE2ELNS1_3repE0EEENS1_30default_config_static_selectorELNS0_4arch9wavefront6targetE1EEEvSW_,"axG",@progbits,_ZN7rocprim17ROCPRIM_400000_NS6detail17trampoline_kernelINS0_14default_configENS1_22reduce_config_selectorIlEEZNS1_11reduce_implILb1ES3_N6thrust23THRUST_200600_302600_NS11hip_rocprim26transform_input_iterator_tIlNS8_12zip_iteratorINS8_5tupleINS8_6detail15normal_iteratorINS8_10device_ptrIyEEEESH_NS8_9null_typeESI_SI_SI_SI_SI_SI_SI_EEEENS9_21zip_adj_not_predicateINS8_8equal_toIyEEEEEEPllNS8_4plusIlEEEE10hipError_tPvRmT1_T2_T3_mT4_P12ihipStream_tbEUlT_E1_NS1_11comp_targetILNS1_3genE8ELNS1_11target_archE1030ELNS1_3gpuE2ELNS1_3repE0EEENS1_30default_config_static_selectorELNS0_4arch9wavefront6targetE1EEEvSW_,comdat
.Lfunc_end832:
	.size	_ZN7rocprim17ROCPRIM_400000_NS6detail17trampoline_kernelINS0_14default_configENS1_22reduce_config_selectorIlEEZNS1_11reduce_implILb1ES3_N6thrust23THRUST_200600_302600_NS11hip_rocprim26transform_input_iterator_tIlNS8_12zip_iteratorINS8_5tupleINS8_6detail15normal_iteratorINS8_10device_ptrIyEEEESH_NS8_9null_typeESI_SI_SI_SI_SI_SI_SI_EEEENS9_21zip_adj_not_predicateINS8_8equal_toIyEEEEEEPllNS8_4plusIlEEEE10hipError_tPvRmT1_T2_T3_mT4_P12ihipStream_tbEUlT_E1_NS1_11comp_targetILNS1_3genE8ELNS1_11target_archE1030ELNS1_3gpuE2ELNS1_3repE0EEENS1_30default_config_static_selectorELNS0_4arch9wavefront6targetE1EEEvSW_, .Lfunc_end832-_ZN7rocprim17ROCPRIM_400000_NS6detail17trampoline_kernelINS0_14default_configENS1_22reduce_config_selectorIlEEZNS1_11reduce_implILb1ES3_N6thrust23THRUST_200600_302600_NS11hip_rocprim26transform_input_iterator_tIlNS8_12zip_iteratorINS8_5tupleINS8_6detail15normal_iteratorINS8_10device_ptrIyEEEESH_NS8_9null_typeESI_SI_SI_SI_SI_SI_SI_EEEENS9_21zip_adj_not_predicateINS8_8equal_toIyEEEEEEPllNS8_4plusIlEEEE10hipError_tPvRmT1_T2_T3_mT4_P12ihipStream_tbEUlT_E1_NS1_11comp_targetILNS1_3genE8ELNS1_11target_archE1030ELNS1_3gpuE2ELNS1_3repE0EEENS1_30default_config_static_selectorELNS0_4arch9wavefront6targetE1EEEvSW_
                                        ; -- End function
	.set _ZN7rocprim17ROCPRIM_400000_NS6detail17trampoline_kernelINS0_14default_configENS1_22reduce_config_selectorIlEEZNS1_11reduce_implILb1ES3_N6thrust23THRUST_200600_302600_NS11hip_rocprim26transform_input_iterator_tIlNS8_12zip_iteratorINS8_5tupleINS8_6detail15normal_iteratorINS8_10device_ptrIyEEEESH_NS8_9null_typeESI_SI_SI_SI_SI_SI_SI_EEEENS9_21zip_adj_not_predicateINS8_8equal_toIyEEEEEEPllNS8_4plusIlEEEE10hipError_tPvRmT1_T2_T3_mT4_P12ihipStream_tbEUlT_E1_NS1_11comp_targetILNS1_3genE8ELNS1_11target_archE1030ELNS1_3gpuE2ELNS1_3repE0EEENS1_30default_config_static_selectorELNS0_4arch9wavefront6targetE1EEEvSW_.num_vgpr, 0
	.set _ZN7rocprim17ROCPRIM_400000_NS6detail17trampoline_kernelINS0_14default_configENS1_22reduce_config_selectorIlEEZNS1_11reduce_implILb1ES3_N6thrust23THRUST_200600_302600_NS11hip_rocprim26transform_input_iterator_tIlNS8_12zip_iteratorINS8_5tupleINS8_6detail15normal_iteratorINS8_10device_ptrIyEEEESH_NS8_9null_typeESI_SI_SI_SI_SI_SI_SI_EEEENS9_21zip_adj_not_predicateINS8_8equal_toIyEEEEEEPllNS8_4plusIlEEEE10hipError_tPvRmT1_T2_T3_mT4_P12ihipStream_tbEUlT_E1_NS1_11comp_targetILNS1_3genE8ELNS1_11target_archE1030ELNS1_3gpuE2ELNS1_3repE0EEENS1_30default_config_static_selectorELNS0_4arch9wavefront6targetE1EEEvSW_.num_agpr, 0
	.set _ZN7rocprim17ROCPRIM_400000_NS6detail17trampoline_kernelINS0_14default_configENS1_22reduce_config_selectorIlEEZNS1_11reduce_implILb1ES3_N6thrust23THRUST_200600_302600_NS11hip_rocprim26transform_input_iterator_tIlNS8_12zip_iteratorINS8_5tupleINS8_6detail15normal_iteratorINS8_10device_ptrIyEEEESH_NS8_9null_typeESI_SI_SI_SI_SI_SI_SI_EEEENS9_21zip_adj_not_predicateINS8_8equal_toIyEEEEEEPllNS8_4plusIlEEEE10hipError_tPvRmT1_T2_T3_mT4_P12ihipStream_tbEUlT_E1_NS1_11comp_targetILNS1_3genE8ELNS1_11target_archE1030ELNS1_3gpuE2ELNS1_3repE0EEENS1_30default_config_static_selectorELNS0_4arch9wavefront6targetE1EEEvSW_.numbered_sgpr, 0
	.set _ZN7rocprim17ROCPRIM_400000_NS6detail17trampoline_kernelINS0_14default_configENS1_22reduce_config_selectorIlEEZNS1_11reduce_implILb1ES3_N6thrust23THRUST_200600_302600_NS11hip_rocprim26transform_input_iterator_tIlNS8_12zip_iteratorINS8_5tupleINS8_6detail15normal_iteratorINS8_10device_ptrIyEEEESH_NS8_9null_typeESI_SI_SI_SI_SI_SI_SI_EEEENS9_21zip_adj_not_predicateINS8_8equal_toIyEEEEEEPllNS8_4plusIlEEEE10hipError_tPvRmT1_T2_T3_mT4_P12ihipStream_tbEUlT_E1_NS1_11comp_targetILNS1_3genE8ELNS1_11target_archE1030ELNS1_3gpuE2ELNS1_3repE0EEENS1_30default_config_static_selectorELNS0_4arch9wavefront6targetE1EEEvSW_.num_named_barrier, 0
	.set _ZN7rocprim17ROCPRIM_400000_NS6detail17trampoline_kernelINS0_14default_configENS1_22reduce_config_selectorIlEEZNS1_11reduce_implILb1ES3_N6thrust23THRUST_200600_302600_NS11hip_rocprim26transform_input_iterator_tIlNS8_12zip_iteratorINS8_5tupleINS8_6detail15normal_iteratorINS8_10device_ptrIyEEEESH_NS8_9null_typeESI_SI_SI_SI_SI_SI_SI_EEEENS9_21zip_adj_not_predicateINS8_8equal_toIyEEEEEEPllNS8_4plusIlEEEE10hipError_tPvRmT1_T2_T3_mT4_P12ihipStream_tbEUlT_E1_NS1_11comp_targetILNS1_3genE8ELNS1_11target_archE1030ELNS1_3gpuE2ELNS1_3repE0EEENS1_30default_config_static_selectorELNS0_4arch9wavefront6targetE1EEEvSW_.private_seg_size, 0
	.set _ZN7rocprim17ROCPRIM_400000_NS6detail17trampoline_kernelINS0_14default_configENS1_22reduce_config_selectorIlEEZNS1_11reduce_implILb1ES3_N6thrust23THRUST_200600_302600_NS11hip_rocprim26transform_input_iterator_tIlNS8_12zip_iteratorINS8_5tupleINS8_6detail15normal_iteratorINS8_10device_ptrIyEEEESH_NS8_9null_typeESI_SI_SI_SI_SI_SI_SI_EEEENS9_21zip_adj_not_predicateINS8_8equal_toIyEEEEEEPllNS8_4plusIlEEEE10hipError_tPvRmT1_T2_T3_mT4_P12ihipStream_tbEUlT_E1_NS1_11comp_targetILNS1_3genE8ELNS1_11target_archE1030ELNS1_3gpuE2ELNS1_3repE0EEENS1_30default_config_static_selectorELNS0_4arch9wavefront6targetE1EEEvSW_.uses_vcc, 0
	.set _ZN7rocprim17ROCPRIM_400000_NS6detail17trampoline_kernelINS0_14default_configENS1_22reduce_config_selectorIlEEZNS1_11reduce_implILb1ES3_N6thrust23THRUST_200600_302600_NS11hip_rocprim26transform_input_iterator_tIlNS8_12zip_iteratorINS8_5tupleINS8_6detail15normal_iteratorINS8_10device_ptrIyEEEESH_NS8_9null_typeESI_SI_SI_SI_SI_SI_SI_EEEENS9_21zip_adj_not_predicateINS8_8equal_toIyEEEEEEPllNS8_4plusIlEEEE10hipError_tPvRmT1_T2_T3_mT4_P12ihipStream_tbEUlT_E1_NS1_11comp_targetILNS1_3genE8ELNS1_11target_archE1030ELNS1_3gpuE2ELNS1_3repE0EEENS1_30default_config_static_selectorELNS0_4arch9wavefront6targetE1EEEvSW_.uses_flat_scratch, 0
	.set _ZN7rocprim17ROCPRIM_400000_NS6detail17trampoline_kernelINS0_14default_configENS1_22reduce_config_selectorIlEEZNS1_11reduce_implILb1ES3_N6thrust23THRUST_200600_302600_NS11hip_rocprim26transform_input_iterator_tIlNS8_12zip_iteratorINS8_5tupleINS8_6detail15normal_iteratorINS8_10device_ptrIyEEEESH_NS8_9null_typeESI_SI_SI_SI_SI_SI_SI_EEEENS9_21zip_adj_not_predicateINS8_8equal_toIyEEEEEEPllNS8_4plusIlEEEE10hipError_tPvRmT1_T2_T3_mT4_P12ihipStream_tbEUlT_E1_NS1_11comp_targetILNS1_3genE8ELNS1_11target_archE1030ELNS1_3gpuE2ELNS1_3repE0EEENS1_30default_config_static_selectorELNS0_4arch9wavefront6targetE1EEEvSW_.has_dyn_sized_stack, 0
	.set _ZN7rocprim17ROCPRIM_400000_NS6detail17trampoline_kernelINS0_14default_configENS1_22reduce_config_selectorIlEEZNS1_11reduce_implILb1ES3_N6thrust23THRUST_200600_302600_NS11hip_rocprim26transform_input_iterator_tIlNS8_12zip_iteratorINS8_5tupleINS8_6detail15normal_iteratorINS8_10device_ptrIyEEEESH_NS8_9null_typeESI_SI_SI_SI_SI_SI_SI_EEEENS9_21zip_adj_not_predicateINS8_8equal_toIyEEEEEEPllNS8_4plusIlEEEE10hipError_tPvRmT1_T2_T3_mT4_P12ihipStream_tbEUlT_E1_NS1_11comp_targetILNS1_3genE8ELNS1_11target_archE1030ELNS1_3gpuE2ELNS1_3repE0EEENS1_30default_config_static_selectorELNS0_4arch9wavefront6targetE1EEEvSW_.has_recursion, 0
	.set _ZN7rocprim17ROCPRIM_400000_NS6detail17trampoline_kernelINS0_14default_configENS1_22reduce_config_selectorIlEEZNS1_11reduce_implILb1ES3_N6thrust23THRUST_200600_302600_NS11hip_rocprim26transform_input_iterator_tIlNS8_12zip_iteratorINS8_5tupleINS8_6detail15normal_iteratorINS8_10device_ptrIyEEEESH_NS8_9null_typeESI_SI_SI_SI_SI_SI_SI_EEEENS9_21zip_adj_not_predicateINS8_8equal_toIyEEEEEEPllNS8_4plusIlEEEE10hipError_tPvRmT1_T2_T3_mT4_P12ihipStream_tbEUlT_E1_NS1_11comp_targetILNS1_3genE8ELNS1_11target_archE1030ELNS1_3gpuE2ELNS1_3repE0EEENS1_30default_config_static_selectorELNS0_4arch9wavefront6targetE1EEEvSW_.has_indirect_call, 0
	.section	.AMDGPU.csdata,"",@progbits
; Kernel info:
; codeLenInByte = 0
; TotalNumSgprs: 4
; NumVgprs: 0
; ScratchSize: 0
; MemoryBound: 0
; FloatMode: 240
; IeeeMode: 1
; LDSByteSize: 0 bytes/workgroup (compile time only)
; SGPRBlocks: 0
; VGPRBlocks: 0
; NumSGPRsForWavesPerEU: 4
; NumVGPRsForWavesPerEU: 1
; Occupancy: 10
; WaveLimiterHint : 0
; COMPUTE_PGM_RSRC2:SCRATCH_EN: 0
; COMPUTE_PGM_RSRC2:USER_SGPR: 6
; COMPUTE_PGM_RSRC2:TRAP_HANDLER: 0
; COMPUTE_PGM_RSRC2:TGID_X_EN: 1
; COMPUTE_PGM_RSRC2:TGID_Y_EN: 0
; COMPUTE_PGM_RSRC2:TGID_Z_EN: 0
; COMPUTE_PGM_RSRC2:TIDIG_COMP_CNT: 0
	.section	.text._ZN7rocprim17ROCPRIM_400000_NS6detail17trampoline_kernelINS0_14default_configENS1_22reduce_config_selectorIlEEZNS1_11reduce_implILb1ES3_N6thrust23THRUST_200600_302600_NS11hip_rocprim26transform_input_iterator_tIlNS8_12zip_iteratorINS8_5tupleINS8_6detail15normal_iteratorINS8_10device_ptrIyEEEESH_NS8_9null_typeESI_SI_SI_SI_SI_SI_SI_EEEENS9_21zip_adj_not_predicateI22is_equal_div_10_uniqueIyEEEEEPllNS8_4plusIlEEEE10hipError_tPvRmT1_T2_T3_mT4_P12ihipStream_tbEUlT_E0_NS1_11comp_targetILNS1_3genE0ELNS1_11target_archE4294967295ELNS1_3gpuE0ELNS1_3repE0EEENS1_30default_config_static_selectorELNS0_4arch9wavefront6targetE1EEEvSW_,"axG",@progbits,_ZN7rocprim17ROCPRIM_400000_NS6detail17trampoline_kernelINS0_14default_configENS1_22reduce_config_selectorIlEEZNS1_11reduce_implILb1ES3_N6thrust23THRUST_200600_302600_NS11hip_rocprim26transform_input_iterator_tIlNS8_12zip_iteratorINS8_5tupleINS8_6detail15normal_iteratorINS8_10device_ptrIyEEEESH_NS8_9null_typeESI_SI_SI_SI_SI_SI_SI_EEEENS9_21zip_adj_not_predicateI22is_equal_div_10_uniqueIyEEEEEPllNS8_4plusIlEEEE10hipError_tPvRmT1_T2_T3_mT4_P12ihipStream_tbEUlT_E0_NS1_11comp_targetILNS1_3genE0ELNS1_11target_archE4294967295ELNS1_3gpuE0ELNS1_3repE0EEENS1_30default_config_static_selectorELNS0_4arch9wavefront6targetE1EEEvSW_,comdat
	.protected	_ZN7rocprim17ROCPRIM_400000_NS6detail17trampoline_kernelINS0_14default_configENS1_22reduce_config_selectorIlEEZNS1_11reduce_implILb1ES3_N6thrust23THRUST_200600_302600_NS11hip_rocprim26transform_input_iterator_tIlNS8_12zip_iteratorINS8_5tupleINS8_6detail15normal_iteratorINS8_10device_ptrIyEEEESH_NS8_9null_typeESI_SI_SI_SI_SI_SI_SI_EEEENS9_21zip_adj_not_predicateI22is_equal_div_10_uniqueIyEEEEEPllNS8_4plusIlEEEE10hipError_tPvRmT1_T2_T3_mT4_P12ihipStream_tbEUlT_E0_NS1_11comp_targetILNS1_3genE0ELNS1_11target_archE4294967295ELNS1_3gpuE0ELNS1_3repE0EEENS1_30default_config_static_selectorELNS0_4arch9wavefront6targetE1EEEvSW_ ; -- Begin function _ZN7rocprim17ROCPRIM_400000_NS6detail17trampoline_kernelINS0_14default_configENS1_22reduce_config_selectorIlEEZNS1_11reduce_implILb1ES3_N6thrust23THRUST_200600_302600_NS11hip_rocprim26transform_input_iterator_tIlNS8_12zip_iteratorINS8_5tupleINS8_6detail15normal_iteratorINS8_10device_ptrIyEEEESH_NS8_9null_typeESI_SI_SI_SI_SI_SI_SI_EEEENS9_21zip_adj_not_predicateI22is_equal_div_10_uniqueIyEEEEEPllNS8_4plusIlEEEE10hipError_tPvRmT1_T2_T3_mT4_P12ihipStream_tbEUlT_E0_NS1_11comp_targetILNS1_3genE0ELNS1_11target_archE4294967295ELNS1_3gpuE0ELNS1_3repE0EEENS1_30default_config_static_selectorELNS0_4arch9wavefront6targetE1EEEvSW_
	.globl	_ZN7rocprim17ROCPRIM_400000_NS6detail17trampoline_kernelINS0_14default_configENS1_22reduce_config_selectorIlEEZNS1_11reduce_implILb1ES3_N6thrust23THRUST_200600_302600_NS11hip_rocprim26transform_input_iterator_tIlNS8_12zip_iteratorINS8_5tupleINS8_6detail15normal_iteratorINS8_10device_ptrIyEEEESH_NS8_9null_typeESI_SI_SI_SI_SI_SI_SI_EEEENS9_21zip_adj_not_predicateI22is_equal_div_10_uniqueIyEEEEEPllNS8_4plusIlEEEE10hipError_tPvRmT1_T2_T3_mT4_P12ihipStream_tbEUlT_E0_NS1_11comp_targetILNS1_3genE0ELNS1_11target_archE4294967295ELNS1_3gpuE0ELNS1_3repE0EEENS1_30default_config_static_selectorELNS0_4arch9wavefront6targetE1EEEvSW_
	.p2align	8
	.type	_ZN7rocprim17ROCPRIM_400000_NS6detail17trampoline_kernelINS0_14default_configENS1_22reduce_config_selectorIlEEZNS1_11reduce_implILb1ES3_N6thrust23THRUST_200600_302600_NS11hip_rocprim26transform_input_iterator_tIlNS8_12zip_iteratorINS8_5tupleINS8_6detail15normal_iteratorINS8_10device_ptrIyEEEESH_NS8_9null_typeESI_SI_SI_SI_SI_SI_SI_EEEENS9_21zip_adj_not_predicateI22is_equal_div_10_uniqueIyEEEEEPllNS8_4plusIlEEEE10hipError_tPvRmT1_T2_T3_mT4_P12ihipStream_tbEUlT_E0_NS1_11comp_targetILNS1_3genE0ELNS1_11target_archE4294967295ELNS1_3gpuE0ELNS1_3repE0EEENS1_30default_config_static_selectorELNS0_4arch9wavefront6targetE1EEEvSW_,@function
_ZN7rocprim17ROCPRIM_400000_NS6detail17trampoline_kernelINS0_14default_configENS1_22reduce_config_selectorIlEEZNS1_11reduce_implILb1ES3_N6thrust23THRUST_200600_302600_NS11hip_rocprim26transform_input_iterator_tIlNS8_12zip_iteratorINS8_5tupleINS8_6detail15normal_iteratorINS8_10device_ptrIyEEEESH_NS8_9null_typeESI_SI_SI_SI_SI_SI_SI_EEEENS9_21zip_adj_not_predicateI22is_equal_div_10_uniqueIyEEEEEPllNS8_4plusIlEEEE10hipError_tPvRmT1_T2_T3_mT4_P12ihipStream_tbEUlT_E0_NS1_11comp_targetILNS1_3genE0ELNS1_11target_archE4294967295ELNS1_3gpuE0ELNS1_3repE0EEENS1_30default_config_static_selectorELNS0_4arch9wavefront6targetE1EEEvSW_: ; @_ZN7rocprim17ROCPRIM_400000_NS6detail17trampoline_kernelINS0_14default_configENS1_22reduce_config_selectorIlEEZNS1_11reduce_implILb1ES3_N6thrust23THRUST_200600_302600_NS11hip_rocprim26transform_input_iterator_tIlNS8_12zip_iteratorINS8_5tupleINS8_6detail15normal_iteratorINS8_10device_ptrIyEEEESH_NS8_9null_typeESI_SI_SI_SI_SI_SI_SI_EEEENS9_21zip_adj_not_predicateI22is_equal_div_10_uniqueIyEEEEEPllNS8_4plusIlEEEE10hipError_tPvRmT1_T2_T3_mT4_P12ihipStream_tbEUlT_E0_NS1_11comp_targetILNS1_3genE0ELNS1_11target_archE4294967295ELNS1_3gpuE0ELNS1_3repE0EEENS1_30default_config_static_selectorELNS0_4arch9wavefront6targetE1EEEvSW_
; %bb.0:
	.section	.rodata,"a",@progbits
	.p2align	6, 0x0
	.amdhsa_kernel _ZN7rocprim17ROCPRIM_400000_NS6detail17trampoline_kernelINS0_14default_configENS1_22reduce_config_selectorIlEEZNS1_11reduce_implILb1ES3_N6thrust23THRUST_200600_302600_NS11hip_rocprim26transform_input_iterator_tIlNS8_12zip_iteratorINS8_5tupleINS8_6detail15normal_iteratorINS8_10device_ptrIyEEEESH_NS8_9null_typeESI_SI_SI_SI_SI_SI_SI_EEEENS9_21zip_adj_not_predicateI22is_equal_div_10_uniqueIyEEEEEPllNS8_4plusIlEEEE10hipError_tPvRmT1_T2_T3_mT4_P12ihipStream_tbEUlT_E0_NS1_11comp_targetILNS1_3genE0ELNS1_11target_archE4294967295ELNS1_3gpuE0ELNS1_3repE0EEENS1_30default_config_static_selectorELNS0_4arch9wavefront6targetE1EEEvSW_
		.amdhsa_group_segment_fixed_size 0
		.amdhsa_private_segment_fixed_size 0
		.amdhsa_kernarg_size 80
		.amdhsa_user_sgpr_count 6
		.amdhsa_user_sgpr_private_segment_buffer 1
		.amdhsa_user_sgpr_dispatch_ptr 0
		.amdhsa_user_sgpr_queue_ptr 0
		.amdhsa_user_sgpr_kernarg_segment_ptr 1
		.amdhsa_user_sgpr_dispatch_id 0
		.amdhsa_user_sgpr_flat_scratch_init 0
		.amdhsa_user_sgpr_private_segment_size 0
		.amdhsa_uses_dynamic_stack 0
		.amdhsa_system_sgpr_private_segment_wavefront_offset 0
		.amdhsa_system_sgpr_workgroup_id_x 1
		.amdhsa_system_sgpr_workgroup_id_y 0
		.amdhsa_system_sgpr_workgroup_id_z 0
		.amdhsa_system_sgpr_workgroup_info 0
		.amdhsa_system_vgpr_workitem_id 0
		.amdhsa_next_free_vgpr 1
		.amdhsa_next_free_sgpr 0
		.amdhsa_reserve_vcc 0
		.amdhsa_reserve_flat_scratch 0
		.amdhsa_float_round_mode_32 0
		.amdhsa_float_round_mode_16_64 0
		.amdhsa_float_denorm_mode_32 3
		.amdhsa_float_denorm_mode_16_64 3
		.amdhsa_dx10_clamp 1
		.amdhsa_ieee_mode 1
		.amdhsa_fp16_overflow 0
		.amdhsa_exception_fp_ieee_invalid_op 0
		.amdhsa_exception_fp_denorm_src 0
		.amdhsa_exception_fp_ieee_div_zero 0
		.amdhsa_exception_fp_ieee_overflow 0
		.amdhsa_exception_fp_ieee_underflow 0
		.amdhsa_exception_fp_ieee_inexact 0
		.amdhsa_exception_int_div_zero 0
	.end_amdhsa_kernel
	.section	.text._ZN7rocprim17ROCPRIM_400000_NS6detail17trampoline_kernelINS0_14default_configENS1_22reduce_config_selectorIlEEZNS1_11reduce_implILb1ES3_N6thrust23THRUST_200600_302600_NS11hip_rocprim26transform_input_iterator_tIlNS8_12zip_iteratorINS8_5tupleINS8_6detail15normal_iteratorINS8_10device_ptrIyEEEESH_NS8_9null_typeESI_SI_SI_SI_SI_SI_SI_EEEENS9_21zip_adj_not_predicateI22is_equal_div_10_uniqueIyEEEEEPllNS8_4plusIlEEEE10hipError_tPvRmT1_T2_T3_mT4_P12ihipStream_tbEUlT_E0_NS1_11comp_targetILNS1_3genE0ELNS1_11target_archE4294967295ELNS1_3gpuE0ELNS1_3repE0EEENS1_30default_config_static_selectorELNS0_4arch9wavefront6targetE1EEEvSW_,"axG",@progbits,_ZN7rocprim17ROCPRIM_400000_NS6detail17trampoline_kernelINS0_14default_configENS1_22reduce_config_selectorIlEEZNS1_11reduce_implILb1ES3_N6thrust23THRUST_200600_302600_NS11hip_rocprim26transform_input_iterator_tIlNS8_12zip_iteratorINS8_5tupleINS8_6detail15normal_iteratorINS8_10device_ptrIyEEEESH_NS8_9null_typeESI_SI_SI_SI_SI_SI_SI_EEEENS9_21zip_adj_not_predicateI22is_equal_div_10_uniqueIyEEEEEPllNS8_4plusIlEEEE10hipError_tPvRmT1_T2_T3_mT4_P12ihipStream_tbEUlT_E0_NS1_11comp_targetILNS1_3genE0ELNS1_11target_archE4294967295ELNS1_3gpuE0ELNS1_3repE0EEENS1_30default_config_static_selectorELNS0_4arch9wavefront6targetE1EEEvSW_,comdat
.Lfunc_end833:
	.size	_ZN7rocprim17ROCPRIM_400000_NS6detail17trampoline_kernelINS0_14default_configENS1_22reduce_config_selectorIlEEZNS1_11reduce_implILb1ES3_N6thrust23THRUST_200600_302600_NS11hip_rocprim26transform_input_iterator_tIlNS8_12zip_iteratorINS8_5tupleINS8_6detail15normal_iteratorINS8_10device_ptrIyEEEESH_NS8_9null_typeESI_SI_SI_SI_SI_SI_SI_EEEENS9_21zip_adj_not_predicateI22is_equal_div_10_uniqueIyEEEEEPllNS8_4plusIlEEEE10hipError_tPvRmT1_T2_T3_mT4_P12ihipStream_tbEUlT_E0_NS1_11comp_targetILNS1_3genE0ELNS1_11target_archE4294967295ELNS1_3gpuE0ELNS1_3repE0EEENS1_30default_config_static_selectorELNS0_4arch9wavefront6targetE1EEEvSW_, .Lfunc_end833-_ZN7rocprim17ROCPRIM_400000_NS6detail17trampoline_kernelINS0_14default_configENS1_22reduce_config_selectorIlEEZNS1_11reduce_implILb1ES3_N6thrust23THRUST_200600_302600_NS11hip_rocprim26transform_input_iterator_tIlNS8_12zip_iteratorINS8_5tupleINS8_6detail15normal_iteratorINS8_10device_ptrIyEEEESH_NS8_9null_typeESI_SI_SI_SI_SI_SI_SI_EEEENS9_21zip_adj_not_predicateI22is_equal_div_10_uniqueIyEEEEEPllNS8_4plusIlEEEE10hipError_tPvRmT1_T2_T3_mT4_P12ihipStream_tbEUlT_E0_NS1_11comp_targetILNS1_3genE0ELNS1_11target_archE4294967295ELNS1_3gpuE0ELNS1_3repE0EEENS1_30default_config_static_selectorELNS0_4arch9wavefront6targetE1EEEvSW_
                                        ; -- End function
	.set _ZN7rocprim17ROCPRIM_400000_NS6detail17trampoline_kernelINS0_14default_configENS1_22reduce_config_selectorIlEEZNS1_11reduce_implILb1ES3_N6thrust23THRUST_200600_302600_NS11hip_rocprim26transform_input_iterator_tIlNS8_12zip_iteratorINS8_5tupleINS8_6detail15normal_iteratorINS8_10device_ptrIyEEEESH_NS8_9null_typeESI_SI_SI_SI_SI_SI_SI_EEEENS9_21zip_adj_not_predicateI22is_equal_div_10_uniqueIyEEEEEPllNS8_4plusIlEEEE10hipError_tPvRmT1_T2_T3_mT4_P12ihipStream_tbEUlT_E0_NS1_11comp_targetILNS1_3genE0ELNS1_11target_archE4294967295ELNS1_3gpuE0ELNS1_3repE0EEENS1_30default_config_static_selectorELNS0_4arch9wavefront6targetE1EEEvSW_.num_vgpr, 0
	.set _ZN7rocprim17ROCPRIM_400000_NS6detail17trampoline_kernelINS0_14default_configENS1_22reduce_config_selectorIlEEZNS1_11reduce_implILb1ES3_N6thrust23THRUST_200600_302600_NS11hip_rocprim26transform_input_iterator_tIlNS8_12zip_iteratorINS8_5tupleINS8_6detail15normal_iteratorINS8_10device_ptrIyEEEESH_NS8_9null_typeESI_SI_SI_SI_SI_SI_SI_EEEENS9_21zip_adj_not_predicateI22is_equal_div_10_uniqueIyEEEEEPllNS8_4plusIlEEEE10hipError_tPvRmT1_T2_T3_mT4_P12ihipStream_tbEUlT_E0_NS1_11comp_targetILNS1_3genE0ELNS1_11target_archE4294967295ELNS1_3gpuE0ELNS1_3repE0EEENS1_30default_config_static_selectorELNS0_4arch9wavefront6targetE1EEEvSW_.num_agpr, 0
	.set _ZN7rocprim17ROCPRIM_400000_NS6detail17trampoline_kernelINS0_14default_configENS1_22reduce_config_selectorIlEEZNS1_11reduce_implILb1ES3_N6thrust23THRUST_200600_302600_NS11hip_rocprim26transform_input_iterator_tIlNS8_12zip_iteratorINS8_5tupleINS8_6detail15normal_iteratorINS8_10device_ptrIyEEEESH_NS8_9null_typeESI_SI_SI_SI_SI_SI_SI_EEEENS9_21zip_adj_not_predicateI22is_equal_div_10_uniqueIyEEEEEPllNS8_4plusIlEEEE10hipError_tPvRmT1_T2_T3_mT4_P12ihipStream_tbEUlT_E0_NS1_11comp_targetILNS1_3genE0ELNS1_11target_archE4294967295ELNS1_3gpuE0ELNS1_3repE0EEENS1_30default_config_static_selectorELNS0_4arch9wavefront6targetE1EEEvSW_.numbered_sgpr, 0
	.set _ZN7rocprim17ROCPRIM_400000_NS6detail17trampoline_kernelINS0_14default_configENS1_22reduce_config_selectorIlEEZNS1_11reduce_implILb1ES3_N6thrust23THRUST_200600_302600_NS11hip_rocprim26transform_input_iterator_tIlNS8_12zip_iteratorINS8_5tupleINS8_6detail15normal_iteratorINS8_10device_ptrIyEEEESH_NS8_9null_typeESI_SI_SI_SI_SI_SI_SI_EEEENS9_21zip_adj_not_predicateI22is_equal_div_10_uniqueIyEEEEEPllNS8_4plusIlEEEE10hipError_tPvRmT1_T2_T3_mT4_P12ihipStream_tbEUlT_E0_NS1_11comp_targetILNS1_3genE0ELNS1_11target_archE4294967295ELNS1_3gpuE0ELNS1_3repE0EEENS1_30default_config_static_selectorELNS0_4arch9wavefront6targetE1EEEvSW_.num_named_barrier, 0
	.set _ZN7rocprim17ROCPRIM_400000_NS6detail17trampoline_kernelINS0_14default_configENS1_22reduce_config_selectorIlEEZNS1_11reduce_implILb1ES3_N6thrust23THRUST_200600_302600_NS11hip_rocprim26transform_input_iterator_tIlNS8_12zip_iteratorINS8_5tupleINS8_6detail15normal_iteratorINS8_10device_ptrIyEEEESH_NS8_9null_typeESI_SI_SI_SI_SI_SI_SI_EEEENS9_21zip_adj_not_predicateI22is_equal_div_10_uniqueIyEEEEEPllNS8_4plusIlEEEE10hipError_tPvRmT1_T2_T3_mT4_P12ihipStream_tbEUlT_E0_NS1_11comp_targetILNS1_3genE0ELNS1_11target_archE4294967295ELNS1_3gpuE0ELNS1_3repE0EEENS1_30default_config_static_selectorELNS0_4arch9wavefront6targetE1EEEvSW_.private_seg_size, 0
	.set _ZN7rocprim17ROCPRIM_400000_NS6detail17trampoline_kernelINS0_14default_configENS1_22reduce_config_selectorIlEEZNS1_11reduce_implILb1ES3_N6thrust23THRUST_200600_302600_NS11hip_rocprim26transform_input_iterator_tIlNS8_12zip_iteratorINS8_5tupleINS8_6detail15normal_iteratorINS8_10device_ptrIyEEEESH_NS8_9null_typeESI_SI_SI_SI_SI_SI_SI_EEEENS9_21zip_adj_not_predicateI22is_equal_div_10_uniqueIyEEEEEPllNS8_4plusIlEEEE10hipError_tPvRmT1_T2_T3_mT4_P12ihipStream_tbEUlT_E0_NS1_11comp_targetILNS1_3genE0ELNS1_11target_archE4294967295ELNS1_3gpuE0ELNS1_3repE0EEENS1_30default_config_static_selectorELNS0_4arch9wavefront6targetE1EEEvSW_.uses_vcc, 0
	.set _ZN7rocprim17ROCPRIM_400000_NS6detail17trampoline_kernelINS0_14default_configENS1_22reduce_config_selectorIlEEZNS1_11reduce_implILb1ES3_N6thrust23THRUST_200600_302600_NS11hip_rocprim26transform_input_iterator_tIlNS8_12zip_iteratorINS8_5tupleINS8_6detail15normal_iteratorINS8_10device_ptrIyEEEESH_NS8_9null_typeESI_SI_SI_SI_SI_SI_SI_EEEENS9_21zip_adj_not_predicateI22is_equal_div_10_uniqueIyEEEEEPllNS8_4plusIlEEEE10hipError_tPvRmT1_T2_T3_mT4_P12ihipStream_tbEUlT_E0_NS1_11comp_targetILNS1_3genE0ELNS1_11target_archE4294967295ELNS1_3gpuE0ELNS1_3repE0EEENS1_30default_config_static_selectorELNS0_4arch9wavefront6targetE1EEEvSW_.uses_flat_scratch, 0
	.set _ZN7rocprim17ROCPRIM_400000_NS6detail17trampoline_kernelINS0_14default_configENS1_22reduce_config_selectorIlEEZNS1_11reduce_implILb1ES3_N6thrust23THRUST_200600_302600_NS11hip_rocprim26transform_input_iterator_tIlNS8_12zip_iteratorINS8_5tupleINS8_6detail15normal_iteratorINS8_10device_ptrIyEEEESH_NS8_9null_typeESI_SI_SI_SI_SI_SI_SI_EEEENS9_21zip_adj_not_predicateI22is_equal_div_10_uniqueIyEEEEEPllNS8_4plusIlEEEE10hipError_tPvRmT1_T2_T3_mT4_P12ihipStream_tbEUlT_E0_NS1_11comp_targetILNS1_3genE0ELNS1_11target_archE4294967295ELNS1_3gpuE0ELNS1_3repE0EEENS1_30default_config_static_selectorELNS0_4arch9wavefront6targetE1EEEvSW_.has_dyn_sized_stack, 0
	.set _ZN7rocprim17ROCPRIM_400000_NS6detail17trampoline_kernelINS0_14default_configENS1_22reduce_config_selectorIlEEZNS1_11reduce_implILb1ES3_N6thrust23THRUST_200600_302600_NS11hip_rocprim26transform_input_iterator_tIlNS8_12zip_iteratorINS8_5tupleINS8_6detail15normal_iteratorINS8_10device_ptrIyEEEESH_NS8_9null_typeESI_SI_SI_SI_SI_SI_SI_EEEENS9_21zip_adj_not_predicateI22is_equal_div_10_uniqueIyEEEEEPllNS8_4plusIlEEEE10hipError_tPvRmT1_T2_T3_mT4_P12ihipStream_tbEUlT_E0_NS1_11comp_targetILNS1_3genE0ELNS1_11target_archE4294967295ELNS1_3gpuE0ELNS1_3repE0EEENS1_30default_config_static_selectorELNS0_4arch9wavefront6targetE1EEEvSW_.has_recursion, 0
	.set _ZN7rocprim17ROCPRIM_400000_NS6detail17trampoline_kernelINS0_14default_configENS1_22reduce_config_selectorIlEEZNS1_11reduce_implILb1ES3_N6thrust23THRUST_200600_302600_NS11hip_rocprim26transform_input_iterator_tIlNS8_12zip_iteratorINS8_5tupleINS8_6detail15normal_iteratorINS8_10device_ptrIyEEEESH_NS8_9null_typeESI_SI_SI_SI_SI_SI_SI_EEEENS9_21zip_adj_not_predicateI22is_equal_div_10_uniqueIyEEEEEPllNS8_4plusIlEEEE10hipError_tPvRmT1_T2_T3_mT4_P12ihipStream_tbEUlT_E0_NS1_11comp_targetILNS1_3genE0ELNS1_11target_archE4294967295ELNS1_3gpuE0ELNS1_3repE0EEENS1_30default_config_static_selectorELNS0_4arch9wavefront6targetE1EEEvSW_.has_indirect_call, 0
	.section	.AMDGPU.csdata,"",@progbits
; Kernel info:
; codeLenInByte = 0
; TotalNumSgprs: 4
; NumVgprs: 0
; ScratchSize: 0
; MemoryBound: 0
; FloatMode: 240
; IeeeMode: 1
; LDSByteSize: 0 bytes/workgroup (compile time only)
; SGPRBlocks: 0
; VGPRBlocks: 0
; NumSGPRsForWavesPerEU: 4
; NumVGPRsForWavesPerEU: 1
; Occupancy: 10
; WaveLimiterHint : 0
; COMPUTE_PGM_RSRC2:SCRATCH_EN: 0
; COMPUTE_PGM_RSRC2:USER_SGPR: 6
; COMPUTE_PGM_RSRC2:TRAP_HANDLER: 0
; COMPUTE_PGM_RSRC2:TGID_X_EN: 1
; COMPUTE_PGM_RSRC2:TGID_Y_EN: 0
; COMPUTE_PGM_RSRC2:TGID_Z_EN: 0
; COMPUTE_PGM_RSRC2:TIDIG_COMP_CNT: 0
	.section	.text._ZN7rocprim17ROCPRIM_400000_NS6detail17trampoline_kernelINS0_14default_configENS1_22reduce_config_selectorIlEEZNS1_11reduce_implILb1ES3_N6thrust23THRUST_200600_302600_NS11hip_rocprim26transform_input_iterator_tIlNS8_12zip_iteratorINS8_5tupleINS8_6detail15normal_iteratorINS8_10device_ptrIyEEEESH_NS8_9null_typeESI_SI_SI_SI_SI_SI_SI_EEEENS9_21zip_adj_not_predicateI22is_equal_div_10_uniqueIyEEEEEPllNS8_4plusIlEEEE10hipError_tPvRmT1_T2_T3_mT4_P12ihipStream_tbEUlT_E0_NS1_11comp_targetILNS1_3genE5ELNS1_11target_archE942ELNS1_3gpuE9ELNS1_3repE0EEENS1_30default_config_static_selectorELNS0_4arch9wavefront6targetE1EEEvSW_,"axG",@progbits,_ZN7rocprim17ROCPRIM_400000_NS6detail17trampoline_kernelINS0_14default_configENS1_22reduce_config_selectorIlEEZNS1_11reduce_implILb1ES3_N6thrust23THRUST_200600_302600_NS11hip_rocprim26transform_input_iterator_tIlNS8_12zip_iteratorINS8_5tupleINS8_6detail15normal_iteratorINS8_10device_ptrIyEEEESH_NS8_9null_typeESI_SI_SI_SI_SI_SI_SI_EEEENS9_21zip_adj_not_predicateI22is_equal_div_10_uniqueIyEEEEEPllNS8_4plusIlEEEE10hipError_tPvRmT1_T2_T3_mT4_P12ihipStream_tbEUlT_E0_NS1_11comp_targetILNS1_3genE5ELNS1_11target_archE942ELNS1_3gpuE9ELNS1_3repE0EEENS1_30default_config_static_selectorELNS0_4arch9wavefront6targetE1EEEvSW_,comdat
	.protected	_ZN7rocprim17ROCPRIM_400000_NS6detail17trampoline_kernelINS0_14default_configENS1_22reduce_config_selectorIlEEZNS1_11reduce_implILb1ES3_N6thrust23THRUST_200600_302600_NS11hip_rocprim26transform_input_iterator_tIlNS8_12zip_iteratorINS8_5tupleINS8_6detail15normal_iteratorINS8_10device_ptrIyEEEESH_NS8_9null_typeESI_SI_SI_SI_SI_SI_SI_EEEENS9_21zip_adj_not_predicateI22is_equal_div_10_uniqueIyEEEEEPllNS8_4plusIlEEEE10hipError_tPvRmT1_T2_T3_mT4_P12ihipStream_tbEUlT_E0_NS1_11comp_targetILNS1_3genE5ELNS1_11target_archE942ELNS1_3gpuE9ELNS1_3repE0EEENS1_30default_config_static_selectorELNS0_4arch9wavefront6targetE1EEEvSW_ ; -- Begin function _ZN7rocprim17ROCPRIM_400000_NS6detail17trampoline_kernelINS0_14default_configENS1_22reduce_config_selectorIlEEZNS1_11reduce_implILb1ES3_N6thrust23THRUST_200600_302600_NS11hip_rocprim26transform_input_iterator_tIlNS8_12zip_iteratorINS8_5tupleINS8_6detail15normal_iteratorINS8_10device_ptrIyEEEESH_NS8_9null_typeESI_SI_SI_SI_SI_SI_SI_EEEENS9_21zip_adj_not_predicateI22is_equal_div_10_uniqueIyEEEEEPllNS8_4plusIlEEEE10hipError_tPvRmT1_T2_T3_mT4_P12ihipStream_tbEUlT_E0_NS1_11comp_targetILNS1_3genE5ELNS1_11target_archE942ELNS1_3gpuE9ELNS1_3repE0EEENS1_30default_config_static_selectorELNS0_4arch9wavefront6targetE1EEEvSW_
	.globl	_ZN7rocprim17ROCPRIM_400000_NS6detail17trampoline_kernelINS0_14default_configENS1_22reduce_config_selectorIlEEZNS1_11reduce_implILb1ES3_N6thrust23THRUST_200600_302600_NS11hip_rocprim26transform_input_iterator_tIlNS8_12zip_iteratorINS8_5tupleINS8_6detail15normal_iteratorINS8_10device_ptrIyEEEESH_NS8_9null_typeESI_SI_SI_SI_SI_SI_SI_EEEENS9_21zip_adj_not_predicateI22is_equal_div_10_uniqueIyEEEEEPllNS8_4plusIlEEEE10hipError_tPvRmT1_T2_T3_mT4_P12ihipStream_tbEUlT_E0_NS1_11comp_targetILNS1_3genE5ELNS1_11target_archE942ELNS1_3gpuE9ELNS1_3repE0EEENS1_30default_config_static_selectorELNS0_4arch9wavefront6targetE1EEEvSW_
	.p2align	8
	.type	_ZN7rocprim17ROCPRIM_400000_NS6detail17trampoline_kernelINS0_14default_configENS1_22reduce_config_selectorIlEEZNS1_11reduce_implILb1ES3_N6thrust23THRUST_200600_302600_NS11hip_rocprim26transform_input_iterator_tIlNS8_12zip_iteratorINS8_5tupleINS8_6detail15normal_iteratorINS8_10device_ptrIyEEEESH_NS8_9null_typeESI_SI_SI_SI_SI_SI_SI_EEEENS9_21zip_adj_not_predicateI22is_equal_div_10_uniqueIyEEEEEPllNS8_4plusIlEEEE10hipError_tPvRmT1_T2_T3_mT4_P12ihipStream_tbEUlT_E0_NS1_11comp_targetILNS1_3genE5ELNS1_11target_archE942ELNS1_3gpuE9ELNS1_3repE0EEENS1_30default_config_static_selectorELNS0_4arch9wavefront6targetE1EEEvSW_,@function
_ZN7rocprim17ROCPRIM_400000_NS6detail17trampoline_kernelINS0_14default_configENS1_22reduce_config_selectorIlEEZNS1_11reduce_implILb1ES3_N6thrust23THRUST_200600_302600_NS11hip_rocprim26transform_input_iterator_tIlNS8_12zip_iteratorINS8_5tupleINS8_6detail15normal_iteratorINS8_10device_ptrIyEEEESH_NS8_9null_typeESI_SI_SI_SI_SI_SI_SI_EEEENS9_21zip_adj_not_predicateI22is_equal_div_10_uniqueIyEEEEEPllNS8_4plusIlEEEE10hipError_tPvRmT1_T2_T3_mT4_P12ihipStream_tbEUlT_E0_NS1_11comp_targetILNS1_3genE5ELNS1_11target_archE942ELNS1_3gpuE9ELNS1_3repE0EEENS1_30default_config_static_selectorELNS0_4arch9wavefront6targetE1EEEvSW_: ; @_ZN7rocprim17ROCPRIM_400000_NS6detail17trampoline_kernelINS0_14default_configENS1_22reduce_config_selectorIlEEZNS1_11reduce_implILb1ES3_N6thrust23THRUST_200600_302600_NS11hip_rocprim26transform_input_iterator_tIlNS8_12zip_iteratorINS8_5tupleINS8_6detail15normal_iteratorINS8_10device_ptrIyEEEESH_NS8_9null_typeESI_SI_SI_SI_SI_SI_SI_EEEENS9_21zip_adj_not_predicateI22is_equal_div_10_uniqueIyEEEEEPllNS8_4plusIlEEEE10hipError_tPvRmT1_T2_T3_mT4_P12ihipStream_tbEUlT_E0_NS1_11comp_targetILNS1_3genE5ELNS1_11target_archE942ELNS1_3gpuE9ELNS1_3repE0EEENS1_30default_config_static_selectorELNS0_4arch9wavefront6targetE1EEEvSW_
; %bb.0:
	.section	.rodata,"a",@progbits
	.p2align	6, 0x0
	.amdhsa_kernel _ZN7rocprim17ROCPRIM_400000_NS6detail17trampoline_kernelINS0_14default_configENS1_22reduce_config_selectorIlEEZNS1_11reduce_implILb1ES3_N6thrust23THRUST_200600_302600_NS11hip_rocprim26transform_input_iterator_tIlNS8_12zip_iteratorINS8_5tupleINS8_6detail15normal_iteratorINS8_10device_ptrIyEEEESH_NS8_9null_typeESI_SI_SI_SI_SI_SI_SI_EEEENS9_21zip_adj_not_predicateI22is_equal_div_10_uniqueIyEEEEEPllNS8_4plusIlEEEE10hipError_tPvRmT1_T2_T3_mT4_P12ihipStream_tbEUlT_E0_NS1_11comp_targetILNS1_3genE5ELNS1_11target_archE942ELNS1_3gpuE9ELNS1_3repE0EEENS1_30default_config_static_selectorELNS0_4arch9wavefront6targetE1EEEvSW_
		.amdhsa_group_segment_fixed_size 0
		.amdhsa_private_segment_fixed_size 0
		.amdhsa_kernarg_size 80
		.amdhsa_user_sgpr_count 6
		.amdhsa_user_sgpr_private_segment_buffer 1
		.amdhsa_user_sgpr_dispatch_ptr 0
		.amdhsa_user_sgpr_queue_ptr 0
		.amdhsa_user_sgpr_kernarg_segment_ptr 1
		.amdhsa_user_sgpr_dispatch_id 0
		.amdhsa_user_sgpr_flat_scratch_init 0
		.amdhsa_user_sgpr_private_segment_size 0
		.amdhsa_uses_dynamic_stack 0
		.amdhsa_system_sgpr_private_segment_wavefront_offset 0
		.amdhsa_system_sgpr_workgroup_id_x 1
		.amdhsa_system_sgpr_workgroup_id_y 0
		.amdhsa_system_sgpr_workgroup_id_z 0
		.amdhsa_system_sgpr_workgroup_info 0
		.amdhsa_system_vgpr_workitem_id 0
		.amdhsa_next_free_vgpr 1
		.amdhsa_next_free_sgpr 0
		.amdhsa_reserve_vcc 0
		.amdhsa_reserve_flat_scratch 0
		.amdhsa_float_round_mode_32 0
		.amdhsa_float_round_mode_16_64 0
		.amdhsa_float_denorm_mode_32 3
		.amdhsa_float_denorm_mode_16_64 3
		.amdhsa_dx10_clamp 1
		.amdhsa_ieee_mode 1
		.amdhsa_fp16_overflow 0
		.amdhsa_exception_fp_ieee_invalid_op 0
		.amdhsa_exception_fp_denorm_src 0
		.amdhsa_exception_fp_ieee_div_zero 0
		.amdhsa_exception_fp_ieee_overflow 0
		.amdhsa_exception_fp_ieee_underflow 0
		.amdhsa_exception_fp_ieee_inexact 0
		.amdhsa_exception_int_div_zero 0
	.end_amdhsa_kernel
	.section	.text._ZN7rocprim17ROCPRIM_400000_NS6detail17trampoline_kernelINS0_14default_configENS1_22reduce_config_selectorIlEEZNS1_11reduce_implILb1ES3_N6thrust23THRUST_200600_302600_NS11hip_rocprim26transform_input_iterator_tIlNS8_12zip_iteratorINS8_5tupleINS8_6detail15normal_iteratorINS8_10device_ptrIyEEEESH_NS8_9null_typeESI_SI_SI_SI_SI_SI_SI_EEEENS9_21zip_adj_not_predicateI22is_equal_div_10_uniqueIyEEEEEPllNS8_4plusIlEEEE10hipError_tPvRmT1_T2_T3_mT4_P12ihipStream_tbEUlT_E0_NS1_11comp_targetILNS1_3genE5ELNS1_11target_archE942ELNS1_3gpuE9ELNS1_3repE0EEENS1_30default_config_static_selectorELNS0_4arch9wavefront6targetE1EEEvSW_,"axG",@progbits,_ZN7rocprim17ROCPRIM_400000_NS6detail17trampoline_kernelINS0_14default_configENS1_22reduce_config_selectorIlEEZNS1_11reduce_implILb1ES3_N6thrust23THRUST_200600_302600_NS11hip_rocprim26transform_input_iterator_tIlNS8_12zip_iteratorINS8_5tupleINS8_6detail15normal_iteratorINS8_10device_ptrIyEEEESH_NS8_9null_typeESI_SI_SI_SI_SI_SI_SI_EEEENS9_21zip_adj_not_predicateI22is_equal_div_10_uniqueIyEEEEEPllNS8_4plusIlEEEE10hipError_tPvRmT1_T2_T3_mT4_P12ihipStream_tbEUlT_E0_NS1_11comp_targetILNS1_3genE5ELNS1_11target_archE942ELNS1_3gpuE9ELNS1_3repE0EEENS1_30default_config_static_selectorELNS0_4arch9wavefront6targetE1EEEvSW_,comdat
.Lfunc_end834:
	.size	_ZN7rocprim17ROCPRIM_400000_NS6detail17trampoline_kernelINS0_14default_configENS1_22reduce_config_selectorIlEEZNS1_11reduce_implILb1ES3_N6thrust23THRUST_200600_302600_NS11hip_rocprim26transform_input_iterator_tIlNS8_12zip_iteratorINS8_5tupleINS8_6detail15normal_iteratorINS8_10device_ptrIyEEEESH_NS8_9null_typeESI_SI_SI_SI_SI_SI_SI_EEEENS9_21zip_adj_not_predicateI22is_equal_div_10_uniqueIyEEEEEPllNS8_4plusIlEEEE10hipError_tPvRmT1_T2_T3_mT4_P12ihipStream_tbEUlT_E0_NS1_11comp_targetILNS1_3genE5ELNS1_11target_archE942ELNS1_3gpuE9ELNS1_3repE0EEENS1_30default_config_static_selectorELNS0_4arch9wavefront6targetE1EEEvSW_, .Lfunc_end834-_ZN7rocprim17ROCPRIM_400000_NS6detail17trampoline_kernelINS0_14default_configENS1_22reduce_config_selectorIlEEZNS1_11reduce_implILb1ES3_N6thrust23THRUST_200600_302600_NS11hip_rocprim26transform_input_iterator_tIlNS8_12zip_iteratorINS8_5tupleINS8_6detail15normal_iteratorINS8_10device_ptrIyEEEESH_NS8_9null_typeESI_SI_SI_SI_SI_SI_SI_EEEENS9_21zip_adj_not_predicateI22is_equal_div_10_uniqueIyEEEEEPllNS8_4plusIlEEEE10hipError_tPvRmT1_T2_T3_mT4_P12ihipStream_tbEUlT_E0_NS1_11comp_targetILNS1_3genE5ELNS1_11target_archE942ELNS1_3gpuE9ELNS1_3repE0EEENS1_30default_config_static_selectorELNS0_4arch9wavefront6targetE1EEEvSW_
                                        ; -- End function
	.set _ZN7rocprim17ROCPRIM_400000_NS6detail17trampoline_kernelINS0_14default_configENS1_22reduce_config_selectorIlEEZNS1_11reduce_implILb1ES3_N6thrust23THRUST_200600_302600_NS11hip_rocprim26transform_input_iterator_tIlNS8_12zip_iteratorINS8_5tupleINS8_6detail15normal_iteratorINS8_10device_ptrIyEEEESH_NS8_9null_typeESI_SI_SI_SI_SI_SI_SI_EEEENS9_21zip_adj_not_predicateI22is_equal_div_10_uniqueIyEEEEEPllNS8_4plusIlEEEE10hipError_tPvRmT1_T2_T3_mT4_P12ihipStream_tbEUlT_E0_NS1_11comp_targetILNS1_3genE5ELNS1_11target_archE942ELNS1_3gpuE9ELNS1_3repE0EEENS1_30default_config_static_selectorELNS0_4arch9wavefront6targetE1EEEvSW_.num_vgpr, 0
	.set _ZN7rocprim17ROCPRIM_400000_NS6detail17trampoline_kernelINS0_14default_configENS1_22reduce_config_selectorIlEEZNS1_11reduce_implILb1ES3_N6thrust23THRUST_200600_302600_NS11hip_rocprim26transform_input_iterator_tIlNS8_12zip_iteratorINS8_5tupleINS8_6detail15normal_iteratorINS8_10device_ptrIyEEEESH_NS8_9null_typeESI_SI_SI_SI_SI_SI_SI_EEEENS9_21zip_adj_not_predicateI22is_equal_div_10_uniqueIyEEEEEPllNS8_4plusIlEEEE10hipError_tPvRmT1_T2_T3_mT4_P12ihipStream_tbEUlT_E0_NS1_11comp_targetILNS1_3genE5ELNS1_11target_archE942ELNS1_3gpuE9ELNS1_3repE0EEENS1_30default_config_static_selectorELNS0_4arch9wavefront6targetE1EEEvSW_.num_agpr, 0
	.set _ZN7rocprim17ROCPRIM_400000_NS6detail17trampoline_kernelINS0_14default_configENS1_22reduce_config_selectorIlEEZNS1_11reduce_implILb1ES3_N6thrust23THRUST_200600_302600_NS11hip_rocprim26transform_input_iterator_tIlNS8_12zip_iteratorINS8_5tupleINS8_6detail15normal_iteratorINS8_10device_ptrIyEEEESH_NS8_9null_typeESI_SI_SI_SI_SI_SI_SI_EEEENS9_21zip_adj_not_predicateI22is_equal_div_10_uniqueIyEEEEEPllNS8_4plusIlEEEE10hipError_tPvRmT1_T2_T3_mT4_P12ihipStream_tbEUlT_E0_NS1_11comp_targetILNS1_3genE5ELNS1_11target_archE942ELNS1_3gpuE9ELNS1_3repE0EEENS1_30default_config_static_selectorELNS0_4arch9wavefront6targetE1EEEvSW_.numbered_sgpr, 0
	.set _ZN7rocprim17ROCPRIM_400000_NS6detail17trampoline_kernelINS0_14default_configENS1_22reduce_config_selectorIlEEZNS1_11reduce_implILb1ES3_N6thrust23THRUST_200600_302600_NS11hip_rocprim26transform_input_iterator_tIlNS8_12zip_iteratorINS8_5tupleINS8_6detail15normal_iteratorINS8_10device_ptrIyEEEESH_NS8_9null_typeESI_SI_SI_SI_SI_SI_SI_EEEENS9_21zip_adj_not_predicateI22is_equal_div_10_uniqueIyEEEEEPllNS8_4plusIlEEEE10hipError_tPvRmT1_T2_T3_mT4_P12ihipStream_tbEUlT_E0_NS1_11comp_targetILNS1_3genE5ELNS1_11target_archE942ELNS1_3gpuE9ELNS1_3repE0EEENS1_30default_config_static_selectorELNS0_4arch9wavefront6targetE1EEEvSW_.num_named_barrier, 0
	.set _ZN7rocprim17ROCPRIM_400000_NS6detail17trampoline_kernelINS0_14default_configENS1_22reduce_config_selectorIlEEZNS1_11reduce_implILb1ES3_N6thrust23THRUST_200600_302600_NS11hip_rocprim26transform_input_iterator_tIlNS8_12zip_iteratorINS8_5tupleINS8_6detail15normal_iteratorINS8_10device_ptrIyEEEESH_NS8_9null_typeESI_SI_SI_SI_SI_SI_SI_EEEENS9_21zip_adj_not_predicateI22is_equal_div_10_uniqueIyEEEEEPllNS8_4plusIlEEEE10hipError_tPvRmT1_T2_T3_mT4_P12ihipStream_tbEUlT_E0_NS1_11comp_targetILNS1_3genE5ELNS1_11target_archE942ELNS1_3gpuE9ELNS1_3repE0EEENS1_30default_config_static_selectorELNS0_4arch9wavefront6targetE1EEEvSW_.private_seg_size, 0
	.set _ZN7rocprim17ROCPRIM_400000_NS6detail17trampoline_kernelINS0_14default_configENS1_22reduce_config_selectorIlEEZNS1_11reduce_implILb1ES3_N6thrust23THRUST_200600_302600_NS11hip_rocprim26transform_input_iterator_tIlNS8_12zip_iteratorINS8_5tupleINS8_6detail15normal_iteratorINS8_10device_ptrIyEEEESH_NS8_9null_typeESI_SI_SI_SI_SI_SI_SI_EEEENS9_21zip_adj_not_predicateI22is_equal_div_10_uniqueIyEEEEEPllNS8_4plusIlEEEE10hipError_tPvRmT1_T2_T3_mT4_P12ihipStream_tbEUlT_E0_NS1_11comp_targetILNS1_3genE5ELNS1_11target_archE942ELNS1_3gpuE9ELNS1_3repE0EEENS1_30default_config_static_selectorELNS0_4arch9wavefront6targetE1EEEvSW_.uses_vcc, 0
	.set _ZN7rocprim17ROCPRIM_400000_NS6detail17trampoline_kernelINS0_14default_configENS1_22reduce_config_selectorIlEEZNS1_11reduce_implILb1ES3_N6thrust23THRUST_200600_302600_NS11hip_rocprim26transform_input_iterator_tIlNS8_12zip_iteratorINS8_5tupleINS8_6detail15normal_iteratorINS8_10device_ptrIyEEEESH_NS8_9null_typeESI_SI_SI_SI_SI_SI_SI_EEEENS9_21zip_adj_not_predicateI22is_equal_div_10_uniqueIyEEEEEPllNS8_4plusIlEEEE10hipError_tPvRmT1_T2_T3_mT4_P12ihipStream_tbEUlT_E0_NS1_11comp_targetILNS1_3genE5ELNS1_11target_archE942ELNS1_3gpuE9ELNS1_3repE0EEENS1_30default_config_static_selectorELNS0_4arch9wavefront6targetE1EEEvSW_.uses_flat_scratch, 0
	.set _ZN7rocprim17ROCPRIM_400000_NS6detail17trampoline_kernelINS0_14default_configENS1_22reduce_config_selectorIlEEZNS1_11reduce_implILb1ES3_N6thrust23THRUST_200600_302600_NS11hip_rocprim26transform_input_iterator_tIlNS8_12zip_iteratorINS8_5tupleINS8_6detail15normal_iteratorINS8_10device_ptrIyEEEESH_NS8_9null_typeESI_SI_SI_SI_SI_SI_SI_EEEENS9_21zip_adj_not_predicateI22is_equal_div_10_uniqueIyEEEEEPllNS8_4plusIlEEEE10hipError_tPvRmT1_T2_T3_mT4_P12ihipStream_tbEUlT_E0_NS1_11comp_targetILNS1_3genE5ELNS1_11target_archE942ELNS1_3gpuE9ELNS1_3repE0EEENS1_30default_config_static_selectorELNS0_4arch9wavefront6targetE1EEEvSW_.has_dyn_sized_stack, 0
	.set _ZN7rocprim17ROCPRIM_400000_NS6detail17trampoline_kernelINS0_14default_configENS1_22reduce_config_selectorIlEEZNS1_11reduce_implILb1ES3_N6thrust23THRUST_200600_302600_NS11hip_rocprim26transform_input_iterator_tIlNS8_12zip_iteratorINS8_5tupleINS8_6detail15normal_iteratorINS8_10device_ptrIyEEEESH_NS8_9null_typeESI_SI_SI_SI_SI_SI_SI_EEEENS9_21zip_adj_not_predicateI22is_equal_div_10_uniqueIyEEEEEPllNS8_4plusIlEEEE10hipError_tPvRmT1_T2_T3_mT4_P12ihipStream_tbEUlT_E0_NS1_11comp_targetILNS1_3genE5ELNS1_11target_archE942ELNS1_3gpuE9ELNS1_3repE0EEENS1_30default_config_static_selectorELNS0_4arch9wavefront6targetE1EEEvSW_.has_recursion, 0
	.set _ZN7rocprim17ROCPRIM_400000_NS6detail17trampoline_kernelINS0_14default_configENS1_22reduce_config_selectorIlEEZNS1_11reduce_implILb1ES3_N6thrust23THRUST_200600_302600_NS11hip_rocprim26transform_input_iterator_tIlNS8_12zip_iteratorINS8_5tupleINS8_6detail15normal_iteratorINS8_10device_ptrIyEEEESH_NS8_9null_typeESI_SI_SI_SI_SI_SI_SI_EEEENS9_21zip_adj_not_predicateI22is_equal_div_10_uniqueIyEEEEEPllNS8_4plusIlEEEE10hipError_tPvRmT1_T2_T3_mT4_P12ihipStream_tbEUlT_E0_NS1_11comp_targetILNS1_3genE5ELNS1_11target_archE942ELNS1_3gpuE9ELNS1_3repE0EEENS1_30default_config_static_selectorELNS0_4arch9wavefront6targetE1EEEvSW_.has_indirect_call, 0
	.section	.AMDGPU.csdata,"",@progbits
; Kernel info:
; codeLenInByte = 0
; TotalNumSgprs: 4
; NumVgprs: 0
; ScratchSize: 0
; MemoryBound: 0
; FloatMode: 240
; IeeeMode: 1
; LDSByteSize: 0 bytes/workgroup (compile time only)
; SGPRBlocks: 0
; VGPRBlocks: 0
; NumSGPRsForWavesPerEU: 4
; NumVGPRsForWavesPerEU: 1
; Occupancy: 10
; WaveLimiterHint : 0
; COMPUTE_PGM_RSRC2:SCRATCH_EN: 0
; COMPUTE_PGM_RSRC2:USER_SGPR: 6
; COMPUTE_PGM_RSRC2:TRAP_HANDLER: 0
; COMPUTE_PGM_RSRC2:TGID_X_EN: 1
; COMPUTE_PGM_RSRC2:TGID_Y_EN: 0
; COMPUTE_PGM_RSRC2:TGID_Z_EN: 0
; COMPUTE_PGM_RSRC2:TIDIG_COMP_CNT: 0
	.section	.text._ZN7rocprim17ROCPRIM_400000_NS6detail17trampoline_kernelINS0_14default_configENS1_22reduce_config_selectorIlEEZNS1_11reduce_implILb1ES3_N6thrust23THRUST_200600_302600_NS11hip_rocprim26transform_input_iterator_tIlNS8_12zip_iteratorINS8_5tupleINS8_6detail15normal_iteratorINS8_10device_ptrIyEEEESH_NS8_9null_typeESI_SI_SI_SI_SI_SI_SI_EEEENS9_21zip_adj_not_predicateI22is_equal_div_10_uniqueIyEEEEEPllNS8_4plusIlEEEE10hipError_tPvRmT1_T2_T3_mT4_P12ihipStream_tbEUlT_E0_NS1_11comp_targetILNS1_3genE4ELNS1_11target_archE910ELNS1_3gpuE8ELNS1_3repE0EEENS1_30default_config_static_selectorELNS0_4arch9wavefront6targetE1EEEvSW_,"axG",@progbits,_ZN7rocprim17ROCPRIM_400000_NS6detail17trampoline_kernelINS0_14default_configENS1_22reduce_config_selectorIlEEZNS1_11reduce_implILb1ES3_N6thrust23THRUST_200600_302600_NS11hip_rocprim26transform_input_iterator_tIlNS8_12zip_iteratorINS8_5tupleINS8_6detail15normal_iteratorINS8_10device_ptrIyEEEESH_NS8_9null_typeESI_SI_SI_SI_SI_SI_SI_EEEENS9_21zip_adj_not_predicateI22is_equal_div_10_uniqueIyEEEEEPllNS8_4plusIlEEEE10hipError_tPvRmT1_T2_T3_mT4_P12ihipStream_tbEUlT_E0_NS1_11comp_targetILNS1_3genE4ELNS1_11target_archE910ELNS1_3gpuE8ELNS1_3repE0EEENS1_30default_config_static_selectorELNS0_4arch9wavefront6targetE1EEEvSW_,comdat
	.protected	_ZN7rocprim17ROCPRIM_400000_NS6detail17trampoline_kernelINS0_14default_configENS1_22reduce_config_selectorIlEEZNS1_11reduce_implILb1ES3_N6thrust23THRUST_200600_302600_NS11hip_rocprim26transform_input_iterator_tIlNS8_12zip_iteratorINS8_5tupleINS8_6detail15normal_iteratorINS8_10device_ptrIyEEEESH_NS8_9null_typeESI_SI_SI_SI_SI_SI_SI_EEEENS9_21zip_adj_not_predicateI22is_equal_div_10_uniqueIyEEEEEPllNS8_4plusIlEEEE10hipError_tPvRmT1_T2_T3_mT4_P12ihipStream_tbEUlT_E0_NS1_11comp_targetILNS1_3genE4ELNS1_11target_archE910ELNS1_3gpuE8ELNS1_3repE0EEENS1_30default_config_static_selectorELNS0_4arch9wavefront6targetE1EEEvSW_ ; -- Begin function _ZN7rocprim17ROCPRIM_400000_NS6detail17trampoline_kernelINS0_14default_configENS1_22reduce_config_selectorIlEEZNS1_11reduce_implILb1ES3_N6thrust23THRUST_200600_302600_NS11hip_rocprim26transform_input_iterator_tIlNS8_12zip_iteratorINS8_5tupleINS8_6detail15normal_iteratorINS8_10device_ptrIyEEEESH_NS8_9null_typeESI_SI_SI_SI_SI_SI_SI_EEEENS9_21zip_adj_not_predicateI22is_equal_div_10_uniqueIyEEEEEPllNS8_4plusIlEEEE10hipError_tPvRmT1_T2_T3_mT4_P12ihipStream_tbEUlT_E0_NS1_11comp_targetILNS1_3genE4ELNS1_11target_archE910ELNS1_3gpuE8ELNS1_3repE0EEENS1_30default_config_static_selectorELNS0_4arch9wavefront6targetE1EEEvSW_
	.globl	_ZN7rocprim17ROCPRIM_400000_NS6detail17trampoline_kernelINS0_14default_configENS1_22reduce_config_selectorIlEEZNS1_11reduce_implILb1ES3_N6thrust23THRUST_200600_302600_NS11hip_rocprim26transform_input_iterator_tIlNS8_12zip_iteratorINS8_5tupleINS8_6detail15normal_iteratorINS8_10device_ptrIyEEEESH_NS8_9null_typeESI_SI_SI_SI_SI_SI_SI_EEEENS9_21zip_adj_not_predicateI22is_equal_div_10_uniqueIyEEEEEPllNS8_4plusIlEEEE10hipError_tPvRmT1_T2_T3_mT4_P12ihipStream_tbEUlT_E0_NS1_11comp_targetILNS1_3genE4ELNS1_11target_archE910ELNS1_3gpuE8ELNS1_3repE0EEENS1_30default_config_static_selectorELNS0_4arch9wavefront6targetE1EEEvSW_
	.p2align	8
	.type	_ZN7rocprim17ROCPRIM_400000_NS6detail17trampoline_kernelINS0_14default_configENS1_22reduce_config_selectorIlEEZNS1_11reduce_implILb1ES3_N6thrust23THRUST_200600_302600_NS11hip_rocprim26transform_input_iterator_tIlNS8_12zip_iteratorINS8_5tupleINS8_6detail15normal_iteratorINS8_10device_ptrIyEEEESH_NS8_9null_typeESI_SI_SI_SI_SI_SI_SI_EEEENS9_21zip_adj_not_predicateI22is_equal_div_10_uniqueIyEEEEEPllNS8_4plusIlEEEE10hipError_tPvRmT1_T2_T3_mT4_P12ihipStream_tbEUlT_E0_NS1_11comp_targetILNS1_3genE4ELNS1_11target_archE910ELNS1_3gpuE8ELNS1_3repE0EEENS1_30default_config_static_selectorELNS0_4arch9wavefront6targetE1EEEvSW_,@function
_ZN7rocprim17ROCPRIM_400000_NS6detail17trampoline_kernelINS0_14default_configENS1_22reduce_config_selectorIlEEZNS1_11reduce_implILb1ES3_N6thrust23THRUST_200600_302600_NS11hip_rocprim26transform_input_iterator_tIlNS8_12zip_iteratorINS8_5tupleINS8_6detail15normal_iteratorINS8_10device_ptrIyEEEESH_NS8_9null_typeESI_SI_SI_SI_SI_SI_SI_EEEENS9_21zip_adj_not_predicateI22is_equal_div_10_uniqueIyEEEEEPllNS8_4plusIlEEEE10hipError_tPvRmT1_T2_T3_mT4_P12ihipStream_tbEUlT_E0_NS1_11comp_targetILNS1_3genE4ELNS1_11target_archE910ELNS1_3gpuE8ELNS1_3repE0EEENS1_30default_config_static_selectorELNS0_4arch9wavefront6targetE1EEEvSW_: ; @_ZN7rocprim17ROCPRIM_400000_NS6detail17trampoline_kernelINS0_14default_configENS1_22reduce_config_selectorIlEEZNS1_11reduce_implILb1ES3_N6thrust23THRUST_200600_302600_NS11hip_rocprim26transform_input_iterator_tIlNS8_12zip_iteratorINS8_5tupleINS8_6detail15normal_iteratorINS8_10device_ptrIyEEEESH_NS8_9null_typeESI_SI_SI_SI_SI_SI_SI_EEEENS9_21zip_adj_not_predicateI22is_equal_div_10_uniqueIyEEEEEPllNS8_4plusIlEEEE10hipError_tPvRmT1_T2_T3_mT4_P12ihipStream_tbEUlT_E0_NS1_11comp_targetILNS1_3genE4ELNS1_11target_archE910ELNS1_3gpuE8ELNS1_3repE0EEENS1_30default_config_static_selectorELNS0_4arch9wavefront6targetE1EEEvSW_
; %bb.0:
	.section	.rodata,"a",@progbits
	.p2align	6, 0x0
	.amdhsa_kernel _ZN7rocprim17ROCPRIM_400000_NS6detail17trampoline_kernelINS0_14default_configENS1_22reduce_config_selectorIlEEZNS1_11reduce_implILb1ES3_N6thrust23THRUST_200600_302600_NS11hip_rocprim26transform_input_iterator_tIlNS8_12zip_iteratorINS8_5tupleINS8_6detail15normal_iteratorINS8_10device_ptrIyEEEESH_NS8_9null_typeESI_SI_SI_SI_SI_SI_SI_EEEENS9_21zip_adj_not_predicateI22is_equal_div_10_uniqueIyEEEEEPllNS8_4plusIlEEEE10hipError_tPvRmT1_T2_T3_mT4_P12ihipStream_tbEUlT_E0_NS1_11comp_targetILNS1_3genE4ELNS1_11target_archE910ELNS1_3gpuE8ELNS1_3repE0EEENS1_30default_config_static_selectorELNS0_4arch9wavefront6targetE1EEEvSW_
		.amdhsa_group_segment_fixed_size 0
		.amdhsa_private_segment_fixed_size 0
		.amdhsa_kernarg_size 80
		.amdhsa_user_sgpr_count 6
		.amdhsa_user_sgpr_private_segment_buffer 1
		.amdhsa_user_sgpr_dispatch_ptr 0
		.amdhsa_user_sgpr_queue_ptr 0
		.amdhsa_user_sgpr_kernarg_segment_ptr 1
		.amdhsa_user_sgpr_dispatch_id 0
		.amdhsa_user_sgpr_flat_scratch_init 0
		.amdhsa_user_sgpr_private_segment_size 0
		.amdhsa_uses_dynamic_stack 0
		.amdhsa_system_sgpr_private_segment_wavefront_offset 0
		.amdhsa_system_sgpr_workgroup_id_x 1
		.amdhsa_system_sgpr_workgroup_id_y 0
		.amdhsa_system_sgpr_workgroup_id_z 0
		.amdhsa_system_sgpr_workgroup_info 0
		.amdhsa_system_vgpr_workitem_id 0
		.amdhsa_next_free_vgpr 1
		.amdhsa_next_free_sgpr 0
		.amdhsa_reserve_vcc 0
		.amdhsa_reserve_flat_scratch 0
		.amdhsa_float_round_mode_32 0
		.amdhsa_float_round_mode_16_64 0
		.amdhsa_float_denorm_mode_32 3
		.amdhsa_float_denorm_mode_16_64 3
		.amdhsa_dx10_clamp 1
		.amdhsa_ieee_mode 1
		.amdhsa_fp16_overflow 0
		.amdhsa_exception_fp_ieee_invalid_op 0
		.amdhsa_exception_fp_denorm_src 0
		.amdhsa_exception_fp_ieee_div_zero 0
		.amdhsa_exception_fp_ieee_overflow 0
		.amdhsa_exception_fp_ieee_underflow 0
		.amdhsa_exception_fp_ieee_inexact 0
		.amdhsa_exception_int_div_zero 0
	.end_amdhsa_kernel
	.section	.text._ZN7rocprim17ROCPRIM_400000_NS6detail17trampoline_kernelINS0_14default_configENS1_22reduce_config_selectorIlEEZNS1_11reduce_implILb1ES3_N6thrust23THRUST_200600_302600_NS11hip_rocprim26transform_input_iterator_tIlNS8_12zip_iteratorINS8_5tupleINS8_6detail15normal_iteratorINS8_10device_ptrIyEEEESH_NS8_9null_typeESI_SI_SI_SI_SI_SI_SI_EEEENS9_21zip_adj_not_predicateI22is_equal_div_10_uniqueIyEEEEEPllNS8_4plusIlEEEE10hipError_tPvRmT1_T2_T3_mT4_P12ihipStream_tbEUlT_E0_NS1_11comp_targetILNS1_3genE4ELNS1_11target_archE910ELNS1_3gpuE8ELNS1_3repE0EEENS1_30default_config_static_selectorELNS0_4arch9wavefront6targetE1EEEvSW_,"axG",@progbits,_ZN7rocprim17ROCPRIM_400000_NS6detail17trampoline_kernelINS0_14default_configENS1_22reduce_config_selectorIlEEZNS1_11reduce_implILb1ES3_N6thrust23THRUST_200600_302600_NS11hip_rocprim26transform_input_iterator_tIlNS8_12zip_iteratorINS8_5tupleINS8_6detail15normal_iteratorINS8_10device_ptrIyEEEESH_NS8_9null_typeESI_SI_SI_SI_SI_SI_SI_EEEENS9_21zip_adj_not_predicateI22is_equal_div_10_uniqueIyEEEEEPllNS8_4plusIlEEEE10hipError_tPvRmT1_T2_T3_mT4_P12ihipStream_tbEUlT_E0_NS1_11comp_targetILNS1_3genE4ELNS1_11target_archE910ELNS1_3gpuE8ELNS1_3repE0EEENS1_30default_config_static_selectorELNS0_4arch9wavefront6targetE1EEEvSW_,comdat
.Lfunc_end835:
	.size	_ZN7rocprim17ROCPRIM_400000_NS6detail17trampoline_kernelINS0_14default_configENS1_22reduce_config_selectorIlEEZNS1_11reduce_implILb1ES3_N6thrust23THRUST_200600_302600_NS11hip_rocprim26transform_input_iterator_tIlNS8_12zip_iteratorINS8_5tupleINS8_6detail15normal_iteratorINS8_10device_ptrIyEEEESH_NS8_9null_typeESI_SI_SI_SI_SI_SI_SI_EEEENS9_21zip_adj_not_predicateI22is_equal_div_10_uniqueIyEEEEEPllNS8_4plusIlEEEE10hipError_tPvRmT1_T2_T3_mT4_P12ihipStream_tbEUlT_E0_NS1_11comp_targetILNS1_3genE4ELNS1_11target_archE910ELNS1_3gpuE8ELNS1_3repE0EEENS1_30default_config_static_selectorELNS0_4arch9wavefront6targetE1EEEvSW_, .Lfunc_end835-_ZN7rocprim17ROCPRIM_400000_NS6detail17trampoline_kernelINS0_14default_configENS1_22reduce_config_selectorIlEEZNS1_11reduce_implILb1ES3_N6thrust23THRUST_200600_302600_NS11hip_rocprim26transform_input_iterator_tIlNS8_12zip_iteratorINS8_5tupleINS8_6detail15normal_iteratorINS8_10device_ptrIyEEEESH_NS8_9null_typeESI_SI_SI_SI_SI_SI_SI_EEEENS9_21zip_adj_not_predicateI22is_equal_div_10_uniqueIyEEEEEPllNS8_4plusIlEEEE10hipError_tPvRmT1_T2_T3_mT4_P12ihipStream_tbEUlT_E0_NS1_11comp_targetILNS1_3genE4ELNS1_11target_archE910ELNS1_3gpuE8ELNS1_3repE0EEENS1_30default_config_static_selectorELNS0_4arch9wavefront6targetE1EEEvSW_
                                        ; -- End function
	.set _ZN7rocprim17ROCPRIM_400000_NS6detail17trampoline_kernelINS0_14default_configENS1_22reduce_config_selectorIlEEZNS1_11reduce_implILb1ES3_N6thrust23THRUST_200600_302600_NS11hip_rocprim26transform_input_iterator_tIlNS8_12zip_iteratorINS8_5tupleINS8_6detail15normal_iteratorINS8_10device_ptrIyEEEESH_NS8_9null_typeESI_SI_SI_SI_SI_SI_SI_EEEENS9_21zip_adj_not_predicateI22is_equal_div_10_uniqueIyEEEEEPllNS8_4plusIlEEEE10hipError_tPvRmT1_T2_T3_mT4_P12ihipStream_tbEUlT_E0_NS1_11comp_targetILNS1_3genE4ELNS1_11target_archE910ELNS1_3gpuE8ELNS1_3repE0EEENS1_30default_config_static_selectorELNS0_4arch9wavefront6targetE1EEEvSW_.num_vgpr, 0
	.set _ZN7rocprim17ROCPRIM_400000_NS6detail17trampoline_kernelINS0_14default_configENS1_22reduce_config_selectorIlEEZNS1_11reduce_implILb1ES3_N6thrust23THRUST_200600_302600_NS11hip_rocprim26transform_input_iterator_tIlNS8_12zip_iteratorINS8_5tupleINS8_6detail15normal_iteratorINS8_10device_ptrIyEEEESH_NS8_9null_typeESI_SI_SI_SI_SI_SI_SI_EEEENS9_21zip_adj_not_predicateI22is_equal_div_10_uniqueIyEEEEEPllNS8_4plusIlEEEE10hipError_tPvRmT1_T2_T3_mT4_P12ihipStream_tbEUlT_E0_NS1_11comp_targetILNS1_3genE4ELNS1_11target_archE910ELNS1_3gpuE8ELNS1_3repE0EEENS1_30default_config_static_selectorELNS0_4arch9wavefront6targetE1EEEvSW_.num_agpr, 0
	.set _ZN7rocprim17ROCPRIM_400000_NS6detail17trampoline_kernelINS0_14default_configENS1_22reduce_config_selectorIlEEZNS1_11reduce_implILb1ES3_N6thrust23THRUST_200600_302600_NS11hip_rocprim26transform_input_iterator_tIlNS8_12zip_iteratorINS8_5tupleINS8_6detail15normal_iteratorINS8_10device_ptrIyEEEESH_NS8_9null_typeESI_SI_SI_SI_SI_SI_SI_EEEENS9_21zip_adj_not_predicateI22is_equal_div_10_uniqueIyEEEEEPllNS8_4plusIlEEEE10hipError_tPvRmT1_T2_T3_mT4_P12ihipStream_tbEUlT_E0_NS1_11comp_targetILNS1_3genE4ELNS1_11target_archE910ELNS1_3gpuE8ELNS1_3repE0EEENS1_30default_config_static_selectorELNS0_4arch9wavefront6targetE1EEEvSW_.numbered_sgpr, 0
	.set _ZN7rocprim17ROCPRIM_400000_NS6detail17trampoline_kernelINS0_14default_configENS1_22reduce_config_selectorIlEEZNS1_11reduce_implILb1ES3_N6thrust23THRUST_200600_302600_NS11hip_rocprim26transform_input_iterator_tIlNS8_12zip_iteratorINS8_5tupleINS8_6detail15normal_iteratorINS8_10device_ptrIyEEEESH_NS8_9null_typeESI_SI_SI_SI_SI_SI_SI_EEEENS9_21zip_adj_not_predicateI22is_equal_div_10_uniqueIyEEEEEPllNS8_4plusIlEEEE10hipError_tPvRmT1_T2_T3_mT4_P12ihipStream_tbEUlT_E0_NS1_11comp_targetILNS1_3genE4ELNS1_11target_archE910ELNS1_3gpuE8ELNS1_3repE0EEENS1_30default_config_static_selectorELNS0_4arch9wavefront6targetE1EEEvSW_.num_named_barrier, 0
	.set _ZN7rocprim17ROCPRIM_400000_NS6detail17trampoline_kernelINS0_14default_configENS1_22reduce_config_selectorIlEEZNS1_11reduce_implILb1ES3_N6thrust23THRUST_200600_302600_NS11hip_rocprim26transform_input_iterator_tIlNS8_12zip_iteratorINS8_5tupleINS8_6detail15normal_iteratorINS8_10device_ptrIyEEEESH_NS8_9null_typeESI_SI_SI_SI_SI_SI_SI_EEEENS9_21zip_adj_not_predicateI22is_equal_div_10_uniqueIyEEEEEPllNS8_4plusIlEEEE10hipError_tPvRmT1_T2_T3_mT4_P12ihipStream_tbEUlT_E0_NS1_11comp_targetILNS1_3genE4ELNS1_11target_archE910ELNS1_3gpuE8ELNS1_3repE0EEENS1_30default_config_static_selectorELNS0_4arch9wavefront6targetE1EEEvSW_.private_seg_size, 0
	.set _ZN7rocprim17ROCPRIM_400000_NS6detail17trampoline_kernelINS0_14default_configENS1_22reduce_config_selectorIlEEZNS1_11reduce_implILb1ES3_N6thrust23THRUST_200600_302600_NS11hip_rocprim26transform_input_iterator_tIlNS8_12zip_iteratorINS8_5tupleINS8_6detail15normal_iteratorINS8_10device_ptrIyEEEESH_NS8_9null_typeESI_SI_SI_SI_SI_SI_SI_EEEENS9_21zip_adj_not_predicateI22is_equal_div_10_uniqueIyEEEEEPllNS8_4plusIlEEEE10hipError_tPvRmT1_T2_T3_mT4_P12ihipStream_tbEUlT_E0_NS1_11comp_targetILNS1_3genE4ELNS1_11target_archE910ELNS1_3gpuE8ELNS1_3repE0EEENS1_30default_config_static_selectorELNS0_4arch9wavefront6targetE1EEEvSW_.uses_vcc, 0
	.set _ZN7rocprim17ROCPRIM_400000_NS6detail17trampoline_kernelINS0_14default_configENS1_22reduce_config_selectorIlEEZNS1_11reduce_implILb1ES3_N6thrust23THRUST_200600_302600_NS11hip_rocprim26transform_input_iterator_tIlNS8_12zip_iteratorINS8_5tupleINS8_6detail15normal_iteratorINS8_10device_ptrIyEEEESH_NS8_9null_typeESI_SI_SI_SI_SI_SI_SI_EEEENS9_21zip_adj_not_predicateI22is_equal_div_10_uniqueIyEEEEEPllNS8_4plusIlEEEE10hipError_tPvRmT1_T2_T3_mT4_P12ihipStream_tbEUlT_E0_NS1_11comp_targetILNS1_3genE4ELNS1_11target_archE910ELNS1_3gpuE8ELNS1_3repE0EEENS1_30default_config_static_selectorELNS0_4arch9wavefront6targetE1EEEvSW_.uses_flat_scratch, 0
	.set _ZN7rocprim17ROCPRIM_400000_NS6detail17trampoline_kernelINS0_14default_configENS1_22reduce_config_selectorIlEEZNS1_11reduce_implILb1ES3_N6thrust23THRUST_200600_302600_NS11hip_rocprim26transform_input_iterator_tIlNS8_12zip_iteratorINS8_5tupleINS8_6detail15normal_iteratorINS8_10device_ptrIyEEEESH_NS8_9null_typeESI_SI_SI_SI_SI_SI_SI_EEEENS9_21zip_adj_not_predicateI22is_equal_div_10_uniqueIyEEEEEPllNS8_4plusIlEEEE10hipError_tPvRmT1_T2_T3_mT4_P12ihipStream_tbEUlT_E0_NS1_11comp_targetILNS1_3genE4ELNS1_11target_archE910ELNS1_3gpuE8ELNS1_3repE0EEENS1_30default_config_static_selectorELNS0_4arch9wavefront6targetE1EEEvSW_.has_dyn_sized_stack, 0
	.set _ZN7rocprim17ROCPRIM_400000_NS6detail17trampoline_kernelINS0_14default_configENS1_22reduce_config_selectorIlEEZNS1_11reduce_implILb1ES3_N6thrust23THRUST_200600_302600_NS11hip_rocprim26transform_input_iterator_tIlNS8_12zip_iteratorINS8_5tupleINS8_6detail15normal_iteratorINS8_10device_ptrIyEEEESH_NS8_9null_typeESI_SI_SI_SI_SI_SI_SI_EEEENS9_21zip_adj_not_predicateI22is_equal_div_10_uniqueIyEEEEEPllNS8_4plusIlEEEE10hipError_tPvRmT1_T2_T3_mT4_P12ihipStream_tbEUlT_E0_NS1_11comp_targetILNS1_3genE4ELNS1_11target_archE910ELNS1_3gpuE8ELNS1_3repE0EEENS1_30default_config_static_selectorELNS0_4arch9wavefront6targetE1EEEvSW_.has_recursion, 0
	.set _ZN7rocprim17ROCPRIM_400000_NS6detail17trampoline_kernelINS0_14default_configENS1_22reduce_config_selectorIlEEZNS1_11reduce_implILb1ES3_N6thrust23THRUST_200600_302600_NS11hip_rocprim26transform_input_iterator_tIlNS8_12zip_iteratorINS8_5tupleINS8_6detail15normal_iteratorINS8_10device_ptrIyEEEESH_NS8_9null_typeESI_SI_SI_SI_SI_SI_SI_EEEENS9_21zip_adj_not_predicateI22is_equal_div_10_uniqueIyEEEEEPllNS8_4plusIlEEEE10hipError_tPvRmT1_T2_T3_mT4_P12ihipStream_tbEUlT_E0_NS1_11comp_targetILNS1_3genE4ELNS1_11target_archE910ELNS1_3gpuE8ELNS1_3repE0EEENS1_30default_config_static_selectorELNS0_4arch9wavefront6targetE1EEEvSW_.has_indirect_call, 0
	.section	.AMDGPU.csdata,"",@progbits
; Kernel info:
; codeLenInByte = 0
; TotalNumSgprs: 4
; NumVgprs: 0
; ScratchSize: 0
; MemoryBound: 0
; FloatMode: 240
; IeeeMode: 1
; LDSByteSize: 0 bytes/workgroup (compile time only)
; SGPRBlocks: 0
; VGPRBlocks: 0
; NumSGPRsForWavesPerEU: 4
; NumVGPRsForWavesPerEU: 1
; Occupancy: 10
; WaveLimiterHint : 0
; COMPUTE_PGM_RSRC2:SCRATCH_EN: 0
; COMPUTE_PGM_RSRC2:USER_SGPR: 6
; COMPUTE_PGM_RSRC2:TRAP_HANDLER: 0
; COMPUTE_PGM_RSRC2:TGID_X_EN: 1
; COMPUTE_PGM_RSRC2:TGID_Y_EN: 0
; COMPUTE_PGM_RSRC2:TGID_Z_EN: 0
; COMPUTE_PGM_RSRC2:TIDIG_COMP_CNT: 0
	.section	.text._ZN7rocprim17ROCPRIM_400000_NS6detail17trampoline_kernelINS0_14default_configENS1_22reduce_config_selectorIlEEZNS1_11reduce_implILb1ES3_N6thrust23THRUST_200600_302600_NS11hip_rocprim26transform_input_iterator_tIlNS8_12zip_iteratorINS8_5tupleINS8_6detail15normal_iteratorINS8_10device_ptrIyEEEESH_NS8_9null_typeESI_SI_SI_SI_SI_SI_SI_EEEENS9_21zip_adj_not_predicateI22is_equal_div_10_uniqueIyEEEEEPllNS8_4plusIlEEEE10hipError_tPvRmT1_T2_T3_mT4_P12ihipStream_tbEUlT_E0_NS1_11comp_targetILNS1_3genE3ELNS1_11target_archE908ELNS1_3gpuE7ELNS1_3repE0EEENS1_30default_config_static_selectorELNS0_4arch9wavefront6targetE1EEEvSW_,"axG",@progbits,_ZN7rocprim17ROCPRIM_400000_NS6detail17trampoline_kernelINS0_14default_configENS1_22reduce_config_selectorIlEEZNS1_11reduce_implILb1ES3_N6thrust23THRUST_200600_302600_NS11hip_rocprim26transform_input_iterator_tIlNS8_12zip_iteratorINS8_5tupleINS8_6detail15normal_iteratorINS8_10device_ptrIyEEEESH_NS8_9null_typeESI_SI_SI_SI_SI_SI_SI_EEEENS9_21zip_adj_not_predicateI22is_equal_div_10_uniqueIyEEEEEPllNS8_4plusIlEEEE10hipError_tPvRmT1_T2_T3_mT4_P12ihipStream_tbEUlT_E0_NS1_11comp_targetILNS1_3genE3ELNS1_11target_archE908ELNS1_3gpuE7ELNS1_3repE0EEENS1_30default_config_static_selectorELNS0_4arch9wavefront6targetE1EEEvSW_,comdat
	.protected	_ZN7rocprim17ROCPRIM_400000_NS6detail17trampoline_kernelINS0_14default_configENS1_22reduce_config_selectorIlEEZNS1_11reduce_implILb1ES3_N6thrust23THRUST_200600_302600_NS11hip_rocprim26transform_input_iterator_tIlNS8_12zip_iteratorINS8_5tupleINS8_6detail15normal_iteratorINS8_10device_ptrIyEEEESH_NS8_9null_typeESI_SI_SI_SI_SI_SI_SI_EEEENS9_21zip_adj_not_predicateI22is_equal_div_10_uniqueIyEEEEEPllNS8_4plusIlEEEE10hipError_tPvRmT1_T2_T3_mT4_P12ihipStream_tbEUlT_E0_NS1_11comp_targetILNS1_3genE3ELNS1_11target_archE908ELNS1_3gpuE7ELNS1_3repE0EEENS1_30default_config_static_selectorELNS0_4arch9wavefront6targetE1EEEvSW_ ; -- Begin function _ZN7rocprim17ROCPRIM_400000_NS6detail17trampoline_kernelINS0_14default_configENS1_22reduce_config_selectorIlEEZNS1_11reduce_implILb1ES3_N6thrust23THRUST_200600_302600_NS11hip_rocprim26transform_input_iterator_tIlNS8_12zip_iteratorINS8_5tupleINS8_6detail15normal_iteratorINS8_10device_ptrIyEEEESH_NS8_9null_typeESI_SI_SI_SI_SI_SI_SI_EEEENS9_21zip_adj_not_predicateI22is_equal_div_10_uniqueIyEEEEEPllNS8_4plusIlEEEE10hipError_tPvRmT1_T2_T3_mT4_P12ihipStream_tbEUlT_E0_NS1_11comp_targetILNS1_3genE3ELNS1_11target_archE908ELNS1_3gpuE7ELNS1_3repE0EEENS1_30default_config_static_selectorELNS0_4arch9wavefront6targetE1EEEvSW_
	.globl	_ZN7rocprim17ROCPRIM_400000_NS6detail17trampoline_kernelINS0_14default_configENS1_22reduce_config_selectorIlEEZNS1_11reduce_implILb1ES3_N6thrust23THRUST_200600_302600_NS11hip_rocprim26transform_input_iterator_tIlNS8_12zip_iteratorINS8_5tupleINS8_6detail15normal_iteratorINS8_10device_ptrIyEEEESH_NS8_9null_typeESI_SI_SI_SI_SI_SI_SI_EEEENS9_21zip_adj_not_predicateI22is_equal_div_10_uniqueIyEEEEEPllNS8_4plusIlEEEE10hipError_tPvRmT1_T2_T3_mT4_P12ihipStream_tbEUlT_E0_NS1_11comp_targetILNS1_3genE3ELNS1_11target_archE908ELNS1_3gpuE7ELNS1_3repE0EEENS1_30default_config_static_selectorELNS0_4arch9wavefront6targetE1EEEvSW_
	.p2align	8
	.type	_ZN7rocprim17ROCPRIM_400000_NS6detail17trampoline_kernelINS0_14default_configENS1_22reduce_config_selectorIlEEZNS1_11reduce_implILb1ES3_N6thrust23THRUST_200600_302600_NS11hip_rocprim26transform_input_iterator_tIlNS8_12zip_iteratorINS8_5tupleINS8_6detail15normal_iteratorINS8_10device_ptrIyEEEESH_NS8_9null_typeESI_SI_SI_SI_SI_SI_SI_EEEENS9_21zip_adj_not_predicateI22is_equal_div_10_uniqueIyEEEEEPllNS8_4plusIlEEEE10hipError_tPvRmT1_T2_T3_mT4_P12ihipStream_tbEUlT_E0_NS1_11comp_targetILNS1_3genE3ELNS1_11target_archE908ELNS1_3gpuE7ELNS1_3repE0EEENS1_30default_config_static_selectorELNS0_4arch9wavefront6targetE1EEEvSW_,@function
_ZN7rocprim17ROCPRIM_400000_NS6detail17trampoline_kernelINS0_14default_configENS1_22reduce_config_selectorIlEEZNS1_11reduce_implILb1ES3_N6thrust23THRUST_200600_302600_NS11hip_rocprim26transform_input_iterator_tIlNS8_12zip_iteratorINS8_5tupleINS8_6detail15normal_iteratorINS8_10device_ptrIyEEEESH_NS8_9null_typeESI_SI_SI_SI_SI_SI_SI_EEEENS9_21zip_adj_not_predicateI22is_equal_div_10_uniqueIyEEEEEPllNS8_4plusIlEEEE10hipError_tPvRmT1_T2_T3_mT4_P12ihipStream_tbEUlT_E0_NS1_11comp_targetILNS1_3genE3ELNS1_11target_archE908ELNS1_3gpuE7ELNS1_3repE0EEENS1_30default_config_static_selectorELNS0_4arch9wavefront6targetE1EEEvSW_: ; @_ZN7rocprim17ROCPRIM_400000_NS6detail17trampoline_kernelINS0_14default_configENS1_22reduce_config_selectorIlEEZNS1_11reduce_implILb1ES3_N6thrust23THRUST_200600_302600_NS11hip_rocprim26transform_input_iterator_tIlNS8_12zip_iteratorINS8_5tupleINS8_6detail15normal_iteratorINS8_10device_ptrIyEEEESH_NS8_9null_typeESI_SI_SI_SI_SI_SI_SI_EEEENS9_21zip_adj_not_predicateI22is_equal_div_10_uniqueIyEEEEEPllNS8_4plusIlEEEE10hipError_tPvRmT1_T2_T3_mT4_P12ihipStream_tbEUlT_E0_NS1_11comp_targetILNS1_3genE3ELNS1_11target_archE908ELNS1_3gpuE7ELNS1_3repE0EEENS1_30default_config_static_selectorELNS0_4arch9wavefront6targetE1EEEvSW_
; %bb.0:
	.section	.rodata,"a",@progbits
	.p2align	6, 0x0
	.amdhsa_kernel _ZN7rocprim17ROCPRIM_400000_NS6detail17trampoline_kernelINS0_14default_configENS1_22reduce_config_selectorIlEEZNS1_11reduce_implILb1ES3_N6thrust23THRUST_200600_302600_NS11hip_rocprim26transform_input_iterator_tIlNS8_12zip_iteratorINS8_5tupleINS8_6detail15normal_iteratorINS8_10device_ptrIyEEEESH_NS8_9null_typeESI_SI_SI_SI_SI_SI_SI_EEEENS9_21zip_adj_not_predicateI22is_equal_div_10_uniqueIyEEEEEPllNS8_4plusIlEEEE10hipError_tPvRmT1_T2_T3_mT4_P12ihipStream_tbEUlT_E0_NS1_11comp_targetILNS1_3genE3ELNS1_11target_archE908ELNS1_3gpuE7ELNS1_3repE0EEENS1_30default_config_static_selectorELNS0_4arch9wavefront6targetE1EEEvSW_
		.amdhsa_group_segment_fixed_size 0
		.amdhsa_private_segment_fixed_size 0
		.amdhsa_kernarg_size 80
		.amdhsa_user_sgpr_count 6
		.amdhsa_user_sgpr_private_segment_buffer 1
		.amdhsa_user_sgpr_dispatch_ptr 0
		.amdhsa_user_sgpr_queue_ptr 0
		.amdhsa_user_sgpr_kernarg_segment_ptr 1
		.amdhsa_user_sgpr_dispatch_id 0
		.amdhsa_user_sgpr_flat_scratch_init 0
		.amdhsa_user_sgpr_private_segment_size 0
		.amdhsa_uses_dynamic_stack 0
		.amdhsa_system_sgpr_private_segment_wavefront_offset 0
		.amdhsa_system_sgpr_workgroup_id_x 1
		.amdhsa_system_sgpr_workgroup_id_y 0
		.amdhsa_system_sgpr_workgroup_id_z 0
		.amdhsa_system_sgpr_workgroup_info 0
		.amdhsa_system_vgpr_workitem_id 0
		.amdhsa_next_free_vgpr 1
		.amdhsa_next_free_sgpr 0
		.amdhsa_reserve_vcc 0
		.amdhsa_reserve_flat_scratch 0
		.amdhsa_float_round_mode_32 0
		.amdhsa_float_round_mode_16_64 0
		.amdhsa_float_denorm_mode_32 3
		.amdhsa_float_denorm_mode_16_64 3
		.amdhsa_dx10_clamp 1
		.amdhsa_ieee_mode 1
		.amdhsa_fp16_overflow 0
		.amdhsa_exception_fp_ieee_invalid_op 0
		.amdhsa_exception_fp_denorm_src 0
		.amdhsa_exception_fp_ieee_div_zero 0
		.amdhsa_exception_fp_ieee_overflow 0
		.amdhsa_exception_fp_ieee_underflow 0
		.amdhsa_exception_fp_ieee_inexact 0
		.amdhsa_exception_int_div_zero 0
	.end_amdhsa_kernel
	.section	.text._ZN7rocprim17ROCPRIM_400000_NS6detail17trampoline_kernelINS0_14default_configENS1_22reduce_config_selectorIlEEZNS1_11reduce_implILb1ES3_N6thrust23THRUST_200600_302600_NS11hip_rocprim26transform_input_iterator_tIlNS8_12zip_iteratorINS8_5tupleINS8_6detail15normal_iteratorINS8_10device_ptrIyEEEESH_NS8_9null_typeESI_SI_SI_SI_SI_SI_SI_EEEENS9_21zip_adj_not_predicateI22is_equal_div_10_uniqueIyEEEEEPllNS8_4plusIlEEEE10hipError_tPvRmT1_T2_T3_mT4_P12ihipStream_tbEUlT_E0_NS1_11comp_targetILNS1_3genE3ELNS1_11target_archE908ELNS1_3gpuE7ELNS1_3repE0EEENS1_30default_config_static_selectorELNS0_4arch9wavefront6targetE1EEEvSW_,"axG",@progbits,_ZN7rocprim17ROCPRIM_400000_NS6detail17trampoline_kernelINS0_14default_configENS1_22reduce_config_selectorIlEEZNS1_11reduce_implILb1ES3_N6thrust23THRUST_200600_302600_NS11hip_rocprim26transform_input_iterator_tIlNS8_12zip_iteratorINS8_5tupleINS8_6detail15normal_iteratorINS8_10device_ptrIyEEEESH_NS8_9null_typeESI_SI_SI_SI_SI_SI_SI_EEEENS9_21zip_adj_not_predicateI22is_equal_div_10_uniqueIyEEEEEPllNS8_4plusIlEEEE10hipError_tPvRmT1_T2_T3_mT4_P12ihipStream_tbEUlT_E0_NS1_11comp_targetILNS1_3genE3ELNS1_11target_archE908ELNS1_3gpuE7ELNS1_3repE0EEENS1_30default_config_static_selectorELNS0_4arch9wavefront6targetE1EEEvSW_,comdat
.Lfunc_end836:
	.size	_ZN7rocprim17ROCPRIM_400000_NS6detail17trampoline_kernelINS0_14default_configENS1_22reduce_config_selectorIlEEZNS1_11reduce_implILb1ES3_N6thrust23THRUST_200600_302600_NS11hip_rocprim26transform_input_iterator_tIlNS8_12zip_iteratorINS8_5tupleINS8_6detail15normal_iteratorINS8_10device_ptrIyEEEESH_NS8_9null_typeESI_SI_SI_SI_SI_SI_SI_EEEENS9_21zip_adj_not_predicateI22is_equal_div_10_uniqueIyEEEEEPllNS8_4plusIlEEEE10hipError_tPvRmT1_T2_T3_mT4_P12ihipStream_tbEUlT_E0_NS1_11comp_targetILNS1_3genE3ELNS1_11target_archE908ELNS1_3gpuE7ELNS1_3repE0EEENS1_30default_config_static_selectorELNS0_4arch9wavefront6targetE1EEEvSW_, .Lfunc_end836-_ZN7rocprim17ROCPRIM_400000_NS6detail17trampoline_kernelINS0_14default_configENS1_22reduce_config_selectorIlEEZNS1_11reduce_implILb1ES3_N6thrust23THRUST_200600_302600_NS11hip_rocprim26transform_input_iterator_tIlNS8_12zip_iteratorINS8_5tupleINS8_6detail15normal_iteratorINS8_10device_ptrIyEEEESH_NS8_9null_typeESI_SI_SI_SI_SI_SI_SI_EEEENS9_21zip_adj_not_predicateI22is_equal_div_10_uniqueIyEEEEEPllNS8_4plusIlEEEE10hipError_tPvRmT1_T2_T3_mT4_P12ihipStream_tbEUlT_E0_NS1_11comp_targetILNS1_3genE3ELNS1_11target_archE908ELNS1_3gpuE7ELNS1_3repE0EEENS1_30default_config_static_selectorELNS0_4arch9wavefront6targetE1EEEvSW_
                                        ; -- End function
	.set _ZN7rocprim17ROCPRIM_400000_NS6detail17trampoline_kernelINS0_14default_configENS1_22reduce_config_selectorIlEEZNS1_11reduce_implILb1ES3_N6thrust23THRUST_200600_302600_NS11hip_rocprim26transform_input_iterator_tIlNS8_12zip_iteratorINS8_5tupleINS8_6detail15normal_iteratorINS8_10device_ptrIyEEEESH_NS8_9null_typeESI_SI_SI_SI_SI_SI_SI_EEEENS9_21zip_adj_not_predicateI22is_equal_div_10_uniqueIyEEEEEPllNS8_4plusIlEEEE10hipError_tPvRmT1_T2_T3_mT4_P12ihipStream_tbEUlT_E0_NS1_11comp_targetILNS1_3genE3ELNS1_11target_archE908ELNS1_3gpuE7ELNS1_3repE0EEENS1_30default_config_static_selectorELNS0_4arch9wavefront6targetE1EEEvSW_.num_vgpr, 0
	.set _ZN7rocprim17ROCPRIM_400000_NS6detail17trampoline_kernelINS0_14default_configENS1_22reduce_config_selectorIlEEZNS1_11reduce_implILb1ES3_N6thrust23THRUST_200600_302600_NS11hip_rocprim26transform_input_iterator_tIlNS8_12zip_iteratorINS8_5tupleINS8_6detail15normal_iteratorINS8_10device_ptrIyEEEESH_NS8_9null_typeESI_SI_SI_SI_SI_SI_SI_EEEENS9_21zip_adj_not_predicateI22is_equal_div_10_uniqueIyEEEEEPllNS8_4plusIlEEEE10hipError_tPvRmT1_T2_T3_mT4_P12ihipStream_tbEUlT_E0_NS1_11comp_targetILNS1_3genE3ELNS1_11target_archE908ELNS1_3gpuE7ELNS1_3repE0EEENS1_30default_config_static_selectorELNS0_4arch9wavefront6targetE1EEEvSW_.num_agpr, 0
	.set _ZN7rocprim17ROCPRIM_400000_NS6detail17trampoline_kernelINS0_14default_configENS1_22reduce_config_selectorIlEEZNS1_11reduce_implILb1ES3_N6thrust23THRUST_200600_302600_NS11hip_rocprim26transform_input_iterator_tIlNS8_12zip_iteratorINS8_5tupleINS8_6detail15normal_iteratorINS8_10device_ptrIyEEEESH_NS8_9null_typeESI_SI_SI_SI_SI_SI_SI_EEEENS9_21zip_adj_not_predicateI22is_equal_div_10_uniqueIyEEEEEPllNS8_4plusIlEEEE10hipError_tPvRmT1_T2_T3_mT4_P12ihipStream_tbEUlT_E0_NS1_11comp_targetILNS1_3genE3ELNS1_11target_archE908ELNS1_3gpuE7ELNS1_3repE0EEENS1_30default_config_static_selectorELNS0_4arch9wavefront6targetE1EEEvSW_.numbered_sgpr, 0
	.set _ZN7rocprim17ROCPRIM_400000_NS6detail17trampoline_kernelINS0_14default_configENS1_22reduce_config_selectorIlEEZNS1_11reduce_implILb1ES3_N6thrust23THRUST_200600_302600_NS11hip_rocprim26transform_input_iterator_tIlNS8_12zip_iteratorINS8_5tupleINS8_6detail15normal_iteratorINS8_10device_ptrIyEEEESH_NS8_9null_typeESI_SI_SI_SI_SI_SI_SI_EEEENS9_21zip_adj_not_predicateI22is_equal_div_10_uniqueIyEEEEEPllNS8_4plusIlEEEE10hipError_tPvRmT1_T2_T3_mT4_P12ihipStream_tbEUlT_E0_NS1_11comp_targetILNS1_3genE3ELNS1_11target_archE908ELNS1_3gpuE7ELNS1_3repE0EEENS1_30default_config_static_selectorELNS0_4arch9wavefront6targetE1EEEvSW_.num_named_barrier, 0
	.set _ZN7rocprim17ROCPRIM_400000_NS6detail17trampoline_kernelINS0_14default_configENS1_22reduce_config_selectorIlEEZNS1_11reduce_implILb1ES3_N6thrust23THRUST_200600_302600_NS11hip_rocprim26transform_input_iterator_tIlNS8_12zip_iteratorINS8_5tupleINS8_6detail15normal_iteratorINS8_10device_ptrIyEEEESH_NS8_9null_typeESI_SI_SI_SI_SI_SI_SI_EEEENS9_21zip_adj_not_predicateI22is_equal_div_10_uniqueIyEEEEEPllNS8_4plusIlEEEE10hipError_tPvRmT1_T2_T3_mT4_P12ihipStream_tbEUlT_E0_NS1_11comp_targetILNS1_3genE3ELNS1_11target_archE908ELNS1_3gpuE7ELNS1_3repE0EEENS1_30default_config_static_selectorELNS0_4arch9wavefront6targetE1EEEvSW_.private_seg_size, 0
	.set _ZN7rocprim17ROCPRIM_400000_NS6detail17trampoline_kernelINS0_14default_configENS1_22reduce_config_selectorIlEEZNS1_11reduce_implILb1ES3_N6thrust23THRUST_200600_302600_NS11hip_rocprim26transform_input_iterator_tIlNS8_12zip_iteratorINS8_5tupleINS8_6detail15normal_iteratorINS8_10device_ptrIyEEEESH_NS8_9null_typeESI_SI_SI_SI_SI_SI_SI_EEEENS9_21zip_adj_not_predicateI22is_equal_div_10_uniqueIyEEEEEPllNS8_4plusIlEEEE10hipError_tPvRmT1_T2_T3_mT4_P12ihipStream_tbEUlT_E0_NS1_11comp_targetILNS1_3genE3ELNS1_11target_archE908ELNS1_3gpuE7ELNS1_3repE0EEENS1_30default_config_static_selectorELNS0_4arch9wavefront6targetE1EEEvSW_.uses_vcc, 0
	.set _ZN7rocprim17ROCPRIM_400000_NS6detail17trampoline_kernelINS0_14default_configENS1_22reduce_config_selectorIlEEZNS1_11reduce_implILb1ES3_N6thrust23THRUST_200600_302600_NS11hip_rocprim26transform_input_iterator_tIlNS8_12zip_iteratorINS8_5tupleINS8_6detail15normal_iteratorINS8_10device_ptrIyEEEESH_NS8_9null_typeESI_SI_SI_SI_SI_SI_SI_EEEENS9_21zip_adj_not_predicateI22is_equal_div_10_uniqueIyEEEEEPllNS8_4plusIlEEEE10hipError_tPvRmT1_T2_T3_mT4_P12ihipStream_tbEUlT_E0_NS1_11comp_targetILNS1_3genE3ELNS1_11target_archE908ELNS1_3gpuE7ELNS1_3repE0EEENS1_30default_config_static_selectorELNS0_4arch9wavefront6targetE1EEEvSW_.uses_flat_scratch, 0
	.set _ZN7rocprim17ROCPRIM_400000_NS6detail17trampoline_kernelINS0_14default_configENS1_22reduce_config_selectorIlEEZNS1_11reduce_implILb1ES3_N6thrust23THRUST_200600_302600_NS11hip_rocprim26transform_input_iterator_tIlNS8_12zip_iteratorINS8_5tupleINS8_6detail15normal_iteratorINS8_10device_ptrIyEEEESH_NS8_9null_typeESI_SI_SI_SI_SI_SI_SI_EEEENS9_21zip_adj_not_predicateI22is_equal_div_10_uniqueIyEEEEEPllNS8_4plusIlEEEE10hipError_tPvRmT1_T2_T3_mT4_P12ihipStream_tbEUlT_E0_NS1_11comp_targetILNS1_3genE3ELNS1_11target_archE908ELNS1_3gpuE7ELNS1_3repE0EEENS1_30default_config_static_selectorELNS0_4arch9wavefront6targetE1EEEvSW_.has_dyn_sized_stack, 0
	.set _ZN7rocprim17ROCPRIM_400000_NS6detail17trampoline_kernelINS0_14default_configENS1_22reduce_config_selectorIlEEZNS1_11reduce_implILb1ES3_N6thrust23THRUST_200600_302600_NS11hip_rocprim26transform_input_iterator_tIlNS8_12zip_iteratorINS8_5tupleINS8_6detail15normal_iteratorINS8_10device_ptrIyEEEESH_NS8_9null_typeESI_SI_SI_SI_SI_SI_SI_EEEENS9_21zip_adj_not_predicateI22is_equal_div_10_uniqueIyEEEEEPllNS8_4plusIlEEEE10hipError_tPvRmT1_T2_T3_mT4_P12ihipStream_tbEUlT_E0_NS1_11comp_targetILNS1_3genE3ELNS1_11target_archE908ELNS1_3gpuE7ELNS1_3repE0EEENS1_30default_config_static_selectorELNS0_4arch9wavefront6targetE1EEEvSW_.has_recursion, 0
	.set _ZN7rocprim17ROCPRIM_400000_NS6detail17trampoline_kernelINS0_14default_configENS1_22reduce_config_selectorIlEEZNS1_11reduce_implILb1ES3_N6thrust23THRUST_200600_302600_NS11hip_rocprim26transform_input_iterator_tIlNS8_12zip_iteratorINS8_5tupleINS8_6detail15normal_iteratorINS8_10device_ptrIyEEEESH_NS8_9null_typeESI_SI_SI_SI_SI_SI_SI_EEEENS9_21zip_adj_not_predicateI22is_equal_div_10_uniqueIyEEEEEPllNS8_4plusIlEEEE10hipError_tPvRmT1_T2_T3_mT4_P12ihipStream_tbEUlT_E0_NS1_11comp_targetILNS1_3genE3ELNS1_11target_archE908ELNS1_3gpuE7ELNS1_3repE0EEENS1_30default_config_static_selectorELNS0_4arch9wavefront6targetE1EEEvSW_.has_indirect_call, 0
	.section	.AMDGPU.csdata,"",@progbits
; Kernel info:
; codeLenInByte = 0
; TotalNumSgprs: 4
; NumVgprs: 0
; ScratchSize: 0
; MemoryBound: 0
; FloatMode: 240
; IeeeMode: 1
; LDSByteSize: 0 bytes/workgroup (compile time only)
; SGPRBlocks: 0
; VGPRBlocks: 0
; NumSGPRsForWavesPerEU: 4
; NumVGPRsForWavesPerEU: 1
; Occupancy: 10
; WaveLimiterHint : 0
; COMPUTE_PGM_RSRC2:SCRATCH_EN: 0
; COMPUTE_PGM_RSRC2:USER_SGPR: 6
; COMPUTE_PGM_RSRC2:TRAP_HANDLER: 0
; COMPUTE_PGM_RSRC2:TGID_X_EN: 1
; COMPUTE_PGM_RSRC2:TGID_Y_EN: 0
; COMPUTE_PGM_RSRC2:TGID_Z_EN: 0
; COMPUTE_PGM_RSRC2:TIDIG_COMP_CNT: 0
	.section	.text._ZN7rocprim17ROCPRIM_400000_NS6detail17trampoline_kernelINS0_14default_configENS1_22reduce_config_selectorIlEEZNS1_11reduce_implILb1ES3_N6thrust23THRUST_200600_302600_NS11hip_rocprim26transform_input_iterator_tIlNS8_12zip_iteratorINS8_5tupleINS8_6detail15normal_iteratorINS8_10device_ptrIyEEEESH_NS8_9null_typeESI_SI_SI_SI_SI_SI_SI_EEEENS9_21zip_adj_not_predicateI22is_equal_div_10_uniqueIyEEEEEPllNS8_4plusIlEEEE10hipError_tPvRmT1_T2_T3_mT4_P12ihipStream_tbEUlT_E0_NS1_11comp_targetILNS1_3genE2ELNS1_11target_archE906ELNS1_3gpuE6ELNS1_3repE0EEENS1_30default_config_static_selectorELNS0_4arch9wavefront6targetE1EEEvSW_,"axG",@progbits,_ZN7rocprim17ROCPRIM_400000_NS6detail17trampoline_kernelINS0_14default_configENS1_22reduce_config_selectorIlEEZNS1_11reduce_implILb1ES3_N6thrust23THRUST_200600_302600_NS11hip_rocprim26transform_input_iterator_tIlNS8_12zip_iteratorINS8_5tupleINS8_6detail15normal_iteratorINS8_10device_ptrIyEEEESH_NS8_9null_typeESI_SI_SI_SI_SI_SI_SI_EEEENS9_21zip_adj_not_predicateI22is_equal_div_10_uniqueIyEEEEEPllNS8_4plusIlEEEE10hipError_tPvRmT1_T2_T3_mT4_P12ihipStream_tbEUlT_E0_NS1_11comp_targetILNS1_3genE2ELNS1_11target_archE906ELNS1_3gpuE6ELNS1_3repE0EEENS1_30default_config_static_selectorELNS0_4arch9wavefront6targetE1EEEvSW_,comdat
	.protected	_ZN7rocprim17ROCPRIM_400000_NS6detail17trampoline_kernelINS0_14default_configENS1_22reduce_config_selectorIlEEZNS1_11reduce_implILb1ES3_N6thrust23THRUST_200600_302600_NS11hip_rocprim26transform_input_iterator_tIlNS8_12zip_iteratorINS8_5tupleINS8_6detail15normal_iteratorINS8_10device_ptrIyEEEESH_NS8_9null_typeESI_SI_SI_SI_SI_SI_SI_EEEENS9_21zip_adj_not_predicateI22is_equal_div_10_uniqueIyEEEEEPllNS8_4plusIlEEEE10hipError_tPvRmT1_T2_T3_mT4_P12ihipStream_tbEUlT_E0_NS1_11comp_targetILNS1_3genE2ELNS1_11target_archE906ELNS1_3gpuE6ELNS1_3repE0EEENS1_30default_config_static_selectorELNS0_4arch9wavefront6targetE1EEEvSW_ ; -- Begin function _ZN7rocprim17ROCPRIM_400000_NS6detail17trampoline_kernelINS0_14default_configENS1_22reduce_config_selectorIlEEZNS1_11reduce_implILb1ES3_N6thrust23THRUST_200600_302600_NS11hip_rocprim26transform_input_iterator_tIlNS8_12zip_iteratorINS8_5tupleINS8_6detail15normal_iteratorINS8_10device_ptrIyEEEESH_NS8_9null_typeESI_SI_SI_SI_SI_SI_SI_EEEENS9_21zip_adj_not_predicateI22is_equal_div_10_uniqueIyEEEEEPllNS8_4plusIlEEEE10hipError_tPvRmT1_T2_T3_mT4_P12ihipStream_tbEUlT_E0_NS1_11comp_targetILNS1_3genE2ELNS1_11target_archE906ELNS1_3gpuE6ELNS1_3repE0EEENS1_30default_config_static_selectorELNS0_4arch9wavefront6targetE1EEEvSW_
	.globl	_ZN7rocprim17ROCPRIM_400000_NS6detail17trampoline_kernelINS0_14default_configENS1_22reduce_config_selectorIlEEZNS1_11reduce_implILb1ES3_N6thrust23THRUST_200600_302600_NS11hip_rocprim26transform_input_iterator_tIlNS8_12zip_iteratorINS8_5tupleINS8_6detail15normal_iteratorINS8_10device_ptrIyEEEESH_NS8_9null_typeESI_SI_SI_SI_SI_SI_SI_EEEENS9_21zip_adj_not_predicateI22is_equal_div_10_uniqueIyEEEEEPllNS8_4plusIlEEEE10hipError_tPvRmT1_T2_T3_mT4_P12ihipStream_tbEUlT_E0_NS1_11comp_targetILNS1_3genE2ELNS1_11target_archE906ELNS1_3gpuE6ELNS1_3repE0EEENS1_30default_config_static_selectorELNS0_4arch9wavefront6targetE1EEEvSW_
	.p2align	8
	.type	_ZN7rocprim17ROCPRIM_400000_NS6detail17trampoline_kernelINS0_14default_configENS1_22reduce_config_selectorIlEEZNS1_11reduce_implILb1ES3_N6thrust23THRUST_200600_302600_NS11hip_rocprim26transform_input_iterator_tIlNS8_12zip_iteratorINS8_5tupleINS8_6detail15normal_iteratorINS8_10device_ptrIyEEEESH_NS8_9null_typeESI_SI_SI_SI_SI_SI_SI_EEEENS9_21zip_adj_not_predicateI22is_equal_div_10_uniqueIyEEEEEPllNS8_4plusIlEEEE10hipError_tPvRmT1_T2_T3_mT4_P12ihipStream_tbEUlT_E0_NS1_11comp_targetILNS1_3genE2ELNS1_11target_archE906ELNS1_3gpuE6ELNS1_3repE0EEENS1_30default_config_static_selectorELNS0_4arch9wavefront6targetE1EEEvSW_,@function
_ZN7rocprim17ROCPRIM_400000_NS6detail17trampoline_kernelINS0_14default_configENS1_22reduce_config_selectorIlEEZNS1_11reduce_implILb1ES3_N6thrust23THRUST_200600_302600_NS11hip_rocprim26transform_input_iterator_tIlNS8_12zip_iteratorINS8_5tupleINS8_6detail15normal_iteratorINS8_10device_ptrIyEEEESH_NS8_9null_typeESI_SI_SI_SI_SI_SI_SI_EEEENS9_21zip_adj_not_predicateI22is_equal_div_10_uniqueIyEEEEEPllNS8_4plusIlEEEE10hipError_tPvRmT1_T2_T3_mT4_P12ihipStream_tbEUlT_E0_NS1_11comp_targetILNS1_3genE2ELNS1_11target_archE906ELNS1_3gpuE6ELNS1_3repE0EEENS1_30default_config_static_selectorELNS0_4arch9wavefront6targetE1EEEvSW_: ; @_ZN7rocprim17ROCPRIM_400000_NS6detail17trampoline_kernelINS0_14default_configENS1_22reduce_config_selectorIlEEZNS1_11reduce_implILb1ES3_N6thrust23THRUST_200600_302600_NS11hip_rocprim26transform_input_iterator_tIlNS8_12zip_iteratorINS8_5tupleINS8_6detail15normal_iteratorINS8_10device_ptrIyEEEESH_NS8_9null_typeESI_SI_SI_SI_SI_SI_SI_EEEENS9_21zip_adj_not_predicateI22is_equal_div_10_uniqueIyEEEEEPllNS8_4plusIlEEEE10hipError_tPvRmT1_T2_T3_mT4_P12ihipStream_tbEUlT_E0_NS1_11comp_targetILNS1_3genE2ELNS1_11target_archE906ELNS1_3gpuE6ELNS1_3repE0EEENS1_30default_config_static_selectorELNS0_4arch9wavefront6targetE1EEEvSW_
; %bb.0:
	s_load_dwordx8 s[8:15], s[4:5], 0x18
	s_load_dwordx4 s[0:3], s[4:5], 0x0
	s_load_dwordx4 s[16:19], s[4:5], 0x38
	v_lshlrev_b32_e32 v6, 3, v0
	v_mbcnt_lo_u32_b32 v5, -1, 0
	s_waitcnt lgkmcnt(0)
	s_lshl_b64 s[4:5], s[8:9], 3
	s_add_u32 s0, s0, s4
	s_addc_u32 s1, s1, s5
	s_add_u32 s20, s2, s4
	s_addc_u32 s21, s3, s5
	s_lshl_b32 s4, s6, 9
	s_mov_b32 s5, 0
	s_lshr_b64 s[8:9], s[10:11], 9
	s_lshl_b64 s[2:3], s[4:5], 3
	s_add_u32 s0, s0, s2
	s_addc_u32 s1, s1, s3
	s_add_u32 s2, s20, s2
	s_mov_b32 s7, s5
	s_addc_u32 s3, s21, s3
	s_cmp_lg_u64 s[8:9], s[6:7]
	s_cbranch_scc0 .LBB837_6
; %bb.1:
	global_load_dword v1, v6, s[0:1]
	global_load_dword v2, v6, s[2:3]
	global_load_dword v7, v6, s[2:3] offset:2048
	global_load_dword v8, v6, s[0:1] offset:2048
	s_mov_b32 s5, 0x66666667
	v_mov_b32_e32 v4, 0
	v_mbcnt_hi_u32_b32 v3, -1, v5
	s_waitcnt vmcnt(3)
	v_mul_hi_i32 v1, v1, s5
	s_waitcnt vmcnt(2)
	v_mul_hi_i32 v2, v2, s5
	;; [unrolled: 2-line block ×4, first 2 shown]
	v_lshrrev_b32_e32 v11, 31, v1
	v_ashrrev_i32_e32 v1, 2, v1
	v_lshrrev_b32_e32 v12, 31, v2
	v_ashrrev_i32_e32 v2, 2, v2
	;; [unrolled: 2-line block ×4, first 2 shown]
	v_add_u32_e32 v1, v1, v11
	v_add_u32_e32 v2, v2, v12
	;; [unrolled: 1-line block ×4, first 2 shown]
	v_cmp_ne_u32_e32 vcc, v1, v2
	v_cndmask_b32_e64 v1, 0, 1, vcc
	v_cmp_ne_u32_e32 vcc, v8, v7
	v_addc_co_u32_e32 v1, vcc, 0, v1, vcc
	v_mov_b32_dpp v9, v4 quad_perm:[1,0,3,2] row_mask:0xf bank_mask:0xf bound_ctrl:1
	s_nop 0
	v_mov_b32_dpp v2, v1 quad_perm:[1,0,3,2] row_mask:0xf bank_mask:0xf bound_ctrl:1
	v_add_co_u32_e32 v1, vcc, v1, v2
	v_addc_co_u32_e64 v2, s[8:9], 0, 0, vcc
	v_add_co_u32_e32 v7, vcc, 0, v1
	v_addc_co_u32_e32 v2, vcc, v9, v2, vcc
	v_mov_b32_dpp v1, v1 quad_perm:[2,3,0,1] row_mask:0xf bank_mask:0xf bound_ctrl:1
	v_add_co_u32_e32 v1, vcc, v7, v1
	v_mov_b32_dpp v8, v2 quad_perm:[2,3,0,1] row_mask:0xf bank_mask:0xf bound_ctrl:1
	v_addc_co_u32_e32 v2, vcc, 0, v2, vcc
	v_add_co_u32_e32 v7, vcc, 0, v1
	v_addc_co_u32_e32 v2, vcc, v2, v8, vcc
	v_mov_b32_dpp v1, v1 row_ror:4 row_mask:0xf bank_mask:0xf bound_ctrl:1
	v_add_co_u32_e32 v1, vcc, v7, v1
	v_mov_b32_dpp v8, v2 row_ror:4 row_mask:0xf bank_mask:0xf bound_ctrl:1
	v_addc_co_u32_e32 v2, vcc, 0, v2, vcc
	v_add_co_u32_e32 v7, vcc, 0, v1
	v_addc_co_u32_e32 v2, vcc, v2, v8, vcc
	v_mov_b32_dpp v1, v1 row_ror:8 row_mask:0xf bank_mask:0xf bound_ctrl:1
	v_add_co_u32_e32 v1, vcc, v7, v1
	v_mov_b32_dpp v8, v2 row_ror:8 row_mask:0xf bank_mask:0xf bound_ctrl:1
	v_addc_co_u32_e32 v2, vcc, 0, v2, vcc
	v_add_co_u32_e32 v7, vcc, 0, v1
	v_addc_co_u32_e32 v2, vcc, v2, v8, vcc
	v_mov_b32_dpp v1, v1 row_bcast:15 row_mask:0xf bank_mask:0xf bound_ctrl:1
	v_add_co_u32_e32 v1, vcc, v7, v1
	v_mov_b32_dpp v8, v2 row_bcast:15 row_mask:0xf bank_mask:0xf bound_ctrl:1
	v_addc_co_u32_e32 v2, vcc, 0, v2, vcc
	v_add_co_u32_e32 v7, vcc, 0, v1
	v_addc_co_u32_e32 v2, vcc, v2, v8, vcc
	v_mov_b32_dpp v1, v1 row_bcast:31 row_mask:0xf bank_mask:0xf bound_ctrl:1
	v_add_co_u32_e32 v1, vcc, v7, v1
	v_lshlrev_b32_e32 v4, 2, v3
	v_addc_co_u32_e32 v7, vcc, 0, v2, vcc
	v_or_b32_e32 v10, 0xfc, v4
	s_nop 0
	v_add_u32_dpp v2, v2, v7 row_bcast:31 row_mask:0xf bank_mask:0xf bound_ctrl:1
	ds_bpermute_b32 v1, v10, v1
	ds_bpermute_b32 v2, v10, v2
	v_cmp_eq_u32_e32 vcc, 0, v3
	s_and_saveexec_b64 s[8:9], vcc
	s_cbranch_execz .LBB837_3
; %bb.2:
	v_lshrrev_b32_e32 v7, 3, v0
	v_and_b32_e32 v7, 24, v7
	s_waitcnt lgkmcnt(0)
	ds_write_b64 v7, v[1:2]
.LBB837_3:
	s_or_b64 exec, exec, s[8:9]
	v_cmp_gt_u32_e32 vcc, 64, v0
	s_waitcnt lgkmcnt(0)
	s_barrier
	s_and_saveexec_b64 s[8:9], vcc
	s_cbranch_execz .LBB837_5
; %bb.4:
	v_and_b32_e32 v7, 3, v3
	v_lshlrev_b32_e32 v1, 3, v7
	ds_read_b64 v[1:2], v1
	v_cmp_ne_u32_e32 vcc, 3, v7
	v_addc_co_u32_e32 v3, vcc, 0, v3, vcc
	v_lshlrev_b32_e32 v3, 2, v3
	s_waitcnt lgkmcnt(0)
	ds_bpermute_b32 v7, v3, v1
	ds_bpermute_b32 v3, v3, v2
	v_or_b32_e32 v4, 8, v4
	s_waitcnt lgkmcnt(1)
	v_add_co_u32_e32 v1, vcc, v1, v7
	v_addc_co_u32_e32 v2, vcc, 0, v2, vcc
	ds_bpermute_b32 v7, v4, v1
	v_add_co_u32_e32 v1, vcc, 0, v1
	s_waitcnt lgkmcnt(1)
	v_addc_co_u32_e32 v2, vcc, v3, v2, vcc
	ds_bpermute_b32 v3, v4, v2
	s_waitcnt lgkmcnt(1)
	v_add_co_u32_e32 v1, vcc, v1, v7
	v_addc_co_u32_e32 v2, vcc, 0, v2, vcc
	v_add_co_u32_e32 v1, vcc, 0, v1
	s_waitcnt lgkmcnt(0)
	v_addc_co_u32_e32 v2, vcc, v2, v3, vcc
.LBB837_5:
	s_or_b64 exec, exec, s[8:9]
	s_branch .LBB837_28
.LBB837_6:
                                        ; implicit-def: $vgpr1_vgpr2
	s_cbranch_execz .LBB837_28
; %bb.7:
	s_sub_i32 s8, s10, s4
	v_mov_b32_e32 v1, 0
	v_cmp_gt_u32_e32 vcc, s8, v0
	v_mov_b32_e32 v2, v1
	v_mov_b32_e32 v3, v1
	;; [unrolled: 1-line block ×3, first 2 shown]
	s_and_saveexec_b64 s[4:5], vcc
	s_cbranch_execz .LBB837_9
; %bb.8:
	global_load_dword v2, v6, s[0:1]
	global_load_dword v3, v6, s[2:3]
	s_mov_b32 s9, 0x66666667
	v_mov_b32_e32 v8, v1
	v_mov_b32_e32 v9, v1
	;; [unrolled: 1-line block ×3, first 2 shown]
	s_waitcnt vmcnt(1)
	v_mul_hi_i32 v2, v2, s9
	s_waitcnt vmcnt(0)
	v_mul_hi_i32 v3, v3, s9
	v_lshrrev_b32_e32 v4, 31, v2
	v_ashrrev_i32_e32 v2, 2, v2
	v_lshrrev_b32_e32 v7, 31, v3
	v_ashrrev_i32_e32 v3, 2, v3
	v_add_u32_e32 v2, v2, v4
	v_add_u32_e32 v3, v3, v7
	v_cmp_ne_u32_e32 vcc, v2, v3
	v_cndmask_b32_e64 v2, 0, 1, vcc
	v_and_b32_e32 v7, 0xffff, v2
	v_mov_b32_e32 v1, v7
	v_mov_b32_e32 v2, v8
	;; [unrolled: 1-line block ×4, first 2 shown]
.LBB837_9:
	s_or_b64 exec, exec, s[4:5]
	v_or_b32_e32 v7, 0x100, v0
	v_cmp_gt_u32_e32 vcc, s8, v7
	s_and_saveexec_b64 s[4:5], vcc
	s_cbranch_execz .LBB837_11
; %bb.10:
	global_load_dword v3, v6, s[0:1] offset:2048
	global_load_dword v4, v6, s[2:3] offset:2048
	s_mov_b32 s0, 0x66666667
	s_mov_b32 s2, 0
	s_waitcnt vmcnt(1)
	v_mul_hi_i32 v3, v3, s0
	s_waitcnt vmcnt(0)
	v_mul_hi_i32 v4, v4, s0
	v_lshrrev_b32_e32 v6, 31, v3
	v_ashrrev_i32_e32 v3, 2, v3
	v_lshrrev_b32_e32 v7, 31, v4
	v_ashrrev_i32_e32 v4, 2, v4
	v_add_u32_e32 v3, v3, v6
	v_add_u32_e32 v4, v4, v7
	v_cmp_ne_u32_e64 s[0:1], v3, v4
	v_cndmask_b32_e64 v3, 0, 1, s[0:1]
	v_mov_b32_e32 v4, s2
.LBB837_11:
	s_or_b64 exec, exec, s[4:5]
	v_cndmask_b32_e32 v3, 0, v3, vcc
	v_cndmask_b32_e32 v4, 0, v4, vcc
	v_add_co_u32_e32 v1, vcc, v3, v1
	v_mbcnt_hi_u32_b32 v3, -1, v5
	v_addc_co_u32_e32 v2, vcc, v4, v2, vcc
	v_and_b32_e32 v4, 63, v3
	v_cmp_ne_u32_e32 vcc, 63, v4
	v_addc_co_u32_e32 v6, vcc, 0, v3, vcc
	v_lshlrev_b32_e32 v6, 2, v6
	ds_bpermute_b32 v8, v6, v1
	ds_bpermute_b32 v7, v6, v2
	s_min_u32 s2, s8, 0x100
	v_and_b32_e32 v5, 0xc0, v0
	v_sub_u32_e64 v5, s2, v5 clamp
	v_add_u32_e32 v6, 1, v4
	v_cmp_lt_u32_e32 vcc, v6, v5
	v_mov_b32_e32 v6, v1
	s_and_saveexec_b64 s[0:1], vcc
	s_cbranch_execz .LBB837_13
; %bb.12:
	s_waitcnt lgkmcnt(1)
	v_add_co_u32_e32 v6, vcc, v1, v8
	v_addc_co_u32_e32 v2, vcc, 0, v2, vcc
	v_add_co_u32_e32 v1, vcc, 0, v6
	s_waitcnt lgkmcnt(0)
	v_addc_co_u32_e32 v2, vcc, v7, v2, vcc
.LBB837_13:
	s_or_b64 exec, exec, s[0:1]
	v_cmp_gt_u32_e32 vcc, 62, v4
	s_waitcnt lgkmcnt(0)
	v_cndmask_b32_e64 v7, 0, 2, vcc
	v_add_lshl_u32 v7, v7, v3, 2
	ds_bpermute_b32 v8, v7, v6
	ds_bpermute_b32 v7, v7, v2
	v_add_u32_e32 v9, 2, v4
	v_cmp_lt_u32_e32 vcc, v9, v5
	s_and_saveexec_b64 s[0:1], vcc
	s_cbranch_execz .LBB837_15
; %bb.14:
	s_waitcnt lgkmcnt(1)
	v_add_co_u32_e32 v6, vcc, v1, v8
	v_addc_co_u32_e32 v2, vcc, 0, v2, vcc
	v_add_co_u32_e32 v1, vcc, 0, v6
	s_waitcnt lgkmcnt(0)
	v_addc_co_u32_e32 v2, vcc, v7, v2, vcc
.LBB837_15:
	s_or_b64 exec, exec, s[0:1]
	v_cmp_gt_u32_e32 vcc, 60, v4
	s_waitcnt lgkmcnt(0)
	v_cndmask_b32_e64 v7, 0, 4, vcc
	v_add_lshl_u32 v7, v7, v3, 2
	ds_bpermute_b32 v8, v7, v6
	ds_bpermute_b32 v7, v7, v2
	v_add_u32_e32 v9, 4, v4
	v_cmp_lt_u32_e32 vcc, v9, v5
	;; [unrolled: 19-line block ×4, first 2 shown]
	s_and_saveexec_b64 s[0:1], vcc
	s_cbranch_execz .LBB837_21
; %bb.20:
	s_waitcnt lgkmcnt(1)
	v_add_co_u32_e32 v6, vcc, v1, v8
	v_addc_co_u32_e32 v2, vcc, 0, v2, vcc
	v_add_co_u32_e32 v1, vcc, 0, v6
	s_waitcnt lgkmcnt(0)
	v_addc_co_u32_e32 v2, vcc, v7, v2, vcc
.LBB837_21:
	s_or_b64 exec, exec, s[0:1]
	s_waitcnt lgkmcnt(0)
	v_lshlrev_b32_e32 v7, 2, v3
	v_or_b32_e32 v8, 0x80, v7
	ds_bpermute_b32 v6, v8, v6
	ds_bpermute_b32 v8, v8, v2
	v_add_u32_e32 v4, 32, v4
	s_waitcnt lgkmcnt(1)
	v_add_co_u32_e32 v6, vcc, v1, v6
	v_addc_co_u32_e32 v9, vcc, 0, v2, vcc
	v_add_co_u32_e32 v6, vcc, 0, v6
	s_waitcnt lgkmcnt(0)
	v_addc_co_u32_e32 v8, vcc, v9, v8, vcc
	v_cmp_lt_u32_e32 vcc, v4, v5
	v_cndmask_b32_e32 v2, v2, v8, vcc
	v_cndmask_b32_e32 v1, v1, v6, vcc
	v_cmp_eq_u32_e32 vcc, 0, v3
	s_and_saveexec_b64 s[0:1], vcc
; %bb.22:
	v_lshrrev_b32_e32 v4, 3, v0
	v_and_b32_e32 v4, 24, v4
	ds_write_b64 v4, v[1:2] offset:32
; %bb.23:
	s_or_b64 exec, exec, s[0:1]
	v_cmp_gt_u32_e32 vcc, 4, v0
	s_waitcnt lgkmcnt(0)
	s_barrier
	s_and_saveexec_b64 s[0:1], vcc
	s_cbranch_execz .LBB837_27
; %bb.24:
	v_lshlrev_b32_e32 v1, 3, v3
	ds_read_b64 v[1:2], v1 offset:32
	v_and_b32_e32 v4, 3, v3
	v_cmp_ne_u32_e32 vcc, 3, v4
	v_addc_co_u32_e32 v3, vcc, 0, v3, vcc
	v_lshlrev_b32_e32 v3, 2, v3
	s_waitcnt lgkmcnt(0)
	ds_bpermute_b32 v6, v3, v1
	ds_bpermute_b32 v5, v3, v2
	s_add_i32 s2, s2, 63
	s_lshr_b32 s4, s2, 6
	v_add_u32_e32 v3, 1, v4
	v_cmp_gt_u32_e32 vcc, s4, v3
	v_mov_b32_e32 v3, v1
	s_and_saveexec_b64 s[2:3], vcc
	s_cbranch_execz .LBB837_26
; %bb.25:
	s_waitcnt lgkmcnt(1)
	v_add_co_u32_e32 v3, vcc, v1, v6
	v_addc_co_u32_e32 v2, vcc, 0, v2, vcc
	v_add_co_u32_e32 v1, vcc, 0, v3
	s_waitcnt lgkmcnt(0)
	v_addc_co_u32_e32 v2, vcc, v5, v2, vcc
.LBB837_26:
	s_or_b64 exec, exec, s[2:3]
	s_waitcnt lgkmcnt(0)
	v_or_b32_e32 v5, 8, v7
	ds_bpermute_b32 v3, v5, v3
	ds_bpermute_b32 v5, v5, v2
	v_add_u32_e32 v4, 2, v4
	s_waitcnt lgkmcnt(1)
	v_add_co_u32_e32 v3, vcc, v1, v3
	v_addc_co_u32_e32 v6, vcc, 0, v2, vcc
	v_add_co_u32_e32 v3, vcc, 0, v3
	s_waitcnt lgkmcnt(0)
	v_addc_co_u32_e32 v5, vcc, v6, v5, vcc
	v_cmp_gt_u32_e32 vcc, s4, v4
	v_cndmask_b32_e32 v2, v2, v5, vcc
	v_cndmask_b32_e32 v1, v1, v3, vcc
.LBB837_27:
	s_or_b64 exec, exec, s[0:1]
.LBB837_28:
	v_cmp_eq_u32_e32 vcc, 0, v0
	s_and_saveexec_b64 s[0:1], vcc
	s_cbranch_execnz .LBB837_30
; %bb.29:
	s_endpgm
.LBB837_30:
	s_mul_i32 s0, s16, s15
	s_mul_hi_u32 s1, s16, s14
	s_add_i32 s0, s1, s0
	s_mul_i32 s1, s17, s14
	s_add_i32 s1, s0, s1
	s_mul_i32 s0, s16, s14
	s_lshl_b64 s[0:1], s[0:1], 3
	s_add_u32 s2, s12, s0
	s_addc_u32 s3, s13, s1
	s_cmp_eq_u64 s[10:11], 0
	v_mov_b32_e32 v0, s19
	s_cselect_b64 vcc, -1, 0
	s_lshl_b64 s[0:1], s[6:7], 3
	v_cndmask_b32_e32 v2, v2, v0, vcc
	v_mov_b32_e32 v0, s18
	s_add_u32 s0, s2, s0
	v_cndmask_b32_e32 v1, v1, v0, vcc
	s_addc_u32 s1, s3, s1
	v_mov_b32_e32 v0, 0
	global_store_dwordx2 v0, v[1:2], s[0:1]
	s_endpgm
	.section	.rodata,"a",@progbits
	.p2align	6, 0x0
	.amdhsa_kernel _ZN7rocprim17ROCPRIM_400000_NS6detail17trampoline_kernelINS0_14default_configENS1_22reduce_config_selectorIlEEZNS1_11reduce_implILb1ES3_N6thrust23THRUST_200600_302600_NS11hip_rocprim26transform_input_iterator_tIlNS8_12zip_iteratorINS8_5tupleINS8_6detail15normal_iteratorINS8_10device_ptrIyEEEESH_NS8_9null_typeESI_SI_SI_SI_SI_SI_SI_EEEENS9_21zip_adj_not_predicateI22is_equal_div_10_uniqueIyEEEEEPllNS8_4plusIlEEEE10hipError_tPvRmT1_T2_T3_mT4_P12ihipStream_tbEUlT_E0_NS1_11comp_targetILNS1_3genE2ELNS1_11target_archE906ELNS1_3gpuE6ELNS1_3repE0EEENS1_30default_config_static_selectorELNS0_4arch9wavefront6targetE1EEEvSW_
		.amdhsa_group_segment_fixed_size 64
		.amdhsa_private_segment_fixed_size 0
		.amdhsa_kernarg_size 80
		.amdhsa_user_sgpr_count 6
		.amdhsa_user_sgpr_private_segment_buffer 1
		.amdhsa_user_sgpr_dispatch_ptr 0
		.amdhsa_user_sgpr_queue_ptr 0
		.amdhsa_user_sgpr_kernarg_segment_ptr 1
		.amdhsa_user_sgpr_dispatch_id 0
		.amdhsa_user_sgpr_flat_scratch_init 0
		.amdhsa_user_sgpr_private_segment_size 0
		.amdhsa_uses_dynamic_stack 0
		.amdhsa_system_sgpr_private_segment_wavefront_offset 0
		.amdhsa_system_sgpr_workgroup_id_x 1
		.amdhsa_system_sgpr_workgroup_id_y 0
		.amdhsa_system_sgpr_workgroup_id_z 0
		.amdhsa_system_sgpr_workgroup_info 0
		.amdhsa_system_vgpr_workitem_id 0
		.amdhsa_next_free_vgpr 15
		.amdhsa_next_free_sgpr 22
		.amdhsa_reserve_vcc 1
		.amdhsa_reserve_flat_scratch 0
		.amdhsa_float_round_mode_32 0
		.amdhsa_float_round_mode_16_64 0
		.amdhsa_float_denorm_mode_32 3
		.amdhsa_float_denorm_mode_16_64 3
		.amdhsa_dx10_clamp 1
		.amdhsa_ieee_mode 1
		.amdhsa_fp16_overflow 0
		.amdhsa_exception_fp_ieee_invalid_op 0
		.amdhsa_exception_fp_denorm_src 0
		.amdhsa_exception_fp_ieee_div_zero 0
		.amdhsa_exception_fp_ieee_overflow 0
		.amdhsa_exception_fp_ieee_underflow 0
		.amdhsa_exception_fp_ieee_inexact 0
		.amdhsa_exception_int_div_zero 0
	.end_amdhsa_kernel
	.section	.text._ZN7rocprim17ROCPRIM_400000_NS6detail17trampoline_kernelINS0_14default_configENS1_22reduce_config_selectorIlEEZNS1_11reduce_implILb1ES3_N6thrust23THRUST_200600_302600_NS11hip_rocprim26transform_input_iterator_tIlNS8_12zip_iteratorINS8_5tupleINS8_6detail15normal_iteratorINS8_10device_ptrIyEEEESH_NS8_9null_typeESI_SI_SI_SI_SI_SI_SI_EEEENS9_21zip_adj_not_predicateI22is_equal_div_10_uniqueIyEEEEEPllNS8_4plusIlEEEE10hipError_tPvRmT1_T2_T3_mT4_P12ihipStream_tbEUlT_E0_NS1_11comp_targetILNS1_3genE2ELNS1_11target_archE906ELNS1_3gpuE6ELNS1_3repE0EEENS1_30default_config_static_selectorELNS0_4arch9wavefront6targetE1EEEvSW_,"axG",@progbits,_ZN7rocprim17ROCPRIM_400000_NS6detail17trampoline_kernelINS0_14default_configENS1_22reduce_config_selectorIlEEZNS1_11reduce_implILb1ES3_N6thrust23THRUST_200600_302600_NS11hip_rocprim26transform_input_iterator_tIlNS8_12zip_iteratorINS8_5tupleINS8_6detail15normal_iteratorINS8_10device_ptrIyEEEESH_NS8_9null_typeESI_SI_SI_SI_SI_SI_SI_EEEENS9_21zip_adj_not_predicateI22is_equal_div_10_uniqueIyEEEEEPllNS8_4plusIlEEEE10hipError_tPvRmT1_T2_T3_mT4_P12ihipStream_tbEUlT_E0_NS1_11comp_targetILNS1_3genE2ELNS1_11target_archE906ELNS1_3gpuE6ELNS1_3repE0EEENS1_30default_config_static_selectorELNS0_4arch9wavefront6targetE1EEEvSW_,comdat
.Lfunc_end837:
	.size	_ZN7rocprim17ROCPRIM_400000_NS6detail17trampoline_kernelINS0_14default_configENS1_22reduce_config_selectorIlEEZNS1_11reduce_implILb1ES3_N6thrust23THRUST_200600_302600_NS11hip_rocprim26transform_input_iterator_tIlNS8_12zip_iteratorINS8_5tupleINS8_6detail15normal_iteratorINS8_10device_ptrIyEEEESH_NS8_9null_typeESI_SI_SI_SI_SI_SI_SI_EEEENS9_21zip_adj_not_predicateI22is_equal_div_10_uniqueIyEEEEEPllNS8_4plusIlEEEE10hipError_tPvRmT1_T2_T3_mT4_P12ihipStream_tbEUlT_E0_NS1_11comp_targetILNS1_3genE2ELNS1_11target_archE906ELNS1_3gpuE6ELNS1_3repE0EEENS1_30default_config_static_selectorELNS0_4arch9wavefront6targetE1EEEvSW_, .Lfunc_end837-_ZN7rocprim17ROCPRIM_400000_NS6detail17trampoline_kernelINS0_14default_configENS1_22reduce_config_selectorIlEEZNS1_11reduce_implILb1ES3_N6thrust23THRUST_200600_302600_NS11hip_rocprim26transform_input_iterator_tIlNS8_12zip_iteratorINS8_5tupleINS8_6detail15normal_iteratorINS8_10device_ptrIyEEEESH_NS8_9null_typeESI_SI_SI_SI_SI_SI_SI_EEEENS9_21zip_adj_not_predicateI22is_equal_div_10_uniqueIyEEEEEPllNS8_4plusIlEEEE10hipError_tPvRmT1_T2_T3_mT4_P12ihipStream_tbEUlT_E0_NS1_11comp_targetILNS1_3genE2ELNS1_11target_archE906ELNS1_3gpuE6ELNS1_3repE0EEENS1_30default_config_static_selectorELNS0_4arch9wavefront6targetE1EEEvSW_
                                        ; -- End function
	.set _ZN7rocprim17ROCPRIM_400000_NS6detail17trampoline_kernelINS0_14default_configENS1_22reduce_config_selectorIlEEZNS1_11reduce_implILb1ES3_N6thrust23THRUST_200600_302600_NS11hip_rocprim26transform_input_iterator_tIlNS8_12zip_iteratorINS8_5tupleINS8_6detail15normal_iteratorINS8_10device_ptrIyEEEESH_NS8_9null_typeESI_SI_SI_SI_SI_SI_SI_EEEENS9_21zip_adj_not_predicateI22is_equal_div_10_uniqueIyEEEEEPllNS8_4plusIlEEEE10hipError_tPvRmT1_T2_T3_mT4_P12ihipStream_tbEUlT_E0_NS1_11comp_targetILNS1_3genE2ELNS1_11target_archE906ELNS1_3gpuE6ELNS1_3repE0EEENS1_30default_config_static_selectorELNS0_4arch9wavefront6targetE1EEEvSW_.num_vgpr, 15
	.set _ZN7rocprim17ROCPRIM_400000_NS6detail17trampoline_kernelINS0_14default_configENS1_22reduce_config_selectorIlEEZNS1_11reduce_implILb1ES3_N6thrust23THRUST_200600_302600_NS11hip_rocprim26transform_input_iterator_tIlNS8_12zip_iteratorINS8_5tupleINS8_6detail15normal_iteratorINS8_10device_ptrIyEEEESH_NS8_9null_typeESI_SI_SI_SI_SI_SI_SI_EEEENS9_21zip_adj_not_predicateI22is_equal_div_10_uniqueIyEEEEEPllNS8_4plusIlEEEE10hipError_tPvRmT1_T2_T3_mT4_P12ihipStream_tbEUlT_E0_NS1_11comp_targetILNS1_3genE2ELNS1_11target_archE906ELNS1_3gpuE6ELNS1_3repE0EEENS1_30default_config_static_selectorELNS0_4arch9wavefront6targetE1EEEvSW_.num_agpr, 0
	.set _ZN7rocprim17ROCPRIM_400000_NS6detail17trampoline_kernelINS0_14default_configENS1_22reduce_config_selectorIlEEZNS1_11reduce_implILb1ES3_N6thrust23THRUST_200600_302600_NS11hip_rocprim26transform_input_iterator_tIlNS8_12zip_iteratorINS8_5tupleINS8_6detail15normal_iteratorINS8_10device_ptrIyEEEESH_NS8_9null_typeESI_SI_SI_SI_SI_SI_SI_EEEENS9_21zip_adj_not_predicateI22is_equal_div_10_uniqueIyEEEEEPllNS8_4plusIlEEEE10hipError_tPvRmT1_T2_T3_mT4_P12ihipStream_tbEUlT_E0_NS1_11comp_targetILNS1_3genE2ELNS1_11target_archE906ELNS1_3gpuE6ELNS1_3repE0EEENS1_30default_config_static_selectorELNS0_4arch9wavefront6targetE1EEEvSW_.numbered_sgpr, 22
	.set _ZN7rocprim17ROCPRIM_400000_NS6detail17trampoline_kernelINS0_14default_configENS1_22reduce_config_selectorIlEEZNS1_11reduce_implILb1ES3_N6thrust23THRUST_200600_302600_NS11hip_rocprim26transform_input_iterator_tIlNS8_12zip_iteratorINS8_5tupleINS8_6detail15normal_iteratorINS8_10device_ptrIyEEEESH_NS8_9null_typeESI_SI_SI_SI_SI_SI_SI_EEEENS9_21zip_adj_not_predicateI22is_equal_div_10_uniqueIyEEEEEPllNS8_4plusIlEEEE10hipError_tPvRmT1_T2_T3_mT4_P12ihipStream_tbEUlT_E0_NS1_11comp_targetILNS1_3genE2ELNS1_11target_archE906ELNS1_3gpuE6ELNS1_3repE0EEENS1_30default_config_static_selectorELNS0_4arch9wavefront6targetE1EEEvSW_.num_named_barrier, 0
	.set _ZN7rocprim17ROCPRIM_400000_NS6detail17trampoline_kernelINS0_14default_configENS1_22reduce_config_selectorIlEEZNS1_11reduce_implILb1ES3_N6thrust23THRUST_200600_302600_NS11hip_rocprim26transform_input_iterator_tIlNS8_12zip_iteratorINS8_5tupleINS8_6detail15normal_iteratorINS8_10device_ptrIyEEEESH_NS8_9null_typeESI_SI_SI_SI_SI_SI_SI_EEEENS9_21zip_adj_not_predicateI22is_equal_div_10_uniqueIyEEEEEPllNS8_4plusIlEEEE10hipError_tPvRmT1_T2_T3_mT4_P12ihipStream_tbEUlT_E0_NS1_11comp_targetILNS1_3genE2ELNS1_11target_archE906ELNS1_3gpuE6ELNS1_3repE0EEENS1_30default_config_static_selectorELNS0_4arch9wavefront6targetE1EEEvSW_.private_seg_size, 0
	.set _ZN7rocprim17ROCPRIM_400000_NS6detail17trampoline_kernelINS0_14default_configENS1_22reduce_config_selectorIlEEZNS1_11reduce_implILb1ES3_N6thrust23THRUST_200600_302600_NS11hip_rocprim26transform_input_iterator_tIlNS8_12zip_iteratorINS8_5tupleINS8_6detail15normal_iteratorINS8_10device_ptrIyEEEESH_NS8_9null_typeESI_SI_SI_SI_SI_SI_SI_EEEENS9_21zip_adj_not_predicateI22is_equal_div_10_uniqueIyEEEEEPllNS8_4plusIlEEEE10hipError_tPvRmT1_T2_T3_mT4_P12ihipStream_tbEUlT_E0_NS1_11comp_targetILNS1_3genE2ELNS1_11target_archE906ELNS1_3gpuE6ELNS1_3repE0EEENS1_30default_config_static_selectorELNS0_4arch9wavefront6targetE1EEEvSW_.uses_vcc, 1
	.set _ZN7rocprim17ROCPRIM_400000_NS6detail17trampoline_kernelINS0_14default_configENS1_22reduce_config_selectorIlEEZNS1_11reduce_implILb1ES3_N6thrust23THRUST_200600_302600_NS11hip_rocprim26transform_input_iterator_tIlNS8_12zip_iteratorINS8_5tupleINS8_6detail15normal_iteratorINS8_10device_ptrIyEEEESH_NS8_9null_typeESI_SI_SI_SI_SI_SI_SI_EEEENS9_21zip_adj_not_predicateI22is_equal_div_10_uniqueIyEEEEEPllNS8_4plusIlEEEE10hipError_tPvRmT1_T2_T3_mT4_P12ihipStream_tbEUlT_E0_NS1_11comp_targetILNS1_3genE2ELNS1_11target_archE906ELNS1_3gpuE6ELNS1_3repE0EEENS1_30default_config_static_selectorELNS0_4arch9wavefront6targetE1EEEvSW_.uses_flat_scratch, 0
	.set _ZN7rocprim17ROCPRIM_400000_NS6detail17trampoline_kernelINS0_14default_configENS1_22reduce_config_selectorIlEEZNS1_11reduce_implILb1ES3_N6thrust23THRUST_200600_302600_NS11hip_rocprim26transform_input_iterator_tIlNS8_12zip_iteratorINS8_5tupleINS8_6detail15normal_iteratorINS8_10device_ptrIyEEEESH_NS8_9null_typeESI_SI_SI_SI_SI_SI_SI_EEEENS9_21zip_adj_not_predicateI22is_equal_div_10_uniqueIyEEEEEPllNS8_4plusIlEEEE10hipError_tPvRmT1_T2_T3_mT4_P12ihipStream_tbEUlT_E0_NS1_11comp_targetILNS1_3genE2ELNS1_11target_archE906ELNS1_3gpuE6ELNS1_3repE0EEENS1_30default_config_static_selectorELNS0_4arch9wavefront6targetE1EEEvSW_.has_dyn_sized_stack, 0
	.set _ZN7rocprim17ROCPRIM_400000_NS6detail17trampoline_kernelINS0_14default_configENS1_22reduce_config_selectorIlEEZNS1_11reduce_implILb1ES3_N6thrust23THRUST_200600_302600_NS11hip_rocprim26transform_input_iterator_tIlNS8_12zip_iteratorINS8_5tupleINS8_6detail15normal_iteratorINS8_10device_ptrIyEEEESH_NS8_9null_typeESI_SI_SI_SI_SI_SI_SI_EEEENS9_21zip_adj_not_predicateI22is_equal_div_10_uniqueIyEEEEEPllNS8_4plusIlEEEE10hipError_tPvRmT1_T2_T3_mT4_P12ihipStream_tbEUlT_E0_NS1_11comp_targetILNS1_3genE2ELNS1_11target_archE906ELNS1_3gpuE6ELNS1_3repE0EEENS1_30default_config_static_selectorELNS0_4arch9wavefront6targetE1EEEvSW_.has_recursion, 0
	.set _ZN7rocprim17ROCPRIM_400000_NS6detail17trampoline_kernelINS0_14default_configENS1_22reduce_config_selectorIlEEZNS1_11reduce_implILb1ES3_N6thrust23THRUST_200600_302600_NS11hip_rocprim26transform_input_iterator_tIlNS8_12zip_iteratorINS8_5tupleINS8_6detail15normal_iteratorINS8_10device_ptrIyEEEESH_NS8_9null_typeESI_SI_SI_SI_SI_SI_SI_EEEENS9_21zip_adj_not_predicateI22is_equal_div_10_uniqueIyEEEEEPllNS8_4plusIlEEEE10hipError_tPvRmT1_T2_T3_mT4_P12ihipStream_tbEUlT_E0_NS1_11comp_targetILNS1_3genE2ELNS1_11target_archE906ELNS1_3gpuE6ELNS1_3repE0EEENS1_30default_config_static_selectorELNS0_4arch9wavefront6targetE1EEEvSW_.has_indirect_call, 0
	.section	.AMDGPU.csdata,"",@progbits
; Kernel info:
; codeLenInByte = 1816
; TotalNumSgprs: 26
; NumVgprs: 15
; ScratchSize: 0
; MemoryBound: 0
; FloatMode: 240
; IeeeMode: 1
; LDSByteSize: 64 bytes/workgroup (compile time only)
; SGPRBlocks: 3
; VGPRBlocks: 3
; NumSGPRsForWavesPerEU: 26
; NumVGPRsForWavesPerEU: 15
; Occupancy: 10
; WaveLimiterHint : 0
; COMPUTE_PGM_RSRC2:SCRATCH_EN: 0
; COMPUTE_PGM_RSRC2:USER_SGPR: 6
; COMPUTE_PGM_RSRC2:TRAP_HANDLER: 0
; COMPUTE_PGM_RSRC2:TGID_X_EN: 1
; COMPUTE_PGM_RSRC2:TGID_Y_EN: 0
; COMPUTE_PGM_RSRC2:TGID_Z_EN: 0
; COMPUTE_PGM_RSRC2:TIDIG_COMP_CNT: 0
	.section	.text._ZN7rocprim17ROCPRIM_400000_NS6detail17trampoline_kernelINS0_14default_configENS1_22reduce_config_selectorIlEEZNS1_11reduce_implILb1ES3_N6thrust23THRUST_200600_302600_NS11hip_rocprim26transform_input_iterator_tIlNS8_12zip_iteratorINS8_5tupleINS8_6detail15normal_iteratorINS8_10device_ptrIyEEEESH_NS8_9null_typeESI_SI_SI_SI_SI_SI_SI_EEEENS9_21zip_adj_not_predicateI22is_equal_div_10_uniqueIyEEEEEPllNS8_4plusIlEEEE10hipError_tPvRmT1_T2_T3_mT4_P12ihipStream_tbEUlT_E0_NS1_11comp_targetILNS1_3genE10ELNS1_11target_archE1201ELNS1_3gpuE5ELNS1_3repE0EEENS1_30default_config_static_selectorELNS0_4arch9wavefront6targetE1EEEvSW_,"axG",@progbits,_ZN7rocprim17ROCPRIM_400000_NS6detail17trampoline_kernelINS0_14default_configENS1_22reduce_config_selectorIlEEZNS1_11reduce_implILb1ES3_N6thrust23THRUST_200600_302600_NS11hip_rocprim26transform_input_iterator_tIlNS8_12zip_iteratorINS8_5tupleINS8_6detail15normal_iteratorINS8_10device_ptrIyEEEESH_NS8_9null_typeESI_SI_SI_SI_SI_SI_SI_EEEENS9_21zip_adj_not_predicateI22is_equal_div_10_uniqueIyEEEEEPllNS8_4plusIlEEEE10hipError_tPvRmT1_T2_T3_mT4_P12ihipStream_tbEUlT_E0_NS1_11comp_targetILNS1_3genE10ELNS1_11target_archE1201ELNS1_3gpuE5ELNS1_3repE0EEENS1_30default_config_static_selectorELNS0_4arch9wavefront6targetE1EEEvSW_,comdat
	.protected	_ZN7rocprim17ROCPRIM_400000_NS6detail17trampoline_kernelINS0_14default_configENS1_22reduce_config_selectorIlEEZNS1_11reduce_implILb1ES3_N6thrust23THRUST_200600_302600_NS11hip_rocprim26transform_input_iterator_tIlNS8_12zip_iteratorINS8_5tupleINS8_6detail15normal_iteratorINS8_10device_ptrIyEEEESH_NS8_9null_typeESI_SI_SI_SI_SI_SI_SI_EEEENS9_21zip_adj_not_predicateI22is_equal_div_10_uniqueIyEEEEEPllNS8_4plusIlEEEE10hipError_tPvRmT1_T2_T3_mT4_P12ihipStream_tbEUlT_E0_NS1_11comp_targetILNS1_3genE10ELNS1_11target_archE1201ELNS1_3gpuE5ELNS1_3repE0EEENS1_30default_config_static_selectorELNS0_4arch9wavefront6targetE1EEEvSW_ ; -- Begin function _ZN7rocprim17ROCPRIM_400000_NS6detail17trampoline_kernelINS0_14default_configENS1_22reduce_config_selectorIlEEZNS1_11reduce_implILb1ES3_N6thrust23THRUST_200600_302600_NS11hip_rocprim26transform_input_iterator_tIlNS8_12zip_iteratorINS8_5tupleINS8_6detail15normal_iteratorINS8_10device_ptrIyEEEESH_NS8_9null_typeESI_SI_SI_SI_SI_SI_SI_EEEENS9_21zip_adj_not_predicateI22is_equal_div_10_uniqueIyEEEEEPllNS8_4plusIlEEEE10hipError_tPvRmT1_T2_T3_mT4_P12ihipStream_tbEUlT_E0_NS1_11comp_targetILNS1_3genE10ELNS1_11target_archE1201ELNS1_3gpuE5ELNS1_3repE0EEENS1_30default_config_static_selectorELNS0_4arch9wavefront6targetE1EEEvSW_
	.globl	_ZN7rocprim17ROCPRIM_400000_NS6detail17trampoline_kernelINS0_14default_configENS1_22reduce_config_selectorIlEEZNS1_11reduce_implILb1ES3_N6thrust23THRUST_200600_302600_NS11hip_rocprim26transform_input_iterator_tIlNS8_12zip_iteratorINS8_5tupleINS8_6detail15normal_iteratorINS8_10device_ptrIyEEEESH_NS8_9null_typeESI_SI_SI_SI_SI_SI_SI_EEEENS9_21zip_adj_not_predicateI22is_equal_div_10_uniqueIyEEEEEPllNS8_4plusIlEEEE10hipError_tPvRmT1_T2_T3_mT4_P12ihipStream_tbEUlT_E0_NS1_11comp_targetILNS1_3genE10ELNS1_11target_archE1201ELNS1_3gpuE5ELNS1_3repE0EEENS1_30default_config_static_selectorELNS0_4arch9wavefront6targetE1EEEvSW_
	.p2align	8
	.type	_ZN7rocprim17ROCPRIM_400000_NS6detail17trampoline_kernelINS0_14default_configENS1_22reduce_config_selectorIlEEZNS1_11reduce_implILb1ES3_N6thrust23THRUST_200600_302600_NS11hip_rocprim26transform_input_iterator_tIlNS8_12zip_iteratorINS8_5tupleINS8_6detail15normal_iteratorINS8_10device_ptrIyEEEESH_NS8_9null_typeESI_SI_SI_SI_SI_SI_SI_EEEENS9_21zip_adj_not_predicateI22is_equal_div_10_uniqueIyEEEEEPllNS8_4plusIlEEEE10hipError_tPvRmT1_T2_T3_mT4_P12ihipStream_tbEUlT_E0_NS1_11comp_targetILNS1_3genE10ELNS1_11target_archE1201ELNS1_3gpuE5ELNS1_3repE0EEENS1_30default_config_static_selectorELNS0_4arch9wavefront6targetE1EEEvSW_,@function
_ZN7rocprim17ROCPRIM_400000_NS6detail17trampoline_kernelINS0_14default_configENS1_22reduce_config_selectorIlEEZNS1_11reduce_implILb1ES3_N6thrust23THRUST_200600_302600_NS11hip_rocprim26transform_input_iterator_tIlNS8_12zip_iteratorINS8_5tupleINS8_6detail15normal_iteratorINS8_10device_ptrIyEEEESH_NS8_9null_typeESI_SI_SI_SI_SI_SI_SI_EEEENS9_21zip_adj_not_predicateI22is_equal_div_10_uniqueIyEEEEEPllNS8_4plusIlEEEE10hipError_tPvRmT1_T2_T3_mT4_P12ihipStream_tbEUlT_E0_NS1_11comp_targetILNS1_3genE10ELNS1_11target_archE1201ELNS1_3gpuE5ELNS1_3repE0EEENS1_30default_config_static_selectorELNS0_4arch9wavefront6targetE1EEEvSW_: ; @_ZN7rocprim17ROCPRIM_400000_NS6detail17trampoline_kernelINS0_14default_configENS1_22reduce_config_selectorIlEEZNS1_11reduce_implILb1ES3_N6thrust23THRUST_200600_302600_NS11hip_rocprim26transform_input_iterator_tIlNS8_12zip_iteratorINS8_5tupleINS8_6detail15normal_iteratorINS8_10device_ptrIyEEEESH_NS8_9null_typeESI_SI_SI_SI_SI_SI_SI_EEEENS9_21zip_adj_not_predicateI22is_equal_div_10_uniqueIyEEEEEPllNS8_4plusIlEEEE10hipError_tPvRmT1_T2_T3_mT4_P12ihipStream_tbEUlT_E0_NS1_11comp_targetILNS1_3genE10ELNS1_11target_archE1201ELNS1_3gpuE5ELNS1_3repE0EEENS1_30default_config_static_selectorELNS0_4arch9wavefront6targetE1EEEvSW_
; %bb.0:
	.section	.rodata,"a",@progbits
	.p2align	6, 0x0
	.amdhsa_kernel _ZN7rocprim17ROCPRIM_400000_NS6detail17trampoline_kernelINS0_14default_configENS1_22reduce_config_selectorIlEEZNS1_11reduce_implILb1ES3_N6thrust23THRUST_200600_302600_NS11hip_rocprim26transform_input_iterator_tIlNS8_12zip_iteratorINS8_5tupleINS8_6detail15normal_iteratorINS8_10device_ptrIyEEEESH_NS8_9null_typeESI_SI_SI_SI_SI_SI_SI_EEEENS9_21zip_adj_not_predicateI22is_equal_div_10_uniqueIyEEEEEPllNS8_4plusIlEEEE10hipError_tPvRmT1_T2_T3_mT4_P12ihipStream_tbEUlT_E0_NS1_11comp_targetILNS1_3genE10ELNS1_11target_archE1201ELNS1_3gpuE5ELNS1_3repE0EEENS1_30default_config_static_selectorELNS0_4arch9wavefront6targetE1EEEvSW_
		.amdhsa_group_segment_fixed_size 0
		.amdhsa_private_segment_fixed_size 0
		.amdhsa_kernarg_size 80
		.amdhsa_user_sgpr_count 6
		.amdhsa_user_sgpr_private_segment_buffer 1
		.amdhsa_user_sgpr_dispatch_ptr 0
		.amdhsa_user_sgpr_queue_ptr 0
		.amdhsa_user_sgpr_kernarg_segment_ptr 1
		.amdhsa_user_sgpr_dispatch_id 0
		.amdhsa_user_sgpr_flat_scratch_init 0
		.amdhsa_user_sgpr_private_segment_size 0
		.amdhsa_uses_dynamic_stack 0
		.amdhsa_system_sgpr_private_segment_wavefront_offset 0
		.amdhsa_system_sgpr_workgroup_id_x 1
		.amdhsa_system_sgpr_workgroup_id_y 0
		.amdhsa_system_sgpr_workgroup_id_z 0
		.amdhsa_system_sgpr_workgroup_info 0
		.amdhsa_system_vgpr_workitem_id 0
		.amdhsa_next_free_vgpr 1
		.amdhsa_next_free_sgpr 0
		.amdhsa_reserve_vcc 0
		.amdhsa_reserve_flat_scratch 0
		.amdhsa_float_round_mode_32 0
		.amdhsa_float_round_mode_16_64 0
		.amdhsa_float_denorm_mode_32 3
		.amdhsa_float_denorm_mode_16_64 3
		.amdhsa_dx10_clamp 1
		.amdhsa_ieee_mode 1
		.amdhsa_fp16_overflow 0
		.amdhsa_exception_fp_ieee_invalid_op 0
		.amdhsa_exception_fp_denorm_src 0
		.amdhsa_exception_fp_ieee_div_zero 0
		.amdhsa_exception_fp_ieee_overflow 0
		.amdhsa_exception_fp_ieee_underflow 0
		.amdhsa_exception_fp_ieee_inexact 0
		.amdhsa_exception_int_div_zero 0
	.end_amdhsa_kernel
	.section	.text._ZN7rocprim17ROCPRIM_400000_NS6detail17trampoline_kernelINS0_14default_configENS1_22reduce_config_selectorIlEEZNS1_11reduce_implILb1ES3_N6thrust23THRUST_200600_302600_NS11hip_rocprim26transform_input_iterator_tIlNS8_12zip_iteratorINS8_5tupleINS8_6detail15normal_iteratorINS8_10device_ptrIyEEEESH_NS8_9null_typeESI_SI_SI_SI_SI_SI_SI_EEEENS9_21zip_adj_not_predicateI22is_equal_div_10_uniqueIyEEEEEPllNS8_4plusIlEEEE10hipError_tPvRmT1_T2_T3_mT4_P12ihipStream_tbEUlT_E0_NS1_11comp_targetILNS1_3genE10ELNS1_11target_archE1201ELNS1_3gpuE5ELNS1_3repE0EEENS1_30default_config_static_selectorELNS0_4arch9wavefront6targetE1EEEvSW_,"axG",@progbits,_ZN7rocprim17ROCPRIM_400000_NS6detail17trampoline_kernelINS0_14default_configENS1_22reduce_config_selectorIlEEZNS1_11reduce_implILb1ES3_N6thrust23THRUST_200600_302600_NS11hip_rocprim26transform_input_iterator_tIlNS8_12zip_iteratorINS8_5tupleINS8_6detail15normal_iteratorINS8_10device_ptrIyEEEESH_NS8_9null_typeESI_SI_SI_SI_SI_SI_SI_EEEENS9_21zip_adj_not_predicateI22is_equal_div_10_uniqueIyEEEEEPllNS8_4plusIlEEEE10hipError_tPvRmT1_T2_T3_mT4_P12ihipStream_tbEUlT_E0_NS1_11comp_targetILNS1_3genE10ELNS1_11target_archE1201ELNS1_3gpuE5ELNS1_3repE0EEENS1_30default_config_static_selectorELNS0_4arch9wavefront6targetE1EEEvSW_,comdat
.Lfunc_end838:
	.size	_ZN7rocprim17ROCPRIM_400000_NS6detail17trampoline_kernelINS0_14default_configENS1_22reduce_config_selectorIlEEZNS1_11reduce_implILb1ES3_N6thrust23THRUST_200600_302600_NS11hip_rocprim26transform_input_iterator_tIlNS8_12zip_iteratorINS8_5tupleINS8_6detail15normal_iteratorINS8_10device_ptrIyEEEESH_NS8_9null_typeESI_SI_SI_SI_SI_SI_SI_EEEENS9_21zip_adj_not_predicateI22is_equal_div_10_uniqueIyEEEEEPllNS8_4plusIlEEEE10hipError_tPvRmT1_T2_T3_mT4_P12ihipStream_tbEUlT_E0_NS1_11comp_targetILNS1_3genE10ELNS1_11target_archE1201ELNS1_3gpuE5ELNS1_3repE0EEENS1_30default_config_static_selectorELNS0_4arch9wavefront6targetE1EEEvSW_, .Lfunc_end838-_ZN7rocprim17ROCPRIM_400000_NS6detail17trampoline_kernelINS0_14default_configENS1_22reduce_config_selectorIlEEZNS1_11reduce_implILb1ES3_N6thrust23THRUST_200600_302600_NS11hip_rocprim26transform_input_iterator_tIlNS8_12zip_iteratorINS8_5tupleINS8_6detail15normal_iteratorINS8_10device_ptrIyEEEESH_NS8_9null_typeESI_SI_SI_SI_SI_SI_SI_EEEENS9_21zip_adj_not_predicateI22is_equal_div_10_uniqueIyEEEEEPllNS8_4plusIlEEEE10hipError_tPvRmT1_T2_T3_mT4_P12ihipStream_tbEUlT_E0_NS1_11comp_targetILNS1_3genE10ELNS1_11target_archE1201ELNS1_3gpuE5ELNS1_3repE0EEENS1_30default_config_static_selectorELNS0_4arch9wavefront6targetE1EEEvSW_
                                        ; -- End function
	.set _ZN7rocprim17ROCPRIM_400000_NS6detail17trampoline_kernelINS0_14default_configENS1_22reduce_config_selectorIlEEZNS1_11reduce_implILb1ES3_N6thrust23THRUST_200600_302600_NS11hip_rocprim26transform_input_iterator_tIlNS8_12zip_iteratorINS8_5tupleINS8_6detail15normal_iteratorINS8_10device_ptrIyEEEESH_NS8_9null_typeESI_SI_SI_SI_SI_SI_SI_EEEENS9_21zip_adj_not_predicateI22is_equal_div_10_uniqueIyEEEEEPllNS8_4plusIlEEEE10hipError_tPvRmT1_T2_T3_mT4_P12ihipStream_tbEUlT_E0_NS1_11comp_targetILNS1_3genE10ELNS1_11target_archE1201ELNS1_3gpuE5ELNS1_3repE0EEENS1_30default_config_static_selectorELNS0_4arch9wavefront6targetE1EEEvSW_.num_vgpr, 0
	.set _ZN7rocprim17ROCPRIM_400000_NS6detail17trampoline_kernelINS0_14default_configENS1_22reduce_config_selectorIlEEZNS1_11reduce_implILb1ES3_N6thrust23THRUST_200600_302600_NS11hip_rocprim26transform_input_iterator_tIlNS8_12zip_iteratorINS8_5tupleINS8_6detail15normal_iteratorINS8_10device_ptrIyEEEESH_NS8_9null_typeESI_SI_SI_SI_SI_SI_SI_EEEENS9_21zip_adj_not_predicateI22is_equal_div_10_uniqueIyEEEEEPllNS8_4plusIlEEEE10hipError_tPvRmT1_T2_T3_mT4_P12ihipStream_tbEUlT_E0_NS1_11comp_targetILNS1_3genE10ELNS1_11target_archE1201ELNS1_3gpuE5ELNS1_3repE0EEENS1_30default_config_static_selectorELNS0_4arch9wavefront6targetE1EEEvSW_.num_agpr, 0
	.set _ZN7rocprim17ROCPRIM_400000_NS6detail17trampoline_kernelINS0_14default_configENS1_22reduce_config_selectorIlEEZNS1_11reduce_implILb1ES3_N6thrust23THRUST_200600_302600_NS11hip_rocprim26transform_input_iterator_tIlNS8_12zip_iteratorINS8_5tupleINS8_6detail15normal_iteratorINS8_10device_ptrIyEEEESH_NS8_9null_typeESI_SI_SI_SI_SI_SI_SI_EEEENS9_21zip_adj_not_predicateI22is_equal_div_10_uniqueIyEEEEEPllNS8_4plusIlEEEE10hipError_tPvRmT1_T2_T3_mT4_P12ihipStream_tbEUlT_E0_NS1_11comp_targetILNS1_3genE10ELNS1_11target_archE1201ELNS1_3gpuE5ELNS1_3repE0EEENS1_30default_config_static_selectorELNS0_4arch9wavefront6targetE1EEEvSW_.numbered_sgpr, 0
	.set _ZN7rocprim17ROCPRIM_400000_NS6detail17trampoline_kernelINS0_14default_configENS1_22reduce_config_selectorIlEEZNS1_11reduce_implILb1ES3_N6thrust23THRUST_200600_302600_NS11hip_rocprim26transform_input_iterator_tIlNS8_12zip_iteratorINS8_5tupleINS8_6detail15normal_iteratorINS8_10device_ptrIyEEEESH_NS8_9null_typeESI_SI_SI_SI_SI_SI_SI_EEEENS9_21zip_adj_not_predicateI22is_equal_div_10_uniqueIyEEEEEPllNS8_4plusIlEEEE10hipError_tPvRmT1_T2_T3_mT4_P12ihipStream_tbEUlT_E0_NS1_11comp_targetILNS1_3genE10ELNS1_11target_archE1201ELNS1_3gpuE5ELNS1_3repE0EEENS1_30default_config_static_selectorELNS0_4arch9wavefront6targetE1EEEvSW_.num_named_barrier, 0
	.set _ZN7rocprim17ROCPRIM_400000_NS6detail17trampoline_kernelINS0_14default_configENS1_22reduce_config_selectorIlEEZNS1_11reduce_implILb1ES3_N6thrust23THRUST_200600_302600_NS11hip_rocprim26transform_input_iterator_tIlNS8_12zip_iteratorINS8_5tupleINS8_6detail15normal_iteratorINS8_10device_ptrIyEEEESH_NS8_9null_typeESI_SI_SI_SI_SI_SI_SI_EEEENS9_21zip_adj_not_predicateI22is_equal_div_10_uniqueIyEEEEEPllNS8_4plusIlEEEE10hipError_tPvRmT1_T2_T3_mT4_P12ihipStream_tbEUlT_E0_NS1_11comp_targetILNS1_3genE10ELNS1_11target_archE1201ELNS1_3gpuE5ELNS1_3repE0EEENS1_30default_config_static_selectorELNS0_4arch9wavefront6targetE1EEEvSW_.private_seg_size, 0
	.set _ZN7rocprim17ROCPRIM_400000_NS6detail17trampoline_kernelINS0_14default_configENS1_22reduce_config_selectorIlEEZNS1_11reduce_implILb1ES3_N6thrust23THRUST_200600_302600_NS11hip_rocprim26transform_input_iterator_tIlNS8_12zip_iteratorINS8_5tupleINS8_6detail15normal_iteratorINS8_10device_ptrIyEEEESH_NS8_9null_typeESI_SI_SI_SI_SI_SI_SI_EEEENS9_21zip_adj_not_predicateI22is_equal_div_10_uniqueIyEEEEEPllNS8_4plusIlEEEE10hipError_tPvRmT1_T2_T3_mT4_P12ihipStream_tbEUlT_E0_NS1_11comp_targetILNS1_3genE10ELNS1_11target_archE1201ELNS1_3gpuE5ELNS1_3repE0EEENS1_30default_config_static_selectorELNS0_4arch9wavefront6targetE1EEEvSW_.uses_vcc, 0
	.set _ZN7rocprim17ROCPRIM_400000_NS6detail17trampoline_kernelINS0_14default_configENS1_22reduce_config_selectorIlEEZNS1_11reduce_implILb1ES3_N6thrust23THRUST_200600_302600_NS11hip_rocprim26transform_input_iterator_tIlNS8_12zip_iteratorINS8_5tupleINS8_6detail15normal_iteratorINS8_10device_ptrIyEEEESH_NS8_9null_typeESI_SI_SI_SI_SI_SI_SI_EEEENS9_21zip_adj_not_predicateI22is_equal_div_10_uniqueIyEEEEEPllNS8_4plusIlEEEE10hipError_tPvRmT1_T2_T3_mT4_P12ihipStream_tbEUlT_E0_NS1_11comp_targetILNS1_3genE10ELNS1_11target_archE1201ELNS1_3gpuE5ELNS1_3repE0EEENS1_30default_config_static_selectorELNS0_4arch9wavefront6targetE1EEEvSW_.uses_flat_scratch, 0
	.set _ZN7rocprim17ROCPRIM_400000_NS6detail17trampoline_kernelINS0_14default_configENS1_22reduce_config_selectorIlEEZNS1_11reduce_implILb1ES3_N6thrust23THRUST_200600_302600_NS11hip_rocprim26transform_input_iterator_tIlNS8_12zip_iteratorINS8_5tupleINS8_6detail15normal_iteratorINS8_10device_ptrIyEEEESH_NS8_9null_typeESI_SI_SI_SI_SI_SI_SI_EEEENS9_21zip_adj_not_predicateI22is_equal_div_10_uniqueIyEEEEEPllNS8_4plusIlEEEE10hipError_tPvRmT1_T2_T3_mT4_P12ihipStream_tbEUlT_E0_NS1_11comp_targetILNS1_3genE10ELNS1_11target_archE1201ELNS1_3gpuE5ELNS1_3repE0EEENS1_30default_config_static_selectorELNS0_4arch9wavefront6targetE1EEEvSW_.has_dyn_sized_stack, 0
	.set _ZN7rocprim17ROCPRIM_400000_NS6detail17trampoline_kernelINS0_14default_configENS1_22reduce_config_selectorIlEEZNS1_11reduce_implILb1ES3_N6thrust23THRUST_200600_302600_NS11hip_rocprim26transform_input_iterator_tIlNS8_12zip_iteratorINS8_5tupleINS8_6detail15normal_iteratorINS8_10device_ptrIyEEEESH_NS8_9null_typeESI_SI_SI_SI_SI_SI_SI_EEEENS9_21zip_adj_not_predicateI22is_equal_div_10_uniqueIyEEEEEPllNS8_4plusIlEEEE10hipError_tPvRmT1_T2_T3_mT4_P12ihipStream_tbEUlT_E0_NS1_11comp_targetILNS1_3genE10ELNS1_11target_archE1201ELNS1_3gpuE5ELNS1_3repE0EEENS1_30default_config_static_selectorELNS0_4arch9wavefront6targetE1EEEvSW_.has_recursion, 0
	.set _ZN7rocprim17ROCPRIM_400000_NS6detail17trampoline_kernelINS0_14default_configENS1_22reduce_config_selectorIlEEZNS1_11reduce_implILb1ES3_N6thrust23THRUST_200600_302600_NS11hip_rocprim26transform_input_iterator_tIlNS8_12zip_iteratorINS8_5tupleINS8_6detail15normal_iteratorINS8_10device_ptrIyEEEESH_NS8_9null_typeESI_SI_SI_SI_SI_SI_SI_EEEENS9_21zip_adj_not_predicateI22is_equal_div_10_uniqueIyEEEEEPllNS8_4plusIlEEEE10hipError_tPvRmT1_T2_T3_mT4_P12ihipStream_tbEUlT_E0_NS1_11comp_targetILNS1_3genE10ELNS1_11target_archE1201ELNS1_3gpuE5ELNS1_3repE0EEENS1_30default_config_static_selectorELNS0_4arch9wavefront6targetE1EEEvSW_.has_indirect_call, 0
	.section	.AMDGPU.csdata,"",@progbits
; Kernel info:
; codeLenInByte = 0
; TotalNumSgprs: 4
; NumVgprs: 0
; ScratchSize: 0
; MemoryBound: 0
; FloatMode: 240
; IeeeMode: 1
; LDSByteSize: 0 bytes/workgroup (compile time only)
; SGPRBlocks: 0
; VGPRBlocks: 0
; NumSGPRsForWavesPerEU: 4
; NumVGPRsForWavesPerEU: 1
; Occupancy: 10
; WaveLimiterHint : 0
; COMPUTE_PGM_RSRC2:SCRATCH_EN: 0
; COMPUTE_PGM_RSRC2:USER_SGPR: 6
; COMPUTE_PGM_RSRC2:TRAP_HANDLER: 0
; COMPUTE_PGM_RSRC2:TGID_X_EN: 1
; COMPUTE_PGM_RSRC2:TGID_Y_EN: 0
; COMPUTE_PGM_RSRC2:TGID_Z_EN: 0
; COMPUTE_PGM_RSRC2:TIDIG_COMP_CNT: 0
	.section	.text._ZN7rocprim17ROCPRIM_400000_NS6detail17trampoline_kernelINS0_14default_configENS1_22reduce_config_selectorIlEEZNS1_11reduce_implILb1ES3_N6thrust23THRUST_200600_302600_NS11hip_rocprim26transform_input_iterator_tIlNS8_12zip_iteratorINS8_5tupleINS8_6detail15normal_iteratorINS8_10device_ptrIyEEEESH_NS8_9null_typeESI_SI_SI_SI_SI_SI_SI_EEEENS9_21zip_adj_not_predicateI22is_equal_div_10_uniqueIyEEEEEPllNS8_4plusIlEEEE10hipError_tPvRmT1_T2_T3_mT4_P12ihipStream_tbEUlT_E0_NS1_11comp_targetILNS1_3genE10ELNS1_11target_archE1200ELNS1_3gpuE4ELNS1_3repE0EEENS1_30default_config_static_selectorELNS0_4arch9wavefront6targetE1EEEvSW_,"axG",@progbits,_ZN7rocprim17ROCPRIM_400000_NS6detail17trampoline_kernelINS0_14default_configENS1_22reduce_config_selectorIlEEZNS1_11reduce_implILb1ES3_N6thrust23THRUST_200600_302600_NS11hip_rocprim26transform_input_iterator_tIlNS8_12zip_iteratorINS8_5tupleINS8_6detail15normal_iteratorINS8_10device_ptrIyEEEESH_NS8_9null_typeESI_SI_SI_SI_SI_SI_SI_EEEENS9_21zip_adj_not_predicateI22is_equal_div_10_uniqueIyEEEEEPllNS8_4plusIlEEEE10hipError_tPvRmT1_T2_T3_mT4_P12ihipStream_tbEUlT_E0_NS1_11comp_targetILNS1_3genE10ELNS1_11target_archE1200ELNS1_3gpuE4ELNS1_3repE0EEENS1_30default_config_static_selectorELNS0_4arch9wavefront6targetE1EEEvSW_,comdat
	.protected	_ZN7rocprim17ROCPRIM_400000_NS6detail17trampoline_kernelINS0_14default_configENS1_22reduce_config_selectorIlEEZNS1_11reduce_implILb1ES3_N6thrust23THRUST_200600_302600_NS11hip_rocprim26transform_input_iterator_tIlNS8_12zip_iteratorINS8_5tupleINS8_6detail15normal_iteratorINS8_10device_ptrIyEEEESH_NS8_9null_typeESI_SI_SI_SI_SI_SI_SI_EEEENS9_21zip_adj_not_predicateI22is_equal_div_10_uniqueIyEEEEEPllNS8_4plusIlEEEE10hipError_tPvRmT1_T2_T3_mT4_P12ihipStream_tbEUlT_E0_NS1_11comp_targetILNS1_3genE10ELNS1_11target_archE1200ELNS1_3gpuE4ELNS1_3repE0EEENS1_30default_config_static_selectorELNS0_4arch9wavefront6targetE1EEEvSW_ ; -- Begin function _ZN7rocprim17ROCPRIM_400000_NS6detail17trampoline_kernelINS0_14default_configENS1_22reduce_config_selectorIlEEZNS1_11reduce_implILb1ES3_N6thrust23THRUST_200600_302600_NS11hip_rocprim26transform_input_iterator_tIlNS8_12zip_iteratorINS8_5tupleINS8_6detail15normal_iteratorINS8_10device_ptrIyEEEESH_NS8_9null_typeESI_SI_SI_SI_SI_SI_SI_EEEENS9_21zip_adj_not_predicateI22is_equal_div_10_uniqueIyEEEEEPllNS8_4plusIlEEEE10hipError_tPvRmT1_T2_T3_mT4_P12ihipStream_tbEUlT_E0_NS1_11comp_targetILNS1_3genE10ELNS1_11target_archE1200ELNS1_3gpuE4ELNS1_3repE0EEENS1_30default_config_static_selectorELNS0_4arch9wavefront6targetE1EEEvSW_
	.globl	_ZN7rocprim17ROCPRIM_400000_NS6detail17trampoline_kernelINS0_14default_configENS1_22reduce_config_selectorIlEEZNS1_11reduce_implILb1ES3_N6thrust23THRUST_200600_302600_NS11hip_rocprim26transform_input_iterator_tIlNS8_12zip_iteratorINS8_5tupleINS8_6detail15normal_iteratorINS8_10device_ptrIyEEEESH_NS8_9null_typeESI_SI_SI_SI_SI_SI_SI_EEEENS9_21zip_adj_not_predicateI22is_equal_div_10_uniqueIyEEEEEPllNS8_4plusIlEEEE10hipError_tPvRmT1_T2_T3_mT4_P12ihipStream_tbEUlT_E0_NS1_11comp_targetILNS1_3genE10ELNS1_11target_archE1200ELNS1_3gpuE4ELNS1_3repE0EEENS1_30default_config_static_selectorELNS0_4arch9wavefront6targetE1EEEvSW_
	.p2align	8
	.type	_ZN7rocprim17ROCPRIM_400000_NS6detail17trampoline_kernelINS0_14default_configENS1_22reduce_config_selectorIlEEZNS1_11reduce_implILb1ES3_N6thrust23THRUST_200600_302600_NS11hip_rocprim26transform_input_iterator_tIlNS8_12zip_iteratorINS8_5tupleINS8_6detail15normal_iteratorINS8_10device_ptrIyEEEESH_NS8_9null_typeESI_SI_SI_SI_SI_SI_SI_EEEENS9_21zip_adj_not_predicateI22is_equal_div_10_uniqueIyEEEEEPllNS8_4plusIlEEEE10hipError_tPvRmT1_T2_T3_mT4_P12ihipStream_tbEUlT_E0_NS1_11comp_targetILNS1_3genE10ELNS1_11target_archE1200ELNS1_3gpuE4ELNS1_3repE0EEENS1_30default_config_static_selectorELNS0_4arch9wavefront6targetE1EEEvSW_,@function
_ZN7rocprim17ROCPRIM_400000_NS6detail17trampoline_kernelINS0_14default_configENS1_22reduce_config_selectorIlEEZNS1_11reduce_implILb1ES3_N6thrust23THRUST_200600_302600_NS11hip_rocprim26transform_input_iterator_tIlNS8_12zip_iteratorINS8_5tupleINS8_6detail15normal_iteratorINS8_10device_ptrIyEEEESH_NS8_9null_typeESI_SI_SI_SI_SI_SI_SI_EEEENS9_21zip_adj_not_predicateI22is_equal_div_10_uniqueIyEEEEEPllNS8_4plusIlEEEE10hipError_tPvRmT1_T2_T3_mT4_P12ihipStream_tbEUlT_E0_NS1_11comp_targetILNS1_3genE10ELNS1_11target_archE1200ELNS1_3gpuE4ELNS1_3repE0EEENS1_30default_config_static_selectorELNS0_4arch9wavefront6targetE1EEEvSW_: ; @_ZN7rocprim17ROCPRIM_400000_NS6detail17trampoline_kernelINS0_14default_configENS1_22reduce_config_selectorIlEEZNS1_11reduce_implILb1ES3_N6thrust23THRUST_200600_302600_NS11hip_rocprim26transform_input_iterator_tIlNS8_12zip_iteratorINS8_5tupleINS8_6detail15normal_iteratorINS8_10device_ptrIyEEEESH_NS8_9null_typeESI_SI_SI_SI_SI_SI_SI_EEEENS9_21zip_adj_not_predicateI22is_equal_div_10_uniqueIyEEEEEPllNS8_4plusIlEEEE10hipError_tPvRmT1_T2_T3_mT4_P12ihipStream_tbEUlT_E0_NS1_11comp_targetILNS1_3genE10ELNS1_11target_archE1200ELNS1_3gpuE4ELNS1_3repE0EEENS1_30default_config_static_selectorELNS0_4arch9wavefront6targetE1EEEvSW_
; %bb.0:
	.section	.rodata,"a",@progbits
	.p2align	6, 0x0
	.amdhsa_kernel _ZN7rocprim17ROCPRIM_400000_NS6detail17trampoline_kernelINS0_14default_configENS1_22reduce_config_selectorIlEEZNS1_11reduce_implILb1ES3_N6thrust23THRUST_200600_302600_NS11hip_rocprim26transform_input_iterator_tIlNS8_12zip_iteratorINS8_5tupleINS8_6detail15normal_iteratorINS8_10device_ptrIyEEEESH_NS8_9null_typeESI_SI_SI_SI_SI_SI_SI_EEEENS9_21zip_adj_not_predicateI22is_equal_div_10_uniqueIyEEEEEPllNS8_4plusIlEEEE10hipError_tPvRmT1_T2_T3_mT4_P12ihipStream_tbEUlT_E0_NS1_11comp_targetILNS1_3genE10ELNS1_11target_archE1200ELNS1_3gpuE4ELNS1_3repE0EEENS1_30default_config_static_selectorELNS0_4arch9wavefront6targetE1EEEvSW_
		.amdhsa_group_segment_fixed_size 0
		.amdhsa_private_segment_fixed_size 0
		.amdhsa_kernarg_size 80
		.amdhsa_user_sgpr_count 6
		.amdhsa_user_sgpr_private_segment_buffer 1
		.amdhsa_user_sgpr_dispatch_ptr 0
		.amdhsa_user_sgpr_queue_ptr 0
		.amdhsa_user_sgpr_kernarg_segment_ptr 1
		.amdhsa_user_sgpr_dispatch_id 0
		.amdhsa_user_sgpr_flat_scratch_init 0
		.amdhsa_user_sgpr_private_segment_size 0
		.amdhsa_uses_dynamic_stack 0
		.amdhsa_system_sgpr_private_segment_wavefront_offset 0
		.amdhsa_system_sgpr_workgroup_id_x 1
		.amdhsa_system_sgpr_workgroup_id_y 0
		.amdhsa_system_sgpr_workgroup_id_z 0
		.amdhsa_system_sgpr_workgroup_info 0
		.amdhsa_system_vgpr_workitem_id 0
		.amdhsa_next_free_vgpr 1
		.amdhsa_next_free_sgpr 0
		.amdhsa_reserve_vcc 0
		.amdhsa_reserve_flat_scratch 0
		.amdhsa_float_round_mode_32 0
		.amdhsa_float_round_mode_16_64 0
		.amdhsa_float_denorm_mode_32 3
		.amdhsa_float_denorm_mode_16_64 3
		.amdhsa_dx10_clamp 1
		.amdhsa_ieee_mode 1
		.amdhsa_fp16_overflow 0
		.amdhsa_exception_fp_ieee_invalid_op 0
		.amdhsa_exception_fp_denorm_src 0
		.amdhsa_exception_fp_ieee_div_zero 0
		.amdhsa_exception_fp_ieee_overflow 0
		.amdhsa_exception_fp_ieee_underflow 0
		.amdhsa_exception_fp_ieee_inexact 0
		.amdhsa_exception_int_div_zero 0
	.end_amdhsa_kernel
	.section	.text._ZN7rocprim17ROCPRIM_400000_NS6detail17trampoline_kernelINS0_14default_configENS1_22reduce_config_selectorIlEEZNS1_11reduce_implILb1ES3_N6thrust23THRUST_200600_302600_NS11hip_rocprim26transform_input_iterator_tIlNS8_12zip_iteratorINS8_5tupleINS8_6detail15normal_iteratorINS8_10device_ptrIyEEEESH_NS8_9null_typeESI_SI_SI_SI_SI_SI_SI_EEEENS9_21zip_adj_not_predicateI22is_equal_div_10_uniqueIyEEEEEPllNS8_4plusIlEEEE10hipError_tPvRmT1_T2_T3_mT4_P12ihipStream_tbEUlT_E0_NS1_11comp_targetILNS1_3genE10ELNS1_11target_archE1200ELNS1_3gpuE4ELNS1_3repE0EEENS1_30default_config_static_selectorELNS0_4arch9wavefront6targetE1EEEvSW_,"axG",@progbits,_ZN7rocprim17ROCPRIM_400000_NS6detail17trampoline_kernelINS0_14default_configENS1_22reduce_config_selectorIlEEZNS1_11reduce_implILb1ES3_N6thrust23THRUST_200600_302600_NS11hip_rocprim26transform_input_iterator_tIlNS8_12zip_iteratorINS8_5tupleINS8_6detail15normal_iteratorINS8_10device_ptrIyEEEESH_NS8_9null_typeESI_SI_SI_SI_SI_SI_SI_EEEENS9_21zip_adj_not_predicateI22is_equal_div_10_uniqueIyEEEEEPllNS8_4plusIlEEEE10hipError_tPvRmT1_T2_T3_mT4_P12ihipStream_tbEUlT_E0_NS1_11comp_targetILNS1_3genE10ELNS1_11target_archE1200ELNS1_3gpuE4ELNS1_3repE0EEENS1_30default_config_static_selectorELNS0_4arch9wavefront6targetE1EEEvSW_,comdat
.Lfunc_end839:
	.size	_ZN7rocprim17ROCPRIM_400000_NS6detail17trampoline_kernelINS0_14default_configENS1_22reduce_config_selectorIlEEZNS1_11reduce_implILb1ES3_N6thrust23THRUST_200600_302600_NS11hip_rocprim26transform_input_iterator_tIlNS8_12zip_iteratorINS8_5tupleINS8_6detail15normal_iteratorINS8_10device_ptrIyEEEESH_NS8_9null_typeESI_SI_SI_SI_SI_SI_SI_EEEENS9_21zip_adj_not_predicateI22is_equal_div_10_uniqueIyEEEEEPllNS8_4plusIlEEEE10hipError_tPvRmT1_T2_T3_mT4_P12ihipStream_tbEUlT_E0_NS1_11comp_targetILNS1_3genE10ELNS1_11target_archE1200ELNS1_3gpuE4ELNS1_3repE0EEENS1_30default_config_static_selectorELNS0_4arch9wavefront6targetE1EEEvSW_, .Lfunc_end839-_ZN7rocprim17ROCPRIM_400000_NS6detail17trampoline_kernelINS0_14default_configENS1_22reduce_config_selectorIlEEZNS1_11reduce_implILb1ES3_N6thrust23THRUST_200600_302600_NS11hip_rocprim26transform_input_iterator_tIlNS8_12zip_iteratorINS8_5tupleINS8_6detail15normal_iteratorINS8_10device_ptrIyEEEESH_NS8_9null_typeESI_SI_SI_SI_SI_SI_SI_EEEENS9_21zip_adj_not_predicateI22is_equal_div_10_uniqueIyEEEEEPllNS8_4plusIlEEEE10hipError_tPvRmT1_T2_T3_mT4_P12ihipStream_tbEUlT_E0_NS1_11comp_targetILNS1_3genE10ELNS1_11target_archE1200ELNS1_3gpuE4ELNS1_3repE0EEENS1_30default_config_static_selectorELNS0_4arch9wavefront6targetE1EEEvSW_
                                        ; -- End function
	.set _ZN7rocprim17ROCPRIM_400000_NS6detail17trampoline_kernelINS0_14default_configENS1_22reduce_config_selectorIlEEZNS1_11reduce_implILb1ES3_N6thrust23THRUST_200600_302600_NS11hip_rocprim26transform_input_iterator_tIlNS8_12zip_iteratorINS8_5tupleINS8_6detail15normal_iteratorINS8_10device_ptrIyEEEESH_NS8_9null_typeESI_SI_SI_SI_SI_SI_SI_EEEENS9_21zip_adj_not_predicateI22is_equal_div_10_uniqueIyEEEEEPllNS8_4plusIlEEEE10hipError_tPvRmT1_T2_T3_mT4_P12ihipStream_tbEUlT_E0_NS1_11comp_targetILNS1_3genE10ELNS1_11target_archE1200ELNS1_3gpuE4ELNS1_3repE0EEENS1_30default_config_static_selectorELNS0_4arch9wavefront6targetE1EEEvSW_.num_vgpr, 0
	.set _ZN7rocprim17ROCPRIM_400000_NS6detail17trampoline_kernelINS0_14default_configENS1_22reduce_config_selectorIlEEZNS1_11reduce_implILb1ES3_N6thrust23THRUST_200600_302600_NS11hip_rocprim26transform_input_iterator_tIlNS8_12zip_iteratorINS8_5tupleINS8_6detail15normal_iteratorINS8_10device_ptrIyEEEESH_NS8_9null_typeESI_SI_SI_SI_SI_SI_SI_EEEENS9_21zip_adj_not_predicateI22is_equal_div_10_uniqueIyEEEEEPllNS8_4plusIlEEEE10hipError_tPvRmT1_T2_T3_mT4_P12ihipStream_tbEUlT_E0_NS1_11comp_targetILNS1_3genE10ELNS1_11target_archE1200ELNS1_3gpuE4ELNS1_3repE0EEENS1_30default_config_static_selectorELNS0_4arch9wavefront6targetE1EEEvSW_.num_agpr, 0
	.set _ZN7rocprim17ROCPRIM_400000_NS6detail17trampoline_kernelINS0_14default_configENS1_22reduce_config_selectorIlEEZNS1_11reduce_implILb1ES3_N6thrust23THRUST_200600_302600_NS11hip_rocprim26transform_input_iterator_tIlNS8_12zip_iteratorINS8_5tupleINS8_6detail15normal_iteratorINS8_10device_ptrIyEEEESH_NS8_9null_typeESI_SI_SI_SI_SI_SI_SI_EEEENS9_21zip_adj_not_predicateI22is_equal_div_10_uniqueIyEEEEEPllNS8_4plusIlEEEE10hipError_tPvRmT1_T2_T3_mT4_P12ihipStream_tbEUlT_E0_NS1_11comp_targetILNS1_3genE10ELNS1_11target_archE1200ELNS1_3gpuE4ELNS1_3repE0EEENS1_30default_config_static_selectorELNS0_4arch9wavefront6targetE1EEEvSW_.numbered_sgpr, 0
	.set _ZN7rocprim17ROCPRIM_400000_NS6detail17trampoline_kernelINS0_14default_configENS1_22reduce_config_selectorIlEEZNS1_11reduce_implILb1ES3_N6thrust23THRUST_200600_302600_NS11hip_rocprim26transform_input_iterator_tIlNS8_12zip_iteratorINS8_5tupleINS8_6detail15normal_iteratorINS8_10device_ptrIyEEEESH_NS8_9null_typeESI_SI_SI_SI_SI_SI_SI_EEEENS9_21zip_adj_not_predicateI22is_equal_div_10_uniqueIyEEEEEPllNS8_4plusIlEEEE10hipError_tPvRmT1_T2_T3_mT4_P12ihipStream_tbEUlT_E0_NS1_11comp_targetILNS1_3genE10ELNS1_11target_archE1200ELNS1_3gpuE4ELNS1_3repE0EEENS1_30default_config_static_selectorELNS0_4arch9wavefront6targetE1EEEvSW_.num_named_barrier, 0
	.set _ZN7rocprim17ROCPRIM_400000_NS6detail17trampoline_kernelINS0_14default_configENS1_22reduce_config_selectorIlEEZNS1_11reduce_implILb1ES3_N6thrust23THRUST_200600_302600_NS11hip_rocprim26transform_input_iterator_tIlNS8_12zip_iteratorINS8_5tupleINS8_6detail15normal_iteratorINS8_10device_ptrIyEEEESH_NS8_9null_typeESI_SI_SI_SI_SI_SI_SI_EEEENS9_21zip_adj_not_predicateI22is_equal_div_10_uniqueIyEEEEEPllNS8_4plusIlEEEE10hipError_tPvRmT1_T2_T3_mT4_P12ihipStream_tbEUlT_E0_NS1_11comp_targetILNS1_3genE10ELNS1_11target_archE1200ELNS1_3gpuE4ELNS1_3repE0EEENS1_30default_config_static_selectorELNS0_4arch9wavefront6targetE1EEEvSW_.private_seg_size, 0
	.set _ZN7rocprim17ROCPRIM_400000_NS6detail17trampoline_kernelINS0_14default_configENS1_22reduce_config_selectorIlEEZNS1_11reduce_implILb1ES3_N6thrust23THRUST_200600_302600_NS11hip_rocprim26transform_input_iterator_tIlNS8_12zip_iteratorINS8_5tupleINS8_6detail15normal_iteratorINS8_10device_ptrIyEEEESH_NS8_9null_typeESI_SI_SI_SI_SI_SI_SI_EEEENS9_21zip_adj_not_predicateI22is_equal_div_10_uniqueIyEEEEEPllNS8_4plusIlEEEE10hipError_tPvRmT1_T2_T3_mT4_P12ihipStream_tbEUlT_E0_NS1_11comp_targetILNS1_3genE10ELNS1_11target_archE1200ELNS1_3gpuE4ELNS1_3repE0EEENS1_30default_config_static_selectorELNS0_4arch9wavefront6targetE1EEEvSW_.uses_vcc, 0
	.set _ZN7rocprim17ROCPRIM_400000_NS6detail17trampoline_kernelINS0_14default_configENS1_22reduce_config_selectorIlEEZNS1_11reduce_implILb1ES3_N6thrust23THRUST_200600_302600_NS11hip_rocprim26transform_input_iterator_tIlNS8_12zip_iteratorINS8_5tupleINS8_6detail15normal_iteratorINS8_10device_ptrIyEEEESH_NS8_9null_typeESI_SI_SI_SI_SI_SI_SI_EEEENS9_21zip_adj_not_predicateI22is_equal_div_10_uniqueIyEEEEEPllNS8_4plusIlEEEE10hipError_tPvRmT1_T2_T3_mT4_P12ihipStream_tbEUlT_E0_NS1_11comp_targetILNS1_3genE10ELNS1_11target_archE1200ELNS1_3gpuE4ELNS1_3repE0EEENS1_30default_config_static_selectorELNS0_4arch9wavefront6targetE1EEEvSW_.uses_flat_scratch, 0
	.set _ZN7rocprim17ROCPRIM_400000_NS6detail17trampoline_kernelINS0_14default_configENS1_22reduce_config_selectorIlEEZNS1_11reduce_implILb1ES3_N6thrust23THRUST_200600_302600_NS11hip_rocprim26transform_input_iterator_tIlNS8_12zip_iteratorINS8_5tupleINS8_6detail15normal_iteratorINS8_10device_ptrIyEEEESH_NS8_9null_typeESI_SI_SI_SI_SI_SI_SI_EEEENS9_21zip_adj_not_predicateI22is_equal_div_10_uniqueIyEEEEEPllNS8_4plusIlEEEE10hipError_tPvRmT1_T2_T3_mT4_P12ihipStream_tbEUlT_E0_NS1_11comp_targetILNS1_3genE10ELNS1_11target_archE1200ELNS1_3gpuE4ELNS1_3repE0EEENS1_30default_config_static_selectorELNS0_4arch9wavefront6targetE1EEEvSW_.has_dyn_sized_stack, 0
	.set _ZN7rocprim17ROCPRIM_400000_NS6detail17trampoline_kernelINS0_14default_configENS1_22reduce_config_selectorIlEEZNS1_11reduce_implILb1ES3_N6thrust23THRUST_200600_302600_NS11hip_rocprim26transform_input_iterator_tIlNS8_12zip_iteratorINS8_5tupleINS8_6detail15normal_iteratorINS8_10device_ptrIyEEEESH_NS8_9null_typeESI_SI_SI_SI_SI_SI_SI_EEEENS9_21zip_adj_not_predicateI22is_equal_div_10_uniqueIyEEEEEPllNS8_4plusIlEEEE10hipError_tPvRmT1_T2_T3_mT4_P12ihipStream_tbEUlT_E0_NS1_11comp_targetILNS1_3genE10ELNS1_11target_archE1200ELNS1_3gpuE4ELNS1_3repE0EEENS1_30default_config_static_selectorELNS0_4arch9wavefront6targetE1EEEvSW_.has_recursion, 0
	.set _ZN7rocprim17ROCPRIM_400000_NS6detail17trampoline_kernelINS0_14default_configENS1_22reduce_config_selectorIlEEZNS1_11reduce_implILb1ES3_N6thrust23THRUST_200600_302600_NS11hip_rocprim26transform_input_iterator_tIlNS8_12zip_iteratorINS8_5tupleINS8_6detail15normal_iteratorINS8_10device_ptrIyEEEESH_NS8_9null_typeESI_SI_SI_SI_SI_SI_SI_EEEENS9_21zip_adj_not_predicateI22is_equal_div_10_uniqueIyEEEEEPllNS8_4plusIlEEEE10hipError_tPvRmT1_T2_T3_mT4_P12ihipStream_tbEUlT_E0_NS1_11comp_targetILNS1_3genE10ELNS1_11target_archE1200ELNS1_3gpuE4ELNS1_3repE0EEENS1_30default_config_static_selectorELNS0_4arch9wavefront6targetE1EEEvSW_.has_indirect_call, 0
	.section	.AMDGPU.csdata,"",@progbits
; Kernel info:
; codeLenInByte = 0
; TotalNumSgprs: 4
; NumVgprs: 0
; ScratchSize: 0
; MemoryBound: 0
; FloatMode: 240
; IeeeMode: 1
; LDSByteSize: 0 bytes/workgroup (compile time only)
; SGPRBlocks: 0
; VGPRBlocks: 0
; NumSGPRsForWavesPerEU: 4
; NumVGPRsForWavesPerEU: 1
; Occupancy: 10
; WaveLimiterHint : 0
; COMPUTE_PGM_RSRC2:SCRATCH_EN: 0
; COMPUTE_PGM_RSRC2:USER_SGPR: 6
; COMPUTE_PGM_RSRC2:TRAP_HANDLER: 0
; COMPUTE_PGM_RSRC2:TGID_X_EN: 1
; COMPUTE_PGM_RSRC2:TGID_Y_EN: 0
; COMPUTE_PGM_RSRC2:TGID_Z_EN: 0
; COMPUTE_PGM_RSRC2:TIDIG_COMP_CNT: 0
	.section	.text._ZN7rocprim17ROCPRIM_400000_NS6detail17trampoline_kernelINS0_14default_configENS1_22reduce_config_selectorIlEEZNS1_11reduce_implILb1ES3_N6thrust23THRUST_200600_302600_NS11hip_rocprim26transform_input_iterator_tIlNS8_12zip_iteratorINS8_5tupleINS8_6detail15normal_iteratorINS8_10device_ptrIyEEEESH_NS8_9null_typeESI_SI_SI_SI_SI_SI_SI_EEEENS9_21zip_adj_not_predicateI22is_equal_div_10_uniqueIyEEEEEPllNS8_4plusIlEEEE10hipError_tPvRmT1_T2_T3_mT4_P12ihipStream_tbEUlT_E0_NS1_11comp_targetILNS1_3genE9ELNS1_11target_archE1100ELNS1_3gpuE3ELNS1_3repE0EEENS1_30default_config_static_selectorELNS0_4arch9wavefront6targetE1EEEvSW_,"axG",@progbits,_ZN7rocprim17ROCPRIM_400000_NS6detail17trampoline_kernelINS0_14default_configENS1_22reduce_config_selectorIlEEZNS1_11reduce_implILb1ES3_N6thrust23THRUST_200600_302600_NS11hip_rocprim26transform_input_iterator_tIlNS8_12zip_iteratorINS8_5tupleINS8_6detail15normal_iteratorINS8_10device_ptrIyEEEESH_NS8_9null_typeESI_SI_SI_SI_SI_SI_SI_EEEENS9_21zip_adj_not_predicateI22is_equal_div_10_uniqueIyEEEEEPllNS8_4plusIlEEEE10hipError_tPvRmT1_T2_T3_mT4_P12ihipStream_tbEUlT_E0_NS1_11comp_targetILNS1_3genE9ELNS1_11target_archE1100ELNS1_3gpuE3ELNS1_3repE0EEENS1_30default_config_static_selectorELNS0_4arch9wavefront6targetE1EEEvSW_,comdat
	.protected	_ZN7rocprim17ROCPRIM_400000_NS6detail17trampoline_kernelINS0_14default_configENS1_22reduce_config_selectorIlEEZNS1_11reduce_implILb1ES3_N6thrust23THRUST_200600_302600_NS11hip_rocprim26transform_input_iterator_tIlNS8_12zip_iteratorINS8_5tupleINS8_6detail15normal_iteratorINS8_10device_ptrIyEEEESH_NS8_9null_typeESI_SI_SI_SI_SI_SI_SI_EEEENS9_21zip_adj_not_predicateI22is_equal_div_10_uniqueIyEEEEEPllNS8_4plusIlEEEE10hipError_tPvRmT1_T2_T3_mT4_P12ihipStream_tbEUlT_E0_NS1_11comp_targetILNS1_3genE9ELNS1_11target_archE1100ELNS1_3gpuE3ELNS1_3repE0EEENS1_30default_config_static_selectorELNS0_4arch9wavefront6targetE1EEEvSW_ ; -- Begin function _ZN7rocprim17ROCPRIM_400000_NS6detail17trampoline_kernelINS0_14default_configENS1_22reduce_config_selectorIlEEZNS1_11reduce_implILb1ES3_N6thrust23THRUST_200600_302600_NS11hip_rocprim26transform_input_iterator_tIlNS8_12zip_iteratorINS8_5tupleINS8_6detail15normal_iteratorINS8_10device_ptrIyEEEESH_NS8_9null_typeESI_SI_SI_SI_SI_SI_SI_EEEENS9_21zip_adj_not_predicateI22is_equal_div_10_uniqueIyEEEEEPllNS8_4plusIlEEEE10hipError_tPvRmT1_T2_T3_mT4_P12ihipStream_tbEUlT_E0_NS1_11comp_targetILNS1_3genE9ELNS1_11target_archE1100ELNS1_3gpuE3ELNS1_3repE0EEENS1_30default_config_static_selectorELNS0_4arch9wavefront6targetE1EEEvSW_
	.globl	_ZN7rocprim17ROCPRIM_400000_NS6detail17trampoline_kernelINS0_14default_configENS1_22reduce_config_selectorIlEEZNS1_11reduce_implILb1ES3_N6thrust23THRUST_200600_302600_NS11hip_rocprim26transform_input_iterator_tIlNS8_12zip_iteratorINS8_5tupleINS8_6detail15normal_iteratorINS8_10device_ptrIyEEEESH_NS8_9null_typeESI_SI_SI_SI_SI_SI_SI_EEEENS9_21zip_adj_not_predicateI22is_equal_div_10_uniqueIyEEEEEPllNS8_4plusIlEEEE10hipError_tPvRmT1_T2_T3_mT4_P12ihipStream_tbEUlT_E0_NS1_11comp_targetILNS1_3genE9ELNS1_11target_archE1100ELNS1_3gpuE3ELNS1_3repE0EEENS1_30default_config_static_selectorELNS0_4arch9wavefront6targetE1EEEvSW_
	.p2align	8
	.type	_ZN7rocprim17ROCPRIM_400000_NS6detail17trampoline_kernelINS0_14default_configENS1_22reduce_config_selectorIlEEZNS1_11reduce_implILb1ES3_N6thrust23THRUST_200600_302600_NS11hip_rocprim26transform_input_iterator_tIlNS8_12zip_iteratorINS8_5tupleINS8_6detail15normal_iteratorINS8_10device_ptrIyEEEESH_NS8_9null_typeESI_SI_SI_SI_SI_SI_SI_EEEENS9_21zip_adj_not_predicateI22is_equal_div_10_uniqueIyEEEEEPllNS8_4plusIlEEEE10hipError_tPvRmT1_T2_T3_mT4_P12ihipStream_tbEUlT_E0_NS1_11comp_targetILNS1_3genE9ELNS1_11target_archE1100ELNS1_3gpuE3ELNS1_3repE0EEENS1_30default_config_static_selectorELNS0_4arch9wavefront6targetE1EEEvSW_,@function
_ZN7rocprim17ROCPRIM_400000_NS6detail17trampoline_kernelINS0_14default_configENS1_22reduce_config_selectorIlEEZNS1_11reduce_implILb1ES3_N6thrust23THRUST_200600_302600_NS11hip_rocprim26transform_input_iterator_tIlNS8_12zip_iteratorINS8_5tupleINS8_6detail15normal_iteratorINS8_10device_ptrIyEEEESH_NS8_9null_typeESI_SI_SI_SI_SI_SI_SI_EEEENS9_21zip_adj_not_predicateI22is_equal_div_10_uniqueIyEEEEEPllNS8_4plusIlEEEE10hipError_tPvRmT1_T2_T3_mT4_P12ihipStream_tbEUlT_E0_NS1_11comp_targetILNS1_3genE9ELNS1_11target_archE1100ELNS1_3gpuE3ELNS1_3repE0EEENS1_30default_config_static_selectorELNS0_4arch9wavefront6targetE1EEEvSW_: ; @_ZN7rocprim17ROCPRIM_400000_NS6detail17trampoline_kernelINS0_14default_configENS1_22reduce_config_selectorIlEEZNS1_11reduce_implILb1ES3_N6thrust23THRUST_200600_302600_NS11hip_rocprim26transform_input_iterator_tIlNS8_12zip_iteratorINS8_5tupleINS8_6detail15normal_iteratorINS8_10device_ptrIyEEEESH_NS8_9null_typeESI_SI_SI_SI_SI_SI_SI_EEEENS9_21zip_adj_not_predicateI22is_equal_div_10_uniqueIyEEEEEPllNS8_4plusIlEEEE10hipError_tPvRmT1_T2_T3_mT4_P12ihipStream_tbEUlT_E0_NS1_11comp_targetILNS1_3genE9ELNS1_11target_archE1100ELNS1_3gpuE3ELNS1_3repE0EEENS1_30default_config_static_selectorELNS0_4arch9wavefront6targetE1EEEvSW_
; %bb.0:
	.section	.rodata,"a",@progbits
	.p2align	6, 0x0
	.amdhsa_kernel _ZN7rocprim17ROCPRIM_400000_NS6detail17trampoline_kernelINS0_14default_configENS1_22reduce_config_selectorIlEEZNS1_11reduce_implILb1ES3_N6thrust23THRUST_200600_302600_NS11hip_rocprim26transform_input_iterator_tIlNS8_12zip_iteratorINS8_5tupleINS8_6detail15normal_iteratorINS8_10device_ptrIyEEEESH_NS8_9null_typeESI_SI_SI_SI_SI_SI_SI_EEEENS9_21zip_adj_not_predicateI22is_equal_div_10_uniqueIyEEEEEPllNS8_4plusIlEEEE10hipError_tPvRmT1_T2_T3_mT4_P12ihipStream_tbEUlT_E0_NS1_11comp_targetILNS1_3genE9ELNS1_11target_archE1100ELNS1_3gpuE3ELNS1_3repE0EEENS1_30default_config_static_selectorELNS0_4arch9wavefront6targetE1EEEvSW_
		.amdhsa_group_segment_fixed_size 0
		.amdhsa_private_segment_fixed_size 0
		.amdhsa_kernarg_size 80
		.amdhsa_user_sgpr_count 6
		.amdhsa_user_sgpr_private_segment_buffer 1
		.amdhsa_user_sgpr_dispatch_ptr 0
		.amdhsa_user_sgpr_queue_ptr 0
		.amdhsa_user_sgpr_kernarg_segment_ptr 1
		.amdhsa_user_sgpr_dispatch_id 0
		.amdhsa_user_sgpr_flat_scratch_init 0
		.amdhsa_user_sgpr_private_segment_size 0
		.amdhsa_uses_dynamic_stack 0
		.amdhsa_system_sgpr_private_segment_wavefront_offset 0
		.amdhsa_system_sgpr_workgroup_id_x 1
		.amdhsa_system_sgpr_workgroup_id_y 0
		.amdhsa_system_sgpr_workgroup_id_z 0
		.amdhsa_system_sgpr_workgroup_info 0
		.amdhsa_system_vgpr_workitem_id 0
		.amdhsa_next_free_vgpr 1
		.amdhsa_next_free_sgpr 0
		.amdhsa_reserve_vcc 0
		.amdhsa_reserve_flat_scratch 0
		.amdhsa_float_round_mode_32 0
		.amdhsa_float_round_mode_16_64 0
		.amdhsa_float_denorm_mode_32 3
		.amdhsa_float_denorm_mode_16_64 3
		.amdhsa_dx10_clamp 1
		.amdhsa_ieee_mode 1
		.amdhsa_fp16_overflow 0
		.amdhsa_exception_fp_ieee_invalid_op 0
		.amdhsa_exception_fp_denorm_src 0
		.amdhsa_exception_fp_ieee_div_zero 0
		.amdhsa_exception_fp_ieee_overflow 0
		.amdhsa_exception_fp_ieee_underflow 0
		.amdhsa_exception_fp_ieee_inexact 0
		.amdhsa_exception_int_div_zero 0
	.end_amdhsa_kernel
	.section	.text._ZN7rocprim17ROCPRIM_400000_NS6detail17trampoline_kernelINS0_14default_configENS1_22reduce_config_selectorIlEEZNS1_11reduce_implILb1ES3_N6thrust23THRUST_200600_302600_NS11hip_rocprim26transform_input_iterator_tIlNS8_12zip_iteratorINS8_5tupleINS8_6detail15normal_iteratorINS8_10device_ptrIyEEEESH_NS8_9null_typeESI_SI_SI_SI_SI_SI_SI_EEEENS9_21zip_adj_not_predicateI22is_equal_div_10_uniqueIyEEEEEPllNS8_4plusIlEEEE10hipError_tPvRmT1_T2_T3_mT4_P12ihipStream_tbEUlT_E0_NS1_11comp_targetILNS1_3genE9ELNS1_11target_archE1100ELNS1_3gpuE3ELNS1_3repE0EEENS1_30default_config_static_selectorELNS0_4arch9wavefront6targetE1EEEvSW_,"axG",@progbits,_ZN7rocprim17ROCPRIM_400000_NS6detail17trampoline_kernelINS0_14default_configENS1_22reduce_config_selectorIlEEZNS1_11reduce_implILb1ES3_N6thrust23THRUST_200600_302600_NS11hip_rocprim26transform_input_iterator_tIlNS8_12zip_iteratorINS8_5tupleINS8_6detail15normal_iteratorINS8_10device_ptrIyEEEESH_NS8_9null_typeESI_SI_SI_SI_SI_SI_SI_EEEENS9_21zip_adj_not_predicateI22is_equal_div_10_uniqueIyEEEEEPllNS8_4plusIlEEEE10hipError_tPvRmT1_T2_T3_mT4_P12ihipStream_tbEUlT_E0_NS1_11comp_targetILNS1_3genE9ELNS1_11target_archE1100ELNS1_3gpuE3ELNS1_3repE0EEENS1_30default_config_static_selectorELNS0_4arch9wavefront6targetE1EEEvSW_,comdat
.Lfunc_end840:
	.size	_ZN7rocprim17ROCPRIM_400000_NS6detail17trampoline_kernelINS0_14default_configENS1_22reduce_config_selectorIlEEZNS1_11reduce_implILb1ES3_N6thrust23THRUST_200600_302600_NS11hip_rocprim26transform_input_iterator_tIlNS8_12zip_iteratorINS8_5tupleINS8_6detail15normal_iteratorINS8_10device_ptrIyEEEESH_NS8_9null_typeESI_SI_SI_SI_SI_SI_SI_EEEENS9_21zip_adj_not_predicateI22is_equal_div_10_uniqueIyEEEEEPllNS8_4plusIlEEEE10hipError_tPvRmT1_T2_T3_mT4_P12ihipStream_tbEUlT_E0_NS1_11comp_targetILNS1_3genE9ELNS1_11target_archE1100ELNS1_3gpuE3ELNS1_3repE0EEENS1_30default_config_static_selectorELNS0_4arch9wavefront6targetE1EEEvSW_, .Lfunc_end840-_ZN7rocprim17ROCPRIM_400000_NS6detail17trampoline_kernelINS0_14default_configENS1_22reduce_config_selectorIlEEZNS1_11reduce_implILb1ES3_N6thrust23THRUST_200600_302600_NS11hip_rocprim26transform_input_iterator_tIlNS8_12zip_iteratorINS8_5tupleINS8_6detail15normal_iteratorINS8_10device_ptrIyEEEESH_NS8_9null_typeESI_SI_SI_SI_SI_SI_SI_EEEENS9_21zip_adj_not_predicateI22is_equal_div_10_uniqueIyEEEEEPllNS8_4plusIlEEEE10hipError_tPvRmT1_T2_T3_mT4_P12ihipStream_tbEUlT_E0_NS1_11comp_targetILNS1_3genE9ELNS1_11target_archE1100ELNS1_3gpuE3ELNS1_3repE0EEENS1_30default_config_static_selectorELNS0_4arch9wavefront6targetE1EEEvSW_
                                        ; -- End function
	.set _ZN7rocprim17ROCPRIM_400000_NS6detail17trampoline_kernelINS0_14default_configENS1_22reduce_config_selectorIlEEZNS1_11reduce_implILb1ES3_N6thrust23THRUST_200600_302600_NS11hip_rocprim26transform_input_iterator_tIlNS8_12zip_iteratorINS8_5tupleINS8_6detail15normal_iteratorINS8_10device_ptrIyEEEESH_NS8_9null_typeESI_SI_SI_SI_SI_SI_SI_EEEENS9_21zip_adj_not_predicateI22is_equal_div_10_uniqueIyEEEEEPllNS8_4plusIlEEEE10hipError_tPvRmT1_T2_T3_mT4_P12ihipStream_tbEUlT_E0_NS1_11comp_targetILNS1_3genE9ELNS1_11target_archE1100ELNS1_3gpuE3ELNS1_3repE0EEENS1_30default_config_static_selectorELNS0_4arch9wavefront6targetE1EEEvSW_.num_vgpr, 0
	.set _ZN7rocprim17ROCPRIM_400000_NS6detail17trampoline_kernelINS0_14default_configENS1_22reduce_config_selectorIlEEZNS1_11reduce_implILb1ES3_N6thrust23THRUST_200600_302600_NS11hip_rocprim26transform_input_iterator_tIlNS8_12zip_iteratorINS8_5tupleINS8_6detail15normal_iteratorINS8_10device_ptrIyEEEESH_NS8_9null_typeESI_SI_SI_SI_SI_SI_SI_EEEENS9_21zip_adj_not_predicateI22is_equal_div_10_uniqueIyEEEEEPllNS8_4plusIlEEEE10hipError_tPvRmT1_T2_T3_mT4_P12ihipStream_tbEUlT_E0_NS1_11comp_targetILNS1_3genE9ELNS1_11target_archE1100ELNS1_3gpuE3ELNS1_3repE0EEENS1_30default_config_static_selectorELNS0_4arch9wavefront6targetE1EEEvSW_.num_agpr, 0
	.set _ZN7rocprim17ROCPRIM_400000_NS6detail17trampoline_kernelINS0_14default_configENS1_22reduce_config_selectorIlEEZNS1_11reduce_implILb1ES3_N6thrust23THRUST_200600_302600_NS11hip_rocprim26transform_input_iterator_tIlNS8_12zip_iteratorINS8_5tupleINS8_6detail15normal_iteratorINS8_10device_ptrIyEEEESH_NS8_9null_typeESI_SI_SI_SI_SI_SI_SI_EEEENS9_21zip_adj_not_predicateI22is_equal_div_10_uniqueIyEEEEEPllNS8_4plusIlEEEE10hipError_tPvRmT1_T2_T3_mT4_P12ihipStream_tbEUlT_E0_NS1_11comp_targetILNS1_3genE9ELNS1_11target_archE1100ELNS1_3gpuE3ELNS1_3repE0EEENS1_30default_config_static_selectorELNS0_4arch9wavefront6targetE1EEEvSW_.numbered_sgpr, 0
	.set _ZN7rocprim17ROCPRIM_400000_NS6detail17trampoline_kernelINS0_14default_configENS1_22reduce_config_selectorIlEEZNS1_11reduce_implILb1ES3_N6thrust23THRUST_200600_302600_NS11hip_rocprim26transform_input_iterator_tIlNS8_12zip_iteratorINS8_5tupleINS8_6detail15normal_iteratorINS8_10device_ptrIyEEEESH_NS8_9null_typeESI_SI_SI_SI_SI_SI_SI_EEEENS9_21zip_adj_not_predicateI22is_equal_div_10_uniqueIyEEEEEPllNS8_4plusIlEEEE10hipError_tPvRmT1_T2_T3_mT4_P12ihipStream_tbEUlT_E0_NS1_11comp_targetILNS1_3genE9ELNS1_11target_archE1100ELNS1_3gpuE3ELNS1_3repE0EEENS1_30default_config_static_selectorELNS0_4arch9wavefront6targetE1EEEvSW_.num_named_barrier, 0
	.set _ZN7rocprim17ROCPRIM_400000_NS6detail17trampoline_kernelINS0_14default_configENS1_22reduce_config_selectorIlEEZNS1_11reduce_implILb1ES3_N6thrust23THRUST_200600_302600_NS11hip_rocprim26transform_input_iterator_tIlNS8_12zip_iteratorINS8_5tupleINS8_6detail15normal_iteratorINS8_10device_ptrIyEEEESH_NS8_9null_typeESI_SI_SI_SI_SI_SI_SI_EEEENS9_21zip_adj_not_predicateI22is_equal_div_10_uniqueIyEEEEEPllNS8_4plusIlEEEE10hipError_tPvRmT1_T2_T3_mT4_P12ihipStream_tbEUlT_E0_NS1_11comp_targetILNS1_3genE9ELNS1_11target_archE1100ELNS1_3gpuE3ELNS1_3repE0EEENS1_30default_config_static_selectorELNS0_4arch9wavefront6targetE1EEEvSW_.private_seg_size, 0
	.set _ZN7rocprim17ROCPRIM_400000_NS6detail17trampoline_kernelINS0_14default_configENS1_22reduce_config_selectorIlEEZNS1_11reduce_implILb1ES3_N6thrust23THRUST_200600_302600_NS11hip_rocprim26transform_input_iterator_tIlNS8_12zip_iteratorINS8_5tupleINS8_6detail15normal_iteratorINS8_10device_ptrIyEEEESH_NS8_9null_typeESI_SI_SI_SI_SI_SI_SI_EEEENS9_21zip_adj_not_predicateI22is_equal_div_10_uniqueIyEEEEEPllNS8_4plusIlEEEE10hipError_tPvRmT1_T2_T3_mT4_P12ihipStream_tbEUlT_E0_NS1_11comp_targetILNS1_3genE9ELNS1_11target_archE1100ELNS1_3gpuE3ELNS1_3repE0EEENS1_30default_config_static_selectorELNS0_4arch9wavefront6targetE1EEEvSW_.uses_vcc, 0
	.set _ZN7rocprim17ROCPRIM_400000_NS6detail17trampoline_kernelINS0_14default_configENS1_22reduce_config_selectorIlEEZNS1_11reduce_implILb1ES3_N6thrust23THRUST_200600_302600_NS11hip_rocprim26transform_input_iterator_tIlNS8_12zip_iteratorINS8_5tupleINS8_6detail15normal_iteratorINS8_10device_ptrIyEEEESH_NS8_9null_typeESI_SI_SI_SI_SI_SI_SI_EEEENS9_21zip_adj_not_predicateI22is_equal_div_10_uniqueIyEEEEEPllNS8_4plusIlEEEE10hipError_tPvRmT1_T2_T3_mT4_P12ihipStream_tbEUlT_E0_NS1_11comp_targetILNS1_3genE9ELNS1_11target_archE1100ELNS1_3gpuE3ELNS1_3repE0EEENS1_30default_config_static_selectorELNS0_4arch9wavefront6targetE1EEEvSW_.uses_flat_scratch, 0
	.set _ZN7rocprim17ROCPRIM_400000_NS6detail17trampoline_kernelINS0_14default_configENS1_22reduce_config_selectorIlEEZNS1_11reduce_implILb1ES3_N6thrust23THRUST_200600_302600_NS11hip_rocprim26transform_input_iterator_tIlNS8_12zip_iteratorINS8_5tupleINS8_6detail15normal_iteratorINS8_10device_ptrIyEEEESH_NS8_9null_typeESI_SI_SI_SI_SI_SI_SI_EEEENS9_21zip_adj_not_predicateI22is_equal_div_10_uniqueIyEEEEEPllNS8_4plusIlEEEE10hipError_tPvRmT1_T2_T3_mT4_P12ihipStream_tbEUlT_E0_NS1_11comp_targetILNS1_3genE9ELNS1_11target_archE1100ELNS1_3gpuE3ELNS1_3repE0EEENS1_30default_config_static_selectorELNS0_4arch9wavefront6targetE1EEEvSW_.has_dyn_sized_stack, 0
	.set _ZN7rocprim17ROCPRIM_400000_NS6detail17trampoline_kernelINS0_14default_configENS1_22reduce_config_selectorIlEEZNS1_11reduce_implILb1ES3_N6thrust23THRUST_200600_302600_NS11hip_rocprim26transform_input_iterator_tIlNS8_12zip_iteratorINS8_5tupleINS8_6detail15normal_iteratorINS8_10device_ptrIyEEEESH_NS8_9null_typeESI_SI_SI_SI_SI_SI_SI_EEEENS9_21zip_adj_not_predicateI22is_equal_div_10_uniqueIyEEEEEPllNS8_4plusIlEEEE10hipError_tPvRmT1_T2_T3_mT4_P12ihipStream_tbEUlT_E0_NS1_11comp_targetILNS1_3genE9ELNS1_11target_archE1100ELNS1_3gpuE3ELNS1_3repE0EEENS1_30default_config_static_selectorELNS0_4arch9wavefront6targetE1EEEvSW_.has_recursion, 0
	.set _ZN7rocprim17ROCPRIM_400000_NS6detail17trampoline_kernelINS0_14default_configENS1_22reduce_config_selectorIlEEZNS1_11reduce_implILb1ES3_N6thrust23THRUST_200600_302600_NS11hip_rocprim26transform_input_iterator_tIlNS8_12zip_iteratorINS8_5tupleINS8_6detail15normal_iteratorINS8_10device_ptrIyEEEESH_NS8_9null_typeESI_SI_SI_SI_SI_SI_SI_EEEENS9_21zip_adj_not_predicateI22is_equal_div_10_uniqueIyEEEEEPllNS8_4plusIlEEEE10hipError_tPvRmT1_T2_T3_mT4_P12ihipStream_tbEUlT_E0_NS1_11comp_targetILNS1_3genE9ELNS1_11target_archE1100ELNS1_3gpuE3ELNS1_3repE0EEENS1_30default_config_static_selectorELNS0_4arch9wavefront6targetE1EEEvSW_.has_indirect_call, 0
	.section	.AMDGPU.csdata,"",@progbits
; Kernel info:
; codeLenInByte = 0
; TotalNumSgprs: 4
; NumVgprs: 0
; ScratchSize: 0
; MemoryBound: 0
; FloatMode: 240
; IeeeMode: 1
; LDSByteSize: 0 bytes/workgroup (compile time only)
; SGPRBlocks: 0
; VGPRBlocks: 0
; NumSGPRsForWavesPerEU: 4
; NumVGPRsForWavesPerEU: 1
; Occupancy: 10
; WaveLimiterHint : 0
; COMPUTE_PGM_RSRC2:SCRATCH_EN: 0
; COMPUTE_PGM_RSRC2:USER_SGPR: 6
; COMPUTE_PGM_RSRC2:TRAP_HANDLER: 0
; COMPUTE_PGM_RSRC2:TGID_X_EN: 1
; COMPUTE_PGM_RSRC2:TGID_Y_EN: 0
; COMPUTE_PGM_RSRC2:TGID_Z_EN: 0
; COMPUTE_PGM_RSRC2:TIDIG_COMP_CNT: 0
	.section	.text._ZN7rocprim17ROCPRIM_400000_NS6detail17trampoline_kernelINS0_14default_configENS1_22reduce_config_selectorIlEEZNS1_11reduce_implILb1ES3_N6thrust23THRUST_200600_302600_NS11hip_rocprim26transform_input_iterator_tIlNS8_12zip_iteratorINS8_5tupleINS8_6detail15normal_iteratorINS8_10device_ptrIyEEEESH_NS8_9null_typeESI_SI_SI_SI_SI_SI_SI_EEEENS9_21zip_adj_not_predicateI22is_equal_div_10_uniqueIyEEEEEPllNS8_4plusIlEEEE10hipError_tPvRmT1_T2_T3_mT4_P12ihipStream_tbEUlT_E0_NS1_11comp_targetILNS1_3genE8ELNS1_11target_archE1030ELNS1_3gpuE2ELNS1_3repE0EEENS1_30default_config_static_selectorELNS0_4arch9wavefront6targetE1EEEvSW_,"axG",@progbits,_ZN7rocprim17ROCPRIM_400000_NS6detail17trampoline_kernelINS0_14default_configENS1_22reduce_config_selectorIlEEZNS1_11reduce_implILb1ES3_N6thrust23THRUST_200600_302600_NS11hip_rocprim26transform_input_iterator_tIlNS8_12zip_iteratorINS8_5tupleINS8_6detail15normal_iteratorINS8_10device_ptrIyEEEESH_NS8_9null_typeESI_SI_SI_SI_SI_SI_SI_EEEENS9_21zip_adj_not_predicateI22is_equal_div_10_uniqueIyEEEEEPllNS8_4plusIlEEEE10hipError_tPvRmT1_T2_T3_mT4_P12ihipStream_tbEUlT_E0_NS1_11comp_targetILNS1_3genE8ELNS1_11target_archE1030ELNS1_3gpuE2ELNS1_3repE0EEENS1_30default_config_static_selectorELNS0_4arch9wavefront6targetE1EEEvSW_,comdat
	.protected	_ZN7rocprim17ROCPRIM_400000_NS6detail17trampoline_kernelINS0_14default_configENS1_22reduce_config_selectorIlEEZNS1_11reduce_implILb1ES3_N6thrust23THRUST_200600_302600_NS11hip_rocprim26transform_input_iterator_tIlNS8_12zip_iteratorINS8_5tupleINS8_6detail15normal_iteratorINS8_10device_ptrIyEEEESH_NS8_9null_typeESI_SI_SI_SI_SI_SI_SI_EEEENS9_21zip_adj_not_predicateI22is_equal_div_10_uniqueIyEEEEEPllNS8_4plusIlEEEE10hipError_tPvRmT1_T2_T3_mT4_P12ihipStream_tbEUlT_E0_NS1_11comp_targetILNS1_3genE8ELNS1_11target_archE1030ELNS1_3gpuE2ELNS1_3repE0EEENS1_30default_config_static_selectorELNS0_4arch9wavefront6targetE1EEEvSW_ ; -- Begin function _ZN7rocprim17ROCPRIM_400000_NS6detail17trampoline_kernelINS0_14default_configENS1_22reduce_config_selectorIlEEZNS1_11reduce_implILb1ES3_N6thrust23THRUST_200600_302600_NS11hip_rocprim26transform_input_iterator_tIlNS8_12zip_iteratorINS8_5tupleINS8_6detail15normal_iteratorINS8_10device_ptrIyEEEESH_NS8_9null_typeESI_SI_SI_SI_SI_SI_SI_EEEENS9_21zip_adj_not_predicateI22is_equal_div_10_uniqueIyEEEEEPllNS8_4plusIlEEEE10hipError_tPvRmT1_T2_T3_mT4_P12ihipStream_tbEUlT_E0_NS1_11comp_targetILNS1_3genE8ELNS1_11target_archE1030ELNS1_3gpuE2ELNS1_3repE0EEENS1_30default_config_static_selectorELNS0_4arch9wavefront6targetE1EEEvSW_
	.globl	_ZN7rocprim17ROCPRIM_400000_NS6detail17trampoline_kernelINS0_14default_configENS1_22reduce_config_selectorIlEEZNS1_11reduce_implILb1ES3_N6thrust23THRUST_200600_302600_NS11hip_rocprim26transform_input_iterator_tIlNS8_12zip_iteratorINS8_5tupleINS8_6detail15normal_iteratorINS8_10device_ptrIyEEEESH_NS8_9null_typeESI_SI_SI_SI_SI_SI_SI_EEEENS9_21zip_adj_not_predicateI22is_equal_div_10_uniqueIyEEEEEPllNS8_4plusIlEEEE10hipError_tPvRmT1_T2_T3_mT4_P12ihipStream_tbEUlT_E0_NS1_11comp_targetILNS1_3genE8ELNS1_11target_archE1030ELNS1_3gpuE2ELNS1_3repE0EEENS1_30default_config_static_selectorELNS0_4arch9wavefront6targetE1EEEvSW_
	.p2align	8
	.type	_ZN7rocprim17ROCPRIM_400000_NS6detail17trampoline_kernelINS0_14default_configENS1_22reduce_config_selectorIlEEZNS1_11reduce_implILb1ES3_N6thrust23THRUST_200600_302600_NS11hip_rocprim26transform_input_iterator_tIlNS8_12zip_iteratorINS8_5tupleINS8_6detail15normal_iteratorINS8_10device_ptrIyEEEESH_NS8_9null_typeESI_SI_SI_SI_SI_SI_SI_EEEENS9_21zip_adj_not_predicateI22is_equal_div_10_uniqueIyEEEEEPllNS8_4plusIlEEEE10hipError_tPvRmT1_T2_T3_mT4_P12ihipStream_tbEUlT_E0_NS1_11comp_targetILNS1_3genE8ELNS1_11target_archE1030ELNS1_3gpuE2ELNS1_3repE0EEENS1_30default_config_static_selectorELNS0_4arch9wavefront6targetE1EEEvSW_,@function
_ZN7rocprim17ROCPRIM_400000_NS6detail17trampoline_kernelINS0_14default_configENS1_22reduce_config_selectorIlEEZNS1_11reduce_implILb1ES3_N6thrust23THRUST_200600_302600_NS11hip_rocprim26transform_input_iterator_tIlNS8_12zip_iteratorINS8_5tupleINS8_6detail15normal_iteratorINS8_10device_ptrIyEEEESH_NS8_9null_typeESI_SI_SI_SI_SI_SI_SI_EEEENS9_21zip_adj_not_predicateI22is_equal_div_10_uniqueIyEEEEEPllNS8_4plusIlEEEE10hipError_tPvRmT1_T2_T3_mT4_P12ihipStream_tbEUlT_E0_NS1_11comp_targetILNS1_3genE8ELNS1_11target_archE1030ELNS1_3gpuE2ELNS1_3repE0EEENS1_30default_config_static_selectorELNS0_4arch9wavefront6targetE1EEEvSW_: ; @_ZN7rocprim17ROCPRIM_400000_NS6detail17trampoline_kernelINS0_14default_configENS1_22reduce_config_selectorIlEEZNS1_11reduce_implILb1ES3_N6thrust23THRUST_200600_302600_NS11hip_rocprim26transform_input_iterator_tIlNS8_12zip_iteratorINS8_5tupleINS8_6detail15normal_iteratorINS8_10device_ptrIyEEEESH_NS8_9null_typeESI_SI_SI_SI_SI_SI_SI_EEEENS9_21zip_adj_not_predicateI22is_equal_div_10_uniqueIyEEEEEPllNS8_4plusIlEEEE10hipError_tPvRmT1_T2_T3_mT4_P12ihipStream_tbEUlT_E0_NS1_11comp_targetILNS1_3genE8ELNS1_11target_archE1030ELNS1_3gpuE2ELNS1_3repE0EEENS1_30default_config_static_selectorELNS0_4arch9wavefront6targetE1EEEvSW_
; %bb.0:
	.section	.rodata,"a",@progbits
	.p2align	6, 0x0
	.amdhsa_kernel _ZN7rocprim17ROCPRIM_400000_NS6detail17trampoline_kernelINS0_14default_configENS1_22reduce_config_selectorIlEEZNS1_11reduce_implILb1ES3_N6thrust23THRUST_200600_302600_NS11hip_rocprim26transform_input_iterator_tIlNS8_12zip_iteratorINS8_5tupleINS8_6detail15normal_iteratorINS8_10device_ptrIyEEEESH_NS8_9null_typeESI_SI_SI_SI_SI_SI_SI_EEEENS9_21zip_adj_not_predicateI22is_equal_div_10_uniqueIyEEEEEPllNS8_4plusIlEEEE10hipError_tPvRmT1_T2_T3_mT4_P12ihipStream_tbEUlT_E0_NS1_11comp_targetILNS1_3genE8ELNS1_11target_archE1030ELNS1_3gpuE2ELNS1_3repE0EEENS1_30default_config_static_selectorELNS0_4arch9wavefront6targetE1EEEvSW_
		.amdhsa_group_segment_fixed_size 0
		.amdhsa_private_segment_fixed_size 0
		.amdhsa_kernarg_size 80
		.amdhsa_user_sgpr_count 6
		.amdhsa_user_sgpr_private_segment_buffer 1
		.amdhsa_user_sgpr_dispatch_ptr 0
		.amdhsa_user_sgpr_queue_ptr 0
		.amdhsa_user_sgpr_kernarg_segment_ptr 1
		.amdhsa_user_sgpr_dispatch_id 0
		.amdhsa_user_sgpr_flat_scratch_init 0
		.amdhsa_user_sgpr_private_segment_size 0
		.amdhsa_uses_dynamic_stack 0
		.amdhsa_system_sgpr_private_segment_wavefront_offset 0
		.amdhsa_system_sgpr_workgroup_id_x 1
		.amdhsa_system_sgpr_workgroup_id_y 0
		.amdhsa_system_sgpr_workgroup_id_z 0
		.amdhsa_system_sgpr_workgroup_info 0
		.amdhsa_system_vgpr_workitem_id 0
		.amdhsa_next_free_vgpr 1
		.amdhsa_next_free_sgpr 0
		.amdhsa_reserve_vcc 0
		.amdhsa_reserve_flat_scratch 0
		.amdhsa_float_round_mode_32 0
		.amdhsa_float_round_mode_16_64 0
		.amdhsa_float_denorm_mode_32 3
		.amdhsa_float_denorm_mode_16_64 3
		.amdhsa_dx10_clamp 1
		.amdhsa_ieee_mode 1
		.amdhsa_fp16_overflow 0
		.amdhsa_exception_fp_ieee_invalid_op 0
		.amdhsa_exception_fp_denorm_src 0
		.amdhsa_exception_fp_ieee_div_zero 0
		.amdhsa_exception_fp_ieee_overflow 0
		.amdhsa_exception_fp_ieee_underflow 0
		.amdhsa_exception_fp_ieee_inexact 0
		.amdhsa_exception_int_div_zero 0
	.end_amdhsa_kernel
	.section	.text._ZN7rocprim17ROCPRIM_400000_NS6detail17trampoline_kernelINS0_14default_configENS1_22reduce_config_selectorIlEEZNS1_11reduce_implILb1ES3_N6thrust23THRUST_200600_302600_NS11hip_rocprim26transform_input_iterator_tIlNS8_12zip_iteratorINS8_5tupleINS8_6detail15normal_iteratorINS8_10device_ptrIyEEEESH_NS8_9null_typeESI_SI_SI_SI_SI_SI_SI_EEEENS9_21zip_adj_not_predicateI22is_equal_div_10_uniqueIyEEEEEPllNS8_4plusIlEEEE10hipError_tPvRmT1_T2_T3_mT4_P12ihipStream_tbEUlT_E0_NS1_11comp_targetILNS1_3genE8ELNS1_11target_archE1030ELNS1_3gpuE2ELNS1_3repE0EEENS1_30default_config_static_selectorELNS0_4arch9wavefront6targetE1EEEvSW_,"axG",@progbits,_ZN7rocprim17ROCPRIM_400000_NS6detail17trampoline_kernelINS0_14default_configENS1_22reduce_config_selectorIlEEZNS1_11reduce_implILb1ES3_N6thrust23THRUST_200600_302600_NS11hip_rocprim26transform_input_iterator_tIlNS8_12zip_iteratorINS8_5tupleINS8_6detail15normal_iteratorINS8_10device_ptrIyEEEESH_NS8_9null_typeESI_SI_SI_SI_SI_SI_SI_EEEENS9_21zip_adj_not_predicateI22is_equal_div_10_uniqueIyEEEEEPllNS8_4plusIlEEEE10hipError_tPvRmT1_T2_T3_mT4_P12ihipStream_tbEUlT_E0_NS1_11comp_targetILNS1_3genE8ELNS1_11target_archE1030ELNS1_3gpuE2ELNS1_3repE0EEENS1_30default_config_static_selectorELNS0_4arch9wavefront6targetE1EEEvSW_,comdat
.Lfunc_end841:
	.size	_ZN7rocprim17ROCPRIM_400000_NS6detail17trampoline_kernelINS0_14default_configENS1_22reduce_config_selectorIlEEZNS1_11reduce_implILb1ES3_N6thrust23THRUST_200600_302600_NS11hip_rocprim26transform_input_iterator_tIlNS8_12zip_iteratorINS8_5tupleINS8_6detail15normal_iteratorINS8_10device_ptrIyEEEESH_NS8_9null_typeESI_SI_SI_SI_SI_SI_SI_EEEENS9_21zip_adj_not_predicateI22is_equal_div_10_uniqueIyEEEEEPllNS8_4plusIlEEEE10hipError_tPvRmT1_T2_T3_mT4_P12ihipStream_tbEUlT_E0_NS1_11comp_targetILNS1_3genE8ELNS1_11target_archE1030ELNS1_3gpuE2ELNS1_3repE0EEENS1_30default_config_static_selectorELNS0_4arch9wavefront6targetE1EEEvSW_, .Lfunc_end841-_ZN7rocprim17ROCPRIM_400000_NS6detail17trampoline_kernelINS0_14default_configENS1_22reduce_config_selectorIlEEZNS1_11reduce_implILb1ES3_N6thrust23THRUST_200600_302600_NS11hip_rocprim26transform_input_iterator_tIlNS8_12zip_iteratorINS8_5tupleINS8_6detail15normal_iteratorINS8_10device_ptrIyEEEESH_NS8_9null_typeESI_SI_SI_SI_SI_SI_SI_EEEENS9_21zip_adj_not_predicateI22is_equal_div_10_uniqueIyEEEEEPllNS8_4plusIlEEEE10hipError_tPvRmT1_T2_T3_mT4_P12ihipStream_tbEUlT_E0_NS1_11comp_targetILNS1_3genE8ELNS1_11target_archE1030ELNS1_3gpuE2ELNS1_3repE0EEENS1_30default_config_static_selectorELNS0_4arch9wavefront6targetE1EEEvSW_
                                        ; -- End function
	.set _ZN7rocprim17ROCPRIM_400000_NS6detail17trampoline_kernelINS0_14default_configENS1_22reduce_config_selectorIlEEZNS1_11reduce_implILb1ES3_N6thrust23THRUST_200600_302600_NS11hip_rocprim26transform_input_iterator_tIlNS8_12zip_iteratorINS8_5tupleINS8_6detail15normal_iteratorINS8_10device_ptrIyEEEESH_NS8_9null_typeESI_SI_SI_SI_SI_SI_SI_EEEENS9_21zip_adj_not_predicateI22is_equal_div_10_uniqueIyEEEEEPllNS8_4plusIlEEEE10hipError_tPvRmT1_T2_T3_mT4_P12ihipStream_tbEUlT_E0_NS1_11comp_targetILNS1_3genE8ELNS1_11target_archE1030ELNS1_3gpuE2ELNS1_3repE0EEENS1_30default_config_static_selectorELNS0_4arch9wavefront6targetE1EEEvSW_.num_vgpr, 0
	.set _ZN7rocprim17ROCPRIM_400000_NS6detail17trampoline_kernelINS0_14default_configENS1_22reduce_config_selectorIlEEZNS1_11reduce_implILb1ES3_N6thrust23THRUST_200600_302600_NS11hip_rocprim26transform_input_iterator_tIlNS8_12zip_iteratorINS8_5tupleINS8_6detail15normal_iteratorINS8_10device_ptrIyEEEESH_NS8_9null_typeESI_SI_SI_SI_SI_SI_SI_EEEENS9_21zip_adj_not_predicateI22is_equal_div_10_uniqueIyEEEEEPllNS8_4plusIlEEEE10hipError_tPvRmT1_T2_T3_mT4_P12ihipStream_tbEUlT_E0_NS1_11comp_targetILNS1_3genE8ELNS1_11target_archE1030ELNS1_3gpuE2ELNS1_3repE0EEENS1_30default_config_static_selectorELNS0_4arch9wavefront6targetE1EEEvSW_.num_agpr, 0
	.set _ZN7rocprim17ROCPRIM_400000_NS6detail17trampoline_kernelINS0_14default_configENS1_22reduce_config_selectorIlEEZNS1_11reduce_implILb1ES3_N6thrust23THRUST_200600_302600_NS11hip_rocprim26transform_input_iterator_tIlNS8_12zip_iteratorINS8_5tupleINS8_6detail15normal_iteratorINS8_10device_ptrIyEEEESH_NS8_9null_typeESI_SI_SI_SI_SI_SI_SI_EEEENS9_21zip_adj_not_predicateI22is_equal_div_10_uniqueIyEEEEEPllNS8_4plusIlEEEE10hipError_tPvRmT1_T2_T3_mT4_P12ihipStream_tbEUlT_E0_NS1_11comp_targetILNS1_3genE8ELNS1_11target_archE1030ELNS1_3gpuE2ELNS1_3repE0EEENS1_30default_config_static_selectorELNS0_4arch9wavefront6targetE1EEEvSW_.numbered_sgpr, 0
	.set _ZN7rocprim17ROCPRIM_400000_NS6detail17trampoline_kernelINS0_14default_configENS1_22reduce_config_selectorIlEEZNS1_11reduce_implILb1ES3_N6thrust23THRUST_200600_302600_NS11hip_rocprim26transform_input_iterator_tIlNS8_12zip_iteratorINS8_5tupleINS8_6detail15normal_iteratorINS8_10device_ptrIyEEEESH_NS8_9null_typeESI_SI_SI_SI_SI_SI_SI_EEEENS9_21zip_adj_not_predicateI22is_equal_div_10_uniqueIyEEEEEPllNS8_4plusIlEEEE10hipError_tPvRmT1_T2_T3_mT4_P12ihipStream_tbEUlT_E0_NS1_11comp_targetILNS1_3genE8ELNS1_11target_archE1030ELNS1_3gpuE2ELNS1_3repE0EEENS1_30default_config_static_selectorELNS0_4arch9wavefront6targetE1EEEvSW_.num_named_barrier, 0
	.set _ZN7rocprim17ROCPRIM_400000_NS6detail17trampoline_kernelINS0_14default_configENS1_22reduce_config_selectorIlEEZNS1_11reduce_implILb1ES3_N6thrust23THRUST_200600_302600_NS11hip_rocprim26transform_input_iterator_tIlNS8_12zip_iteratorINS8_5tupleINS8_6detail15normal_iteratorINS8_10device_ptrIyEEEESH_NS8_9null_typeESI_SI_SI_SI_SI_SI_SI_EEEENS9_21zip_adj_not_predicateI22is_equal_div_10_uniqueIyEEEEEPllNS8_4plusIlEEEE10hipError_tPvRmT1_T2_T3_mT4_P12ihipStream_tbEUlT_E0_NS1_11comp_targetILNS1_3genE8ELNS1_11target_archE1030ELNS1_3gpuE2ELNS1_3repE0EEENS1_30default_config_static_selectorELNS0_4arch9wavefront6targetE1EEEvSW_.private_seg_size, 0
	.set _ZN7rocprim17ROCPRIM_400000_NS6detail17trampoline_kernelINS0_14default_configENS1_22reduce_config_selectorIlEEZNS1_11reduce_implILb1ES3_N6thrust23THRUST_200600_302600_NS11hip_rocprim26transform_input_iterator_tIlNS8_12zip_iteratorINS8_5tupleINS8_6detail15normal_iteratorINS8_10device_ptrIyEEEESH_NS8_9null_typeESI_SI_SI_SI_SI_SI_SI_EEEENS9_21zip_adj_not_predicateI22is_equal_div_10_uniqueIyEEEEEPllNS8_4plusIlEEEE10hipError_tPvRmT1_T2_T3_mT4_P12ihipStream_tbEUlT_E0_NS1_11comp_targetILNS1_3genE8ELNS1_11target_archE1030ELNS1_3gpuE2ELNS1_3repE0EEENS1_30default_config_static_selectorELNS0_4arch9wavefront6targetE1EEEvSW_.uses_vcc, 0
	.set _ZN7rocprim17ROCPRIM_400000_NS6detail17trampoline_kernelINS0_14default_configENS1_22reduce_config_selectorIlEEZNS1_11reduce_implILb1ES3_N6thrust23THRUST_200600_302600_NS11hip_rocprim26transform_input_iterator_tIlNS8_12zip_iteratorINS8_5tupleINS8_6detail15normal_iteratorINS8_10device_ptrIyEEEESH_NS8_9null_typeESI_SI_SI_SI_SI_SI_SI_EEEENS9_21zip_adj_not_predicateI22is_equal_div_10_uniqueIyEEEEEPllNS8_4plusIlEEEE10hipError_tPvRmT1_T2_T3_mT4_P12ihipStream_tbEUlT_E0_NS1_11comp_targetILNS1_3genE8ELNS1_11target_archE1030ELNS1_3gpuE2ELNS1_3repE0EEENS1_30default_config_static_selectorELNS0_4arch9wavefront6targetE1EEEvSW_.uses_flat_scratch, 0
	.set _ZN7rocprim17ROCPRIM_400000_NS6detail17trampoline_kernelINS0_14default_configENS1_22reduce_config_selectorIlEEZNS1_11reduce_implILb1ES3_N6thrust23THRUST_200600_302600_NS11hip_rocprim26transform_input_iterator_tIlNS8_12zip_iteratorINS8_5tupleINS8_6detail15normal_iteratorINS8_10device_ptrIyEEEESH_NS8_9null_typeESI_SI_SI_SI_SI_SI_SI_EEEENS9_21zip_adj_not_predicateI22is_equal_div_10_uniqueIyEEEEEPllNS8_4plusIlEEEE10hipError_tPvRmT1_T2_T3_mT4_P12ihipStream_tbEUlT_E0_NS1_11comp_targetILNS1_3genE8ELNS1_11target_archE1030ELNS1_3gpuE2ELNS1_3repE0EEENS1_30default_config_static_selectorELNS0_4arch9wavefront6targetE1EEEvSW_.has_dyn_sized_stack, 0
	.set _ZN7rocprim17ROCPRIM_400000_NS6detail17trampoline_kernelINS0_14default_configENS1_22reduce_config_selectorIlEEZNS1_11reduce_implILb1ES3_N6thrust23THRUST_200600_302600_NS11hip_rocprim26transform_input_iterator_tIlNS8_12zip_iteratorINS8_5tupleINS8_6detail15normal_iteratorINS8_10device_ptrIyEEEESH_NS8_9null_typeESI_SI_SI_SI_SI_SI_SI_EEEENS9_21zip_adj_not_predicateI22is_equal_div_10_uniqueIyEEEEEPllNS8_4plusIlEEEE10hipError_tPvRmT1_T2_T3_mT4_P12ihipStream_tbEUlT_E0_NS1_11comp_targetILNS1_3genE8ELNS1_11target_archE1030ELNS1_3gpuE2ELNS1_3repE0EEENS1_30default_config_static_selectorELNS0_4arch9wavefront6targetE1EEEvSW_.has_recursion, 0
	.set _ZN7rocprim17ROCPRIM_400000_NS6detail17trampoline_kernelINS0_14default_configENS1_22reduce_config_selectorIlEEZNS1_11reduce_implILb1ES3_N6thrust23THRUST_200600_302600_NS11hip_rocprim26transform_input_iterator_tIlNS8_12zip_iteratorINS8_5tupleINS8_6detail15normal_iteratorINS8_10device_ptrIyEEEESH_NS8_9null_typeESI_SI_SI_SI_SI_SI_SI_EEEENS9_21zip_adj_not_predicateI22is_equal_div_10_uniqueIyEEEEEPllNS8_4plusIlEEEE10hipError_tPvRmT1_T2_T3_mT4_P12ihipStream_tbEUlT_E0_NS1_11comp_targetILNS1_3genE8ELNS1_11target_archE1030ELNS1_3gpuE2ELNS1_3repE0EEENS1_30default_config_static_selectorELNS0_4arch9wavefront6targetE1EEEvSW_.has_indirect_call, 0
	.section	.AMDGPU.csdata,"",@progbits
; Kernel info:
; codeLenInByte = 0
; TotalNumSgprs: 4
; NumVgprs: 0
; ScratchSize: 0
; MemoryBound: 0
; FloatMode: 240
; IeeeMode: 1
; LDSByteSize: 0 bytes/workgroup (compile time only)
; SGPRBlocks: 0
; VGPRBlocks: 0
; NumSGPRsForWavesPerEU: 4
; NumVGPRsForWavesPerEU: 1
; Occupancy: 10
; WaveLimiterHint : 0
; COMPUTE_PGM_RSRC2:SCRATCH_EN: 0
; COMPUTE_PGM_RSRC2:USER_SGPR: 6
; COMPUTE_PGM_RSRC2:TRAP_HANDLER: 0
; COMPUTE_PGM_RSRC2:TGID_X_EN: 1
; COMPUTE_PGM_RSRC2:TGID_Y_EN: 0
; COMPUTE_PGM_RSRC2:TGID_Z_EN: 0
; COMPUTE_PGM_RSRC2:TIDIG_COMP_CNT: 0
	.section	.text._ZN7rocprim17ROCPRIM_400000_NS6detail17trampoline_kernelINS0_14default_configENS1_22reduce_config_selectorIlEEZNS1_11reduce_implILb1ES3_N6thrust23THRUST_200600_302600_NS11hip_rocprim26transform_input_iterator_tIlNS8_12zip_iteratorINS8_5tupleINS8_6detail15normal_iteratorINS8_10device_ptrIyEEEESH_NS8_9null_typeESI_SI_SI_SI_SI_SI_SI_EEEENS9_21zip_adj_not_predicateI22is_equal_div_10_uniqueIyEEEEEPllNS8_4plusIlEEEE10hipError_tPvRmT1_T2_T3_mT4_P12ihipStream_tbEUlT_E1_NS1_11comp_targetILNS1_3genE0ELNS1_11target_archE4294967295ELNS1_3gpuE0ELNS1_3repE0EEENS1_30default_config_static_selectorELNS0_4arch9wavefront6targetE1EEEvSW_,"axG",@progbits,_ZN7rocprim17ROCPRIM_400000_NS6detail17trampoline_kernelINS0_14default_configENS1_22reduce_config_selectorIlEEZNS1_11reduce_implILb1ES3_N6thrust23THRUST_200600_302600_NS11hip_rocprim26transform_input_iterator_tIlNS8_12zip_iteratorINS8_5tupleINS8_6detail15normal_iteratorINS8_10device_ptrIyEEEESH_NS8_9null_typeESI_SI_SI_SI_SI_SI_SI_EEEENS9_21zip_adj_not_predicateI22is_equal_div_10_uniqueIyEEEEEPllNS8_4plusIlEEEE10hipError_tPvRmT1_T2_T3_mT4_P12ihipStream_tbEUlT_E1_NS1_11comp_targetILNS1_3genE0ELNS1_11target_archE4294967295ELNS1_3gpuE0ELNS1_3repE0EEENS1_30default_config_static_selectorELNS0_4arch9wavefront6targetE1EEEvSW_,comdat
	.protected	_ZN7rocprim17ROCPRIM_400000_NS6detail17trampoline_kernelINS0_14default_configENS1_22reduce_config_selectorIlEEZNS1_11reduce_implILb1ES3_N6thrust23THRUST_200600_302600_NS11hip_rocprim26transform_input_iterator_tIlNS8_12zip_iteratorINS8_5tupleINS8_6detail15normal_iteratorINS8_10device_ptrIyEEEESH_NS8_9null_typeESI_SI_SI_SI_SI_SI_SI_EEEENS9_21zip_adj_not_predicateI22is_equal_div_10_uniqueIyEEEEEPllNS8_4plusIlEEEE10hipError_tPvRmT1_T2_T3_mT4_P12ihipStream_tbEUlT_E1_NS1_11comp_targetILNS1_3genE0ELNS1_11target_archE4294967295ELNS1_3gpuE0ELNS1_3repE0EEENS1_30default_config_static_selectorELNS0_4arch9wavefront6targetE1EEEvSW_ ; -- Begin function _ZN7rocprim17ROCPRIM_400000_NS6detail17trampoline_kernelINS0_14default_configENS1_22reduce_config_selectorIlEEZNS1_11reduce_implILb1ES3_N6thrust23THRUST_200600_302600_NS11hip_rocprim26transform_input_iterator_tIlNS8_12zip_iteratorINS8_5tupleINS8_6detail15normal_iteratorINS8_10device_ptrIyEEEESH_NS8_9null_typeESI_SI_SI_SI_SI_SI_SI_EEEENS9_21zip_adj_not_predicateI22is_equal_div_10_uniqueIyEEEEEPllNS8_4plusIlEEEE10hipError_tPvRmT1_T2_T3_mT4_P12ihipStream_tbEUlT_E1_NS1_11comp_targetILNS1_3genE0ELNS1_11target_archE4294967295ELNS1_3gpuE0ELNS1_3repE0EEENS1_30default_config_static_selectorELNS0_4arch9wavefront6targetE1EEEvSW_
	.globl	_ZN7rocprim17ROCPRIM_400000_NS6detail17trampoline_kernelINS0_14default_configENS1_22reduce_config_selectorIlEEZNS1_11reduce_implILb1ES3_N6thrust23THRUST_200600_302600_NS11hip_rocprim26transform_input_iterator_tIlNS8_12zip_iteratorINS8_5tupleINS8_6detail15normal_iteratorINS8_10device_ptrIyEEEESH_NS8_9null_typeESI_SI_SI_SI_SI_SI_SI_EEEENS9_21zip_adj_not_predicateI22is_equal_div_10_uniqueIyEEEEEPllNS8_4plusIlEEEE10hipError_tPvRmT1_T2_T3_mT4_P12ihipStream_tbEUlT_E1_NS1_11comp_targetILNS1_3genE0ELNS1_11target_archE4294967295ELNS1_3gpuE0ELNS1_3repE0EEENS1_30default_config_static_selectorELNS0_4arch9wavefront6targetE1EEEvSW_
	.p2align	8
	.type	_ZN7rocprim17ROCPRIM_400000_NS6detail17trampoline_kernelINS0_14default_configENS1_22reduce_config_selectorIlEEZNS1_11reduce_implILb1ES3_N6thrust23THRUST_200600_302600_NS11hip_rocprim26transform_input_iterator_tIlNS8_12zip_iteratorINS8_5tupleINS8_6detail15normal_iteratorINS8_10device_ptrIyEEEESH_NS8_9null_typeESI_SI_SI_SI_SI_SI_SI_EEEENS9_21zip_adj_not_predicateI22is_equal_div_10_uniqueIyEEEEEPllNS8_4plusIlEEEE10hipError_tPvRmT1_T2_T3_mT4_P12ihipStream_tbEUlT_E1_NS1_11comp_targetILNS1_3genE0ELNS1_11target_archE4294967295ELNS1_3gpuE0ELNS1_3repE0EEENS1_30default_config_static_selectorELNS0_4arch9wavefront6targetE1EEEvSW_,@function
_ZN7rocprim17ROCPRIM_400000_NS6detail17trampoline_kernelINS0_14default_configENS1_22reduce_config_selectorIlEEZNS1_11reduce_implILb1ES3_N6thrust23THRUST_200600_302600_NS11hip_rocprim26transform_input_iterator_tIlNS8_12zip_iteratorINS8_5tupleINS8_6detail15normal_iteratorINS8_10device_ptrIyEEEESH_NS8_9null_typeESI_SI_SI_SI_SI_SI_SI_EEEENS9_21zip_adj_not_predicateI22is_equal_div_10_uniqueIyEEEEEPllNS8_4plusIlEEEE10hipError_tPvRmT1_T2_T3_mT4_P12ihipStream_tbEUlT_E1_NS1_11comp_targetILNS1_3genE0ELNS1_11target_archE4294967295ELNS1_3gpuE0ELNS1_3repE0EEENS1_30default_config_static_selectorELNS0_4arch9wavefront6targetE1EEEvSW_: ; @_ZN7rocprim17ROCPRIM_400000_NS6detail17trampoline_kernelINS0_14default_configENS1_22reduce_config_selectorIlEEZNS1_11reduce_implILb1ES3_N6thrust23THRUST_200600_302600_NS11hip_rocprim26transform_input_iterator_tIlNS8_12zip_iteratorINS8_5tupleINS8_6detail15normal_iteratorINS8_10device_ptrIyEEEESH_NS8_9null_typeESI_SI_SI_SI_SI_SI_SI_EEEENS9_21zip_adj_not_predicateI22is_equal_div_10_uniqueIyEEEEEPllNS8_4plusIlEEEE10hipError_tPvRmT1_T2_T3_mT4_P12ihipStream_tbEUlT_E1_NS1_11comp_targetILNS1_3genE0ELNS1_11target_archE4294967295ELNS1_3gpuE0ELNS1_3repE0EEENS1_30default_config_static_selectorELNS0_4arch9wavefront6targetE1EEEvSW_
; %bb.0:
	.section	.rodata,"a",@progbits
	.p2align	6, 0x0
	.amdhsa_kernel _ZN7rocprim17ROCPRIM_400000_NS6detail17trampoline_kernelINS0_14default_configENS1_22reduce_config_selectorIlEEZNS1_11reduce_implILb1ES3_N6thrust23THRUST_200600_302600_NS11hip_rocprim26transform_input_iterator_tIlNS8_12zip_iteratorINS8_5tupleINS8_6detail15normal_iteratorINS8_10device_ptrIyEEEESH_NS8_9null_typeESI_SI_SI_SI_SI_SI_SI_EEEENS9_21zip_adj_not_predicateI22is_equal_div_10_uniqueIyEEEEEPllNS8_4plusIlEEEE10hipError_tPvRmT1_T2_T3_mT4_P12ihipStream_tbEUlT_E1_NS1_11comp_targetILNS1_3genE0ELNS1_11target_archE4294967295ELNS1_3gpuE0ELNS1_3repE0EEENS1_30default_config_static_selectorELNS0_4arch9wavefront6targetE1EEEvSW_
		.amdhsa_group_segment_fixed_size 0
		.amdhsa_private_segment_fixed_size 0
		.amdhsa_kernarg_size 64
		.amdhsa_user_sgpr_count 6
		.amdhsa_user_sgpr_private_segment_buffer 1
		.amdhsa_user_sgpr_dispatch_ptr 0
		.amdhsa_user_sgpr_queue_ptr 0
		.amdhsa_user_sgpr_kernarg_segment_ptr 1
		.amdhsa_user_sgpr_dispatch_id 0
		.amdhsa_user_sgpr_flat_scratch_init 0
		.amdhsa_user_sgpr_private_segment_size 0
		.amdhsa_uses_dynamic_stack 0
		.amdhsa_system_sgpr_private_segment_wavefront_offset 0
		.amdhsa_system_sgpr_workgroup_id_x 1
		.amdhsa_system_sgpr_workgroup_id_y 0
		.amdhsa_system_sgpr_workgroup_id_z 0
		.amdhsa_system_sgpr_workgroup_info 0
		.amdhsa_system_vgpr_workitem_id 0
		.amdhsa_next_free_vgpr 1
		.amdhsa_next_free_sgpr 0
		.amdhsa_reserve_vcc 0
		.amdhsa_reserve_flat_scratch 0
		.amdhsa_float_round_mode_32 0
		.amdhsa_float_round_mode_16_64 0
		.amdhsa_float_denorm_mode_32 3
		.amdhsa_float_denorm_mode_16_64 3
		.amdhsa_dx10_clamp 1
		.amdhsa_ieee_mode 1
		.amdhsa_fp16_overflow 0
		.amdhsa_exception_fp_ieee_invalid_op 0
		.amdhsa_exception_fp_denorm_src 0
		.amdhsa_exception_fp_ieee_div_zero 0
		.amdhsa_exception_fp_ieee_overflow 0
		.amdhsa_exception_fp_ieee_underflow 0
		.amdhsa_exception_fp_ieee_inexact 0
		.amdhsa_exception_int_div_zero 0
	.end_amdhsa_kernel
	.section	.text._ZN7rocprim17ROCPRIM_400000_NS6detail17trampoline_kernelINS0_14default_configENS1_22reduce_config_selectorIlEEZNS1_11reduce_implILb1ES3_N6thrust23THRUST_200600_302600_NS11hip_rocprim26transform_input_iterator_tIlNS8_12zip_iteratorINS8_5tupleINS8_6detail15normal_iteratorINS8_10device_ptrIyEEEESH_NS8_9null_typeESI_SI_SI_SI_SI_SI_SI_EEEENS9_21zip_adj_not_predicateI22is_equal_div_10_uniqueIyEEEEEPllNS8_4plusIlEEEE10hipError_tPvRmT1_T2_T3_mT4_P12ihipStream_tbEUlT_E1_NS1_11comp_targetILNS1_3genE0ELNS1_11target_archE4294967295ELNS1_3gpuE0ELNS1_3repE0EEENS1_30default_config_static_selectorELNS0_4arch9wavefront6targetE1EEEvSW_,"axG",@progbits,_ZN7rocprim17ROCPRIM_400000_NS6detail17trampoline_kernelINS0_14default_configENS1_22reduce_config_selectorIlEEZNS1_11reduce_implILb1ES3_N6thrust23THRUST_200600_302600_NS11hip_rocprim26transform_input_iterator_tIlNS8_12zip_iteratorINS8_5tupleINS8_6detail15normal_iteratorINS8_10device_ptrIyEEEESH_NS8_9null_typeESI_SI_SI_SI_SI_SI_SI_EEEENS9_21zip_adj_not_predicateI22is_equal_div_10_uniqueIyEEEEEPllNS8_4plusIlEEEE10hipError_tPvRmT1_T2_T3_mT4_P12ihipStream_tbEUlT_E1_NS1_11comp_targetILNS1_3genE0ELNS1_11target_archE4294967295ELNS1_3gpuE0ELNS1_3repE0EEENS1_30default_config_static_selectorELNS0_4arch9wavefront6targetE1EEEvSW_,comdat
.Lfunc_end842:
	.size	_ZN7rocprim17ROCPRIM_400000_NS6detail17trampoline_kernelINS0_14default_configENS1_22reduce_config_selectorIlEEZNS1_11reduce_implILb1ES3_N6thrust23THRUST_200600_302600_NS11hip_rocprim26transform_input_iterator_tIlNS8_12zip_iteratorINS8_5tupleINS8_6detail15normal_iteratorINS8_10device_ptrIyEEEESH_NS8_9null_typeESI_SI_SI_SI_SI_SI_SI_EEEENS9_21zip_adj_not_predicateI22is_equal_div_10_uniqueIyEEEEEPllNS8_4plusIlEEEE10hipError_tPvRmT1_T2_T3_mT4_P12ihipStream_tbEUlT_E1_NS1_11comp_targetILNS1_3genE0ELNS1_11target_archE4294967295ELNS1_3gpuE0ELNS1_3repE0EEENS1_30default_config_static_selectorELNS0_4arch9wavefront6targetE1EEEvSW_, .Lfunc_end842-_ZN7rocprim17ROCPRIM_400000_NS6detail17trampoline_kernelINS0_14default_configENS1_22reduce_config_selectorIlEEZNS1_11reduce_implILb1ES3_N6thrust23THRUST_200600_302600_NS11hip_rocprim26transform_input_iterator_tIlNS8_12zip_iteratorINS8_5tupleINS8_6detail15normal_iteratorINS8_10device_ptrIyEEEESH_NS8_9null_typeESI_SI_SI_SI_SI_SI_SI_EEEENS9_21zip_adj_not_predicateI22is_equal_div_10_uniqueIyEEEEEPllNS8_4plusIlEEEE10hipError_tPvRmT1_T2_T3_mT4_P12ihipStream_tbEUlT_E1_NS1_11comp_targetILNS1_3genE0ELNS1_11target_archE4294967295ELNS1_3gpuE0ELNS1_3repE0EEENS1_30default_config_static_selectorELNS0_4arch9wavefront6targetE1EEEvSW_
                                        ; -- End function
	.set _ZN7rocprim17ROCPRIM_400000_NS6detail17trampoline_kernelINS0_14default_configENS1_22reduce_config_selectorIlEEZNS1_11reduce_implILb1ES3_N6thrust23THRUST_200600_302600_NS11hip_rocprim26transform_input_iterator_tIlNS8_12zip_iteratorINS8_5tupleINS8_6detail15normal_iteratorINS8_10device_ptrIyEEEESH_NS8_9null_typeESI_SI_SI_SI_SI_SI_SI_EEEENS9_21zip_adj_not_predicateI22is_equal_div_10_uniqueIyEEEEEPllNS8_4plusIlEEEE10hipError_tPvRmT1_T2_T3_mT4_P12ihipStream_tbEUlT_E1_NS1_11comp_targetILNS1_3genE0ELNS1_11target_archE4294967295ELNS1_3gpuE0ELNS1_3repE0EEENS1_30default_config_static_selectorELNS0_4arch9wavefront6targetE1EEEvSW_.num_vgpr, 0
	.set _ZN7rocprim17ROCPRIM_400000_NS6detail17trampoline_kernelINS0_14default_configENS1_22reduce_config_selectorIlEEZNS1_11reduce_implILb1ES3_N6thrust23THRUST_200600_302600_NS11hip_rocprim26transform_input_iterator_tIlNS8_12zip_iteratorINS8_5tupleINS8_6detail15normal_iteratorINS8_10device_ptrIyEEEESH_NS8_9null_typeESI_SI_SI_SI_SI_SI_SI_EEEENS9_21zip_adj_not_predicateI22is_equal_div_10_uniqueIyEEEEEPllNS8_4plusIlEEEE10hipError_tPvRmT1_T2_T3_mT4_P12ihipStream_tbEUlT_E1_NS1_11comp_targetILNS1_3genE0ELNS1_11target_archE4294967295ELNS1_3gpuE0ELNS1_3repE0EEENS1_30default_config_static_selectorELNS0_4arch9wavefront6targetE1EEEvSW_.num_agpr, 0
	.set _ZN7rocprim17ROCPRIM_400000_NS6detail17trampoline_kernelINS0_14default_configENS1_22reduce_config_selectorIlEEZNS1_11reduce_implILb1ES3_N6thrust23THRUST_200600_302600_NS11hip_rocprim26transform_input_iterator_tIlNS8_12zip_iteratorINS8_5tupleINS8_6detail15normal_iteratorINS8_10device_ptrIyEEEESH_NS8_9null_typeESI_SI_SI_SI_SI_SI_SI_EEEENS9_21zip_adj_not_predicateI22is_equal_div_10_uniqueIyEEEEEPllNS8_4plusIlEEEE10hipError_tPvRmT1_T2_T3_mT4_P12ihipStream_tbEUlT_E1_NS1_11comp_targetILNS1_3genE0ELNS1_11target_archE4294967295ELNS1_3gpuE0ELNS1_3repE0EEENS1_30default_config_static_selectorELNS0_4arch9wavefront6targetE1EEEvSW_.numbered_sgpr, 0
	.set _ZN7rocprim17ROCPRIM_400000_NS6detail17trampoline_kernelINS0_14default_configENS1_22reduce_config_selectorIlEEZNS1_11reduce_implILb1ES3_N6thrust23THRUST_200600_302600_NS11hip_rocprim26transform_input_iterator_tIlNS8_12zip_iteratorINS8_5tupleINS8_6detail15normal_iteratorINS8_10device_ptrIyEEEESH_NS8_9null_typeESI_SI_SI_SI_SI_SI_SI_EEEENS9_21zip_adj_not_predicateI22is_equal_div_10_uniqueIyEEEEEPllNS8_4plusIlEEEE10hipError_tPvRmT1_T2_T3_mT4_P12ihipStream_tbEUlT_E1_NS1_11comp_targetILNS1_3genE0ELNS1_11target_archE4294967295ELNS1_3gpuE0ELNS1_3repE0EEENS1_30default_config_static_selectorELNS0_4arch9wavefront6targetE1EEEvSW_.num_named_barrier, 0
	.set _ZN7rocprim17ROCPRIM_400000_NS6detail17trampoline_kernelINS0_14default_configENS1_22reduce_config_selectorIlEEZNS1_11reduce_implILb1ES3_N6thrust23THRUST_200600_302600_NS11hip_rocprim26transform_input_iterator_tIlNS8_12zip_iteratorINS8_5tupleINS8_6detail15normal_iteratorINS8_10device_ptrIyEEEESH_NS8_9null_typeESI_SI_SI_SI_SI_SI_SI_EEEENS9_21zip_adj_not_predicateI22is_equal_div_10_uniqueIyEEEEEPllNS8_4plusIlEEEE10hipError_tPvRmT1_T2_T3_mT4_P12ihipStream_tbEUlT_E1_NS1_11comp_targetILNS1_3genE0ELNS1_11target_archE4294967295ELNS1_3gpuE0ELNS1_3repE0EEENS1_30default_config_static_selectorELNS0_4arch9wavefront6targetE1EEEvSW_.private_seg_size, 0
	.set _ZN7rocprim17ROCPRIM_400000_NS6detail17trampoline_kernelINS0_14default_configENS1_22reduce_config_selectorIlEEZNS1_11reduce_implILb1ES3_N6thrust23THRUST_200600_302600_NS11hip_rocprim26transform_input_iterator_tIlNS8_12zip_iteratorINS8_5tupleINS8_6detail15normal_iteratorINS8_10device_ptrIyEEEESH_NS8_9null_typeESI_SI_SI_SI_SI_SI_SI_EEEENS9_21zip_adj_not_predicateI22is_equal_div_10_uniqueIyEEEEEPllNS8_4plusIlEEEE10hipError_tPvRmT1_T2_T3_mT4_P12ihipStream_tbEUlT_E1_NS1_11comp_targetILNS1_3genE0ELNS1_11target_archE4294967295ELNS1_3gpuE0ELNS1_3repE0EEENS1_30default_config_static_selectorELNS0_4arch9wavefront6targetE1EEEvSW_.uses_vcc, 0
	.set _ZN7rocprim17ROCPRIM_400000_NS6detail17trampoline_kernelINS0_14default_configENS1_22reduce_config_selectorIlEEZNS1_11reduce_implILb1ES3_N6thrust23THRUST_200600_302600_NS11hip_rocprim26transform_input_iterator_tIlNS8_12zip_iteratorINS8_5tupleINS8_6detail15normal_iteratorINS8_10device_ptrIyEEEESH_NS8_9null_typeESI_SI_SI_SI_SI_SI_SI_EEEENS9_21zip_adj_not_predicateI22is_equal_div_10_uniqueIyEEEEEPllNS8_4plusIlEEEE10hipError_tPvRmT1_T2_T3_mT4_P12ihipStream_tbEUlT_E1_NS1_11comp_targetILNS1_3genE0ELNS1_11target_archE4294967295ELNS1_3gpuE0ELNS1_3repE0EEENS1_30default_config_static_selectorELNS0_4arch9wavefront6targetE1EEEvSW_.uses_flat_scratch, 0
	.set _ZN7rocprim17ROCPRIM_400000_NS6detail17trampoline_kernelINS0_14default_configENS1_22reduce_config_selectorIlEEZNS1_11reduce_implILb1ES3_N6thrust23THRUST_200600_302600_NS11hip_rocprim26transform_input_iterator_tIlNS8_12zip_iteratorINS8_5tupleINS8_6detail15normal_iteratorINS8_10device_ptrIyEEEESH_NS8_9null_typeESI_SI_SI_SI_SI_SI_SI_EEEENS9_21zip_adj_not_predicateI22is_equal_div_10_uniqueIyEEEEEPllNS8_4plusIlEEEE10hipError_tPvRmT1_T2_T3_mT4_P12ihipStream_tbEUlT_E1_NS1_11comp_targetILNS1_3genE0ELNS1_11target_archE4294967295ELNS1_3gpuE0ELNS1_3repE0EEENS1_30default_config_static_selectorELNS0_4arch9wavefront6targetE1EEEvSW_.has_dyn_sized_stack, 0
	.set _ZN7rocprim17ROCPRIM_400000_NS6detail17trampoline_kernelINS0_14default_configENS1_22reduce_config_selectorIlEEZNS1_11reduce_implILb1ES3_N6thrust23THRUST_200600_302600_NS11hip_rocprim26transform_input_iterator_tIlNS8_12zip_iteratorINS8_5tupleINS8_6detail15normal_iteratorINS8_10device_ptrIyEEEESH_NS8_9null_typeESI_SI_SI_SI_SI_SI_SI_EEEENS9_21zip_adj_not_predicateI22is_equal_div_10_uniqueIyEEEEEPllNS8_4plusIlEEEE10hipError_tPvRmT1_T2_T3_mT4_P12ihipStream_tbEUlT_E1_NS1_11comp_targetILNS1_3genE0ELNS1_11target_archE4294967295ELNS1_3gpuE0ELNS1_3repE0EEENS1_30default_config_static_selectorELNS0_4arch9wavefront6targetE1EEEvSW_.has_recursion, 0
	.set _ZN7rocprim17ROCPRIM_400000_NS6detail17trampoline_kernelINS0_14default_configENS1_22reduce_config_selectorIlEEZNS1_11reduce_implILb1ES3_N6thrust23THRUST_200600_302600_NS11hip_rocprim26transform_input_iterator_tIlNS8_12zip_iteratorINS8_5tupleINS8_6detail15normal_iteratorINS8_10device_ptrIyEEEESH_NS8_9null_typeESI_SI_SI_SI_SI_SI_SI_EEEENS9_21zip_adj_not_predicateI22is_equal_div_10_uniqueIyEEEEEPllNS8_4plusIlEEEE10hipError_tPvRmT1_T2_T3_mT4_P12ihipStream_tbEUlT_E1_NS1_11comp_targetILNS1_3genE0ELNS1_11target_archE4294967295ELNS1_3gpuE0ELNS1_3repE0EEENS1_30default_config_static_selectorELNS0_4arch9wavefront6targetE1EEEvSW_.has_indirect_call, 0
	.section	.AMDGPU.csdata,"",@progbits
; Kernel info:
; codeLenInByte = 0
; TotalNumSgprs: 4
; NumVgprs: 0
; ScratchSize: 0
; MemoryBound: 0
; FloatMode: 240
; IeeeMode: 1
; LDSByteSize: 0 bytes/workgroup (compile time only)
; SGPRBlocks: 0
; VGPRBlocks: 0
; NumSGPRsForWavesPerEU: 4
; NumVGPRsForWavesPerEU: 1
; Occupancy: 10
; WaveLimiterHint : 0
; COMPUTE_PGM_RSRC2:SCRATCH_EN: 0
; COMPUTE_PGM_RSRC2:USER_SGPR: 6
; COMPUTE_PGM_RSRC2:TRAP_HANDLER: 0
; COMPUTE_PGM_RSRC2:TGID_X_EN: 1
; COMPUTE_PGM_RSRC2:TGID_Y_EN: 0
; COMPUTE_PGM_RSRC2:TGID_Z_EN: 0
; COMPUTE_PGM_RSRC2:TIDIG_COMP_CNT: 0
	.section	.text._ZN7rocprim17ROCPRIM_400000_NS6detail17trampoline_kernelINS0_14default_configENS1_22reduce_config_selectorIlEEZNS1_11reduce_implILb1ES3_N6thrust23THRUST_200600_302600_NS11hip_rocprim26transform_input_iterator_tIlNS8_12zip_iteratorINS8_5tupleINS8_6detail15normal_iteratorINS8_10device_ptrIyEEEESH_NS8_9null_typeESI_SI_SI_SI_SI_SI_SI_EEEENS9_21zip_adj_not_predicateI22is_equal_div_10_uniqueIyEEEEEPllNS8_4plusIlEEEE10hipError_tPvRmT1_T2_T3_mT4_P12ihipStream_tbEUlT_E1_NS1_11comp_targetILNS1_3genE5ELNS1_11target_archE942ELNS1_3gpuE9ELNS1_3repE0EEENS1_30default_config_static_selectorELNS0_4arch9wavefront6targetE1EEEvSW_,"axG",@progbits,_ZN7rocprim17ROCPRIM_400000_NS6detail17trampoline_kernelINS0_14default_configENS1_22reduce_config_selectorIlEEZNS1_11reduce_implILb1ES3_N6thrust23THRUST_200600_302600_NS11hip_rocprim26transform_input_iterator_tIlNS8_12zip_iteratorINS8_5tupleINS8_6detail15normal_iteratorINS8_10device_ptrIyEEEESH_NS8_9null_typeESI_SI_SI_SI_SI_SI_SI_EEEENS9_21zip_adj_not_predicateI22is_equal_div_10_uniqueIyEEEEEPllNS8_4plusIlEEEE10hipError_tPvRmT1_T2_T3_mT4_P12ihipStream_tbEUlT_E1_NS1_11comp_targetILNS1_3genE5ELNS1_11target_archE942ELNS1_3gpuE9ELNS1_3repE0EEENS1_30default_config_static_selectorELNS0_4arch9wavefront6targetE1EEEvSW_,comdat
	.protected	_ZN7rocprim17ROCPRIM_400000_NS6detail17trampoline_kernelINS0_14default_configENS1_22reduce_config_selectorIlEEZNS1_11reduce_implILb1ES3_N6thrust23THRUST_200600_302600_NS11hip_rocprim26transform_input_iterator_tIlNS8_12zip_iteratorINS8_5tupleINS8_6detail15normal_iteratorINS8_10device_ptrIyEEEESH_NS8_9null_typeESI_SI_SI_SI_SI_SI_SI_EEEENS9_21zip_adj_not_predicateI22is_equal_div_10_uniqueIyEEEEEPllNS8_4plusIlEEEE10hipError_tPvRmT1_T2_T3_mT4_P12ihipStream_tbEUlT_E1_NS1_11comp_targetILNS1_3genE5ELNS1_11target_archE942ELNS1_3gpuE9ELNS1_3repE0EEENS1_30default_config_static_selectorELNS0_4arch9wavefront6targetE1EEEvSW_ ; -- Begin function _ZN7rocprim17ROCPRIM_400000_NS6detail17trampoline_kernelINS0_14default_configENS1_22reduce_config_selectorIlEEZNS1_11reduce_implILb1ES3_N6thrust23THRUST_200600_302600_NS11hip_rocprim26transform_input_iterator_tIlNS8_12zip_iteratorINS8_5tupleINS8_6detail15normal_iteratorINS8_10device_ptrIyEEEESH_NS8_9null_typeESI_SI_SI_SI_SI_SI_SI_EEEENS9_21zip_adj_not_predicateI22is_equal_div_10_uniqueIyEEEEEPllNS8_4plusIlEEEE10hipError_tPvRmT1_T2_T3_mT4_P12ihipStream_tbEUlT_E1_NS1_11comp_targetILNS1_3genE5ELNS1_11target_archE942ELNS1_3gpuE9ELNS1_3repE0EEENS1_30default_config_static_selectorELNS0_4arch9wavefront6targetE1EEEvSW_
	.globl	_ZN7rocprim17ROCPRIM_400000_NS6detail17trampoline_kernelINS0_14default_configENS1_22reduce_config_selectorIlEEZNS1_11reduce_implILb1ES3_N6thrust23THRUST_200600_302600_NS11hip_rocprim26transform_input_iterator_tIlNS8_12zip_iteratorINS8_5tupleINS8_6detail15normal_iteratorINS8_10device_ptrIyEEEESH_NS8_9null_typeESI_SI_SI_SI_SI_SI_SI_EEEENS9_21zip_adj_not_predicateI22is_equal_div_10_uniqueIyEEEEEPllNS8_4plusIlEEEE10hipError_tPvRmT1_T2_T3_mT4_P12ihipStream_tbEUlT_E1_NS1_11comp_targetILNS1_3genE5ELNS1_11target_archE942ELNS1_3gpuE9ELNS1_3repE0EEENS1_30default_config_static_selectorELNS0_4arch9wavefront6targetE1EEEvSW_
	.p2align	8
	.type	_ZN7rocprim17ROCPRIM_400000_NS6detail17trampoline_kernelINS0_14default_configENS1_22reduce_config_selectorIlEEZNS1_11reduce_implILb1ES3_N6thrust23THRUST_200600_302600_NS11hip_rocprim26transform_input_iterator_tIlNS8_12zip_iteratorINS8_5tupleINS8_6detail15normal_iteratorINS8_10device_ptrIyEEEESH_NS8_9null_typeESI_SI_SI_SI_SI_SI_SI_EEEENS9_21zip_adj_not_predicateI22is_equal_div_10_uniqueIyEEEEEPllNS8_4plusIlEEEE10hipError_tPvRmT1_T2_T3_mT4_P12ihipStream_tbEUlT_E1_NS1_11comp_targetILNS1_3genE5ELNS1_11target_archE942ELNS1_3gpuE9ELNS1_3repE0EEENS1_30default_config_static_selectorELNS0_4arch9wavefront6targetE1EEEvSW_,@function
_ZN7rocprim17ROCPRIM_400000_NS6detail17trampoline_kernelINS0_14default_configENS1_22reduce_config_selectorIlEEZNS1_11reduce_implILb1ES3_N6thrust23THRUST_200600_302600_NS11hip_rocprim26transform_input_iterator_tIlNS8_12zip_iteratorINS8_5tupleINS8_6detail15normal_iteratorINS8_10device_ptrIyEEEESH_NS8_9null_typeESI_SI_SI_SI_SI_SI_SI_EEEENS9_21zip_adj_not_predicateI22is_equal_div_10_uniqueIyEEEEEPllNS8_4plusIlEEEE10hipError_tPvRmT1_T2_T3_mT4_P12ihipStream_tbEUlT_E1_NS1_11comp_targetILNS1_3genE5ELNS1_11target_archE942ELNS1_3gpuE9ELNS1_3repE0EEENS1_30default_config_static_selectorELNS0_4arch9wavefront6targetE1EEEvSW_: ; @_ZN7rocprim17ROCPRIM_400000_NS6detail17trampoline_kernelINS0_14default_configENS1_22reduce_config_selectorIlEEZNS1_11reduce_implILb1ES3_N6thrust23THRUST_200600_302600_NS11hip_rocprim26transform_input_iterator_tIlNS8_12zip_iteratorINS8_5tupleINS8_6detail15normal_iteratorINS8_10device_ptrIyEEEESH_NS8_9null_typeESI_SI_SI_SI_SI_SI_SI_EEEENS9_21zip_adj_not_predicateI22is_equal_div_10_uniqueIyEEEEEPllNS8_4plusIlEEEE10hipError_tPvRmT1_T2_T3_mT4_P12ihipStream_tbEUlT_E1_NS1_11comp_targetILNS1_3genE5ELNS1_11target_archE942ELNS1_3gpuE9ELNS1_3repE0EEENS1_30default_config_static_selectorELNS0_4arch9wavefront6targetE1EEEvSW_
; %bb.0:
	.section	.rodata,"a",@progbits
	.p2align	6, 0x0
	.amdhsa_kernel _ZN7rocprim17ROCPRIM_400000_NS6detail17trampoline_kernelINS0_14default_configENS1_22reduce_config_selectorIlEEZNS1_11reduce_implILb1ES3_N6thrust23THRUST_200600_302600_NS11hip_rocprim26transform_input_iterator_tIlNS8_12zip_iteratorINS8_5tupleINS8_6detail15normal_iteratorINS8_10device_ptrIyEEEESH_NS8_9null_typeESI_SI_SI_SI_SI_SI_SI_EEEENS9_21zip_adj_not_predicateI22is_equal_div_10_uniqueIyEEEEEPllNS8_4plusIlEEEE10hipError_tPvRmT1_T2_T3_mT4_P12ihipStream_tbEUlT_E1_NS1_11comp_targetILNS1_3genE5ELNS1_11target_archE942ELNS1_3gpuE9ELNS1_3repE0EEENS1_30default_config_static_selectorELNS0_4arch9wavefront6targetE1EEEvSW_
		.amdhsa_group_segment_fixed_size 0
		.amdhsa_private_segment_fixed_size 0
		.amdhsa_kernarg_size 64
		.amdhsa_user_sgpr_count 6
		.amdhsa_user_sgpr_private_segment_buffer 1
		.amdhsa_user_sgpr_dispatch_ptr 0
		.amdhsa_user_sgpr_queue_ptr 0
		.amdhsa_user_sgpr_kernarg_segment_ptr 1
		.amdhsa_user_sgpr_dispatch_id 0
		.amdhsa_user_sgpr_flat_scratch_init 0
		.amdhsa_user_sgpr_private_segment_size 0
		.amdhsa_uses_dynamic_stack 0
		.amdhsa_system_sgpr_private_segment_wavefront_offset 0
		.amdhsa_system_sgpr_workgroup_id_x 1
		.amdhsa_system_sgpr_workgroup_id_y 0
		.amdhsa_system_sgpr_workgroup_id_z 0
		.amdhsa_system_sgpr_workgroup_info 0
		.amdhsa_system_vgpr_workitem_id 0
		.amdhsa_next_free_vgpr 1
		.amdhsa_next_free_sgpr 0
		.amdhsa_reserve_vcc 0
		.amdhsa_reserve_flat_scratch 0
		.amdhsa_float_round_mode_32 0
		.amdhsa_float_round_mode_16_64 0
		.amdhsa_float_denorm_mode_32 3
		.amdhsa_float_denorm_mode_16_64 3
		.amdhsa_dx10_clamp 1
		.amdhsa_ieee_mode 1
		.amdhsa_fp16_overflow 0
		.amdhsa_exception_fp_ieee_invalid_op 0
		.amdhsa_exception_fp_denorm_src 0
		.amdhsa_exception_fp_ieee_div_zero 0
		.amdhsa_exception_fp_ieee_overflow 0
		.amdhsa_exception_fp_ieee_underflow 0
		.amdhsa_exception_fp_ieee_inexact 0
		.amdhsa_exception_int_div_zero 0
	.end_amdhsa_kernel
	.section	.text._ZN7rocprim17ROCPRIM_400000_NS6detail17trampoline_kernelINS0_14default_configENS1_22reduce_config_selectorIlEEZNS1_11reduce_implILb1ES3_N6thrust23THRUST_200600_302600_NS11hip_rocprim26transform_input_iterator_tIlNS8_12zip_iteratorINS8_5tupleINS8_6detail15normal_iteratorINS8_10device_ptrIyEEEESH_NS8_9null_typeESI_SI_SI_SI_SI_SI_SI_EEEENS9_21zip_adj_not_predicateI22is_equal_div_10_uniqueIyEEEEEPllNS8_4plusIlEEEE10hipError_tPvRmT1_T2_T3_mT4_P12ihipStream_tbEUlT_E1_NS1_11comp_targetILNS1_3genE5ELNS1_11target_archE942ELNS1_3gpuE9ELNS1_3repE0EEENS1_30default_config_static_selectorELNS0_4arch9wavefront6targetE1EEEvSW_,"axG",@progbits,_ZN7rocprim17ROCPRIM_400000_NS6detail17trampoline_kernelINS0_14default_configENS1_22reduce_config_selectorIlEEZNS1_11reduce_implILb1ES3_N6thrust23THRUST_200600_302600_NS11hip_rocprim26transform_input_iterator_tIlNS8_12zip_iteratorINS8_5tupleINS8_6detail15normal_iteratorINS8_10device_ptrIyEEEESH_NS8_9null_typeESI_SI_SI_SI_SI_SI_SI_EEEENS9_21zip_adj_not_predicateI22is_equal_div_10_uniqueIyEEEEEPllNS8_4plusIlEEEE10hipError_tPvRmT1_T2_T3_mT4_P12ihipStream_tbEUlT_E1_NS1_11comp_targetILNS1_3genE5ELNS1_11target_archE942ELNS1_3gpuE9ELNS1_3repE0EEENS1_30default_config_static_selectorELNS0_4arch9wavefront6targetE1EEEvSW_,comdat
.Lfunc_end843:
	.size	_ZN7rocprim17ROCPRIM_400000_NS6detail17trampoline_kernelINS0_14default_configENS1_22reduce_config_selectorIlEEZNS1_11reduce_implILb1ES3_N6thrust23THRUST_200600_302600_NS11hip_rocprim26transform_input_iterator_tIlNS8_12zip_iteratorINS8_5tupleINS8_6detail15normal_iteratorINS8_10device_ptrIyEEEESH_NS8_9null_typeESI_SI_SI_SI_SI_SI_SI_EEEENS9_21zip_adj_not_predicateI22is_equal_div_10_uniqueIyEEEEEPllNS8_4plusIlEEEE10hipError_tPvRmT1_T2_T3_mT4_P12ihipStream_tbEUlT_E1_NS1_11comp_targetILNS1_3genE5ELNS1_11target_archE942ELNS1_3gpuE9ELNS1_3repE0EEENS1_30default_config_static_selectorELNS0_4arch9wavefront6targetE1EEEvSW_, .Lfunc_end843-_ZN7rocprim17ROCPRIM_400000_NS6detail17trampoline_kernelINS0_14default_configENS1_22reduce_config_selectorIlEEZNS1_11reduce_implILb1ES3_N6thrust23THRUST_200600_302600_NS11hip_rocprim26transform_input_iterator_tIlNS8_12zip_iteratorINS8_5tupleINS8_6detail15normal_iteratorINS8_10device_ptrIyEEEESH_NS8_9null_typeESI_SI_SI_SI_SI_SI_SI_EEEENS9_21zip_adj_not_predicateI22is_equal_div_10_uniqueIyEEEEEPllNS8_4plusIlEEEE10hipError_tPvRmT1_T2_T3_mT4_P12ihipStream_tbEUlT_E1_NS1_11comp_targetILNS1_3genE5ELNS1_11target_archE942ELNS1_3gpuE9ELNS1_3repE0EEENS1_30default_config_static_selectorELNS0_4arch9wavefront6targetE1EEEvSW_
                                        ; -- End function
	.set _ZN7rocprim17ROCPRIM_400000_NS6detail17trampoline_kernelINS0_14default_configENS1_22reduce_config_selectorIlEEZNS1_11reduce_implILb1ES3_N6thrust23THRUST_200600_302600_NS11hip_rocprim26transform_input_iterator_tIlNS8_12zip_iteratorINS8_5tupleINS8_6detail15normal_iteratorINS8_10device_ptrIyEEEESH_NS8_9null_typeESI_SI_SI_SI_SI_SI_SI_EEEENS9_21zip_adj_not_predicateI22is_equal_div_10_uniqueIyEEEEEPllNS8_4plusIlEEEE10hipError_tPvRmT1_T2_T3_mT4_P12ihipStream_tbEUlT_E1_NS1_11comp_targetILNS1_3genE5ELNS1_11target_archE942ELNS1_3gpuE9ELNS1_3repE0EEENS1_30default_config_static_selectorELNS0_4arch9wavefront6targetE1EEEvSW_.num_vgpr, 0
	.set _ZN7rocprim17ROCPRIM_400000_NS6detail17trampoline_kernelINS0_14default_configENS1_22reduce_config_selectorIlEEZNS1_11reduce_implILb1ES3_N6thrust23THRUST_200600_302600_NS11hip_rocprim26transform_input_iterator_tIlNS8_12zip_iteratorINS8_5tupleINS8_6detail15normal_iteratorINS8_10device_ptrIyEEEESH_NS8_9null_typeESI_SI_SI_SI_SI_SI_SI_EEEENS9_21zip_adj_not_predicateI22is_equal_div_10_uniqueIyEEEEEPllNS8_4plusIlEEEE10hipError_tPvRmT1_T2_T3_mT4_P12ihipStream_tbEUlT_E1_NS1_11comp_targetILNS1_3genE5ELNS1_11target_archE942ELNS1_3gpuE9ELNS1_3repE0EEENS1_30default_config_static_selectorELNS0_4arch9wavefront6targetE1EEEvSW_.num_agpr, 0
	.set _ZN7rocprim17ROCPRIM_400000_NS6detail17trampoline_kernelINS0_14default_configENS1_22reduce_config_selectorIlEEZNS1_11reduce_implILb1ES3_N6thrust23THRUST_200600_302600_NS11hip_rocprim26transform_input_iterator_tIlNS8_12zip_iteratorINS8_5tupleINS8_6detail15normal_iteratorINS8_10device_ptrIyEEEESH_NS8_9null_typeESI_SI_SI_SI_SI_SI_SI_EEEENS9_21zip_adj_not_predicateI22is_equal_div_10_uniqueIyEEEEEPllNS8_4plusIlEEEE10hipError_tPvRmT1_T2_T3_mT4_P12ihipStream_tbEUlT_E1_NS1_11comp_targetILNS1_3genE5ELNS1_11target_archE942ELNS1_3gpuE9ELNS1_3repE0EEENS1_30default_config_static_selectorELNS0_4arch9wavefront6targetE1EEEvSW_.numbered_sgpr, 0
	.set _ZN7rocprim17ROCPRIM_400000_NS6detail17trampoline_kernelINS0_14default_configENS1_22reduce_config_selectorIlEEZNS1_11reduce_implILb1ES3_N6thrust23THRUST_200600_302600_NS11hip_rocprim26transform_input_iterator_tIlNS8_12zip_iteratorINS8_5tupleINS8_6detail15normal_iteratorINS8_10device_ptrIyEEEESH_NS8_9null_typeESI_SI_SI_SI_SI_SI_SI_EEEENS9_21zip_adj_not_predicateI22is_equal_div_10_uniqueIyEEEEEPllNS8_4plusIlEEEE10hipError_tPvRmT1_T2_T3_mT4_P12ihipStream_tbEUlT_E1_NS1_11comp_targetILNS1_3genE5ELNS1_11target_archE942ELNS1_3gpuE9ELNS1_3repE0EEENS1_30default_config_static_selectorELNS0_4arch9wavefront6targetE1EEEvSW_.num_named_barrier, 0
	.set _ZN7rocprim17ROCPRIM_400000_NS6detail17trampoline_kernelINS0_14default_configENS1_22reduce_config_selectorIlEEZNS1_11reduce_implILb1ES3_N6thrust23THRUST_200600_302600_NS11hip_rocprim26transform_input_iterator_tIlNS8_12zip_iteratorINS8_5tupleINS8_6detail15normal_iteratorINS8_10device_ptrIyEEEESH_NS8_9null_typeESI_SI_SI_SI_SI_SI_SI_EEEENS9_21zip_adj_not_predicateI22is_equal_div_10_uniqueIyEEEEEPllNS8_4plusIlEEEE10hipError_tPvRmT1_T2_T3_mT4_P12ihipStream_tbEUlT_E1_NS1_11comp_targetILNS1_3genE5ELNS1_11target_archE942ELNS1_3gpuE9ELNS1_3repE0EEENS1_30default_config_static_selectorELNS0_4arch9wavefront6targetE1EEEvSW_.private_seg_size, 0
	.set _ZN7rocprim17ROCPRIM_400000_NS6detail17trampoline_kernelINS0_14default_configENS1_22reduce_config_selectorIlEEZNS1_11reduce_implILb1ES3_N6thrust23THRUST_200600_302600_NS11hip_rocprim26transform_input_iterator_tIlNS8_12zip_iteratorINS8_5tupleINS8_6detail15normal_iteratorINS8_10device_ptrIyEEEESH_NS8_9null_typeESI_SI_SI_SI_SI_SI_SI_EEEENS9_21zip_adj_not_predicateI22is_equal_div_10_uniqueIyEEEEEPllNS8_4plusIlEEEE10hipError_tPvRmT1_T2_T3_mT4_P12ihipStream_tbEUlT_E1_NS1_11comp_targetILNS1_3genE5ELNS1_11target_archE942ELNS1_3gpuE9ELNS1_3repE0EEENS1_30default_config_static_selectorELNS0_4arch9wavefront6targetE1EEEvSW_.uses_vcc, 0
	.set _ZN7rocprim17ROCPRIM_400000_NS6detail17trampoline_kernelINS0_14default_configENS1_22reduce_config_selectorIlEEZNS1_11reduce_implILb1ES3_N6thrust23THRUST_200600_302600_NS11hip_rocprim26transform_input_iterator_tIlNS8_12zip_iteratorINS8_5tupleINS8_6detail15normal_iteratorINS8_10device_ptrIyEEEESH_NS8_9null_typeESI_SI_SI_SI_SI_SI_SI_EEEENS9_21zip_adj_not_predicateI22is_equal_div_10_uniqueIyEEEEEPllNS8_4plusIlEEEE10hipError_tPvRmT1_T2_T3_mT4_P12ihipStream_tbEUlT_E1_NS1_11comp_targetILNS1_3genE5ELNS1_11target_archE942ELNS1_3gpuE9ELNS1_3repE0EEENS1_30default_config_static_selectorELNS0_4arch9wavefront6targetE1EEEvSW_.uses_flat_scratch, 0
	.set _ZN7rocprim17ROCPRIM_400000_NS6detail17trampoline_kernelINS0_14default_configENS1_22reduce_config_selectorIlEEZNS1_11reduce_implILb1ES3_N6thrust23THRUST_200600_302600_NS11hip_rocprim26transform_input_iterator_tIlNS8_12zip_iteratorINS8_5tupleINS8_6detail15normal_iteratorINS8_10device_ptrIyEEEESH_NS8_9null_typeESI_SI_SI_SI_SI_SI_SI_EEEENS9_21zip_adj_not_predicateI22is_equal_div_10_uniqueIyEEEEEPllNS8_4plusIlEEEE10hipError_tPvRmT1_T2_T3_mT4_P12ihipStream_tbEUlT_E1_NS1_11comp_targetILNS1_3genE5ELNS1_11target_archE942ELNS1_3gpuE9ELNS1_3repE0EEENS1_30default_config_static_selectorELNS0_4arch9wavefront6targetE1EEEvSW_.has_dyn_sized_stack, 0
	.set _ZN7rocprim17ROCPRIM_400000_NS6detail17trampoline_kernelINS0_14default_configENS1_22reduce_config_selectorIlEEZNS1_11reduce_implILb1ES3_N6thrust23THRUST_200600_302600_NS11hip_rocprim26transform_input_iterator_tIlNS8_12zip_iteratorINS8_5tupleINS8_6detail15normal_iteratorINS8_10device_ptrIyEEEESH_NS8_9null_typeESI_SI_SI_SI_SI_SI_SI_EEEENS9_21zip_adj_not_predicateI22is_equal_div_10_uniqueIyEEEEEPllNS8_4plusIlEEEE10hipError_tPvRmT1_T2_T3_mT4_P12ihipStream_tbEUlT_E1_NS1_11comp_targetILNS1_3genE5ELNS1_11target_archE942ELNS1_3gpuE9ELNS1_3repE0EEENS1_30default_config_static_selectorELNS0_4arch9wavefront6targetE1EEEvSW_.has_recursion, 0
	.set _ZN7rocprim17ROCPRIM_400000_NS6detail17trampoline_kernelINS0_14default_configENS1_22reduce_config_selectorIlEEZNS1_11reduce_implILb1ES3_N6thrust23THRUST_200600_302600_NS11hip_rocprim26transform_input_iterator_tIlNS8_12zip_iteratorINS8_5tupleINS8_6detail15normal_iteratorINS8_10device_ptrIyEEEESH_NS8_9null_typeESI_SI_SI_SI_SI_SI_SI_EEEENS9_21zip_adj_not_predicateI22is_equal_div_10_uniqueIyEEEEEPllNS8_4plusIlEEEE10hipError_tPvRmT1_T2_T3_mT4_P12ihipStream_tbEUlT_E1_NS1_11comp_targetILNS1_3genE5ELNS1_11target_archE942ELNS1_3gpuE9ELNS1_3repE0EEENS1_30default_config_static_selectorELNS0_4arch9wavefront6targetE1EEEvSW_.has_indirect_call, 0
	.section	.AMDGPU.csdata,"",@progbits
; Kernel info:
; codeLenInByte = 0
; TotalNumSgprs: 4
; NumVgprs: 0
; ScratchSize: 0
; MemoryBound: 0
; FloatMode: 240
; IeeeMode: 1
; LDSByteSize: 0 bytes/workgroup (compile time only)
; SGPRBlocks: 0
; VGPRBlocks: 0
; NumSGPRsForWavesPerEU: 4
; NumVGPRsForWavesPerEU: 1
; Occupancy: 10
; WaveLimiterHint : 0
; COMPUTE_PGM_RSRC2:SCRATCH_EN: 0
; COMPUTE_PGM_RSRC2:USER_SGPR: 6
; COMPUTE_PGM_RSRC2:TRAP_HANDLER: 0
; COMPUTE_PGM_RSRC2:TGID_X_EN: 1
; COMPUTE_PGM_RSRC2:TGID_Y_EN: 0
; COMPUTE_PGM_RSRC2:TGID_Z_EN: 0
; COMPUTE_PGM_RSRC2:TIDIG_COMP_CNT: 0
	.section	.text._ZN7rocprim17ROCPRIM_400000_NS6detail17trampoline_kernelINS0_14default_configENS1_22reduce_config_selectorIlEEZNS1_11reduce_implILb1ES3_N6thrust23THRUST_200600_302600_NS11hip_rocprim26transform_input_iterator_tIlNS8_12zip_iteratorINS8_5tupleINS8_6detail15normal_iteratorINS8_10device_ptrIyEEEESH_NS8_9null_typeESI_SI_SI_SI_SI_SI_SI_EEEENS9_21zip_adj_not_predicateI22is_equal_div_10_uniqueIyEEEEEPllNS8_4plusIlEEEE10hipError_tPvRmT1_T2_T3_mT4_P12ihipStream_tbEUlT_E1_NS1_11comp_targetILNS1_3genE4ELNS1_11target_archE910ELNS1_3gpuE8ELNS1_3repE0EEENS1_30default_config_static_selectorELNS0_4arch9wavefront6targetE1EEEvSW_,"axG",@progbits,_ZN7rocprim17ROCPRIM_400000_NS6detail17trampoline_kernelINS0_14default_configENS1_22reduce_config_selectorIlEEZNS1_11reduce_implILb1ES3_N6thrust23THRUST_200600_302600_NS11hip_rocprim26transform_input_iterator_tIlNS8_12zip_iteratorINS8_5tupleINS8_6detail15normal_iteratorINS8_10device_ptrIyEEEESH_NS8_9null_typeESI_SI_SI_SI_SI_SI_SI_EEEENS9_21zip_adj_not_predicateI22is_equal_div_10_uniqueIyEEEEEPllNS8_4plusIlEEEE10hipError_tPvRmT1_T2_T3_mT4_P12ihipStream_tbEUlT_E1_NS1_11comp_targetILNS1_3genE4ELNS1_11target_archE910ELNS1_3gpuE8ELNS1_3repE0EEENS1_30default_config_static_selectorELNS0_4arch9wavefront6targetE1EEEvSW_,comdat
	.protected	_ZN7rocprim17ROCPRIM_400000_NS6detail17trampoline_kernelINS0_14default_configENS1_22reduce_config_selectorIlEEZNS1_11reduce_implILb1ES3_N6thrust23THRUST_200600_302600_NS11hip_rocprim26transform_input_iterator_tIlNS8_12zip_iteratorINS8_5tupleINS8_6detail15normal_iteratorINS8_10device_ptrIyEEEESH_NS8_9null_typeESI_SI_SI_SI_SI_SI_SI_EEEENS9_21zip_adj_not_predicateI22is_equal_div_10_uniqueIyEEEEEPllNS8_4plusIlEEEE10hipError_tPvRmT1_T2_T3_mT4_P12ihipStream_tbEUlT_E1_NS1_11comp_targetILNS1_3genE4ELNS1_11target_archE910ELNS1_3gpuE8ELNS1_3repE0EEENS1_30default_config_static_selectorELNS0_4arch9wavefront6targetE1EEEvSW_ ; -- Begin function _ZN7rocprim17ROCPRIM_400000_NS6detail17trampoline_kernelINS0_14default_configENS1_22reduce_config_selectorIlEEZNS1_11reduce_implILb1ES3_N6thrust23THRUST_200600_302600_NS11hip_rocprim26transform_input_iterator_tIlNS8_12zip_iteratorINS8_5tupleINS8_6detail15normal_iteratorINS8_10device_ptrIyEEEESH_NS8_9null_typeESI_SI_SI_SI_SI_SI_SI_EEEENS9_21zip_adj_not_predicateI22is_equal_div_10_uniqueIyEEEEEPllNS8_4plusIlEEEE10hipError_tPvRmT1_T2_T3_mT4_P12ihipStream_tbEUlT_E1_NS1_11comp_targetILNS1_3genE4ELNS1_11target_archE910ELNS1_3gpuE8ELNS1_3repE0EEENS1_30default_config_static_selectorELNS0_4arch9wavefront6targetE1EEEvSW_
	.globl	_ZN7rocprim17ROCPRIM_400000_NS6detail17trampoline_kernelINS0_14default_configENS1_22reduce_config_selectorIlEEZNS1_11reduce_implILb1ES3_N6thrust23THRUST_200600_302600_NS11hip_rocprim26transform_input_iterator_tIlNS8_12zip_iteratorINS8_5tupleINS8_6detail15normal_iteratorINS8_10device_ptrIyEEEESH_NS8_9null_typeESI_SI_SI_SI_SI_SI_SI_EEEENS9_21zip_adj_not_predicateI22is_equal_div_10_uniqueIyEEEEEPllNS8_4plusIlEEEE10hipError_tPvRmT1_T2_T3_mT4_P12ihipStream_tbEUlT_E1_NS1_11comp_targetILNS1_3genE4ELNS1_11target_archE910ELNS1_3gpuE8ELNS1_3repE0EEENS1_30default_config_static_selectorELNS0_4arch9wavefront6targetE1EEEvSW_
	.p2align	8
	.type	_ZN7rocprim17ROCPRIM_400000_NS6detail17trampoline_kernelINS0_14default_configENS1_22reduce_config_selectorIlEEZNS1_11reduce_implILb1ES3_N6thrust23THRUST_200600_302600_NS11hip_rocprim26transform_input_iterator_tIlNS8_12zip_iteratorINS8_5tupleINS8_6detail15normal_iteratorINS8_10device_ptrIyEEEESH_NS8_9null_typeESI_SI_SI_SI_SI_SI_SI_EEEENS9_21zip_adj_not_predicateI22is_equal_div_10_uniqueIyEEEEEPllNS8_4plusIlEEEE10hipError_tPvRmT1_T2_T3_mT4_P12ihipStream_tbEUlT_E1_NS1_11comp_targetILNS1_3genE4ELNS1_11target_archE910ELNS1_3gpuE8ELNS1_3repE0EEENS1_30default_config_static_selectorELNS0_4arch9wavefront6targetE1EEEvSW_,@function
_ZN7rocprim17ROCPRIM_400000_NS6detail17trampoline_kernelINS0_14default_configENS1_22reduce_config_selectorIlEEZNS1_11reduce_implILb1ES3_N6thrust23THRUST_200600_302600_NS11hip_rocprim26transform_input_iterator_tIlNS8_12zip_iteratorINS8_5tupleINS8_6detail15normal_iteratorINS8_10device_ptrIyEEEESH_NS8_9null_typeESI_SI_SI_SI_SI_SI_SI_EEEENS9_21zip_adj_not_predicateI22is_equal_div_10_uniqueIyEEEEEPllNS8_4plusIlEEEE10hipError_tPvRmT1_T2_T3_mT4_P12ihipStream_tbEUlT_E1_NS1_11comp_targetILNS1_3genE4ELNS1_11target_archE910ELNS1_3gpuE8ELNS1_3repE0EEENS1_30default_config_static_selectorELNS0_4arch9wavefront6targetE1EEEvSW_: ; @_ZN7rocprim17ROCPRIM_400000_NS6detail17trampoline_kernelINS0_14default_configENS1_22reduce_config_selectorIlEEZNS1_11reduce_implILb1ES3_N6thrust23THRUST_200600_302600_NS11hip_rocprim26transform_input_iterator_tIlNS8_12zip_iteratorINS8_5tupleINS8_6detail15normal_iteratorINS8_10device_ptrIyEEEESH_NS8_9null_typeESI_SI_SI_SI_SI_SI_SI_EEEENS9_21zip_adj_not_predicateI22is_equal_div_10_uniqueIyEEEEEPllNS8_4plusIlEEEE10hipError_tPvRmT1_T2_T3_mT4_P12ihipStream_tbEUlT_E1_NS1_11comp_targetILNS1_3genE4ELNS1_11target_archE910ELNS1_3gpuE8ELNS1_3repE0EEENS1_30default_config_static_selectorELNS0_4arch9wavefront6targetE1EEEvSW_
; %bb.0:
	.section	.rodata,"a",@progbits
	.p2align	6, 0x0
	.amdhsa_kernel _ZN7rocprim17ROCPRIM_400000_NS6detail17trampoline_kernelINS0_14default_configENS1_22reduce_config_selectorIlEEZNS1_11reduce_implILb1ES3_N6thrust23THRUST_200600_302600_NS11hip_rocprim26transform_input_iterator_tIlNS8_12zip_iteratorINS8_5tupleINS8_6detail15normal_iteratorINS8_10device_ptrIyEEEESH_NS8_9null_typeESI_SI_SI_SI_SI_SI_SI_EEEENS9_21zip_adj_not_predicateI22is_equal_div_10_uniqueIyEEEEEPllNS8_4plusIlEEEE10hipError_tPvRmT1_T2_T3_mT4_P12ihipStream_tbEUlT_E1_NS1_11comp_targetILNS1_3genE4ELNS1_11target_archE910ELNS1_3gpuE8ELNS1_3repE0EEENS1_30default_config_static_selectorELNS0_4arch9wavefront6targetE1EEEvSW_
		.amdhsa_group_segment_fixed_size 0
		.amdhsa_private_segment_fixed_size 0
		.amdhsa_kernarg_size 64
		.amdhsa_user_sgpr_count 6
		.amdhsa_user_sgpr_private_segment_buffer 1
		.amdhsa_user_sgpr_dispatch_ptr 0
		.amdhsa_user_sgpr_queue_ptr 0
		.amdhsa_user_sgpr_kernarg_segment_ptr 1
		.amdhsa_user_sgpr_dispatch_id 0
		.amdhsa_user_sgpr_flat_scratch_init 0
		.amdhsa_user_sgpr_private_segment_size 0
		.amdhsa_uses_dynamic_stack 0
		.amdhsa_system_sgpr_private_segment_wavefront_offset 0
		.amdhsa_system_sgpr_workgroup_id_x 1
		.amdhsa_system_sgpr_workgroup_id_y 0
		.amdhsa_system_sgpr_workgroup_id_z 0
		.amdhsa_system_sgpr_workgroup_info 0
		.amdhsa_system_vgpr_workitem_id 0
		.amdhsa_next_free_vgpr 1
		.amdhsa_next_free_sgpr 0
		.amdhsa_reserve_vcc 0
		.amdhsa_reserve_flat_scratch 0
		.amdhsa_float_round_mode_32 0
		.amdhsa_float_round_mode_16_64 0
		.amdhsa_float_denorm_mode_32 3
		.amdhsa_float_denorm_mode_16_64 3
		.amdhsa_dx10_clamp 1
		.amdhsa_ieee_mode 1
		.amdhsa_fp16_overflow 0
		.amdhsa_exception_fp_ieee_invalid_op 0
		.amdhsa_exception_fp_denorm_src 0
		.amdhsa_exception_fp_ieee_div_zero 0
		.amdhsa_exception_fp_ieee_overflow 0
		.amdhsa_exception_fp_ieee_underflow 0
		.amdhsa_exception_fp_ieee_inexact 0
		.amdhsa_exception_int_div_zero 0
	.end_amdhsa_kernel
	.section	.text._ZN7rocprim17ROCPRIM_400000_NS6detail17trampoline_kernelINS0_14default_configENS1_22reduce_config_selectorIlEEZNS1_11reduce_implILb1ES3_N6thrust23THRUST_200600_302600_NS11hip_rocprim26transform_input_iterator_tIlNS8_12zip_iteratorINS8_5tupleINS8_6detail15normal_iteratorINS8_10device_ptrIyEEEESH_NS8_9null_typeESI_SI_SI_SI_SI_SI_SI_EEEENS9_21zip_adj_not_predicateI22is_equal_div_10_uniqueIyEEEEEPllNS8_4plusIlEEEE10hipError_tPvRmT1_T2_T3_mT4_P12ihipStream_tbEUlT_E1_NS1_11comp_targetILNS1_3genE4ELNS1_11target_archE910ELNS1_3gpuE8ELNS1_3repE0EEENS1_30default_config_static_selectorELNS0_4arch9wavefront6targetE1EEEvSW_,"axG",@progbits,_ZN7rocprim17ROCPRIM_400000_NS6detail17trampoline_kernelINS0_14default_configENS1_22reduce_config_selectorIlEEZNS1_11reduce_implILb1ES3_N6thrust23THRUST_200600_302600_NS11hip_rocprim26transform_input_iterator_tIlNS8_12zip_iteratorINS8_5tupleINS8_6detail15normal_iteratorINS8_10device_ptrIyEEEESH_NS8_9null_typeESI_SI_SI_SI_SI_SI_SI_EEEENS9_21zip_adj_not_predicateI22is_equal_div_10_uniqueIyEEEEEPllNS8_4plusIlEEEE10hipError_tPvRmT1_T2_T3_mT4_P12ihipStream_tbEUlT_E1_NS1_11comp_targetILNS1_3genE4ELNS1_11target_archE910ELNS1_3gpuE8ELNS1_3repE0EEENS1_30default_config_static_selectorELNS0_4arch9wavefront6targetE1EEEvSW_,comdat
.Lfunc_end844:
	.size	_ZN7rocprim17ROCPRIM_400000_NS6detail17trampoline_kernelINS0_14default_configENS1_22reduce_config_selectorIlEEZNS1_11reduce_implILb1ES3_N6thrust23THRUST_200600_302600_NS11hip_rocprim26transform_input_iterator_tIlNS8_12zip_iteratorINS8_5tupleINS8_6detail15normal_iteratorINS8_10device_ptrIyEEEESH_NS8_9null_typeESI_SI_SI_SI_SI_SI_SI_EEEENS9_21zip_adj_not_predicateI22is_equal_div_10_uniqueIyEEEEEPllNS8_4plusIlEEEE10hipError_tPvRmT1_T2_T3_mT4_P12ihipStream_tbEUlT_E1_NS1_11comp_targetILNS1_3genE4ELNS1_11target_archE910ELNS1_3gpuE8ELNS1_3repE0EEENS1_30default_config_static_selectorELNS0_4arch9wavefront6targetE1EEEvSW_, .Lfunc_end844-_ZN7rocprim17ROCPRIM_400000_NS6detail17trampoline_kernelINS0_14default_configENS1_22reduce_config_selectorIlEEZNS1_11reduce_implILb1ES3_N6thrust23THRUST_200600_302600_NS11hip_rocprim26transform_input_iterator_tIlNS8_12zip_iteratorINS8_5tupleINS8_6detail15normal_iteratorINS8_10device_ptrIyEEEESH_NS8_9null_typeESI_SI_SI_SI_SI_SI_SI_EEEENS9_21zip_adj_not_predicateI22is_equal_div_10_uniqueIyEEEEEPllNS8_4plusIlEEEE10hipError_tPvRmT1_T2_T3_mT4_P12ihipStream_tbEUlT_E1_NS1_11comp_targetILNS1_3genE4ELNS1_11target_archE910ELNS1_3gpuE8ELNS1_3repE0EEENS1_30default_config_static_selectorELNS0_4arch9wavefront6targetE1EEEvSW_
                                        ; -- End function
	.set _ZN7rocprim17ROCPRIM_400000_NS6detail17trampoline_kernelINS0_14default_configENS1_22reduce_config_selectorIlEEZNS1_11reduce_implILb1ES3_N6thrust23THRUST_200600_302600_NS11hip_rocprim26transform_input_iterator_tIlNS8_12zip_iteratorINS8_5tupleINS8_6detail15normal_iteratorINS8_10device_ptrIyEEEESH_NS8_9null_typeESI_SI_SI_SI_SI_SI_SI_EEEENS9_21zip_adj_not_predicateI22is_equal_div_10_uniqueIyEEEEEPllNS8_4plusIlEEEE10hipError_tPvRmT1_T2_T3_mT4_P12ihipStream_tbEUlT_E1_NS1_11comp_targetILNS1_3genE4ELNS1_11target_archE910ELNS1_3gpuE8ELNS1_3repE0EEENS1_30default_config_static_selectorELNS0_4arch9wavefront6targetE1EEEvSW_.num_vgpr, 0
	.set _ZN7rocprim17ROCPRIM_400000_NS6detail17trampoline_kernelINS0_14default_configENS1_22reduce_config_selectorIlEEZNS1_11reduce_implILb1ES3_N6thrust23THRUST_200600_302600_NS11hip_rocprim26transform_input_iterator_tIlNS8_12zip_iteratorINS8_5tupleINS8_6detail15normal_iteratorINS8_10device_ptrIyEEEESH_NS8_9null_typeESI_SI_SI_SI_SI_SI_SI_EEEENS9_21zip_adj_not_predicateI22is_equal_div_10_uniqueIyEEEEEPllNS8_4plusIlEEEE10hipError_tPvRmT1_T2_T3_mT4_P12ihipStream_tbEUlT_E1_NS1_11comp_targetILNS1_3genE4ELNS1_11target_archE910ELNS1_3gpuE8ELNS1_3repE0EEENS1_30default_config_static_selectorELNS0_4arch9wavefront6targetE1EEEvSW_.num_agpr, 0
	.set _ZN7rocprim17ROCPRIM_400000_NS6detail17trampoline_kernelINS0_14default_configENS1_22reduce_config_selectorIlEEZNS1_11reduce_implILb1ES3_N6thrust23THRUST_200600_302600_NS11hip_rocprim26transform_input_iterator_tIlNS8_12zip_iteratorINS8_5tupleINS8_6detail15normal_iteratorINS8_10device_ptrIyEEEESH_NS8_9null_typeESI_SI_SI_SI_SI_SI_SI_EEEENS9_21zip_adj_not_predicateI22is_equal_div_10_uniqueIyEEEEEPllNS8_4plusIlEEEE10hipError_tPvRmT1_T2_T3_mT4_P12ihipStream_tbEUlT_E1_NS1_11comp_targetILNS1_3genE4ELNS1_11target_archE910ELNS1_3gpuE8ELNS1_3repE0EEENS1_30default_config_static_selectorELNS0_4arch9wavefront6targetE1EEEvSW_.numbered_sgpr, 0
	.set _ZN7rocprim17ROCPRIM_400000_NS6detail17trampoline_kernelINS0_14default_configENS1_22reduce_config_selectorIlEEZNS1_11reduce_implILb1ES3_N6thrust23THRUST_200600_302600_NS11hip_rocprim26transform_input_iterator_tIlNS8_12zip_iteratorINS8_5tupleINS8_6detail15normal_iteratorINS8_10device_ptrIyEEEESH_NS8_9null_typeESI_SI_SI_SI_SI_SI_SI_EEEENS9_21zip_adj_not_predicateI22is_equal_div_10_uniqueIyEEEEEPllNS8_4plusIlEEEE10hipError_tPvRmT1_T2_T3_mT4_P12ihipStream_tbEUlT_E1_NS1_11comp_targetILNS1_3genE4ELNS1_11target_archE910ELNS1_3gpuE8ELNS1_3repE0EEENS1_30default_config_static_selectorELNS0_4arch9wavefront6targetE1EEEvSW_.num_named_barrier, 0
	.set _ZN7rocprim17ROCPRIM_400000_NS6detail17trampoline_kernelINS0_14default_configENS1_22reduce_config_selectorIlEEZNS1_11reduce_implILb1ES3_N6thrust23THRUST_200600_302600_NS11hip_rocprim26transform_input_iterator_tIlNS8_12zip_iteratorINS8_5tupleINS8_6detail15normal_iteratorINS8_10device_ptrIyEEEESH_NS8_9null_typeESI_SI_SI_SI_SI_SI_SI_EEEENS9_21zip_adj_not_predicateI22is_equal_div_10_uniqueIyEEEEEPllNS8_4plusIlEEEE10hipError_tPvRmT1_T2_T3_mT4_P12ihipStream_tbEUlT_E1_NS1_11comp_targetILNS1_3genE4ELNS1_11target_archE910ELNS1_3gpuE8ELNS1_3repE0EEENS1_30default_config_static_selectorELNS0_4arch9wavefront6targetE1EEEvSW_.private_seg_size, 0
	.set _ZN7rocprim17ROCPRIM_400000_NS6detail17trampoline_kernelINS0_14default_configENS1_22reduce_config_selectorIlEEZNS1_11reduce_implILb1ES3_N6thrust23THRUST_200600_302600_NS11hip_rocprim26transform_input_iterator_tIlNS8_12zip_iteratorINS8_5tupleINS8_6detail15normal_iteratorINS8_10device_ptrIyEEEESH_NS8_9null_typeESI_SI_SI_SI_SI_SI_SI_EEEENS9_21zip_adj_not_predicateI22is_equal_div_10_uniqueIyEEEEEPllNS8_4plusIlEEEE10hipError_tPvRmT1_T2_T3_mT4_P12ihipStream_tbEUlT_E1_NS1_11comp_targetILNS1_3genE4ELNS1_11target_archE910ELNS1_3gpuE8ELNS1_3repE0EEENS1_30default_config_static_selectorELNS0_4arch9wavefront6targetE1EEEvSW_.uses_vcc, 0
	.set _ZN7rocprim17ROCPRIM_400000_NS6detail17trampoline_kernelINS0_14default_configENS1_22reduce_config_selectorIlEEZNS1_11reduce_implILb1ES3_N6thrust23THRUST_200600_302600_NS11hip_rocprim26transform_input_iterator_tIlNS8_12zip_iteratorINS8_5tupleINS8_6detail15normal_iteratorINS8_10device_ptrIyEEEESH_NS8_9null_typeESI_SI_SI_SI_SI_SI_SI_EEEENS9_21zip_adj_not_predicateI22is_equal_div_10_uniqueIyEEEEEPllNS8_4plusIlEEEE10hipError_tPvRmT1_T2_T3_mT4_P12ihipStream_tbEUlT_E1_NS1_11comp_targetILNS1_3genE4ELNS1_11target_archE910ELNS1_3gpuE8ELNS1_3repE0EEENS1_30default_config_static_selectorELNS0_4arch9wavefront6targetE1EEEvSW_.uses_flat_scratch, 0
	.set _ZN7rocprim17ROCPRIM_400000_NS6detail17trampoline_kernelINS0_14default_configENS1_22reduce_config_selectorIlEEZNS1_11reduce_implILb1ES3_N6thrust23THRUST_200600_302600_NS11hip_rocprim26transform_input_iterator_tIlNS8_12zip_iteratorINS8_5tupleINS8_6detail15normal_iteratorINS8_10device_ptrIyEEEESH_NS8_9null_typeESI_SI_SI_SI_SI_SI_SI_EEEENS9_21zip_adj_not_predicateI22is_equal_div_10_uniqueIyEEEEEPllNS8_4plusIlEEEE10hipError_tPvRmT1_T2_T3_mT4_P12ihipStream_tbEUlT_E1_NS1_11comp_targetILNS1_3genE4ELNS1_11target_archE910ELNS1_3gpuE8ELNS1_3repE0EEENS1_30default_config_static_selectorELNS0_4arch9wavefront6targetE1EEEvSW_.has_dyn_sized_stack, 0
	.set _ZN7rocprim17ROCPRIM_400000_NS6detail17trampoline_kernelINS0_14default_configENS1_22reduce_config_selectorIlEEZNS1_11reduce_implILb1ES3_N6thrust23THRUST_200600_302600_NS11hip_rocprim26transform_input_iterator_tIlNS8_12zip_iteratorINS8_5tupleINS8_6detail15normal_iteratorINS8_10device_ptrIyEEEESH_NS8_9null_typeESI_SI_SI_SI_SI_SI_SI_EEEENS9_21zip_adj_not_predicateI22is_equal_div_10_uniqueIyEEEEEPllNS8_4plusIlEEEE10hipError_tPvRmT1_T2_T3_mT4_P12ihipStream_tbEUlT_E1_NS1_11comp_targetILNS1_3genE4ELNS1_11target_archE910ELNS1_3gpuE8ELNS1_3repE0EEENS1_30default_config_static_selectorELNS0_4arch9wavefront6targetE1EEEvSW_.has_recursion, 0
	.set _ZN7rocprim17ROCPRIM_400000_NS6detail17trampoline_kernelINS0_14default_configENS1_22reduce_config_selectorIlEEZNS1_11reduce_implILb1ES3_N6thrust23THRUST_200600_302600_NS11hip_rocprim26transform_input_iterator_tIlNS8_12zip_iteratorINS8_5tupleINS8_6detail15normal_iteratorINS8_10device_ptrIyEEEESH_NS8_9null_typeESI_SI_SI_SI_SI_SI_SI_EEEENS9_21zip_adj_not_predicateI22is_equal_div_10_uniqueIyEEEEEPllNS8_4plusIlEEEE10hipError_tPvRmT1_T2_T3_mT4_P12ihipStream_tbEUlT_E1_NS1_11comp_targetILNS1_3genE4ELNS1_11target_archE910ELNS1_3gpuE8ELNS1_3repE0EEENS1_30default_config_static_selectorELNS0_4arch9wavefront6targetE1EEEvSW_.has_indirect_call, 0
	.section	.AMDGPU.csdata,"",@progbits
; Kernel info:
; codeLenInByte = 0
; TotalNumSgprs: 4
; NumVgprs: 0
; ScratchSize: 0
; MemoryBound: 0
; FloatMode: 240
; IeeeMode: 1
; LDSByteSize: 0 bytes/workgroup (compile time only)
; SGPRBlocks: 0
; VGPRBlocks: 0
; NumSGPRsForWavesPerEU: 4
; NumVGPRsForWavesPerEU: 1
; Occupancy: 10
; WaveLimiterHint : 0
; COMPUTE_PGM_RSRC2:SCRATCH_EN: 0
; COMPUTE_PGM_RSRC2:USER_SGPR: 6
; COMPUTE_PGM_RSRC2:TRAP_HANDLER: 0
; COMPUTE_PGM_RSRC2:TGID_X_EN: 1
; COMPUTE_PGM_RSRC2:TGID_Y_EN: 0
; COMPUTE_PGM_RSRC2:TGID_Z_EN: 0
; COMPUTE_PGM_RSRC2:TIDIG_COMP_CNT: 0
	.section	.text._ZN7rocprim17ROCPRIM_400000_NS6detail17trampoline_kernelINS0_14default_configENS1_22reduce_config_selectorIlEEZNS1_11reduce_implILb1ES3_N6thrust23THRUST_200600_302600_NS11hip_rocprim26transform_input_iterator_tIlNS8_12zip_iteratorINS8_5tupleINS8_6detail15normal_iteratorINS8_10device_ptrIyEEEESH_NS8_9null_typeESI_SI_SI_SI_SI_SI_SI_EEEENS9_21zip_adj_not_predicateI22is_equal_div_10_uniqueIyEEEEEPllNS8_4plusIlEEEE10hipError_tPvRmT1_T2_T3_mT4_P12ihipStream_tbEUlT_E1_NS1_11comp_targetILNS1_3genE3ELNS1_11target_archE908ELNS1_3gpuE7ELNS1_3repE0EEENS1_30default_config_static_selectorELNS0_4arch9wavefront6targetE1EEEvSW_,"axG",@progbits,_ZN7rocprim17ROCPRIM_400000_NS6detail17trampoline_kernelINS0_14default_configENS1_22reduce_config_selectorIlEEZNS1_11reduce_implILb1ES3_N6thrust23THRUST_200600_302600_NS11hip_rocprim26transform_input_iterator_tIlNS8_12zip_iteratorINS8_5tupleINS8_6detail15normal_iteratorINS8_10device_ptrIyEEEESH_NS8_9null_typeESI_SI_SI_SI_SI_SI_SI_EEEENS9_21zip_adj_not_predicateI22is_equal_div_10_uniqueIyEEEEEPllNS8_4plusIlEEEE10hipError_tPvRmT1_T2_T3_mT4_P12ihipStream_tbEUlT_E1_NS1_11comp_targetILNS1_3genE3ELNS1_11target_archE908ELNS1_3gpuE7ELNS1_3repE0EEENS1_30default_config_static_selectorELNS0_4arch9wavefront6targetE1EEEvSW_,comdat
	.protected	_ZN7rocprim17ROCPRIM_400000_NS6detail17trampoline_kernelINS0_14default_configENS1_22reduce_config_selectorIlEEZNS1_11reduce_implILb1ES3_N6thrust23THRUST_200600_302600_NS11hip_rocprim26transform_input_iterator_tIlNS8_12zip_iteratorINS8_5tupleINS8_6detail15normal_iteratorINS8_10device_ptrIyEEEESH_NS8_9null_typeESI_SI_SI_SI_SI_SI_SI_EEEENS9_21zip_adj_not_predicateI22is_equal_div_10_uniqueIyEEEEEPllNS8_4plusIlEEEE10hipError_tPvRmT1_T2_T3_mT4_P12ihipStream_tbEUlT_E1_NS1_11comp_targetILNS1_3genE3ELNS1_11target_archE908ELNS1_3gpuE7ELNS1_3repE0EEENS1_30default_config_static_selectorELNS0_4arch9wavefront6targetE1EEEvSW_ ; -- Begin function _ZN7rocprim17ROCPRIM_400000_NS6detail17trampoline_kernelINS0_14default_configENS1_22reduce_config_selectorIlEEZNS1_11reduce_implILb1ES3_N6thrust23THRUST_200600_302600_NS11hip_rocprim26transform_input_iterator_tIlNS8_12zip_iteratorINS8_5tupleINS8_6detail15normal_iteratorINS8_10device_ptrIyEEEESH_NS8_9null_typeESI_SI_SI_SI_SI_SI_SI_EEEENS9_21zip_adj_not_predicateI22is_equal_div_10_uniqueIyEEEEEPllNS8_4plusIlEEEE10hipError_tPvRmT1_T2_T3_mT4_P12ihipStream_tbEUlT_E1_NS1_11comp_targetILNS1_3genE3ELNS1_11target_archE908ELNS1_3gpuE7ELNS1_3repE0EEENS1_30default_config_static_selectorELNS0_4arch9wavefront6targetE1EEEvSW_
	.globl	_ZN7rocprim17ROCPRIM_400000_NS6detail17trampoline_kernelINS0_14default_configENS1_22reduce_config_selectorIlEEZNS1_11reduce_implILb1ES3_N6thrust23THRUST_200600_302600_NS11hip_rocprim26transform_input_iterator_tIlNS8_12zip_iteratorINS8_5tupleINS8_6detail15normal_iteratorINS8_10device_ptrIyEEEESH_NS8_9null_typeESI_SI_SI_SI_SI_SI_SI_EEEENS9_21zip_adj_not_predicateI22is_equal_div_10_uniqueIyEEEEEPllNS8_4plusIlEEEE10hipError_tPvRmT1_T2_T3_mT4_P12ihipStream_tbEUlT_E1_NS1_11comp_targetILNS1_3genE3ELNS1_11target_archE908ELNS1_3gpuE7ELNS1_3repE0EEENS1_30default_config_static_selectorELNS0_4arch9wavefront6targetE1EEEvSW_
	.p2align	8
	.type	_ZN7rocprim17ROCPRIM_400000_NS6detail17trampoline_kernelINS0_14default_configENS1_22reduce_config_selectorIlEEZNS1_11reduce_implILb1ES3_N6thrust23THRUST_200600_302600_NS11hip_rocprim26transform_input_iterator_tIlNS8_12zip_iteratorINS8_5tupleINS8_6detail15normal_iteratorINS8_10device_ptrIyEEEESH_NS8_9null_typeESI_SI_SI_SI_SI_SI_SI_EEEENS9_21zip_adj_not_predicateI22is_equal_div_10_uniqueIyEEEEEPllNS8_4plusIlEEEE10hipError_tPvRmT1_T2_T3_mT4_P12ihipStream_tbEUlT_E1_NS1_11comp_targetILNS1_3genE3ELNS1_11target_archE908ELNS1_3gpuE7ELNS1_3repE0EEENS1_30default_config_static_selectorELNS0_4arch9wavefront6targetE1EEEvSW_,@function
_ZN7rocprim17ROCPRIM_400000_NS6detail17trampoline_kernelINS0_14default_configENS1_22reduce_config_selectorIlEEZNS1_11reduce_implILb1ES3_N6thrust23THRUST_200600_302600_NS11hip_rocprim26transform_input_iterator_tIlNS8_12zip_iteratorINS8_5tupleINS8_6detail15normal_iteratorINS8_10device_ptrIyEEEESH_NS8_9null_typeESI_SI_SI_SI_SI_SI_SI_EEEENS9_21zip_adj_not_predicateI22is_equal_div_10_uniqueIyEEEEEPllNS8_4plusIlEEEE10hipError_tPvRmT1_T2_T3_mT4_P12ihipStream_tbEUlT_E1_NS1_11comp_targetILNS1_3genE3ELNS1_11target_archE908ELNS1_3gpuE7ELNS1_3repE0EEENS1_30default_config_static_selectorELNS0_4arch9wavefront6targetE1EEEvSW_: ; @_ZN7rocprim17ROCPRIM_400000_NS6detail17trampoline_kernelINS0_14default_configENS1_22reduce_config_selectorIlEEZNS1_11reduce_implILb1ES3_N6thrust23THRUST_200600_302600_NS11hip_rocprim26transform_input_iterator_tIlNS8_12zip_iteratorINS8_5tupleINS8_6detail15normal_iteratorINS8_10device_ptrIyEEEESH_NS8_9null_typeESI_SI_SI_SI_SI_SI_SI_EEEENS9_21zip_adj_not_predicateI22is_equal_div_10_uniqueIyEEEEEPllNS8_4plusIlEEEE10hipError_tPvRmT1_T2_T3_mT4_P12ihipStream_tbEUlT_E1_NS1_11comp_targetILNS1_3genE3ELNS1_11target_archE908ELNS1_3gpuE7ELNS1_3repE0EEENS1_30default_config_static_selectorELNS0_4arch9wavefront6targetE1EEEvSW_
; %bb.0:
	.section	.rodata,"a",@progbits
	.p2align	6, 0x0
	.amdhsa_kernel _ZN7rocprim17ROCPRIM_400000_NS6detail17trampoline_kernelINS0_14default_configENS1_22reduce_config_selectorIlEEZNS1_11reduce_implILb1ES3_N6thrust23THRUST_200600_302600_NS11hip_rocprim26transform_input_iterator_tIlNS8_12zip_iteratorINS8_5tupleINS8_6detail15normal_iteratorINS8_10device_ptrIyEEEESH_NS8_9null_typeESI_SI_SI_SI_SI_SI_SI_EEEENS9_21zip_adj_not_predicateI22is_equal_div_10_uniqueIyEEEEEPllNS8_4plusIlEEEE10hipError_tPvRmT1_T2_T3_mT4_P12ihipStream_tbEUlT_E1_NS1_11comp_targetILNS1_3genE3ELNS1_11target_archE908ELNS1_3gpuE7ELNS1_3repE0EEENS1_30default_config_static_selectorELNS0_4arch9wavefront6targetE1EEEvSW_
		.amdhsa_group_segment_fixed_size 0
		.amdhsa_private_segment_fixed_size 0
		.amdhsa_kernarg_size 64
		.amdhsa_user_sgpr_count 6
		.amdhsa_user_sgpr_private_segment_buffer 1
		.amdhsa_user_sgpr_dispatch_ptr 0
		.amdhsa_user_sgpr_queue_ptr 0
		.amdhsa_user_sgpr_kernarg_segment_ptr 1
		.amdhsa_user_sgpr_dispatch_id 0
		.amdhsa_user_sgpr_flat_scratch_init 0
		.amdhsa_user_sgpr_private_segment_size 0
		.amdhsa_uses_dynamic_stack 0
		.amdhsa_system_sgpr_private_segment_wavefront_offset 0
		.amdhsa_system_sgpr_workgroup_id_x 1
		.amdhsa_system_sgpr_workgroup_id_y 0
		.amdhsa_system_sgpr_workgroup_id_z 0
		.amdhsa_system_sgpr_workgroup_info 0
		.amdhsa_system_vgpr_workitem_id 0
		.amdhsa_next_free_vgpr 1
		.amdhsa_next_free_sgpr 0
		.amdhsa_reserve_vcc 0
		.amdhsa_reserve_flat_scratch 0
		.amdhsa_float_round_mode_32 0
		.amdhsa_float_round_mode_16_64 0
		.amdhsa_float_denorm_mode_32 3
		.amdhsa_float_denorm_mode_16_64 3
		.amdhsa_dx10_clamp 1
		.amdhsa_ieee_mode 1
		.amdhsa_fp16_overflow 0
		.amdhsa_exception_fp_ieee_invalid_op 0
		.amdhsa_exception_fp_denorm_src 0
		.amdhsa_exception_fp_ieee_div_zero 0
		.amdhsa_exception_fp_ieee_overflow 0
		.amdhsa_exception_fp_ieee_underflow 0
		.amdhsa_exception_fp_ieee_inexact 0
		.amdhsa_exception_int_div_zero 0
	.end_amdhsa_kernel
	.section	.text._ZN7rocprim17ROCPRIM_400000_NS6detail17trampoline_kernelINS0_14default_configENS1_22reduce_config_selectorIlEEZNS1_11reduce_implILb1ES3_N6thrust23THRUST_200600_302600_NS11hip_rocprim26transform_input_iterator_tIlNS8_12zip_iteratorINS8_5tupleINS8_6detail15normal_iteratorINS8_10device_ptrIyEEEESH_NS8_9null_typeESI_SI_SI_SI_SI_SI_SI_EEEENS9_21zip_adj_not_predicateI22is_equal_div_10_uniqueIyEEEEEPllNS8_4plusIlEEEE10hipError_tPvRmT1_T2_T3_mT4_P12ihipStream_tbEUlT_E1_NS1_11comp_targetILNS1_3genE3ELNS1_11target_archE908ELNS1_3gpuE7ELNS1_3repE0EEENS1_30default_config_static_selectorELNS0_4arch9wavefront6targetE1EEEvSW_,"axG",@progbits,_ZN7rocprim17ROCPRIM_400000_NS6detail17trampoline_kernelINS0_14default_configENS1_22reduce_config_selectorIlEEZNS1_11reduce_implILb1ES3_N6thrust23THRUST_200600_302600_NS11hip_rocprim26transform_input_iterator_tIlNS8_12zip_iteratorINS8_5tupleINS8_6detail15normal_iteratorINS8_10device_ptrIyEEEESH_NS8_9null_typeESI_SI_SI_SI_SI_SI_SI_EEEENS9_21zip_adj_not_predicateI22is_equal_div_10_uniqueIyEEEEEPllNS8_4plusIlEEEE10hipError_tPvRmT1_T2_T3_mT4_P12ihipStream_tbEUlT_E1_NS1_11comp_targetILNS1_3genE3ELNS1_11target_archE908ELNS1_3gpuE7ELNS1_3repE0EEENS1_30default_config_static_selectorELNS0_4arch9wavefront6targetE1EEEvSW_,comdat
.Lfunc_end845:
	.size	_ZN7rocprim17ROCPRIM_400000_NS6detail17trampoline_kernelINS0_14default_configENS1_22reduce_config_selectorIlEEZNS1_11reduce_implILb1ES3_N6thrust23THRUST_200600_302600_NS11hip_rocprim26transform_input_iterator_tIlNS8_12zip_iteratorINS8_5tupleINS8_6detail15normal_iteratorINS8_10device_ptrIyEEEESH_NS8_9null_typeESI_SI_SI_SI_SI_SI_SI_EEEENS9_21zip_adj_not_predicateI22is_equal_div_10_uniqueIyEEEEEPllNS8_4plusIlEEEE10hipError_tPvRmT1_T2_T3_mT4_P12ihipStream_tbEUlT_E1_NS1_11comp_targetILNS1_3genE3ELNS1_11target_archE908ELNS1_3gpuE7ELNS1_3repE0EEENS1_30default_config_static_selectorELNS0_4arch9wavefront6targetE1EEEvSW_, .Lfunc_end845-_ZN7rocprim17ROCPRIM_400000_NS6detail17trampoline_kernelINS0_14default_configENS1_22reduce_config_selectorIlEEZNS1_11reduce_implILb1ES3_N6thrust23THRUST_200600_302600_NS11hip_rocprim26transform_input_iterator_tIlNS8_12zip_iteratorINS8_5tupleINS8_6detail15normal_iteratorINS8_10device_ptrIyEEEESH_NS8_9null_typeESI_SI_SI_SI_SI_SI_SI_EEEENS9_21zip_adj_not_predicateI22is_equal_div_10_uniqueIyEEEEEPllNS8_4plusIlEEEE10hipError_tPvRmT1_T2_T3_mT4_P12ihipStream_tbEUlT_E1_NS1_11comp_targetILNS1_3genE3ELNS1_11target_archE908ELNS1_3gpuE7ELNS1_3repE0EEENS1_30default_config_static_selectorELNS0_4arch9wavefront6targetE1EEEvSW_
                                        ; -- End function
	.set _ZN7rocprim17ROCPRIM_400000_NS6detail17trampoline_kernelINS0_14default_configENS1_22reduce_config_selectorIlEEZNS1_11reduce_implILb1ES3_N6thrust23THRUST_200600_302600_NS11hip_rocprim26transform_input_iterator_tIlNS8_12zip_iteratorINS8_5tupleINS8_6detail15normal_iteratorINS8_10device_ptrIyEEEESH_NS8_9null_typeESI_SI_SI_SI_SI_SI_SI_EEEENS9_21zip_adj_not_predicateI22is_equal_div_10_uniqueIyEEEEEPllNS8_4plusIlEEEE10hipError_tPvRmT1_T2_T3_mT4_P12ihipStream_tbEUlT_E1_NS1_11comp_targetILNS1_3genE3ELNS1_11target_archE908ELNS1_3gpuE7ELNS1_3repE0EEENS1_30default_config_static_selectorELNS0_4arch9wavefront6targetE1EEEvSW_.num_vgpr, 0
	.set _ZN7rocprim17ROCPRIM_400000_NS6detail17trampoline_kernelINS0_14default_configENS1_22reduce_config_selectorIlEEZNS1_11reduce_implILb1ES3_N6thrust23THRUST_200600_302600_NS11hip_rocprim26transform_input_iterator_tIlNS8_12zip_iteratorINS8_5tupleINS8_6detail15normal_iteratorINS8_10device_ptrIyEEEESH_NS8_9null_typeESI_SI_SI_SI_SI_SI_SI_EEEENS9_21zip_adj_not_predicateI22is_equal_div_10_uniqueIyEEEEEPllNS8_4plusIlEEEE10hipError_tPvRmT1_T2_T3_mT4_P12ihipStream_tbEUlT_E1_NS1_11comp_targetILNS1_3genE3ELNS1_11target_archE908ELNS1_3gpuE7ELNS1_3repE0EEENS1_30default_config_static_selectorELNS0_4arch9wavefront6targetE1EEEvSW_.num_agpr, 0
	.set _ZN7rocprim17ROCPRIM_400000_NS6detail17trampoline_kernelINS0_14default_configENS1_22reduce_config_selectorIlEEZNS1_11reduce_implILb1ES3_N6thrust23THRUST_200600_302600_NS11hip_rocprim26transform_input_iterator_tIlNS8_12zip_iteratorINS8_5tupleINS8_6detail15normal_iteratorINS8_10device_ptrIyEEEESH_NS8_9null_typeESI_SI_SI_SI_SI_SI_SI_EEEENS9_21zip_adj_not_predicateI22is_equal_div_10_uniqueIyEEEEEPllNS8_4plusIlEEEE10hipError_tPvRmT1_T2_T3_mT4_P12ihipStream_tbEUlT_E1_NS1_11comp_targetILNS1_3genE3ELNS1_11target_archE908ELNS1_3gpuE7ELNS1_3repE0EEENS1_30default_config_static_selectorELNS0_4arch9wavefront6targetE1EEEvSW_.numbered_sgpr, 0
	.set _ZN7rocprim17ROCPRIM_400000_NS6detail17trampoline_kernelINS0_14default_configENS1_22reduce_config_selectorIlEEZNS1_11reduce_implILb1ES3_N6thrust23THRUST_200600_302600_NS11hip_rocprim26transform_input_iterator_tIlNS8_12zip_iteratorINS8_5tupleINS8_6detail15normal_iteratorINS8_10device_ptrIyEEEESH_NS8_9null_typeESI_SI_SI_SI_SI_SI_SI_EEEENS9_21zip_adj_not_predicateI22is_equal_div_10_uniqueIyEEEEEPllNS8_4plusIlEEEE10hipError_tPvRmT1_T2_T3_mT4_P12ihipStream_tbEUlT_E1_NS1_11comp_targetILNS1_3genE3ELNS1_11target_archE908ELNS1_3gpuE7ELNS1_3repE0EEENS1_30default_config_static_selectorELNS0_4arch9wavefront6targetE1EEEvSW_.num_named_barrier, 0
	.set _ZN7rocprim17ROCPRIM_400000_NS6detail17trampoline_kernelINS0_14default_configENS1_22reduce_config_selectorIlEEZNS1_11reduce_implILb1ES3_N6thrust23THRUST_200600_302600_NS11hip_rocprim26transform_input_iterator_tIlNS8_12zip_iteratorINS8_5tupleINS8_6detail15normal_iteratorINS8_10device_ptrIyEEEESH_NS8_9null_typeESI_SI_SI_SI_SI_SI_SI_EEEENS9_21zip_adj_not_predicateI22is_equal_div_10_uniqueIyEEEEEPllNS8_4plusIlEEEE10hipError_tPvRmT1_T2_T3_mT4_P12ihipStream_tbEUlT_E1_NS1_11comp_targetILNS1_3genE3ELNS1_11target_archE908ELNS1_3gpuE7ELNS1_3repE0EEENS1_30default_config_static_selectorELNS0_4arch9wavefront6targetE1EEEvSW_.private_seg_size, 0
	.set _ZN7rocprim17ROCPRIM_400000_NS6detail17trampoline_kernelINS0_14default_configENS1_22reduce_config_selectorIlEEZNS1_11reduce_implILb1ES3_N6thrust23THRUST_200600_302600_NS11hip_rocprim26transform_input_iterator_tIlNS8_12zip_iteratorINS8_5tupleINS8_6detail15normal_iteratorINS8_10device_ptrIyEEEESH_NS8_9null_typeESI_SI_SI_SI_SI_SI_SI_EEEENS9_21zip_adj_not_predicateI22is_equal_div_10_uniqueIyEEEEEPllNS8_4plusIlEEEE10hipError_tPvRmT1_T2_T3_mT4_P12ihipStream_tbEUlT_E1_NS1_11comp_targetILNS1_3genE3ELNS1_11target_archE908ELNS1_3gpuE7ELNS1_3repE0EEENS1_30default_config_static_selectorELNS0_4arch9wavefront6targetE1EEEvSW_.uses_vcc, 0
	.set _ZN7rocprim17ROCPRIM_400000_NS6detail17trampoline_kernelINS0_14default_configENS1_22reduce_config_selectorIlEEZNS1_11reduce_implILb1ES3_N6thrust23THRUST_200600_302600_NS11hip_rocprim26transform_input_iterator_tIlNS8_12zip_iteratorINS8_5tupleINS8_6detail15normal_iteratorINS8_10device_ptrIyEEEESH_NS8_9null_typeESI_SI_SI_SI_SI_SI_SI_EEEENS9_21zip_adj_not_predicateI22is_equal_div_10_uniqueIyEEEEEPllNS8_4plusIlEEEE10hipError_tPvRmT1_T2_T3_mT4_P12ihipStream_tbEUlT_E1_NS1_11comp_targetILNS1_3genE3ELNS1_11target_archE908ELNS1_3gpuE7ELNS1_3repE0EEENS1_30default_config_static_selectorELNS0_4arch9wavefront6targetE1EEEvSW_.uses_flat_scratch, 0
	.set _ZN7rocprim17ROCPRIM_400000_NS6detail17trampoline_kernelINS0_14default_configENS1_22reduce_config_selectorIlEEZNS1_11reduce_implILb1ES3_N6thrust23THRUST_200600_302600_NS11hip_rocprim26transform_input_iterator_tIlNS8_12zip_iteratorINS8_5tupleINS8_6detail15normal_iteratorINS8_10device_ptrIyEEEESH_NS8_9null_typeESI_SI_SI_SI_SI_SI_SI_EEEENS9_21zip_adj_not_predicateI22is_equal_div_10_uniqueIyEEEEEPllNS8_4plusIlEEEE10hipError_tPvRmT1_T2_T3_mT4_P12ihipStream_tbEUlT_E1_NS1_11comp_targetILNS1_3genE3ELNS1_11target_archE908ELNS1_3gpuE7ELNS1_3repE0EEENS1_30default_config_static_selectorELNS0_4arch9wavefront6targetE1EEEvSW_.has_dyn_sized_stack, 0
	.set _ZN7rocprim17ROCPRIM_400000_NS6detail17trampoline_kernelINS0_14default_configENS1_22reduce_config_selectorIlEEZNS1_11reduce_implILb1ES3_N6thrust23THRUST_200600_302600_NS11hip_rocprim26transform_input_iterator_tIlNS8_12zip_iteratorINS8_5tupleINS8_6detail15normal_iteratorINS8_10device_ptrIyEEEESH_NS8_9null_typeESI_SI_SI_SI_SI_SI_SI_EEEENS9_21zip_adj_not_predicateI22is_equal_div_10_uniqueIyEEEEEPllNS8_4plusIlEEEE10hipError_tPvRmT1_T2_T3_mT4_P12ihipStream_tbEUlT_E1_NS1_11comp_targetILNS1_3genE3ELNS1_11target_archE908ELNS1_3gpuE7ELNS1_3repE0EEENS1_30default_config_static_selectorELNS0_4arch9wavefront6targetE1EEEvSW_.has_recursion, 0
	.set _ZN7rocprim17ROCPRIM_400000_NS6detail17trampoline_kernelINS0_14default_configENS1_22reduce_config_selectorIlEEZNS1_11reduce_implILb1ES3_N6thrust23THRUST_200600_302600_NS11hip_rocprim26transform_input_iterator_tIlNS8_12zip_iteratorINS8_5tupleINS8_6detail15normal_iteratorINS8_10device_ptrIyEEEESH_NS8_9null_typeESI_SI_SI_SI_SI_SI_SI_EEEENS9_21zip_adj_not_predicateI22is_equal_div_10_uniqueIyEEEEEPllNS8_4plusIlEEEE10hipError_tPvRmT1_T2_T3_mT4_P12ihipStream_tbEUlT_E1_NS1_11comp_targetILNS1_3genE3ELNS1_11target_archE908ELNS1_3gpuE7ELNS1_3repE0EEENS1_30default_config_static_selectorELNS0_4arch9wavefront6targetE1EEEvSW_.has_indirect_call, 0
	.section	.AMDGPU.csdata,"",@progbits
; Kernel info:
; codeLenInByte = 0
; TotalNumSgprs: 4
; NumVgprs: 0
; ScratchSize: 0
; MemoryBound: 0
; FloatMode: 240
; IeeeMode: 1
; LDSByteSize: 0 bytes/workgroup (compile time only)
; SGPRBlocks: 0
; VGPRBlocks: 0
; NumSGPRsForWavesPerEU: 4
; NumVGPRsForWavesPerEU: 1
; Occupancy: 10
; WaveLimiterHint : 0
; COMPUTE_PGM_RSRC2:SCRATCH_EN: 0
; COMPUTE_PGM_RSRC2:USER_SGPR: 6
; COMPUTE_PGM_RSRC2:TRAP_HANDLER: 0
; COMPUTE_PGM_RSRC2:TGID_X_EN: 1
; COMPUTE_PGM_RSRC2:TGID_Y_EN: 0
; COMPUTE_PGM_RSRC2:TGID_Z_EN: 0
; COMPUTE_PGM_RSRC2:TIDIG_COMP_CNT: 0
	.section	.text._ZN7rocprim17ROCPRIM_400000_NS6detail17trampoline_kernelINS0_14default_configENS1_22reduce_config_selectorIlEEZNS1_11reduce_implILb1ES3_N6thrust23THRUST_200600_302600_NS11hip_rocprim26transform_input_iterator_tIlNS8_12zip_iteratorINS8_5tupleINS8_6detail15normal_iteratorINS8_10device_ptrIyEEEESH_NS8_9null_typeESI_SI_SI_SI_SI_SI_SI_EEEENS9_21zip_adj_not_predicateI22is_equal_div_10_uniqueIyEEEEEPllNS8_4plusIlEEEE10hipError_tPvRmT1_T2_T3_mT4_P12ihipStream_tbEUlT_E1_NS1_11comp_targetILNS1_3genE2ELNS1_11target_archE906ELNS1_3gpuE6ELNS1_3repE0EEENS1_30default_config_static_selectorELNS0_4arch9wavefront6targetE1EEEvSW_,"axG",@progbits,_ZN7rocprim17ROCPRIM_400000_NS6detail17trampoline_kernelINS0_14default_configENS1_22reduce_config_selectorIlEEZNS1_11reduce_implILb1ES3_N6thrust23THRUST_200600_302600_NS11hip_rocprim26transform_input_iterator_tIlNS8_12zip_iteratorINS8_5tupleINS8_6detail15normal_iteratorINS8_10device_ptrIyEEEESH_NS8_9null_typeESI_SI_SI_SI_SI_SI_SI_EEEENS9_21zip_adj_not_predicateI22is_equal_div_10_uniqueIyEEEEEPllNS8_4plusIlEEEE10hipError_tPvRmT1_T2_T3_mT4_P12ihipStream_tbEUlT_E1_NS1_11comp_targetILNS1_3genE2ELNS1_11target_archE906ELNS1_3gpuE6ELNS1_3repE0EEENS1_30default_config_static_selectorELNS0_4arch9wavefront6targetE1EEEvSW_,comdat
	.protected	_ZN7rocprim17ROCPRIM_400000_NS6detail17trampoline_kernelINS0_14default_configENS1_22reduce_config_selectorIlEEZNS1_11reduce_implILb1ES3_N6thrust23THRUST_200600_302600_NS11hip_rocprim26transform_input_iterator_tIlNS8_12zip_iteratorINS8_5tupleINS8_6detail15normal_iteratorINS8_10device_ptrIyEEEESH_NS8_9null_typeESI_SI_SI_SI_SI_SI_SI_EEEENS9_21zip_adj_not_predicateI22is_equal_div_10_uniqueIyEEEEEPllNS8_4plusIlEEEE10hipError_tPvRmT1_T2_T3_mT4_P12ihipStream_tbEUlT_E1_NS1_11comp_targetILNS1_3genE2ELNS1_11target_archE906ELNS1_3gpuE6ELNS1_3repE0EEENS1_30default_config_static_selectorELNS0_4arch9wavefront6targetE1EEEvSW_ ; -- Begin function _ZN7rocprim17ROCPRIM_400000_NS6detail17trampoline_kernelINS0_14default_configENS1_22reduce_config_selectorIlEEZNS1_11reduce_implILb1ES3_N6thrust23THRUST_200600_302600_NS11hip_rocprim26transform_input_iterator_tIlNS8_12zip_iteratorINS8_5tupleINS8_6detail15normal_iteratorINS8_10device_ptrIyEEEESH_NS8_9null_typeESI_SI_SI_SI_SI_SI_SI_EEEENS9_21zip_adj_not_predicateI22is_equal_div_10_uniqueIyEEEEEPllNS8_4plusIlEEEE10hipError_tPvRmT1_T2_T3_mT4_P12ihipStream_tbEUlT_E1_NS1_11comp_targetILNS1_3genE2ELNS1_11target_archE906ELNS1_3gpuE6ELNS1_3repE0EEENS1_30default_config_static_selectorELNS0_4arch9wavefront6targetE1EEEvSW_
	.globl	_ZN7rocprim17ROCPRIM_400000_NS6detail17trampoline_kernelINS0_14default_configENS1_22reduce_config_selectorIlEEZNS1_11reduce_implILb1ES3_N6thrust23THRUST_200600_302600_NS11hip_rocprim26transform_input_iterator_tIlNS8_12zip_iteratorINS8_5tupleINS8_6detail15normal_iteratorINS8_10device_ptrIyEEEESH_NS8_9null_typeESI_SI_SI_SI_SI_SI_SI_EEEENS9_21zip_adj_not_predicateI22is_equal_div_10_uniqueIyEEEEEPllNS8_4plusIlEEEE10hipError_tPvRmT1_T2_T3_mT4_P12ihipStream_tbEUlT_E1_NS1_11comp_targetILNS1_3genE2ELNS1_11target_archE906ELNS1_3gpuE6ELNS1_3repE0EEENS1_30default_config_static_selectorELNS0_4arch9wavefront6targetE1EEEvSW_
	.p2align	8
	.type	_ZN7rocprim17ROCPRIM_400000_NS6detail17trampoline_kernelINS0_14default_configENS1_22reduce_config_selectorIlEEZNS1_11reduce_implILb1ES3_N6thrust23THRUST_200600_302600_NS11hip_rocprim26transform_input_iterator_tIlNS8_12zip_iteratorINS8_5tupleINS8_6detail15normal_iteratorINS8_10device_ptrIyEEEESH_NS8_9null_typeESI_SI_SI_SI_SI_SI_SI_EEEENS9_21zip_adj_not_predicateI22is_equal_div_10_uniqueIyEEEEEPllNS8_4plusIlEEEE10hipError_tPvRmT1_T2_T3_mT4_P12ihipStream_tbEUlT_E1_NS1_11comp_targetILNS1_3genE2ELNS1_11target_archE906ELNS1_3gpuE6ELNS1_3repE0EEENS1_30default_config_static_selectorELNS0_4arch9wavefront6targetE1EEEvSW_,@function
_ZN7rocprim17ROCPRIM_400000_NS6detail17trampoline_kernelINS0_14default_configENS1_22reduce_config_selectorIlEEZNS1_11reduce_implILb1ES3_N6thrust23THRUST_200600_302600_NS11hip_rocprim26transform_input_iterator_tIlNS8_12zip_iteratorINS8_5tupleINS8_6detail15normal_iteratorINS8_10device_ptrIyEEEESH_NS8_9null_typeESI_SI_SI_SI_SI_SI_SI_EEEENS9_21zip_adj_not_predicateI22is_equal_div_10_uniqueIyEEEEEPllNS8_4plusIlEEEE10hipError_tPvRmT1_T2_T3_mT4_P12ihipStream_tbEUlT_E1_NS1_11comp_targetILNS1_3genE2ELNS1_11target_archE906ELNS1_3gpuE6ELNS1_3repE0EEENS1_30default_config_static_selectorELNS0_4arch9wavefront6targetE1EEEvSW_: ; @_ZN7rocprim17ROCPRIM_400000_NS6detail17trampoline_kernelINS0_14default_configENS1_22reduce_config_selectorIlEEZNS1_11reduce_implILb1ES3_N6thrust23THRUST_200600_302600_NS11hip_rocprim26transform_input_iterator_tIlNS8_12zip_iteratorINS8_5tupleINS8_6detail15normal_iteratorINS8_10device_ptrIyEEEESH_NS8_9null_typeESI_SI_SI_SI_SI_SI_SI_EEEENS9_21zip_adj_not_predicateI22is_equal_div_10_uniqueIyEEEEEPllNS8_4plusIlEEEE10hipError_tPvRmT1_T2_T3_mT4_P12ihipStream_tbEUlT_E1_NS1_11comp_targetILNS1_3genE2ELNS1_11target_archE906ELNS1_3gpuE6ELNS1_3repE0EEENS1_30default_config_static_selectorELNS0_4arch9wavefront6targetE1EEEvSW_
; %bb.0:
	s_load_dword s30, s[4:5], 0x4
	s_load_dwordx4 s[24:27], s[4:5], 0x8
	s_load_dwordx4 s[20:23], s[4:5], 0x20
	s_waitcnt lgkmcnt(0)
	s_cmp_lt_i32 s30, 4
	s_cbranch_scc1 .LBB846_10
; %bb.1:
	s_cmp_gt_i32 s30, 7
	s_cbranch_scc0 .LBB846_11
; %bb.2:
	s_cmp_gt_i32 s30, 15
	s_cbranch_scc0 .LBB846_12
; %bb.3:
	s_mov_b64 s[8:9], 0
	s_cmp_eq_u32 s30, 16
	s_mov_b64 s[0:1], 0
                                        ; implicit-def: $vgpr1_vgpr2
                                        ; implicit-def: $vgpr3_vgpr4
	s_cbranch_scc0 .LBB846_13
; %bb.4:
	s_mov_b32 s7, 0
	s_lshl_b32 s14, s6, 12
	s_mov_b32 s15, s7
	s_lshr_b64 s[0:1], s[20:21], 12
	s_lshl_b64 s[2:3], s[14:15], 3
	s_add_u32 s10, s24, s2
	s_addc_u32 s11, s25, s3
	s_add_u32 s12, s26, s2
	s_addc_u32 s13, s27, s3
	s_cmp_lg_u64 s[0:1], s[6:7]
	s_cbranch_scc0 .LBB846_21
; %bb.5:
	v_lshlrev_b32_e32 v1, 3, v0
	v_mov_b32_e32 v2, s11
	v_add_co_u32_e32 v7, vcc, s10, v1
	v_addc_co_u32_e32 v8, vcc, 0, v2, vcc
	v_mov_b32_e32 v2, s13
	v_add_co_u32_e32 v9, vcc, s12, v1
	v_addc_co_u32_e32 v10, vcc, 0, v2, vcc
	s_movk_i32 s0, 0x1000
	global_load_dword v11, v1, s[10:11]
	global_load_dword v12, v1, s[12:13]
	global_load_dword v13, v1, s[12:13] offset:2048
	global_load_dword v14, v1, s[10:11] offset:2048
	v_add_co_u32_e32 v1, vcc, s0, v7
	v_addc_co_u32_e32 v2, vcc, 0, v8, vcc
	s_movk_i32 s1, 0x2000
	v_add_co_u32_e32 v3, vcc, s1, v7
	v_addc_co_u32_e32 v4, vcc, 0, v8, vcc
	global_load_dword v15, v[3:4], off offset:-4096
	v_add_co_u32_e32 v5, vcc, s1, v9
	v_addc_co_u32_e32 v6, vcc, 0, v10, vcc
	global_load_dword v16, v[5:6], off offset:-4096
	global_load_dword v17, v[1:2], off offset:2048
	global_load_dword v18, v[3:4], off
	v_add_co_u32_e32 v1, vcc, s0, v9
	v_addc_co_u32_e32 v2, vcc, 0, v10, vcc
	global_load_dword v19, v[1:2], off offset:2048
	global_load_dword v20, v[5:6], off
	global_load_dword v21, v[3:4], off offset:2048
	global_load_dword v22, v[5:6], off offset:2048
	s_movk_i32 s0, 0x3000
	v_add_co_u32_e32 v1, vcc, s0, v7
	s_movk_i32 s1, 0x4000
	v_addc_co_u32_e32 v2, vcc, 0, v8, vcc
	v_add_co_u32_e32 v3, vcc, s1, v7
	v_addc_co_u32_e32 v4, vcc, 0, v8, vcc
	v_add_co_u32_e32 v5, vcc, s1, v9
	v_addc_co_u32_e32 v6, vcc, 0, v10, vcc
	global_load_dword v23, v[3:4], off offset:-4096
	global_load_dword v24, v[5:6], off offset:-4096
	global_load_dword v25, v[1:2], off offset:2048
	s_mov_b32 s15, 0x66666667
	s_movk_i32 s3, 0x6000
	s_movk_i32 s2, 0x5000
	;; [unrolled: 1-line block ×3, first 2 shown]
	s_waitcnt vmcnt(14)
	v_mul_hi_i32 v1, v11, s15
	s_waitcnt vmcnt(13)
	v_mul_hi_i32 v2, v12, s15
	;; [unrolled: 2-line block ×4, first 2 shown]
	v_lshrrev_b32_e32 v27, 31, v12
	v_ashrrev_i32_e32 v12, 2, v12
	v_lshrrev_b32_e32 v26, 31, v11
	v_ashrrev_i32_e32 v11, 2, v11
	v_add_u32_e32 v12, v12, v27
	v_add_u32_e32 v11, v11, v26
	s_waitcnt vmcnt(10)
	v_mul_hi_i32 v13, v15, s15
	s_waitcnt vmcnt(9)
	v_mul_hi_i32 v14, v16, s15
	s_waitcnt vmcnt(8)
	v_mul_hi_i32 v15, v17, s15
	s_waitcnt vmcnt(7)
	v_mul_hi_i32 v16, v18, s15
	v_lshrrev_b32_e32 v17, 31, v1
	v_ashrrev_i32_e32 v1, 2, v1
	v_lshrrev_b32_e32 v18, 31, v2
	v_ashrrev_i32_e32 v2, 2, v2
	v_add_u32_e32 v17, v1, v17
	v_add_u32_e32 v18, v2, v18
	v_lshrrev_b32_e32 v1, 31, v13
	v_ashrrev_i32_e32 v2, 2, v13
	v_add_u32_e32 v27, v2, v1
	v_add_co_u32_e32 v1, vcc, s0, v9
	v_lshrrev_b32_e32 v13, 31, v14
	v_ashrrev_i32_e32 v14, 2, v14
	v_lshrrev_b32_e32 v26, 31, v15
	v_ashrrev_i32_e32 v15, 2, v15
	v_addc_co_u32_e32 v2, vcc, 0, v10, vcc
	v_add_u32_e32 v13, v14, v13
	v_add_u32_e32 v14, v15, v26
	global_load_dword v15, v[1:2], off offset:2048
	s_waitcnt vmcnt(6)
	v_mul_hi_i32 v1, v20, s15
	v_lshrrev_b32_e32 v2, 31, v16
	v_ashrrev_i32_e32 v16, 2, v16
	v_add_u32_e32 v2, v16, v2
	v_lshrrev_b32_e32 v16, 31, v1
	v_ashrrev_i32_e32 v1, 2, v1
	global_load_dword v20, v[3:4], off
	v_add_u32_e32 v1, v1, v16
	global_load_dword v16, v[5:6], off
	s_waitcnt vmcnt(7)
	v_mul_hi_i32 v21, v21, s15
	global_load_dword v26, v[3:4], off offset:2048
	global_load_dword v28, v[5:6], off offset:2048
	v_cmp_ne_u32_e32 vcc, v2, v1
	s_waitcnt vmcnt(8)
	v_mul_hi_i32 v22, v22, s15
	v_lshrrev_b32_e32 v1, 31, v21
	v_ashrrev_i32_e32 v2, 2, v21
	v_add_u32_e32 v21, v2, v1
	v_add_co_u32_e64 v1, s[0:1], s3, v7
	v_addc_co_u32_e64 v2, s[0:1], 0, v8, s[0:1]
	v_add_co_u32_e64 v3, s[0:1], s3, v9
	global_load_dword v29, v[1:2], off offset:-4096
	v_addc_co_u32_e64 v4, s[0:1], 0, v10, s[0:1]
	global_load_dword v30, v[3:4], off offset:-4096
	global_load_dword v33, v[3:4], off offset:2048
	v_add_co_u32_e64 v5, s[0:1], s2, v7
	v_addc_co_u32_e64 v6, s[0:1], 0, v8, s[0:1]
	global_load_dword v31, v[5:6], off offset:2048
	v_add_co_u32_e64 v5, s[0:1], s2, v9
	v_addc_co_u32_e64 v6, s[0:1], 0, v10, s[0:1]
	global_load_dword v5, v[5:6], off offset:2048
	v_mul_hi_i32 v19, v19, s15
	v_lshrrev_b32_e32 v6, 31, v22
	v_ashrrev_i32_e32 v22, 2, v22
	v_add_u32_e32 v6, v22, v6
	v_cmp_ne_u32_e64 s[0:1], v21, v6
	v_lshrrev_b32_e32 v6, 31, v19
	v_ashrrev_i32_e32 v19, 2, v19
	global_load_dword v21, v[1:2], off
	v_add_u32_e32 v6, v19, v6
	s_waitcnt vmcnt(13)
	v_mul_hi_i32 v19, v23, s15
	global_load_dword v23, v[3:4], off
	v_cmp_ne_u32_e64 s[2:3], v14, v6
	v_cndmask_b32_e64 v6, 0, 1, s[2:3]
	v_lshrrev_b32_e32 v14, 31, v19
	v_ashrrev_i32_e32 v19, 2, v19
	v_add_u32_e32 v14, v19, v14
	global_load_dword v19, v[1:2], off offset:2048
	v_add_co_u32_e64 v1, s[2:3], s16, v7
	v_addc_co_u32_e64 v2, s[2:3], 0, v8, s[2:3]
	v_add_co_u32_e64 v3, s[2:3], s16, v9
	global_load_dword v7, v[1:2], off
	v_addc_co_u32_e64 v4, s[2:3], 0, v10, s[2:3]
	global_load_dword v8, v[3:4], off
	s_waitcnt vmcnt(16)
	v_mul_hi_i32 v24, v24, s15
	global_load_dword v1, v[1:2], off offset:2048
	v_cndmask_b32_e64 v10, 0, 1, vcc
	global_load_dword v3, v[3:4], off offset:2048
	v_lshrrev_b32_e32 v32, 31, v24
	v_ashrrev_i32_e32 v9, 2, v24
	v_add_u32_e32 v9, v9, v32
	s_waitcnt vmcnt(17)
	v_mul_hi_i32 v24, v25, s15
	v_cmp_ne_u32_e32 vcc, v14, v9
	v_cndmask_b32_e64 v9, 0, 1, vcc
	v_cndmask_b32_e64 v2, 0, 1, s[0:1]
	v_lshrrev_b32_e32 v4, 31, v24
	v_mov_b32_e32 v22, 0
	s_waitcnt vmcnt(16)
	v_mul_hi_i32 v14, v15, s15
	v_ashrrev_i32_e32 v15, 2, v24
	v_add_u32_e32 v4, v15, v4
	v_lshrrev_b32_e32 v15, 31, v14
	v_ashrrev_i32_e32 v14, 2, v14
	v_add_u32_e32 v14, v14, v15
	s_waitcnt vmcnt(15)
	v_mul_hi_i32 v15, v20, s15
	v_cmp_ne_u32_e32 vcc, v4, v14
	s_waitcnt vmcnt(14)
	v_mul_hi_i32 v14, v16, s15
	v_cndmask_b32_e64 v4, 0, 1, vcc
	v_lshrrev_b32_e32 v16, 31, v15
	v_ashrrev_i32_e32 v15, 2, v15
	v_add_u32_e32 v15, v15, v16
	v_lshrrev_b32_e32 v16, 31, v14
	v_ashrrev_i32_e32 v14, 2, v14
	v_add_u32_e32 v14, v14, v16
	s_waitcnt vmcnt(13)
	v_mul_hi_i32 v16, v26, s15
	v_cmp_ne_u32_e32 vcc, v15, v14
	s_waitcnt vmcnt(12)
	v_mul_hi_i32 v15, v28, s15
	v_cndmask_b32_e64 v14, 0, 1, vcc
	v_lshrrev_b32_e32 v20, 31, v16
	;; [unrolled: 12-line block ×3, first 2 shown]
	v_ashrrev_i32_e32 v20, 2, v20
	v_add_u32_e32 v20, v20, v24
	v_lshrrev_b32_e32 v24, 31, v16
	v_ashrrev_i32_e32 v16, 2, v16
	v_add_u32_e32 v16, v16, v24
	s_waitcnt vmcnt(8)
	v_mul_hi_i32 v24, v31, s15
	s_waitcnt vmcnt(7)
	v_mul_hi_i32 v5, v5, s15
	v_cmp_ne_u32_e32 vcc, v20, v16
	v_cndmask_b32_e64 v16, 0, 1, vcc
	v_lshrrev_b32_e32 v20, 31, v24
	v_ashrrev_i32_e32 v24, 2, v24
	v_add_u32_e32 v20, v24, v20
	v_lshrrev_b32_e32 v24, 31, v5
	v_ashrrev_i32_e32 v5, 2, v5
	v_add_u32_e32 v5, v5, v24
	s_waitcnt vmcnt(6)
	v_mul_hi_i32 v21, v21, s15
	v_cmp_ne_u32_e32 vcc, v20, v5
	s_waitcnt vmcnt(5)
	v_mul_hi_i32 v20, v23, s15
	v_cndmask_b32_e64 v5, 0, 1, vcc
	v_lshrrev_b32_e32 v23, 31, v21
	v_ashrrev_i32_e32 v21, 2, v21
	v_add_u32_e32 v21, v21, v23
	v_lshrrev_b32_e32 v23, 31, v20
	v_ashrrev_i32_e32 v20, 2, v20
	v_add_u32_e32 v20, v20, v23
	s_waitcnt vmcnt(4)
	v_mul_hi_i32 v19, v19, s15
	v_cmp_ne_u32_e32 vcc, v21, v20
	v_mul_hi_i32 v21, v33, s15
	v_cndmask_b32_e64 v20, 0, 1, vcc
	s_waitcnt vmcnt(3)
	v_mul_hi_i32 v7, v7, s15
	v_lshrrev_b32_e32 v23, 31, v19
	v_ashrrev_i32_e32 v19, 2, v19
	s_waitcnt vmcnt(2)
	v_mul_hi_i32 v8, v8, s15
	v_add_u32_e32 v19, v19, v23
	v_lshrrev_b32_e32 v23, 31, v21
	v_ashrrev_i32_e32 v21, 2, v21
	v_add_u32_e32 v21, v21, v23
	s_waitcnt vmcnt(1)
	v_mul_hi_i32 v1, v1, s15
	v_cmp_ne_u32_e32 vcc, v19, v21
	v_lshrrev_b32_e32 v21, 31, v7
	v_ashrrev_i32_e32 v7, 2, v7
	s_waitcnt vmcnt(0)
	v_mul_hi_i32 v3, v3, s15
	v_add_u32_e32 v7, v7, v21
	v_lshrrev_b32_e32 v21, 31, v8
	v_ashrrev_i32_e32 v8, 2, v8
	v_add_u32_e32 v8, v8, v21
	v_cndmask_b32_e64 v19, 0, 1, vcc
	v_cmp_ne_u32_e32 vcc, v7, v8
	v_lshrrev_b32_e32 v8, 31, v1
	v_ashrrev_i32_e32 v1, 2, v1
	v_add_u32_e32 v1, v1, v8
	v_lshrrev_b32_e32 v8, 31, v3
	v_ashrrev_i32_e32 v3, 2, v3
	v_add_u32_e32 v3, v3, v8
	v_cndmask_b32_e64 v7, 0, 1, vcc
	v_cmp_ne_u32_e32 vcc, v1, v3
	v_cndmask_b32_e64 v1, 0, 1, vcc
	v_cmp_ne_u32_e32 vcc, v11, v12
	;; [unrolled: 2-line block ×4, first 2 shown]
	v_addc_co_u32_e32 v3, vcc, v3, v8, vcc
	v_add_co_u32_e32 v3, vcc, v3, v6
	v_addc_co_u32_e64 v6, s[0:1], 0, 0, vcc
	v_add_co_u32_e32 v3, vcc, v3, v10
	v_addc_co_u32_e32 v6, vcc, 0, v6, vcc
	v_add_co_u32_e32 v2, vcc, v3, v2
	v_addc_co_u32_e32 v3, vcc, 0, v6, vcc
	;; [unrolled: 2-line block ×12, first 2 shown]
	s_nop 0
	v_mov_b32_dpp v4, v1 quad_perm:[1,0,3,2] row_mask:0xf bank_mask:0xf bound_ctrl:1
	v_add_co_u32_e32 v1, vcc, v1, v4
	v_addc_co_u32_e32 v2, vcc, 0, v2, vcc
	v_mov_b32_dpp v5, v22 quad_perm:[1,0,3,2] row_mask:0xf bank_mask:0xf bound_ctrl:1
	v_add_co_u32_e32 v4, vcc, 0, v1
	v_addc_co_u32_e32 v2, vcc, v5, v2, vcc
	v_mov_b32_dpp v1, v1 quad_perm:[2,3,0,1] row_mask:0xf bank_mask:0xf bound_ctrl:1
	v_add_co_u32_e32 v1, vcc, v4, v1
	v_mov_b32_dpp v5, v2 quad_perm:[2,3,0,1] row_mask:0xf bank_mask:0xf bound_ctrl:1
	v_addc_co_u32_e32 v2, vcc, 0, v2, vcc
	v_add_co_u32_e32 v4, vcc, 0, v1
	v_addc_co_u32_e32 v2, vcc, v2, v5, vcc
	v_mov_b32_dpp v1, v1 row_ror:4 row_mask:0xf bank_mask:0xf bound_ctrl:1
	v_add_co_u32_e32 v1, vcc, v4, v1
	v_mov_b32_dpp v5, v2 row_ror:4 row_mask:0xf bank_mask:0xf bound_ctrl:1
	v_addc_co_u32_e32 v2, vcc, 0, v2, vcc
	v_add_co_u32_e32 v4, vcc, 0, v1
	v_addc_co_u32_e32 v2, vcc, v2, v5, vcc
	v_mov_b32_dpp v1, v1 row_ror:8 row_mask:0xf bank_mask:0xf bound_ctrl:1
	v_add_co_u32_e32 v1, vcc, v4, v1
	v_mov_b32_dpp v5, v2 row_ror:8 row_mask:0xf bank_mask:0xf bound_ctrl:1
	v_addc_co_u32_e32 v2, vcc, 0, v2, vcc
	v_add_co_u32_e32 v4, vcc, 0, v1
	v_addc_co_u32_e32 v2, vcc, v2, v5, vcc
	v_mov_b32_dpp v1, v1 row_bcast:15 row_mask:0xf bank_mask:0xf bound_ctrl:1
	v_add_co_u32_e32 v1, vcc, v4, v1
	v_mov_b32_dpp v5, v2 row_bcast:15 row_mask:0xf bank_mask:0xf bound_ctrl:1
	v_addc_co_u32_e32 v2, vcc, 0, v2, vcc
	v_add_co_u32_e32 v4, vcc, 0, v1
	v_addc_co_u32_e32 v2, vcc, v2, v5, vcc
	v_mov_b32_dpp v1, v1 row_bcast:31 row_mask:0xf bank_mask:0xf bound_ctrl:1
	v_mbcnt_lo_u32_b32 v3, -1, 0
	v_add_co_u32_e32 v1, vcc, v4, v1
	v_mbcnt_hi_u32_b32 v3, -1, v3
	v_addc_co_u32_e32 v4, vcc, 0, v2, vcc
	v_cmp_eq_u32_e32 vcc, 0, v3
	s_nop 0
	v_add_u32_dpp v2, v2, v4 row_bcast:31 row_mask:0xf bank_mask:0xf bound_ctrl:1
	v_lshlrev_b32_e32 v4, 2, v3
	v_or_b32_e32 v5, 0xfc, v4
	ds_bpermute_b32 v1, v5, v1
	ds_bpermute_b32 v2, v5, v2
	s_and_saveexec_b64 s[0:1], vcc
	s_cbranch_execz .LBB846_7
; %bb.6:
	v_lshrrev_b32_e32 v5, 3, v0
	v_and_b32_e32 v5, 24, v5
	s_waitcnt lgkmcnt(0)
	ds_write_b64 v5, v[1:2]
.LBB846_7:
	s_or_b64 exec, exec, s[0:1]
	v_cmp_gt_u32_e32 vcc, 64, v0
	s_waitcnt lgkmcnt(0)
	s_barrier
	s_and_saveexec_b64 s[0:1], vcc
	s_cbranch_execz .LBB846_9
; %bb.8:
	v_and_b32_e32 v5, 3, v3
	v_lshlrev_b32_e32 v1, 3, v5
	ds_read_b64 v[1:2], v1
	v_cmp_ne_u32_e32 vcc, 3, v5
	v_addc_co_u32_e32 v3, vcc, 0, v3, vcc
	v_lshlrev_b32_e32 v3, 2, v3
	s_waitcnt lgkmcnt(0)
	ds_bpermute_b32 v5, v3, v1
	ds_bpermute_b32 v3, v3, v2
	v_or_b32_e32 v4, 8, v4
	s_waitcnt lgkmcnt(1)
	v_add_co_u32_e32 v1, vcc, v1, v5
	v_addc_co_u32_e32 v2, vcc, 0, v2, vcc
	ds_bpermute_b32 v5, v4, v1
	v_add_co_u32_e32 v1, vcc, 0, v1
	s_waitcnt lgkmcnt(1)
	v_addc_co_u32_e32 v2, vcc, v3, v2, vcc
	ds_bpermute_b32 v3, v4, v2
	s_waitcnt lgkmcnt(1)
	v_add_co_u32_e32 v1, vcc, v1, v5
	v_addc_co_u32_e32 v2, vcc, 0, v2, vcc
	v_add_co_u32_e32 v1, vcc, 0, v1
	s_waitcnt lgkmcnt(0)
	v_addc_co_u32_e32 v2, vcc, v2, v3, vcc
.LBB846_9:
	s_or_b64 exec, exec, s[0:1]
	s_mov_b64 s[0:1], 0
	s_branch .LBB846_22
.LBB846_10:
	s_mov_b64 s[0:1], 0
                                        ; implicit-def: $vgpr1_vgpr2
                                        ; implicit-def: $vgpr3_vgpr4
	s_cbranch_execnz .LBB846_145
	s_branch .LBB846_206
.LBB846_11:
	s_mov_b64 s[0:1], 0
                                        ; implicit-def: $vgpr1_vgpr2
                                        ; implicit-def: $vgpr3_vgpr4
	s_cbranch_execnz .LBB846_110
	s_branch .LBB846_144
.LBB846_12:
	s_mov_b64 s[8:9], -1
	s_mov_b64 s[0:1], 0
                                        ; implicit-def: $vgpr1_vgpr2
                                        ; implicit-def: $vgpr3_vgpr4
.LBB846_13:
	s_and_b64 vcc, exec, s[8:9]
	s_cbranch_vccz .LBB846_109
.LBB846_14:
	s_cmp_eq_u32 s30, 8
                                        ; implicit-def: $vgpr1_vgpr2
                                        ; implicit-def: $vgpr3_vgpr4
	s_cbranch_scc0 .LBB846_109
; %bb.15:
	s_mov_b32 s7, 0
	s_lshl_b32 s0, s6, 11
	s_mov_b32 s1, s7
	s_lshr_b64 s[2:3], s[20:21], 11
	s_lshl_b64 s[8:9], s[0:1], 3
	s_add_u32 s16, s24, s8
	s_addc_u32 s17, s25, s9
	s_add_u32 s18, s26, s8
	s_addc_u32 s19, s27, s9
	s_cmp_lg_u64 s[2:3], s[6:7]
	s_cbranch_scc0 .LBB846_73
; %bb.16:
	v_lshlrev_b32_e32 v1, 3, v0
	v_mov_b32_e32 v2, s17
	v_add_co_u32_e32 v9, vcc, s16, v1
	v_addc_co_u32_e32 v10, vcc, 0, v2, vcc
	v_mov_b32_e32 v2, s19
	v_add_co_u32_e32 v11, vcc, s18, v1
	v_addc_co_u32_e32 v12, vcc, 0, v2, vcc
	s_movk_i32 s1, 0x1000
	global_load_dword v13, v1, s[16:17]
	global_load_dword v14, v1, s[18:19]
	global_load_dword v15, v1, s[18:19] offset:2048
	global_load_dword v16, v1, s[16:17] offset:2048
	v_add_co_u32_e32 v1, vcc, s1, v9
	v_addc_co_u32_e32 v2, vcc, 0, v10, vcc
	s_movk_i32 s2, 0x2000
	v_add_co_u32_e32 v3, vcc, s2, v9
	v_addc_co_u32_e32 v4, vcc, 0, v10, vcc
	v_add_co_u32_e32 v5, vcc, s1, v11
	v_addc_co_u32_e32 v6, vcc, 0, v12, vcc
	;; [unrolled: 2-line block ×3, first 2 shown]
	global_load_dword v17, v[3:4], off offset:-4096
	global_load_dword v18, v[7:8], off offset:-4096
	global_load_dword v19, v[1:2], off offset:2048
	global_load_dword v20, v[5:6], off offset:2048
	global_load_dword v21, v[3:4], off
	global_load_dword v22, v[7:8], off
	global_load_dword v23, v[3:4], off offset:2048
	s_movk_i32 s1, 0x3000
	global_load_dword v5, v[7:8], off offset:2048
	v_add_co_u32_e32 v1, vcc, s1, v9
	v_addc_co_u32_e32 v2, vcc, 0, v10, vcc
	global_load_dword v6, v[1:2], off
	v_add_co_u32_e32 v3, vcc, s1, v11
	v_addc_co_u32_e32 v4, vcc, 0, v12, vcc
	global_load_dword v7, v[3:4], off
	global_load_dword v8, v[1:2], off offset:2048
	global_load_dword v9, v[3:4], off offset:2048
	s_mov_b32 s1, 0x66666667
	v_mov_b32_e32 v1, 0
	s_waitcnt vmcnt(15)
	v_mul_hi_i32 v2, v13, s1
	s_waitcnt vmcnt(14)
	v_mul_hi_i32 v3, v14, s1
	;; [unrolled: 2-line block ×4, first 2 shown]
	v_lshrrev_b32_e32 v16, 31, v2
	v_ashrrev_i32_e32 v2, 2, v2
	v_add_u32_e32 v2, v2, v16
	v_mov_b32_dpp v1, v1 quad_perm:[1,0,3,2] row_mask:0xf bank_mask:0xf bound_ctrl:1
	s_waitcnt vmcnt(10)
	v_mul_hi_i32 v12, v18, s1
	s_waitcnt vmcnt(9)
	v_mul_hi_i32 v13, v19, s1
	;; [unrolled: 2-line block ×3, first 2 shown]
	v_lshrrev_b32_e32 v18, 31, v4
	v_ashrrev_i32_e32 v4, 2, v4
	v_lshrrev_b32_e32 v19, 31, v10
	v_ashrrev_i32_e32 v10, 2, v10
	v_mul_hi_i32 v11, v17, s1
	v_add_u32_e32 v4, v4, v18
	v_add_u32_e32 v10, v10, v19
	v_lshrrev_b32_e32 v18, 31, v13
	v_ashrrev_i32_e32 v13, 2, v13
	v_lshrrev_b32_e32 v19, 31, v14
	v_ashrrev_i32_e32 v14, 2, v14
	s_waitcnt vmcnt(7)
	v_mul_hi_i32 v15, v21, s1
	v_add_u32_e32 v13, v13, v18
	v_add_u32_e32 v14, v14, v19
	v_cmp_ne_u32_e32 vcc, v13, v14
	s_waitcnt vmcnt(6)
	v_mul_hi_i32 v14, v22, s1
	v_lshrrev_b32_e32 v16, 31, v11
	v_ashrrev_i32_e32 v11, 2, v11
	v_add_u32_e32 v11, v11, v16
	v_lshrrev_b32_e32 v16, 31, v15
	v_ashrrev_i32_e32 v15, 2, v15
	v_add_u32_e32 v15, v15, v16
	;; [unrolled: 3-line block ×3, first 2 shown]
	s_waitcnt vmcnt(5)
	v_mul_hi_i32 v16, v23, s1
	s_waitcnt vmcnt(4)
	v_mul_hi_i32 v5, v5, s1
	;; [unrolled: 2-line block ×3, first 2 shown]
	v_cndmask_b32_e64 v13, 0, 1, vcc
	v_cmp_ne_u32_e32 vcc, v15, v14
	v_lshrrev_b32_e32 v15, 31, v16
	v_ashrrev_i32_e32 v16, 2, v16
	s_waitcnt vmcnt(2)
	v_mul_hi_i32 v7, v7, s1
	v_add_u32_e32 v15, v16, v15
	v_lshrrev_b32_e32 v16, 31, v5
	v_ashrrev_i32_e32 v5, 2, v5
	v_add_u32_e32 v5, v5, v16
	v_cndmask_b32_e64 v14, 0, 1, vcc
	v_cmp_ne_u32_e32 vcc, v15, v5
	v_lshrrev_b32_e32 v15, 31, v6
	v_ashrrev_i32_e32 v6, 2, v6
	v_add_u32_e32 v6, v6, v15
	v_lshrrev_b32_e32 v15, 31, v7
	v_ashrrev_i32_e32 v7, 2, v7
	v_add_u32_e32 v7, v7, v15
	s_waitcnt vmcnt(1)
	v_mul_hi_i32 v8, v8, s1
	v_cndmask_b32_e64 v5, 0, 1, vcc
	v_cmp_ne_u32_e32 vcc, v6, v7
	s_waitcnt vmcnt(0)
	v_mul_hi_i32 v7, v9, s1
	v_lshrrev_b32_e32 v9, 31, v8
	v_ashrrev_i32_e32 v8, 2, v8
	v_add_u32_e32 v8, v8, v9
	v_lshrrev_b32_e32 v9, 31, v7
	v_ashrrev_i32_e32 v7, 2, v7
	v_add_u32_e32 v7, v7, v9
	v_lshrrev_b32_e32 v17, 31, v3
	v_ashrrev_i32_e32 v3, 2, v3
	v_cndmask_b32_e64 v6, 0, 1, vcc
	v_cmp_ne_u32_e32 vcc, v8, v7
	v_add_u32_e32 v3, v3, v17
	v_lshrrev_b32_e32 v17, 31, v12
	v_ashrrev_i32_e32 v12, 2, v12
	v_cndmask_b32_e64 v7, 0, 1, vcc
	v_cmp_ne_u32_e32 vcc, v4, v10
	v_add_u32_e32 v12, v12, v17
	v_cndmask_b32_e64 v4, 0, 1, vcc
	v_cmp_ne_u32_e32 vcc, v2, v3
	v_cndmask_b32_e64 v2, 0, 1, vcc
	v_cmp_ne_u32_e32 vcc, v11, v12
	v_addc_co_u32_e32 v2, vcc, v4, v2, vcc
	v_add_co_u32_e32 v2, vcc, v2, v13
	v_addc_co_u32_e64 v3, s[2:3], 0, 0, vcc
	v_add_co_u32_e32 v2, vcc, v2, v14
	v_addc_co_u32_e32 v3, vcc, 0, v3, vcc
	v_add_co_u32_e32 v2, vcc, v2, v5
	v_addc_co_u32_e32 v3, vcc, 0, v3, vcc
	;; [unrolled: 2-line block ×4, first 2 shown]
	s_nop 0
	v_mov_b32_dpp v5, v2 quad_perm:[1,0,3,2] row_mask:0xf bank_mask:0xf bound_ctrl:1
	v_add_co_u32_e32 v2, vcc, v2, v5
	v_addc_co_u32_e32 v4, vcc, 0, v4, vcc
	v_add_co_u32_e32 v5, vcc, 0, v2
	v_addc_co_u32_e32 v1, vcc, v1, v4, vcc
	v_mov_b32_dpp v2, v2 quad_perm:[2,3,0,1] row_mask:0xf bank_mask:0xf bound_ctrl:1
	v_add_co_u32_e32 v2, vcc, v5, v2
	v_mov_b32_dpp v4, v1 quad_perm:[2,3,0,1] row_mask:0xf bank_mask:0xf bound_ctrl:1
	v_addc_co_u32_e32 v1, vcc, 0, v1, vcc
	v_add_co_u32_e32 v5, vcc, 0, v2
	v_addc_co_u32_e32 v1, vcc, v1, v4, vcc
	v_mov_b32_dpp v2, v2 row_ror:4 row_mask:0xf bank_mask:0xf bound_ctrl:1
	v_add_co_u32_e32 v2, vcc, v5, v2
	v_mov_b32_dpp v4, v1 row_ror:4 row_mask:0xf bank_mask:0xf bound_ctrl:1
	v_addc_co_u32_e32 v1, vcc, 0, v1, vcc
	v_add_co_u32_e32 v5, vcc, 0, v2
	v_addc_co_u32_e32 v1, vcc, v1, v4, vcc
	v_mov_b32_dpp v2, v2 row_ror:8 row_mask:0xf bank_mask:0xf bound_ctrl:1
	v_add_co_u32_e32 v2, vcc, v5, v2
	v_mov_b32_dpp v4, v1 row_ror:8 row_mask:0xf bank_mask:0xf bound_ctrl:1
	v_addc_co_u32_e32 v1, vcc, 0, v1, vcc
	v_add_co_u32_e32 v5, vcc, 0, v2
	v_addc_co_u32_e32 v1, vcc, v1, v4, vcc
	v_mov_b32_dpp v2, v2 row_bcast:15 row_mask:0xf bank_mask:0xf bound_ctrl:1
	v_add_co_u32_e32 v2, vcc, v5, v2
	v_mov_b32_dpp v4, v1 row_bcast:15 row_mask:0xf bank_mask:0xf bound_ctrl:1
	v_addc_co_u32_e32 v1, vcc, 0, v1, vcc
	v_add_co_u32_e32 v5, vcc, 0, v2
	v_addc_co_u32_e32 v1, vcc, v1, v4, vcc
	v_mov_b32_dpp v2, v2 row_bcast:31 row_mask:0xf bank_mask:0xf bound_ctrl:1
	v_mbcnt_lo_u32_b32 v3, -1, 0
	v_add_co_u32_e32 v2, vcc, v5, v2
	v_mbcnt_hi_u32_b32 v3, -1, v3
	v_addc_co_u32_e32 v4, vcc, 0, v1, vcc
	v_cmp_eq_u32_e32 vcc, 0, v3
	s_nop 0
	v_add_u32_dpp v5, v1, v4 row_bcast:31 row_mask:0xf bank_mask:0xf bound_ctrl:1
	v_lshlrev_b32_e32 v4, 2, v3
	v_or_b32_e32 v6, 0xfc, v4
	ds_bpermute_b32 v1, v6, v2
	ds_bpermute_b32 v2, v6, v5
	s_and_saveexec_b64 s[2:3], vcc
	s_cbranch_execz .LBB846_18
; %bb.17:
	v_lshrrev_b32_e32 v5, 3, v0
	v_and_b32_e32 v5, 24, v5
	s_waitcnt lgkmcnt(0)
	ds_write_b64 v5, v[1:2] offset:128
.LBB846_18:
	s_or_b64 exec, exec, s[2:3]
	v_cmp_gt_u32_e32 vcc, 64, v0
	s_waitcnt lgkmcnt(0)
	s_barrier
	s_and_saveexec_b64 s[2:3], vcc
	s_cbranch_execz .LBB846_20
; %bb.19:
	v_and_b32_e32 v5, 3, v3
	v_lshlrev_b32_e32 v1, 3, v5
	ds_read_b64 v[1:2], v1 offset:128
	v_cmp_ne_u32_e32 vcc, 3, v5
	v_addc_co_u32_e32 v3, vcc, 0, v3, vcc
	v_lshlrev_b32_e32 v3, 2, v3
	s_waitcnt lgkmcnt(0)
	ds_bpermute_b32 v5, v3, v1
	ds_bpermute_b32 v3, v3, v2
	v_or_b32_e32 v4, 8, v4
	s_waitcnt lgkmcnt(1)
	v_add_co_u32_e32 v1, vcc, v1, v5
	v_addc_co_u32_e32 v2, vcc, 0, v2, vcc
	ds_bpermute_b32 v5, v4, v1
	v_add_co_u32_e32 v1, vcc, 0, v1
	s_waitcnt lgkmcnt(1)
	v_addc_co_u32_e32 v2, vcc, v3, v2, vcc
	ds_bpermute_b32 v3, v4, v2
	s_waitcnt lgkmcnt(1)
	v_add_co_u32_e32 v1, vcc, v1, v5
	v_addc_co_u32_e32 v2, vcc, 0, v2, vcc
	v_add_co_u32_e32 v1, vcc, 0, v1
	s_waitcnt lgkmcnt(0)
	v_addc_co_u32_e32 v2, vcc, v2, v3, vcc
.LBB846_20:
	s_or_b64 exec, exec, s[2:3]
	s_mov_b64 s[2:3], 0
	s_branch .LBB846_74
.LBB846_21:
	s_mov_b64 s[0:1], -1
                                        ; implicit-def: $vgpr1_vgpr2
.LBB846_22:
	s_and_b64 vcc, exec, s[0:1]
	s_cbranch_vccz .LBB846_72
; %bb.23:
	s_sub_i32 s2, s20, s14
	v_cmp_gt_u32_e32 vcc, s2, v0
                                        ; implicit-def: $vgpr1_vgpr2
	s_and_saveexec_b64 s[0:1], vcc
	s_cbranch_execz .LBB846_25
; %bb.24:
	v_lshlrev_b32_e32 v1, 3, v0
	global_load_dword v2, v1, s[10:11]
	global_load_dword v3, v1, s[12:13]
	s_mov_b32 s3, 0x66666667
	s_waitcnt vmcnt(1)
	v_mul_hi_i32 v1, v2, s3
	s_waitcnt vmcnt(0)
	v_mul_hi_i32 v2, v3, s3
	s_mov_b32 s3, 0
	v_lshrrev_b32_e32 v3, 31, v1
	v_ashrrev_i32_e32 v1, 2, v1
	v_lshrrev_b32_e32 v4, 31, v2
	v_ashrrev_i32_e32 v2, 2, v2
	v_add_u32_e32 v1, v1, v3
	v_add_u32_e32 v2, v2, v4
	v_cmp_ne_u32_e32 vcc, v1, v2
	v_cndmask_b32_e64 v1, 0, 1, vcc
	v_mov_b32_e32 v2, s3
.LBB846_25:
	s_or_b64 exec, exec, s[0:1]
	v_or_b32_e32 v7, 0x100, v0
	v_mov_b32_e32 v3, 0
	v_mov_b32_e32 v5, 0
	;; [unrolled: 1-line block ×4, first 2 shown]
	v_cmp_gt_u32_e32 vcc, s2, v7
	s_and_saveexec_b64 s[0:1], vcc
	s_cbranch_execz .LBB846_27
; %bb.26:
	v_lshlrev_b32_e32 v5, 3, v0
	global_load_dword v6, v5, s[10:11] offset:2048
	global_load_dword v7, v5, s[12:13] offset:2048
	s_mov_b32 s3, 0x66666667
	s_waitcnt vmcnt(1)
	v_mul_hi_i32 v5, v6, s3
	s_waitcnt vmcnt(0)
	v_mul_hi_i32 v6, v7, s3
	s_mov_b32 s3, 0
	v_lshrrev_b32_e32 v7, 31, v5
	v_ashrrev_i32_e32 v5, 2, v5
	v_lshrrev_b32_e32 v8, 31, v6
	v_ashrrev_i32_e32 v6, 2, v6
	v_add_u32_e32 v5, v5, v7
	v_add_u32_e32 v6, v6, v8
	v_cmp_ne_u32_e32 vcc, v5, v6
	v_cndmask_b32_e64 v5, 0, 1, vcc
	v_mov_b32_e32 v6, s3
.LBB846_27:
	s_or_b64 exec, exec, s[0:1]
	v_or_b32_e32 v7, 0x200, v0
	v_cmp_gt_u32_e32 vcc, s2, v7
	s_and_saveexec_b64 s[0:1], vcc
	s_cbranch_execz .LBB846_29
; %bb.28:
	v_lshlrev_b32_e32 v3, 3, v7
	global_load_dword v4, v3, s[10:11]
	global_load_dword v7, v3, s[12:13]
	s_mov_b32 s3, 0x66666667
	s_waitcnt vmcnt(1)
	v_mul_hi_i32 v3, v4, s3
	s_waitcnt vmcnt(0)
	v_mul_hi_i32 v4, v7, s3
	s_mov_b32 s3, 0
	v_lshrrev_b32_e32 v7, 31, v3
	v_ashrrev_i32_e32 v3, 2, v3
	v_lshrrev_b32_e32 v8, 31, v4
	v_ashrrev_i32_e32 v4, 2, v4
	v_add_u32_e32 v3, v3, v7
	v_add_u32_e32 v4, v4, v8
	v_cmp_ne_u32_e32 vcc, v3, v4
	v_cndmask_b32_e64 v3, 0, 1, vcc
	v_mov_b32_e32 v4, s3
.LBB846_29:
	s_or_b64 exec, exec, s[0:1]
	v_or_b32_e32 v11, 0x300, v0
	v_mov_b32_e32 v7, 0
	v_mov_b32_e32 v9, 0
	v_mov_b32_e32 v8, 0
	v_mov_b32_e32 v10, 0
	v_cmp_gt_u32_e32 vcc, s2, v11
	s_and_saveexec_b64 s[0:1], vcc
	s_cbranch_execz .LBB846_31
; %bb.30:
	v_lshlrev_b32_e32 v9, 3, v11
	global_load_dword v10, v9, s[10:11]
	global_load_dword v11, v9, s[12:13]
	s_mov_b32 s3, 0x66666667
	s_waitcnt vmcnt(1)
	v_mul_hi_i32 v9, v10, s3
	s_waitcnt vmcnt(0)
	v_mul_hi_i32 v10, v11, s3
	s_mov_b32 s3, 0
	v_lshrrev_b32_e32 v11, 31, v9
	v_ashrrev_i32_e32 v9, 2, v9
	v_lshrrev_b32_e32 v12, 31, v10
	v_ashrrev_i32_e32 v10, 2, v10
	v_add_u32_e32 v9, v9, v11
	v_add_u32_e32 v10, v10, v12
	v_cmp_ne_u32_e32 vcc, v9, v10
	v_cndmask_b32_e64 v9, 0, 1, vcc
	v_mov_b32_e32 v10, s3
.LBB846_31:
	s_or_b64 exec, exec, s[0:1]
	v_or_b32_e32 v11, 0x400, v0
	v_cmp_gt_u32_e32 vcc, s2, v11
	s_and_saveexec_b64 s[0:1], vcc
	s_cbranch_execz .LBB846_33
; %bb.32:
	v_lshlrev_b32_e32 v7, 3, v11
	global_load_dword v8, v7, s[10:11]
	global_load_dword v11, v7, s[12:13]
	s_mov_b32 s3, 0x66666667
	s_waitcnt vmcnt(1)
	v_mul_hi_i32 v7, v8, s3
	s_waitcnt vmcnt(0)
	v_mul_hi_i32 v8, v11, s3
	s_mov_b32 s3, 0
	v_lshrrev_b32_e32 v11, 31, v7
	v_ashrrev_i32_e32 v7, 2, v7
	v_lshrrev_b32_e32 v12, 31, v8
	v_ashrrev_i32_e32 v8, 2, v8
	v_add_u32_e32 v7, v7, v11
	v_add_u32_e32 v8, v8, v12
	v_cmp_ne_u32_e32 vcc, v7, v8
	v_cndmask_b32_e64 v7, 0, 1, vcc
	v_mov_b32_e32 v8, s3
.LBB846_33:
	s_or_b64 exec, exec, s[0:1]
	v_or_b32_e32 v15, 0x500, v0
	v_mov_b32_e32 v11, 0
	v_mov_b32_e32 v13, 0
	v_mov_b32_e32 v12, 0
	v_mov_b32_e32 v14, 0
	v_cmp_gt_u32_e32 vcc, s2, v15
	s_and_saveexec_b64 s[0:1], vcc
	s_cbranch_execz .LBB846_35
; %bb.34:
	v_lshlrev_b32_e32 v13, 3, v15
	global_load_dword v14, v13, s[10:11]
	global_load_dword v15, v13, s[12:13]
	s_mov_b32 s3, 0x66666667
	s_waitcnt vmcnt(1)
	v_mul_hi_i32 v13, v14, s3
	s_waitcnt vmcnt(0)
	v_mul_hi_i32 v14, v15, s3
	s_mov_b32 s3, 0
	v_lshrrev_b32_e32 v15, 31, v13
	v_ashrrev_i32_e32 v13, 2, v13
	v_lshrrev_b32_e32 v16, 31, v14
	v_ashrrev_i32_e32 v14, 2, v14
	v_add_u32_e32 v13, v13, v15
	v_add_u32_e32 v14, v14, v16
	v_cmp_ne_u32_e32 vcc, v13, v14
	v_cndmask_b32_e64 v13, 0, 1, vcc
	v_mov_b32_e32 v14, s3
.LBB846_35:
	;; [unrolled: 54-line block ×6, first 2 shown]
	s_or_b64 exec, exec, s[0:1]
	v_or_b32_e32 v31, 0xe00, v0
	v_cmp_gt_u32_e32 vcc, s2, v31
	s_and_saveexec_b64 s[0:1], vcc
	s_cbranch_execz .LBB846_53
; %bb.52:
	v_lshlrev_b32_e32 v27, 3, v31
	global_load_dword v28, v27, s[10:11]
	global_load_dword v31, v27, s[12:13]
	s_mov_b32 s3, 0x66666667
	s_waitcnt vmcnt(1)
	v_mul_hi_i32 v27, v28, s3
	s_waitcnt vmcnt(0)
	v_mul_hi_i32 v28, v31, s3
	s_mov_b32 s3, 0
	v_lshrrev_b32_e32 v31, 31, v27
	v_ashrrev_i32_e32 v27, 2, v27
	v_lshrrev_b32_e32 v32, 31, v28
	v_ashrrev_i32_e32 v28, 2, v28
	v_add_u32_e32 v27, v27, v31
	v_add_u32_e32 v28, v28, v32
	v_cmp_ne_u32_e32 vcc, v27, v28
	v_cndmask_b32_e64 v27, 0, 1, vcc
	v_mov_b32_e32 v28, s3
.LBB846_53:
	s_or_b64 exec, exec, s[0:1]
	v_or_b32_e32 v33, 0xf00, v0
	v_mov_b32_e32 v31, 0
	v_mov_b32_e32 v32, 0
	v_cmp_gt_u32_e32 vcc, s2, v33
	s_and_saveexec_b64 s[0:1], vcc
	s_cbranch_execz .LBB846_55
; %bb.54:
	v_lshlrev_b32_e32 v31, 3, v33
	global_load_dword v32, v31, s[10:11]
	global_load_dword v33, v31, s[12:13]
	s_mov_b32 s3, 0x66666667
	s_waitcnt vmcnt(1)
	v_mul_hi_i32 v31, v32, s3
	s_waitcnt vmcnt(0)
	v_mul_hi_i32 v32, v33, s3
	s_mov_b32 s3, 0
	v_lshrrev_b32_e32 v33, 31, v31
	v_ashrrev_i32_e32 v31, 2, v31
	v_lshrrev_b32_e32 v34, 31, v32
	v_ashrrev_i32_e32 v32, 2, v32
	v_add_u32_e32 v31, v31, v33
	v_add_u32_e32 v32, v32, v34
	v_cmp_ne_u32_e32 vcc, v31, v32
	v_cndmask_b32_e64 v31, 0, 1, vcc
	v_mov_b32_e32 v32, s3
.LBB846_55:
	s_or_b64 exec, exec, s[0:1]
	v_add_co_u32_e32 v1, vcc, v5, v1
	v_addc_co_u32_e32 v2, vcc, v6, v2, vcc
	v_add_co_u32_e32 v1, vcc, v1, v3
	v_addc_co_u32_e32 v2, vcc, v2, v4, vcc
	;; [unrolled: 2-line block ×14, first 2 shown]
	v_mbcnt_lo_u32_b32 v3, -1, 0
	v_add_co_u32_e32 v1, vcc, v1, v31
	v_mbcnt_hi_u32_b32 v3, -1, v3
	v_addc_co_u32_e32 v2, vcc, v2, v32, vcc
	v_and_b32_e32 v4, 63, v3
	v_cmp_ne_u32_e32 vcc, 63, v4
	v_addc_co_u32_e32 v6, vcc, 0, v3, vcc
	v_lshlrev_b32_e32 v6, 2, v6
	ds_bpermute_b32 v8, v6, v1
	ds_bpermute_b32 v7, v6, v2
	s_min_u32 s2, s2, 0x100
	v_and_b32_e32 v5, 0xc0, v0
	v_sub_u32_e64 v5, s2, v5 clamp
	v_add_u32_e32 v6, 1, v4
	v_cmp_lt_u32_e32 vcc, v6, v5
	v_mov_b32_e32 v6, v1
	s_and_saveexec_b64 s[0:1], vcc
	s_cbranch_execz .LBB846_57
; %bb.56:
	s_waitcnt lgkmcnt(1)
	v_add_co_u32_e32 v6, vcc, v1, v8
	v_addc_co_u32_e32 v2, vcc, 0, v2, vcc
	v_add_co_u32_e32 v1, vcc, 0, v6
	s_waitcnt lgkmcnt(0)
	v_addc_co_u32_e32 v2, vcc, v7, v2, vcc
.LBB846_57:
	s_or_b64 exec, exec, s[0:1]
	v_cmp_gt_u32_e32 vcc, 62, v4
	s_waitcnt lgkmcnt(0)
	v_cndmask_b32_e64 v7, 0, 2, vcc
	v_add_lshl_u32 v7, v7, v3, 2
	ds_bpermute_b32 v8, v7, v6
	ds_bpermute_b32 v7, v7, v2
	v_add_u32_e32 v9, 2, v4
	v_cmp_lt_u32_e32 vcc, v9, v5
	s_and_saveexec_b64 s[0:1], vcc
	s_cbranch_execz .LBB846_59
; %bb.58:
	s_waitcnt lgkmcnt(1)
	v_add_co_u32_e32 v6, vcc, v1, v8
	v_addc_co_u32_e32 v2, vcc, 0, v2, vcc
	v_add_co_u32_e32 v1, vcc, 0, v6
	s_waitcnt lgkmcnt(0)
	v_addc_co_u32_e32 v2, vcc, v7, v2, vcc
.LBB846_59:
	s_or_b64 exec, exec, s[0:1]
	v_cmp_gt_u32_e32 vcc, 60, v4
	s_waitcnt lgkmcnt(0)
	v_cndmask_b32_e64 v7, 0, 4, vcc
	v_add_lshl_u32 v7, v7, v3, 2
	ds_bpermute_b32 v8, v7, v6
	ds_bpermute_b32 v7, v7, v2
	v_add_u32_e32 v9, 4, v4
	v_cmp_lt_u32_e32 vcc, v9, v5
	;; [unrolled: 19-line block ×4, first 2 shown]
	s_and_saveexec_b64 s[0:1], vcc
	s_cbranch_execz .LBB846_65
; %bb.64:
	s_waitcnt lgkmcnt(1)
	v_add_co_u32_e32 v6, vcc, v1, v8
	v_addc_co_u32_e32 v2, vcc, 0, v2, vcc
	v_add_co_u32_e32 v1, vcc, 0, v6
	s_waitcnt lgkmcnt(0)
	v_addc_co_u32_e32 v2, vcc, v7, v2, vcc
.LBB846_65:
	s_or_b64 exec, exec, s[0:1]
	s_waitcnt lgkmcnt(0)
	v_lshlrev_b32_e32 v7, 2, v3
	v_or_b32_e32 v8, 0x80, v7
	ds_bpermute_b32 v6, v8, v6
	ds_bpermute_b32 v8, v8, v2
	v_add_u32_e32 v4, 32, v4
	s_waitcnt lgkmcnt(1)
	v_add_co_u32_e32 v6, vcc, v1, v6
	v_addc_co_u32_e32 v9, vcc, 0, v2, vcc
	v_add_co_u32_e32 v6, vcc, 0, v6
	s_waitcnt lgkmcnt(0)
	v_addc_co_u32_e32 v8, vcc, v9, v8, vcc
	v_cmp_lt_u32_e32 vcc, v4, v5
	v_cndmask_b32_e32 v2, v2, v8, vcc
	v_cndmask_b32_e32 v1, v1, v6, vcc
	v_cmp_eq_u32_e32 vcc, 0, v3
	s_and_saveexec_b64 s[0:1], vcc
; %bb.66:
	v_lshrrev_b32_e32 v4, 3, v0
	v_and_b32_e32 v4, 24, v4
	ds_write_b64 v4, v[1:2] offset:160
; %bb.67:
	s_or_b64 exec, exec, s[0:1]
	v_cmp_gt_u32_e32 vcc, 4, v0
	s_waitcnt lgkmcnt(0)
	s_barrier
	s_and_saveexec_b64 s[0:1], vcc
	s_cbranch_execz .LBB846_71
; %bb.68:
	v_lshlrev_b32_e32 v1, 3, v3
	ds_read_b64 v[1:2], v1 offset:160
	v_and_b32_e32 v4, 3, v3
	v_cmp_ne_u32_e32 vcc, 3, v4
	v_addc_co_u32_e32 v3, vcc, 0, v3, vcc
	v_lshlrev_b32_e32 v3, 2, v3
	s_waitcnt lgkmcnt(0)
	ds_bpermute_b32 v6, v3, v1
	ds_bpermute_b32 v5, v3, v2
	s_add_i32 s2, s2, 63
	s_lshr_b32 s10, s2, 6
	v_add_u32_e32 v3, 1, v4
	v_cmp_gt_u32_e32 vcc, s10, v3
	v_mov_b32_e32 v3, v1
	s_and_saveexec_b64 s[2:3], vcc
	s_cbranch_execz .LBB846_70
; %bb.69:
	s_waitcnt lgkmcnt(1)
	v_add_co_u32_e32 v3, vcc, v1, v6
	v_addc_co_u32_e32 v2, vcc, 0, v2, vcc
	v_add_co_u32_e32 v1, vcc, 0, v3
	s_waitcnt lgkmcnt(0)
	v_addc_co_u32_e32 v2, vcc, v5, v2, vcc
.LBB846_70:
	s_or_b64 exec, exec, s[2:3]
	s_waitcnt lgkmcnt(0)
	v_or_b32_e32 v5, 8, v7
	ds_bpermute_b32 v3, v5, v3
	ds_bpermute_b32 v5, v5, v2
	v_add_u32_e32 v4, 2, v4
	s_waitcnt lgkmcnt(1)
	v_add_co_u32_e32 v3, vcc, v1, v3
	v_addc_co_u32_e32 v6, vcc, 0, v2, vcc
	v_add_co_u32_e32 v3, vcc, 0, v3
	s_waitcnt lgkmcnt(0)
	v_addc_co_u32_e32 v5, vcc, v6, v5, vcc
	v_cmp_gt_u32_e32 vcc, s10, v4
	v_cndmask_b32_e32 v2, v2, v5, vcc
	v_cndmask_b32_e32 v1, v1, v3, vcc
.LBB846_71:
	s_or_b64 exec, exec, s[0:1]
.LBB846_72:
	v_mov_b32_e32 v3, s6
	v_cmp_eq_u32_e64 s[0:1], 0, v0
	v_mov_b32_e32 v4, s7
	s_and_b64 vcc, exec, s[8:9]
	s_cbranch_vccnz .LBB846_14
	s_branch .LBB846_109
.LBB846_73:
	s_mov_b64 s[2:3], -1
                                        ; implicit-def: $vgpr1_vgpr2
.LBB846_74:
	s_and_b64 vcc, exec, s[2:3]
	s_cbranch_vccz .LBB846_108
; %bb.75:
	s_sub_i32 s31, s20, s0
	v_mov_b32_e32 v1, 0
	v_cmp_gt_u32_e32 vcc, s31, v0
	v_mov_b32_e32 v2, v1
	v_mov_b32_e32 v3, v1
	;; [unrolled: 1-line block ×15, first 2 shown]
	s_and_saveexec_b64 s[0:1], vcc
	s_cbranch_execz .LBB846_77
; %bb.76:
	v_mov_b32_e32 v2, v1
	v_mov_b32_e32 v3, v1
	v_mov_b32_e32 v4, v1
	v_mov_b32_e32 v5, v1
	v_mov_b32_e32 v6, v1
	v_mov_b32_e32 v7, v1
	v_mov_b32_e32 v8, v1
	v_mov_b32_e32 v9, v1
	v_mov_b32_e32 v10, v1
	v_mov_b32_e32 v11, v1
	v_mov_b32_e32 v12, v1
	v_mov_b32_e32 v13, v1
	v_mov_b32_e32 v14, v1
	v_mov_b32_e32 v15, v1
	v_mov_b32_e32 v16, v1
	v_lshlrev_b32_e32 v1, 3, v0
	global_load_dword v17, v1, s[16:17]
	global_load_dword v18, v1, s[18:19]
	s_mov_b32 s2, 0x66666667
	s_waitcnt vmcnt(1)
	v_mul_hi_i32 v1, v17, s2
	s_waitcnt vmcnt(0)
	v_mul_hi_i32 v17, v18, s2
	v_lshrrev_b32_e32 v18, 31, v1
	v_ashrrev_i32_e32 v1, 2, v1
	v_lshrrev_b32_e32 v19, 31, v17
	v_ashrrev_i32_e32 v17, 2, v17
	v_add_u32_e32 v1, v1, v18
	v_add_u32_e32 v17, v17, v19
	v_cmp_ne_u32_e32 vcc, v1, v17
	v_cndmask_b32_e64 v1, 0, 1, vcc
	v_and_b32_e32 v1, 0xffff, v1
.LBB846_77:
	s_or_b64 exec, exec, s[0:1]
	v_or_b32_e32 v17, 0x100, v0
	v_cmp_gt_u32_e32 vcc, s31, v17
	s_and_saveexec_b64 s[2:3], vcc
	s_cbranch_execz .LBB846_79
; %bb.78:
	v_lshlrev_b32_e32 v3, 3, v0
	global_load_dword v4, v3, s[16:17] offset:2048
	global_load_dword v17, v3, s[18:19] offset:2048
	s_mov_b32 s0, 0x66666667
	s_mov_b32 s8, 0
	s_waitcnt vmcnt(1)
	v_mul_hi_i32 v3, v4, s0
	s_waitcnt vmcnt(0)
	v_mul_hi_i32 v4, v17, s0
	v_lshrrev_b32_e32 v17, 31, v3
	v_ashrrev_i32_e32 v3, 2, v3
	v_lshrrev_b32_e32 v18, 31, v4
	v_ashrrev_i32_e32 v4, 2, v4
	v_add_u32_e32 v3, v3, v17
	v_add_u32_e32 v4, v4, v18
	v_cmp_ne_u32_e64 s[0:1], v3, v4
	v_cndmask_b32_e64 v3, 0, 1, s[0:1]
	v_mov_b32_e32 v4, s8
.LBB846_79:
	s_or_b64 exec, exec, s[2:3]
	v_or_b32_e32 v17, 0x200, v0
	v_cmp_gt_u32_e64 s[0:1], s31, v17
	s_and_saveexec_b64 s[8:9], s[0:1]
	s_cbranch_execz .LBB846_81
; %bb.80:
	v_lshlrev_b32_e32 v5, 3, v17
	global_load_dword v6, v5, s[16:17]
	global_load_dword v17, v5, s[18:19]
	s_mov_b32 s2, 0x66666667
	s_mov_b32 s10, 0
	s_waitcnt vmcnt(1)
	v_mul_hi_i32 v5, v6, s2
	s_waitcnt vmcnt(0)
	v_mul_hi_i32 v6, v17, s2
	v_lshrrev_b32_e32 v17, 31, v5
	v_ashrrev_i32_e32 v5, 2, v5
	v_lshrrev_b32_e32 v18, 31, v6
	v_ashrrev_i32_e32 v6, 2, v6
	v_add_u32_e32 v5, v5, v17
	v_add_u32_e32 v6, v6, v18
	v_cmp_ne_u32_e64 s[2:3], v5, v6
	v_cndmask_b32_e64 v5, 0, 1, s[2:3]
	v_mov_b32_e32 v6, s10
.LBB846_81:
	s_or_b64 exec, exec, s[8:9]
	v_or_b32_e32 v17, 0x300, v0
	v_cmp_gt_u32_e64 s[2:3], s31, v17
	s_and_saveexec_b64 s[10:11], s[2:3]
	s_cbranch_execz .LBB846_83
; %bb.82:
	v_lshlrev_b32_e32 v7, 3, v17
	global_load_dword v8, v7, s[16:17]
	global_load_dword v17, v7, s[18:19]
	s_mov_b32 s8, 0x66666667
	s_mov_b32 s12, 0
	s_waitcnt vmcnt(1)
	v_mul_hi_i32 v7, v8, s8
	s_waitcnt vmcnt(0)
	v_mul_hi_i32 v8, v17, s8
	v_lshrrev_b32_e32 v17, 31, v7
	v_ashrrev_i32_e32 v7, 2, v7
	v_lshrrev_b32_e32 v18, 31, v8
	v_ashrrev_i32_e32 v8, 2, v8
	v_add_u32_e32 v7, v7, v17
	v_add_u32_e32 v8, v8, v18
	v_cmp_ne_u32_e64 s[8:9], v7, v8
	v_cndmask_b32_e64 v7, 0, 1, s[8:9]
	v_mov_b32_e32 v8, s12
.LBB846_83:
	;; [unrolled: 25-line block ×6, first 2 shown]
	s_or_b64 exec, exec, s[28:29]
	v_cndmask_b32_e32 v3, 0, v3, vcc
	v_cndmask_b32_e32 v4, 0, v4, vcc
	v_add_co_u32_e32 v1, vcc, v3, v1
	v_addc_co_u32_e32 v2, vcc, v4, v2, vcc
	v_cndmask_b32_e64 v4, 0, v5, s[0:1]
	v_cndmask_b32_e64 v3, 0, v6, s[0:1]
	v_add_co_u32_e32 v1, vcc, v1, v4
	v_addc_co_u32_e32 v2, vcc, v2, v3, vcc
	v_cndmask_b32_e64 v4, 0, v7, s[2:3]
	v_cndmask_b32_e64 v3, 0, v8, s[2:3]
	;; [unrolled: 4-line block ×6, first 2 shown]
	v_add_co_u32_e32 v1, vcc, v1, v4
	v_addc_co_u32_e32 v2, vcc, v2, v3, vcc
	v_mbcnt_lo_u32_b32 v3, -1, 0
	v_mbcnt_hi_u32_b32 v3, -1, v3
	v_and_b32_e32 v4, 63, v3
	v_cmp_ne_u32_e32 vcc, 63, v4
	v_addc_co_u32_e32 v6, vcc, 0, v3, vcc
	v_lshlrev_b32_e32 v6, 2, v6
	ds_bpermute_b32 v8, v6, v1
	ds_bpermute_b32 v7, v6, v2
	s_min_u32 s2, s31, 0x100
	v_and_b32_e32 v5, 0xc0, v0
	v_sub_u32_e64 v5, s2, v5 clamp
	v_add_u32_e32 v6, 1, v4
	v_cmp_lt_u32_e32 vcc, v6, v5
	v_mov_b32_e32 v6, v1
	s_and_saveexec_b64 s[0:1], vcc
	s_cbranch_execz .LBB846_93
; %bb.92:
	s_waitcnt lgkmcnt(1)
	v_add_co_u32_e32 v6, vcc, v1, v8
	v_addc_co_u32_e32 v2, vcc, 0, v2, vcc
	v_add_co_u32_e32 v1, vcc, 0, v6
	s_waitcnt lgkmcnt(0)
	v_addc_co_u32_e32 v2, vcc, v2, v7, vcc
.LBB846_93:
	s_or_b64 exec, exec, s[0:1]
	v_cmp_gt_u32_e32 vcc, 62, v4
	s_waitcnt lgkmcnt(0)
	v_cndmask_b32_e64 v7, 0, 2, vcc
	v_add_lshl_u32 v7, v7, v3, 2
	ds_bpermute_b32 v8, v7, v6
	ds_bpermute_b32 v7, v7, v2
	v_add_u32_e32 v9, 2, v4
	v_cmp_lt_u32_e32 vcc, v9, v5
	s_and_saveexec_b64 s[0:1], vcc
	s_cbranch_execz .LBB846_95
; %bb.94:
	s_waitcnt lgkmcnt(1)
	v_add_co_u32_e32 v6, vcc, v1, v8
	v_addc_co_u32_e32 v2, vcc, 0, v2, vcc
	v_add_co_u32_e32 v1, vcc, 0, v6
	s_waitcnt lgkmcnt(0)
	v_addc_co_u32_e32 v2, vcc, v7, v2, vcc
.LBB846_95:
	s_or_b64 exec, exec, s[0:1]
	v_cmp_gt_u32_e32 vcc, 60, v4
	s_waitcnt lgkmcnt(0)
	v_cndmask_b32_e64 v7, 0, 4, vcc
	v_add_lshl_u32 v7, v7, v3, 2
	ds_bpermute_b32 v8, v7, v6
	ds_bpermute_b32 v7, v7, v2
	v_add_u32_e32 v9, 4, v4
	v_cmp_lt_u32_e32 vcc, v9, v5
	;; [unrolled: 19-line block ×4, first 2 shown]
	s_and_saveexec_b64 s[0:1], vcc
	s_cbranch_execz .LBB846_101
; %bb.100:
	s_waitcnt lgkmcnt(1)
	v_add_co_u32_e32 v6, vcc, v1, v8
	v_addc_co_u32_e32 v2, vcc, 0, v2, vcc
	v_add_co_u32_e32 v1, vcc, 0, v6
	s_waitcnt lgkmcnt(0)
	v_addc_co_u32_e32 v2, vcc, v7, v2, vcc
.LBB846_101:
	s_or_b64 exec, exec, s[0:1]
	s_waitcnt lgkmcnt(0)
	v_lshlrev_b32_e32 v7, 2, v3
	v_or_b32_e32 v8, 0x80, v7
	ds_bpermute_b32 v6, v8, v6
	ds_bpermute_b32 v8, v8, v2
	v_add_u32_e32 v4, 32, v4
	s_waitcnt lgkmcnt(1)
	v_add_co_u32_e32 v6, vcc, v1, v6
	v_addc_co_u32_e32 v9, vcc, 0, v2, vcc
	v_add_co_u32_e32 v6, vcc, 0, v6
	s_waitcnt lgkmcnt(0)
	v_addc_co_u32_e32 v8, vcc, v9, v8, vcc
	v_cmp_lt_u32_e32 vcc, v4, v5
	v_cndmask_b32_e32 v2, v2, v8, vcc
	v_cndmask_b32_e32 v1, v1, v6, vcc
	v_cmp_eq_u32_e32 vcc, 0, v3
	s_and_saveexec_b64 s[0:1], vcc
; %bb.102:
	v_lshrrev_b32_e32 v4, 3, v0
	v_and_b32_e32 v4, 24, v4
	ds_write_b64 v4, v[1:2] offset:160
; %bb.103:
	s_or_b64 exec, exec, s[0:1]
	v_cmp_gt_u32_e32 vcc, 4, v0
	s_waitcnt lgkmcnt(0)
	s_barrier
	s_and_saveexec_b64 s[0:1], vcc
	s_cbranch_execz .LBB846_107
; %bb.104:
	v_lshlrev_b32_e32 v1, 3, v3
	ds_read_b64 v[1:2], v1 offset:160
	v_and_b32_e32 v4, 3, v3
	v_cmp_ne_u32_e32 vcc, 3, v4
	v_addc_co_u32_e32 v3, vcc, 0, v3, vcc
	v_lshlrev_b32_e32 v3, 2, v3
	s_waitcnt lgkmcnt(0)
	ds_bpermute_b32 v6, v3, v1
	ds_bpermute_b32 v5, v3, v2
	s_add_i32 s2, s2, 63
	s_lshr_b32 s8, s2, 6
	v_add_u32_e32 v3, 1, v4
	v_cmp_gt_u32_e32 vcc, s8, v3
	v_mov_b32_e32 v3, v1
	s_and_saveexec_b64 s[2:3], vcc
	s_cbranch_execz .LBB846_106
; %bb.105:
	s_waitcnt lgkmcnt(1)
	v_add_co_u32_e32 v3, vcc, v1, v6
	v_addc_co_u32_e32 v2, vcc, 0, v2, vcc
	v_add_co_u32_e32 v1, vcc, 0, v3
	s_waitcnt lgkmcnt(0)
	v_addc_co_u32_e32 v2, vcc, v5, v2, vcc
.LBB846_106:
	s_or_b64 exec, exec, s[2:3]
	s_waitcnt lgkmcnt(0)
	v_or_b32_e32 v5, 8, v7
	ds_bpermute_b32 v3, v5, v3
	ds_bpermute_b32 v5, v5, v2
	v_add_u32_e32 v4, 2, v4
	s_waitcnt lgkmcnt(1)
	v_add_co_u32_e32 v3, vcc, v1, v3
	v_addc_co_u32_e32 v6, vcc, 0, v2, vcc
	v_add_co_u32_e32 v3, vcc, 0, v3
	s_waitcnt lgkmcnt(0)
	v_addc_co_u32_e32 v5, vcc, v6, v5, vcc
	v_cmp_gt_u32_e32 vcc, s8, v4
	v_cndmask_b32_e32 v2, v2, v5, vcc
	v_cndmask_b32_e32 v1, v1, v3, vcc
.LBB846_107:
	s_or_b64 exec, exec, s[0:1]
.LBB846_108:
	v_mov_b32_e32 v3, s6
	v_cmp_eq_u32_e64 s[0:1], 0, v0
	v_mov_b32_e32 v4, s7
.LBB846_109:
	s_branch .LBB846_144
.LBB846_110:
	s_cmp_eq_u32 s30, 4
                                        ; implicit-def: $vgpr1_vgpr2
                                        ; implicit-def: $vgpr3_vgpr4
	s_cbranch_scc0 .LBB846_144
; %bb.111:
	s_mov_b32 s7, 0
	s_lshl_b32 s0, s6, 10
	s_mov_b32 s1, s7
	s_lshr_b64 s[2:3], s[20:21], 10
	s_lshl_b64 s[10:11], s[0:1], 3
	s_add_u32 s8, s24, s10
	s_addc_u32 s9, s25, s11
	s_add_u32 s10, s26, s10
	s_addc_u32 s11, s27, s11
	s_cmp_lg_u64 s[2:3], s[6:7]
	s_cbranch_scc0 .LBB846_117
; %bb.112:
	v_lshlrev_b32_e32 v1, 3, v0
	v_mov_b32_e32 v2, s9
	v_add_co_u32_e32 v3, vcc, s8, v1
	v_addc_co_u32_e32 v2, vcc, 0, v2, vcc
	v_mov_b32_e32 v4, s11
	v_add_co_u32_e32 v5, vcc, s10, v1
	v_addc_co_u32_e32 v4, vcc, 0, v4, vcc
	s_movk_i32 s1, 0x1000
	global_load_dword v6, v1, s[8:9]
	global_load_dword v7, v1, s[10:11]
	global_load_dword v8, v1, s[10:11] offset:2048
	global_load_dword v9, v1, s[8:9] offset:2048
	v_add_co_u32_e32 v1, vcc, s1, v3
	v_addc_co_u32_e32 v2, vcc, 0, v2, vcc
	v_add_co_u32_e32 v3, vcc, s1, v5
	v_addc_co_u32_e32 v4, vcc, 0, v4, vcc
	global_load_dword v10, v[1:2], off
	global_load_dword v5, v[3:4], off
	global_load_dword v11, v[1:2], off offset:2048
	global_load_dword v12, v[3:4], off offset:2048
	s_mov_b32 s1, 0x66666667
	v_mbcnt_lo_u32_b32 v2, -1, 0
	v_mbcnt_hi_u32_b32 v3, -1, v2
	v_mov_b32_e32 v1, 0
	s_waitcnt vmcnt(7)
	v_mul_hi_i32 v2, v6, s1
	s_waitcnt vmcnt(6)
	v_mul_hi_i32 v4, v7, s1
	;; [unrolled: 2-line block ×4, first 2 shown]
	v_mov_b32_dpp v1, v1 quad_perm:[1,0,3,2] row_mask:0xf bank_mask:0xf bound_ctrl:1
	v_lshrrev_b32_e32 v14, 31, v7
	v_lshrrev_b32_e32 v13, 31, v6
	v_ashrrev_i32_e32 v6, 2, v6
	v_ashrrev_i32_e32 v7, 2, v7
	v_add_u32_e32 v6, v6, v13
	s_waitcnt vmcnt(2)
	v_mul_hi_i32 v5, v5, s1
	v_mul_hi_i32 v8, v10, s1
	s_waitcnt vmcnt(1)
	v_mul_hi_i32 v9, v11, s1
	s_waitcnt vmcnt(0)
	v_mul_hi_i32 v10, v12, s1
	v_lshrrev_b32_e32 v11, 31, v2
	v_ashrrev_i32_e32 v2, 2, v2
	v_lshrrev_b32_e32 v12, 31, v4
	v_ashrrev_i32_e32 v4, 2, v4
	v_add_u32_e32 v7, v7, v14
	v_add_u32_e32 v2, v2, v11
	;; [unrolled: 1-line block ×3, first 2 shown]
	v_lshrrev_b32_e32 v11, 31, v8
	v_ashrrev_i32_e32 v8, 2, v8
	v_lshrrev_b32_e32 v13, 31, v9
	v_ashrrev_i32_e32 v9, 2, v9
	;; [unrolled: 2-line block ×3, first 2 shown]
	v_cmp_ne_u32_e32 vcc, v6, v7
	v_lshrrev_b32_e32 v12, 31, v5
	v_ashrrev_i32_e32 v5, 2, v5
	v_cndmask_b32_e64 v6, 0, 1, vcc
	v_cmp_ne_u32_e32 vcc, v2, v4
	v_add_u32_e32 v4, v8, v11
	v_add_u32_e32 v7, v9, v13
	;; [unrolled: 1-line block ×3, first 2 shown]
	v_cndmask_b32_e64 v2, 0, 1, vcc
	v_add_u32_e32 v5, v5, v12
	v_cmp_ne_u32_e32 vcc, v7, v8
	v_cndmask_b32_e64 v7, 0, 1, vcc
	v_cmp_ne_u32_e32 vcc, v4, v5
	v_addc_co_u32_e32 v2, vcc, v6, v2, vcc
	v_add_co_u32_e32 v2, vcc, v2, v7
	v_addc_co_u32_e64 v4, s[2:3], 0, 0, vcc
	s_nop 0
	v_mov_b32_dpp v5, v2 quad_perm:[1,0,3,2] row_mask:0xf bank_mask:0xf bound_ctrl:1
	v_add_co_u32_e32 v2, vcc, v2, v5
	v_addc_co_u32_e32 v4, vcc, 0, v4, vcc
	v_add_co_u32_e32 v5, vcc, 0, v2
	v_addc_co_u32_e32 v1, vcc, v1, v4, vcc
	v_mov_b32_dpp v2, v2 quad_perm:[2,3,0,1] row_mask:0xf bank_mask:0xf bound_ctrl:1
	v_add_co_u32_e32 v2, vcc, v5, v2
	v_mov_b32_dpp v4, v1 quad_perm:[2,3,0,1] row_mask:0xf bank_mask:0xf bound_ctrl:1
	v_addc_co_u32_e32 v1, vcc, 0, v1, vcc
	v_add_co_u32_e32 v5, vcc, 0, v2
	v_addc_co_u32_e32 v1, vcc, v1, v4, vcc
	v_mov_b32_dpp v2, v2 row_ror:4 row_mask:0xf bank_mask:0xf bound_ctrl:1
	v_add_co_u32_e32 v2, vcc, v5, v2
	v_mov_b32_dpp v4, v1 row_ror:4 row_mask:0xf bank_mask:0xf bound_ctrl:1
	v_addc_co_u32_e32 v1, vcc, 0, v1, vcc
	v_add_co_u32_e32 v5, vcc, 0, v2
	v_addc_co_u32_e32 v1, vcc, v1, v4, vcc
	v_mov_b32_dpp v2, v2 row_ror:8 row_mask:0xf bank_mask:0xf bound_ctrl:1
	v_add_co_u32_e32 v2, vcc, v5, v2
	v_mov_b32_dpp v4, v1 row_ror:8 row_mask:0xf bank_mask:0xf bound_ctrl:1
	v_addc_co_u32_e32 v1, vcc, 0, v1, vcc
	v_add_co_u32_e32 v5, vcc, 0, v2
	v_addc_co_u32_e32 v1, vcc, v1, v4, vcc
	v_mov_b32_dpp v2, v2 row_bcast:15 row_mask:0xf bank_mask:0xf bound_ctrl:1
	v_add_co_u32_e32 v2, vcc, v5, v2
	v_mov_b32_dpp v4, v1 row_bcast:15 row_mask:0xf bank_mask:0xf bound_ctrl:1
	v_addc_co_u32_e32 v1, vcc, 0, v1, vcc
	v_add_co_u32_e32 v5, vcc, 0, v2
	v_addc_co_u32_e32 v1, vcc, v1, v4, vcc
	v_mov_b32_dpp v2, v2 row_bcast:31 row_mask:0xf bank_mask:0xf bound_ctrl:1
	v_add_co_u32_e32 v2, vcc, v5, v2
	v_addc_co_u32_e32 v4, vcc, 0, v1, vcc
	v_cmp_eq_u32_e32 vcc, 0, v3
	s_nop 0
	v_add_u32_dpp v5, v1, v4 row_bcast:31 row_mask:0xf bank_mask:0xf bound_ctrl:1
	v_lshlrev_b32_e32 v4, 2, v3
	v_or_b32_e32 v6, 0xfc, v4
	ds_bpermute_b32 v1, v6, v2
	ds_bpermute_b32 v2, v6, v5
	s_and_saveexec_b64 s[2:3], vcc
	s_cbranch_execz .LBB846_114
; %bb.113:
	v_lshrrev_b32_e32 v5, 3, v0
	v_and_b32_e32 v5, 24, v5
	s_waitcnt lgkmcnt(0)
	ds_write_b64 v5, v[1:2] offset:96
.LBB846_114:
	s_or_b64 exec, exec, s[2:3]
	v_cmp_gt_u32_e32 vcc, 64, v0
	s_waitcnt lgkmcnt(0)
	s_barrier
	s_and_saveexec_b64 s[2:3], vcc
	s_cbranch_execz .LBB846_116
; %bb.115:
	v_and_b32_e32 v5, 3, v3
	v_lshlrev_b32_e32 v1, 3, v5
	ds_read_b64 v[1:2], v1 offset:96
	v_cmp_ne_u32_e32 vcc, 3, v5
	v_addc_co_u32_e32 v3, vcc, 0, v3, vcc
	v_lshlrev_b32_e32 v3, 2, v3
	s_waitcnt lgkmcnt(0)
	ds_bpermute_b32 v5, v3, v1
	ds_bpermute_b32 v3, v3, v2
	v_or_b32_e32 v4, 8, v4
	s_waitcnt lgkmcnt(1)
	v_add_co_u32_e32 v1, vcc, v1, v5
	v_addc_co_u32_e32 v2, vcc, 0, v2, vcc
	ds_bpermute_b32 v5, v4, v1
	v_add_co_u32_e32 v1, vcc, 0, v1
	s_waitcnt lgkmcnt(1)
	v_addc_co_u32_e32 v2, vcc, v3, v2, vcc
	ds_bpermute_b32 v3, v4, v2
	s_waitcnt lgkmcnt(1)
	v_add_co_u32_e32 v1, vcc, v1, v5
	v_addc_co_u32_e32 v2, vcc, 0, v2, vcc
	v_add_co_u32_e32 v1, vcc, 0, v1
	s_waitcnt lgkmcnt(0)
	v_addc_co_u32_e32 v2, vcc, v2, v3, vcc
.LBB846_116:
	s_or_b64 exec, exec, s[2:3]
	s_branch .LBB846_143
.LBB846_117:
                                        ; implicit-def: $vgpr1_vgpr2
	s_cbranch_execz .LBB846_143
; %bb.118:
	s_sub_i32 s14, s20, s0
	v_mov_b32_e32 v1, 0
	v_cmp_gt_u32_e32 vcc, s14, v0
	v_mov_b32_e32 v2, v1
	v_mov_b32_e32 v3, v1
	;; [unrolled: 1-line block ×7, first 2 shown]
	s_and_saveexec_b64 s[0:1], vcc
	s_cbranch_execz .LBB846_120
; %bb.119:
	v_lshlrev_b32_e32 v2, 3, v0
	global_load_dword v7, v2, s[8:9]
	global_load_dword v8, v2, s[10:11]
	s_mov_b32 s2, 0x66666667
	v_mov_b32_e32 v3, v1
	v_mov_b32_e32 v4, v1
	;; [unrolled: 1-line block ×4, first 2 shown]
	s_waitcnt vmcnt(1)
	v_mul_hi_i32 v2, v7, s2
	s_waitcnt vmcnt(0)
	v_mul_hi_i32 v9, v8, s2
	v_mov_b32_e32 v7, v1
	v_mov_b32_e32 v8, v1
	v_lshrrev_b32_e32 v10, 31, v2
	v_ashrrev_i32_e32 v2, 2, v2
	v_lshrrev_b32_e32 v11, 31, v9
	v_ashrrev_i32_e32 v9, 2, v9
	v_add_u32_e32 v2, v2, v10
	v_add_u32_e32 v9, v9, v11
	v_cmp_ne_u32_e32 vcc, v2, v9
	v_cndmask_b32_e64 v2, 0, 1, vcc
	v_and_b32_e32 v2, 0xffff, v2
	v_mov_b32_e32 v9, v1
	v_mov_b32_e32 v1, v2
	;; [unrolled: 1-line block ×9, first 2 shown]
.LBB846_120:
	s_or_b64 exec, exec, s[0:1]
	v_or_b32_e32 v9, 0x100, v0
	v_cmp_gt_u32_e32 vcc, s14, v9
	s_and_saveexec_b64 s[2:3], vcc
	s_cbranch_execz .LBB846_122
; %bb.121:
	v_lshlrev_b32_e32 v3, 3, v0
	global_load_dword v4, v3, s[8:9] offset:2048
	global_load_dword v9, v3, s[10:11] offset:2048
	s_mov_b32 s0, 0x66666667
	s_mov_b32 s12, 0
	s_waitcnt vmcnt(1)
	v_mul_hi_i32 v3, v4, s0
	s_waitcnt vmcnt(0)
	v_mul_hi_i32 v4, v9, s0
	v_lshrrev_b32_e32 v9, 31, v3
	v_ashrrev_i32_e32 v3, 2, v3
	v_lshrrev_b32_e32 v10, 31, v4
	v_ashrrev_i32_e32 v4, 2, v4
	v_add_u32_e32 v3, v3, v9
	v_add_u32_e32 v4, v4, v10
	v_cmp_ne_u32_e64 s[0:1], v3, v4
	v_cndmask_b32_e64 v3, 0, 1, s[0:1]
	v_mov_b32_e32 v4, s12
.LBB846_122:
	s_or_b64 exec, exec, s[2:3]
	v_or_b32_e32 v9, 0x200, v0
	v_cmp_gt_u32_e64 s[0:1], s14, v9
	s_and_saveexec_b64 s[12:13], s[0:1]
	s_cbranch_execz .LBB846_124
; %bb.123:
	v_lshlrev_b32_e32 v5, 3, v9
	global_load_dword v6, v5, s[8:9]
	global_load_dword v9, v5, s[10:11]
	s_mov_b32 s2, 0x66666667
	s_mov_b32 s15, 0
	s_waitcnt vmcnt(1)
	v_mul_hi_i32 v5, v6, s2
	s_waitcnt vmcnt(0)
	v_mul_hi_i32 v6, v9, s2
	v_lshrrev_b32_e32 v9, 31, v5
	v_ashrrev_i32_e32 v5, 2, v5
	v_lshrrev_b32_e32 v10, 31, v6
	v_ashrrev_i32_e32 v6, 2, v6
	v_add_u32_e32 v5, v5, v9
	v_add_u32_e32 v6, v6, v10
	v_cmp_ne_u32_e64 s[2:3], v5, v6
	v_cndmask_b32_e64 v5, 0, 1, s[2:3]
	v_mov_b32_e32 v6, s15
.LBB846_124:
	s_or_b64 exec, exec, s[12:13]
	v_or_b32_e32 v9, 0x300, v0
	v_cmp_gt_u32_e64 s[2:3], s14, v9
	s_and_saveexec_b64 s[12:13], s[2:3]
	s_cbranch_execz .LBB846_126
; %bb.125:
	v_lshlrev_b32_e32 v7, 3, v9
	global_load_dword v8, v7, s[8:9]
	global_load_dword v9, v7, s[10:11]
	s_mov_b32 s8, 0x66666667
	s_mov_b32 s10, 0
	s_waitcnt vmcnt(1)
	v_mul_hi_i32 v7, v8, s8
	s_waitcnt vmcnt(0)
	v_mul_hi_i32 v8, v9, s8
	v_lshrrev_b32_e32 v9, 31, v7
	v_ashrrev_i32_e32 v7, 2, v7
	v_lshrrev_b32_e32 v10, 31, v8
	v_ashrrev_i32_e32 v8, 2, v8
	v_add_u32_e32 v7, v7, v9
	v_add_u32_e32 v8, v8, v10
	v_cmp_ne_u32_e64 s[8:9], v7, v8
	v_cndmask_b32_e64 v7, 0, 1, s[8:9]
	v_mov_b32_e32 v8, s10
.LBB846_126:
	s_or_b64 exec, exec, s[12:13]
	v_cndmask_b32_e32 v3, 0, v3, vcc
	v_cndmask_b32_e32 v4, 0, v4, vcc
	v_add_co_u32_e32 v1, vcc, v3, v1
	v_addc_co_u32_e32 v2, vcc, v4, v2, vcc
	v_cndmask_b32_e64 v4, 0, v5, s[0:1]
	v_cndmask_b32_e64 v3, 0, v6, s[0:1]
	v_add_co_u32_e32 v1, vcc, v1, v4
	v_addc_co_u32_e32 v2, vcc, v2, v3, vcc
	v_cndmask_b32_e64 v4, 0, v7, s[2:3]
	v_cndmask_b32_e64 v3, 0, v8, s[2:3]
	v_add_co_u32_e32 v1, vcc, v1, v4
	v_addc_co_u32_e32 v2, vcc, v2, v3, vcc
	v_mbcnt_lo_u32_b32 v3, -1, 0
	v_mbcnt_hi_u32_b32 v3, -1, v3
	v_and_b32_e32 v4, 63, v3
	v_cmp_ne_u32_e32 vcc, 63, v4
	v_addc_co_u32_e32 v6, vcc, 0, v3, vcc
	v_lshlrev_b32_e32 v6, 2, v6
	ds_bpermute_b32 v8, v6, v1
	ds_bpermute_b32 v7, v6, v2
	s_min_u32 s2, s14, 0x100
	v_and_b32_e32 v5, 0xc0, v0
	v_sub_u32_e64 v5, s2, v5 clamp
	v_add_u32_e32 v6, 1, v4
	v_cmp_lt_u32_e32 vcc, v6, v5
	v_mov_b32_e32 v6, v1
	s_and_saveexec_b64 s[0:1], vcc
	s_cbranch_execz .LBB846_128
; %bb.127:
	s_waitcnt lgkmcnt(1)
	v_add_co_u32_e32 v6, vcc, v1, v8
	v_addc_co_u32_e32 v2, vcc, 0, v2, vcc
	v_add_co_u32_e32 v1, vcc, 0, v6
	s_waitcnt lgkmcnt(0)
	v_addc_co_u32_e32 v2, vcc, v7, v2, vcc
.LBB846_128:
	s_or_b64 exec, exec, s[0:1]
	v_cmp_gt_u32_e32 vcc, 62, v4
	s_waitcnt lgkmcnt(0)
	v_cndmask_b32_e64 v7, 0, 2, vcc
	v_add_lshl_u32 v7, v7, v3, 2
	ds_bpermute_b32 v8, v7, v6
	ds_bpermute_b32 v7, v7, v2
	v_add_u32_e32 v9, 2, v4
	v_cmp_lt_u32_e32 vcc, v9, v5
	s_and_saveexec_b64 s[0:1], vcc
	s_cbranch_execz .LBB846_130
; %bb.129:
	s_waitcnt lgkmcnt(1)
	v_add_co_u32_e32 v6, vcc, v1, v8
	v_addc_co_u32_e32 v2, vcc, 0, v2, vcc
	v_add_co_u32_e32 v1, vcc, 0, v6
	s_waitcnt lgkmcnt(0)
	v_addc_co_u32_e32 v2, vcc, v7, v2, vcc
.LBB846_130:
	s_or_b64 exec, exec, s[0:1]
	v_cmp_gt_u32_e32 vcc, 60, v4
	s_waitcnt lgkmcnt(0)
	v_cndmask_b32_e64 v7, 0, 4, vcc
	v_add_lshl_u32 v7, v7, v3, 2
	ds_bpermute_b32 v8, v7, v6
	ds_bpermute_b32 v7, v7, v2
	v_add_u32_e32 v9, 4, v4
	v_cmp_lt_u32_e32 vcc, v9, v5
	;; [unrolled: 19-line block ×4, first 2 shown]
	s_and_saveexec_b64 s[0:1], vcc
	s_cbranch_execz .LBB846_136
; %bb.135:
	s_waitcnt lgkmcnt(1)
	v_add_co_u32_e32 v6, vcc, v1, v8
	v_addc_co_u32_e32 v2, vcc, 0, v2, vcc
	v_add_co_u32_e32 v1, vcc, 0, v6
	s_waitcnt lgkmcnt(0)
	v_addc_co_u32_e32 v2, vcc, v7, v2, vcc
.LBB846_136:
	s_or_b64 exec, exec, s[0:1]
	s_waitcnt lgkmcnt(0)
	v_lshlrev_b32_e32 v7, 2, v3
	v_or_b32_e32 v8, 0x80, v7
	ds_bpermute_b32 v6, v8, v6
	ds_bpermute_b32 v8, v8, v2
	v_add_u32_e32 v4, 32, v4
	s_waitcnt lgkmcnt(1)
	v_add_co_u32_e32 v6, vcc, v1, v6
	v_addc_co_u32_e32 v9, vcc, 0, v2, vcc
	v_add_co_u32_e32 v6, vcc, 0, v6
	s_waitcnt lgkmcnt(0)
	v_addc_co_u32_e32 v8, vcc, v9, v8, vcc
	v_cmp_lt_u32_e32 vcc, v4, v5
	v_cndmask_b32_e32 v2, v2, v8, vcc
	v_cndmask_b32_e32 v1, v1, v6, vcc
	v_cmp_eq_u32_e32 vcc, 0, v3
	s_and_saveexec_b64 s[0:1], vcc
; %bb.137:
	v_lshrrev_b32_e32 v4, 3, v0
	v_and_b32_e32 v4, 24, v4
	ds_write_b64 v4, v[1:2] offset:160
; %bb.138:
	s_or_b64 exec, exec, s[0:1]
	v_cmp_gt_u32_e32 vcc, 4, v0
	s_waitcnt lgkmcnt(0)
	s_barrier
	s_and_saveexec_b64 s[0:1], vcc
	s_cbranch_execz .LBB846_142
; %bb.139:
	v_lshlrev_b32_e32 v1, 3, v3
	ds_read_b64 v[1:2], v1 offset:160
	v_and_b32_e32 v4, 3, v3
	v_cmp_ne_u32_e32 vcc, 3, v4
	v_addc_co_u32_e32 v3, vcc, 0, v3, vcc
	v_lshlrev_b32_e32 v3, 2, v3
	s_waitcnt lgkmcnt(0)
	ds_bpermute_b32 v6, v3, v1
	ds_bpermute_b32 v5, v3, v2
	s_add_i32 s2, s2, 63
	s_lshr_b32 s8, s2, 6
	v_add_u32_e32 v3, 1, v4
	v_cmp_gt_u32_e32 vcc, s8, v3
	v_mov_b32_e32 v3, v1
	s_and_saveexec_b64 s[2:3], vcc
	s_cbranch_execz .LBB846_141
; %bb.140:
	s_waitcnt lgkmcnt(1)
	v_add_co_u32_e32 v3, vcc, v1, v6
	v_addc_co_u32_e32 v2, vcc, 0, v2, vcc
	v_add_co_u32_e32 v1, vcc, 0, v3
	s_waitcnt lgkmcnt(0)
	v_addc_co_u32_e32 v2, vcc, v5, v2, vcc
.LBB846_141:
	s_or_b64 exec, exec, s[2:3]
	s_waitcnt lgkmcnt(0)
	v_or_b32_e32 v5, 8, v7
	ds_bpermute_b32 v3, v5, v3
	ds_bpermute_b32 v5, v5, v2
	v_add_u32_e32 v4, 2, v4
	s_waitcnt lgkmcnt(1)
	v_add_co_u32_e32 v3, vcc, v1, v3
	v_addc_co_u32_e32 v6, vcc, 0, v2, vcc
	v_add_co_u32_e32 v3, vcc, 0, v3
	s_waitcnt lgkmcnt(0)
	v_addc_co_u32_e32 v5, vcc, v6, v5, vcc
	v_cmp_gt_u32_e32 vcc, s8, v4
	v_cndmask_b32_e32 v2, v2, v5, vcc
	v_cndmask_b32_e32 v1, v1, v3, vcc
.LBB846_142:
	s_or_b64 exec, exec, s[0:1]
.LBB846_143:
	v_mov_b32_e32 v3, s6
	v_cmp_eq_u32_e64 s[0:1], 0, v0
	v_mov_b32_e32 v4, s7
.LBB846_144:
	s_branch .LBB846_206
.LBB846_145:
	s_cmp_gt_i32 s30, 1
	s_cbranch_scc0 .LBB846_153
; %bb.146:
	s_cmp_eq_u32 s30, 2
                                        ; implicit-def: $vgpr1_vgpr2
                                        ; implicit-def: $vgpr3_vgpr4
	s_cbranch_scc0 .LBB846_154
; %bb.147:
	s_mov_b32 s7, 0
	s_lshl_b32 s8, s6, 9
	s_mov_b32 s9, s7
	s_lshr_b64 s[10:11], s[20:21], 9
	s_lshl_b64 s[2:3], s[8:9], 3
	s_add_u32 s0, s24, s2
	s_addc_u32 s1, s25, s3
	s_add_u32 s2, s26, s2
	s_addc_u32 s3, s27, s3
	s_cmp_lg_u64 s[10:11], s[6:7]
	s_cbranch_scc0 .LBB846_155
; %bb.148:
	v_lshlrev_b32_e32 v1, 3, v0
	global_load_dword v2, v1, s[0:1]
	global_load_dword v5, v1, s[2:3]
	global_load_dword v6, v1, s[2:3] offset:2048
	global_load_dword v7, v1, s[0:1] offset:2048
	s_mov_b32 s9, 0x66666667
	v_mov_b32_e32 v1, 0
	v_mbcnt_lo_u32_b32 v3, -1, 0
	v_mbcnt_hi_u32_b32 v3, -1, v3
	v_mov_b32_dpp v1, v1 quad_perm:[1,0,3,2] row_mask:0xf bank_mask:0xf bound_ctrl:1
	v_lshlrev_b32_e32 v4, 2, v3
	v_or_b32_e32 v8, 0xfc, v4
	s_waitcnt vmcnt(3)
	v_mul_hi_i32 v2, v2, s9
	s_waitcnt vmcnt(2)
	v_mul_hi_i32 v5, v5, s9
	;; [unrolled: 2-line block ×4, first 2 shown]
	v_lshrrev_b32_e32 v9, 31, v2
	v_ashrrev_i32_e32 v2, 2, v2
	v_lshrrev_b32_e32 v10, 31, v5
	v_ashrrev_i32_e32 v5, 2, v5
	v_lshrrev_b32_e32 v11, 31, v7
	v_ashrrev_i32_e32 v7, 2, v7
	v_lshrrev_b32_e32 v12, 31, v6
	v_ashrrev_i32_e32 v6, 2, v6
	v_add_u32_e32 v2, v2, v9
	v_add_u32_e32 v5, v5, v10
	;; [unrolled: 1-line block ×4, first 2 shown]
	v_cmp_ne_u32_e32 vcc, v2, v5
	v_cndmask_b32_e64 v2, 0, 1, vcc
	v_cmp_ne_u32_e32 vcc, v7, v6
	v_addc_co_u32_e32 v2, vcc, 0, v2, vcc
	s_nop 1
	v_mov_b32_dpp v5, v2 quad_perm:[1,0,3,2] row_mask:0xf bank_mask:0xf bound_ctrl:1
	v_add_co_u32_e32 v2, vcc, v2, v5
	v_addc_co_u32_e64 v5, s[10:11], 0, 0, vcc
	v_add_co_u32_e32 v6, vcc, 0, v2
	v_addc_co_u32_e32 v1, vcc, v1, v5, vcc
	v_mov_b32_dpp v2, v2 quad_perm:[2,3,0,1] row_mask:0xf bank_mask:0xf bound_ctrl:1
	v_add_co_u32_e32 v2, vcc, v6, v2
	v_mov_b32_dpp v5, v1 quad_perm:[2,3,0,1] row_mask:0xf bank_mask:0xf bound_ctrl:1
	v_addc_co_u32_e32 v1, vcc, 0, v1, vcc
	v_add_co_u32_e32 v6, vcc, 0, v2
	v_addc_co_u32_e32 v1, vcc, v1, v5, vcc
	v_mov_b32_dpp v2, v2 row_ror:4 row_mask:0xf bank_mask:0xf bound_ctrl:1
	v_add_co_u32_e32 v2, vcc, v6, v2
	v_mov_b32_dpp v5, v1 row_ror:4 row_mask:0xf bank_mask:0xf bound_ctrl:1
	v_addc_co_u32_e32 v1, vcc, 0, v1, vcc
	v_add_co_u32_e32 v6, vcc, 0, v2
	v_addc_co_u32_e32 v1, vcc, v1, v5, vcc
	v_mov_b32_dpp v2, v2 row_ror:8 row_mask:0xf bank_mask:0xf bound_ctrl:1
	v_add_co_u32_e32 v2, vcc, v6, v2
	v_mov_b32_dpp v5, v1 row_ror:8 row_mask:0xf bank_mask:0xf bound_ctrl:1
	v_addc_co_u32_e32 v1, vcc, 0, v1, vcc
	v_add_co_u32_e32 v6, vcc, 0, v2
	v_addc_co_u32_e32 v1, vcc, v1, v5, vcc
	v_mov_b32_dpp v2, v2 row_bcast:15 row_mask:0xf bank_mask:0xf bound_ctrl:1
	v_add_co_u32_e32 v2, vcc, v6, v2
	v_mov_b32_dpp v5, v1 row_bcast:15 row_mask:0xf bank_mask:0xf bound_ctrl:1
	v_addc_co_u32_e32 v1, vcc, 0, v1, vcc
	v_add_co_u32_e32 v6, vcc, 0, v2
	v_addc_co_u32_e32 v1, vcc, v1, v5, vcc
	v_mov_b32_dpp v2, v2 row_bcast:31 row_mask:0xf bank_mask:0xf bound_ctrl:1
	v_add_co_u32_e32 v2, vcc, v6, v2
	v_addc_co_u32_e32 v5, vcc, 0, v1, vcc
	v_cmp_eq_u32_e32 vcc, 0, v3
	s_nop 0
	v_add_u32_dpp v5, v1, v5 row_bcast:31 row_mask:0xf bank_mask:0xf bound_ctrl:1
	ds_bpermute_b32 v1, v8, v2
	ds_bpermute_b32 v2, v8, v5
	s_and_saveexec_b64 s[10:11], vcc
	s_cbranch_execz .LBB846_150
; %bb.149:
	v_lshrrev_b32_e32 v5, 3, v0
	v_and_b32_e32 v5, 24, v5
	s_waitcnt lgkmcnt(0)
	ds_write_b64 v5, v[1:2] offset:64
.LBB846_150:
	s_or_b64 exec, exec, s[10:11]
	v_cmp_gt_u32_e32 vcc, 64, v0
	s_waitcnt lgkmcnt(0)
	s_barrier
	s_and_saveexec_b64 s[10:11], vcc
	s_cbranch_execz .LBB846_152
; %bb.151:
	v_and_b32_e32 v5, 3, v3
	v_lshlrev_b32_e32 v1, 3, v5
	ds_read_b64 v[1:2], v1 offset:64
	v_cmp_ne_u32_e32 vcc, 3, v5
	v_addc_co_u32_e32 v3, vcc, 0, v3, vcc
	v_lshlrev_b32_e32 v3, 2, v3
	s_waitcnt lgkmcnt(0)
	ds_bpermute_b32 v5, v3, v1
	ds_bpermute_b32 v3, v3, v2
	v_or_b32_e32 v4, 8, v4
	s_waitcnt lgkmcnt(1)
	v_add_co_u32_e32 v1, vcc, v1, v5
	v_addc_co_u32_e32 v2, vcc, 0, v2, vcc
	ds_bpermute_b32 v5, v4, v1
	v_add_co_u32_e32 v1, vcc, 0, v1
	s_waitcnt lgkmcnt(1)
	v_addc_co_u32_e32 v2, vcc, v3, v2, vcc
	ds_bpermute_b32 v3, v4, v2
	s_waitcnt lgkmcnt(1)
	v_add_co_u32_e32 v1, vcc, v1, v5
	v_addc_co_u32_e32 v2, vcc, 0, v2, vcc
	v_add_co_u32_e32 v1, vcc, 0, v1
	s_waitcnt lgkmcnt(0)
	v_addc_co_u32_e32 v2, vcc, v2, v3, vcc
.LBB846_152:
	s_or_b64 exec, exec, s[10:11]
	s_branch .LBB846_177
.LBB846_153:
                                        ; implicit-def: $vgpr1_vgpr2
                                        ; implicit-def: $vgpr3_vgpr4
	s_cbranch_execnz .LBB846_178
	s_branch .LBB846_206
.LBB846_154:
	s_branch .LBB846_206
.LBB846_155:
                                        ; implicit-def: $vgpr1_vgpr2
	s_cbranch_execz .LBB846_177
; %bb.156:
	s_sub_i32 s10, s20, s8
	v_mov_b32_e32 v1, 0
	v_cmp_gt_u32_e32 vcc, s10, v0
	v_mov_b32_e32 v2, v1
	v_mov_b32_e32 v3, v1
	;; [unrolled: 1-line block ×3, first 2 shown]
	s_and_saveexec_b64 s[8:9], vcc
	s_cbranch_execz .LBB846_158
; %bb.157:
	v_lshlrev_b32_e32 v2, 3, v0
	global_load_dword v3, v2, s[0:1]
	global_load_dword v4, v2, s[2:3]
	s_mov_b32 s11, 0x66666667
	s_waitcnt vmcnt(1)
	v_mul_hi_i32 v2, v3, s11
	s_waitcnt vmcnt(0)
	v_mul_hi_i32 v5, v4, s11
	v_mov_b32_e32 v3, v1
	v_mov_b32_e32 v4, v1
	v_lshrrev_b32_e32 v6, 31, v2
	v_ashrrev_i32_e32 v2, 2, v2
	v_lshrrev_b32_e32 v7, 31, v5
	v_ashrrev_i32_e32 v5, 2, v5
	v_add_u32_e32 v2, v2, v6
	v_add_u32_e32 v5, v5, v7
	v_cmp_ne_u32_e32 vcc, v2, v5
	v_cndmask_b32_e64 v2, 0, 1, vcc
	v_and_b32_e32 v2, 0xffff, v2
	v_mov_b32_e32 v5, v1
	v_mov_b32_e32 v1, v2
	;; [unrolled: 1-line block ×5, first 2 shown]
.LBB846_158:
	s_or_b64 exec, exec, s[8:9]
	v_or_b32_e32 v5, 0x100, v0
	v_cmp_gt_u32_e32 vcc, s10, v5
	s_and_saveexec_b64 s[8:9], vcc
	s_cbranch_execz .LBB846_160
; %bb.159:
	v_lshlrev_b32_e32 v3, 3, v0
	global_load_dword v4, v3, s[0:1] offset:2048
	global_load_dword v5, v3, s[2:3] offset:2048
	s_mov_b32 s0, 0x66666667
	s_mov_b32 s2, 0
	s_waitcnt vmcnt(1)
	v_mul_hi_i32 v3, v4, s0
	s_waitcnt vmcnt(0)
	v_mul_hi_i32 v4, v5, s0
	v_lshrrev_b32_e32 v5, 31, v3
	v_ashrrev_i32_e32 v3, 2, v3
	v_lshrrev_b32_e32 v6, 31, v4
	v_ashrrev_i32_e32 v4, 2, v4
	v_add_u32_e32 v3, v3, v5
	v_add_u32_e32 v4, v4, v6
	v_cmp_ne_u32_e64 s[0:1], v3, v4
	v_cndmask_b32_e64 v3, 0, 1, s[0:1]
	v_mov_b32_e32 v4, s2
.LBB846_160:
	s_or_b64 exec, exec, s[8:9]
	v_cndmask_b32_e32 v3, 0, v3, vcc
	v_cndmask_b32_e32 v4, 0, v4, vcc
	v_add_co_u32_e32 v1, vcc, v3, v1
	v_mbcnt_lo_u32_b32 v3, -1, 0
	v_mbcnt_hi_u32_b32 v3, -1, v3
	v_addc_co_u32_e32 v2, vcc, v4, v2, vcc
	v_and_b32_e32 v4, 63, v3
	v_cmp_ne_u32_e32 vcc, 63, v4
	v_addc_co_u32_e32 v6, vcc, 0, v3, vcc
	v_lshlrev_b32_e32 v6, 2, v6
	ds_bpermute_b32 v8, v6, v1
	ds_bpermute_b32 v7, v6, v2
	s_min_u32 s2, s10, 0x100
	v_and_b32_e32 v5, 0xc0, v0
	v_sub_u32_e64 v5, s2, v5 clamp
	v_add_u32_e32 v6, 1, v4
	v_cmp_lt_u32_e32 vcc, v6, v5
	v_mov_b32_e32 v6, v1
	s_and_saveexec_b64 s[0:1], vcc
	s_cbranch_execz .LBB846_162
; %bb.161:
	s_waitcnt lgkmcnt(1)
	v_add_co_u32_e32 v6, vcc, v1, v8
	v_addc_co_u32_e32 v2, vcc, 0, v2, vcc
	v_add_co_u32_e32 v1, vcc, 0, v6
	s_waitcnt lgkmcnt(0)
	v_addc_co_u32_e32 v2, vcc, v7, v2, vcc
.LBB846_162:
	s_or_b64 exec, exec, s[0:1]
	v_cmp_gt_u32_e32 vcc, 62, v4
	s_waitcnt lgkmcnt(0)
	v_cndmask_b32_e64 v7, 0, 2, vcc
	v_add_lshl_u32 v7, v7, v3, 2
	ds_bpermute_b32 v8, v7, v6
	ds_bpermute_b32 v7, v7, v2
	v_add_u32_e32 v9, 2, v4
	v_cmp_lt_u32_e32 vcc, v9, v5
	s_and_saveexec_b64 s[0:1], vcc
	s_cbranch_execz .LBB846_164
; %bb.163:
	s_waitcnt lgkmcnt(1)
	v_add_co_u32_e32 v6, vcc, v1, v8
	v_addc_co_u32_e32 v2, vcc, 0, v2, vcc
	v_add_co_u32_e32 v1, vcc, 0, v6
	s_waitcnt lgkmcnt(0)
	v_addc_co_u32_e32 v2, vcc, v7, v2, vcc
.LBB846_164:
	s_or_b64 exec, exec, s[0:1]
	v_cmp_gt_u32_e32 vcc, 60, v4
	s_waitcnt lgkmcnt(0)
	v_cndmask_b32_e64 v7, 0, 4, vcc
	v_add_lshl_u32 v7, v7, v3, 2
	ds_bpermute_b32 v8, v7, v6
	ds_bpermute_b32 v7, v7, v2
	v_add_u32_e32 v9, 4, v4
	v_cmp_lt_u32_e32 vcc, v9, v5
	;; [unrolled: 19-line block ×4, first 2 shown]
	s_and_saveexec_b64 s[0:1], vcc
	s_cbranch_execz .LBB846_170
; %bb.169:
	s_waitcnt lgkmcnt(1)
	v_add_co_u32_e32 v6, vcc, v1, v8
	v_addc_co_u32_e32 v2, vcc, 0, v2, vcc
	v_add_co_u32_e32 v1, vcc, 0, v6
	s_waitcnt lgkmcnt(0)
	v_addc_co_u32_e32 v2, vcc, v7, v2, vcc
.LBB846_170:
	s_or_b64 exec, exec, s[0:1]
	s_waitcnt lgkmcnt(0)
	v_lshlrev_b32_e32 v7, 2, v3
	v_or_b32_e32 v8, 0x80, v7
	ds_bpermute_b32 v6, v8, v6
	ds_bpermute_b32 v8, v8, v2
	v_add_u32_e32 v4, 32, v4
	s_waitcnt lgkmcnt(1)
	v_add_co_u32_e32 v6, vcc, v1, v6
	v_addc_co_u32_e32 v9, vcc, 0, v2, vcc
	v_add_co_u32_e32 v6, vcc, 0, v6
	s_waitcnt lgkmcnt(0)
	v_addc_co_u32_e32 v8, vcc, v9, v8, vcc
	v_cmp_lt_u32_e32 vcc, v4, v5
	v_cndmask_b32_e32 v2, v2, v8, vcc
	v_cndmask_b32_e32 v1, v1, v6, vcc
	v_cmp_eq_u32_e32 vcc, 0, v3
	s_and_saveexec_b64 s[0:1], vcc
; %bb.171:
	v_lshrrev_b32_e32 v4, 3, v0
	v_and_b32_e32 v4, 24, v4
	ds_write_b64 v4, v[1:2] offset:160
; %bb.172:
	s_or_b64 exec, exec, s[0:1]
	v_cmp_gt_u32_e32 vcc, 4, v0
	s_waitcnt lgkmcnt(0)
	s_barrier
	s_and_saveexec_b64 s[0:1], vcc
	s_cbranch_execz .LBB846_176
; %bb.173:
	v_lshlrev_b32_e32 v1, 3, v3
	ds_read_b64 v[1:2], v1 offset:160
	v_and_b32_e32 v4, 3, v3
	v_cmp_ne_u32_e32 vcc, 3, v4
	v_addc_co_u32_e32 v3, vcc, 0, v3, vcc
	v_lshlrev_b32_e32 v3, 2, v3
	s_waitcnt lgkmcnt(0)
	ds_bpermute_b32 v6, v3, v1
	ds_bpermute_b32 v5, v3, v2
	s_add_i32 s2, s2, 63
	s_lshr_b32 s8, s2, 6
	v_add_u32_e32 v3, 1, v4
	v_cmp_gt_u32_e32 vcc, s8, v3
	v_mov_b32_e32 v3, v1
	s_and_saveexec_b64 s[2:3], vcc
	s_cbranch_execz .LBB846_175
; %bb.174:
	s_waitcnt lgkmcnt(1)
	v_add_co_u32_e32 v3, vcc, v1, v6
	v_addc_co_u32_e32 v2, vcc, 0, v2, vcc
	v_add_co_u32_e32 v1, vcc, 0, v3
	s_waitcnt lgkmcnt(0)
	v_addc_co_u32_e32 v2, vcc, v5, v2, vcc
.LBB846_175:
	s_or_b64 exec, exec, s[2:3]
	s_waitcnt lgkmcnt(0)
	v_or_b32_e32 v5, 8, v7
	ds_bpermute_b32 v3, v5, v3
	ds_bpermute_b32 v5, v5, v2
	v_add_u32_e32 v4, 2, v4
	s_waitcnt lgkmcnt(1)
	v_add_co_u32_e32 v3, vcc, v1, v3
	v_addc_co_u32_e32 v6, vcc, 0, v2, vcc
	v_add_co_u32_e32 v3, vcc, 0, v3
	s_waitcnt lgkmcnt(0)
	v_addc_co_u32_e32 v5, vcc, v6, v5, vcc
	v_cmp_gt_u32_e32 vcc, s8, v4
	v_cndmask_b32_e32 v2, v2, v5, vcc
	v_cndmask_b32_e32 v1, v1, v3, vcc
.LBB846_176:
	s_or_b64 exec, exec, s[0:1]
.LBB846_177:
	v_mov_b32_e32 v3, s6
	v_cmp_eq_u32_e64 s[0:1], 0, v0
	v_mov_b32_e32 v4, s7
	s_branch .LBB846_206
.LBB846_178:
	s_cmp_eq_u32 s30, 1
                                        ; implicit-def: $vgpr1_vgpr2
                                        ; implicit-def: $vgpr3_vgpr4
	s_cbranch_scc0 .LBB846_206
; %bb.179:
	s_mov_b32 s1, 0
	s_lshl_b32 s0, s6, 8
	s_mov_b32 s7, s1
	s_lshr_b64 s[2:3], s[20:21], 8
	s_cmp_lg_u64 s[2:3], s[6:7]
	v_mbcnt_lo_u32_b32 v3, -1, 0
	s_cbranch_scc0 .LBB846_185
; %bb.180:
	s_lshl_b64 s[2:3], s[0:1], 3
	s_add_u32 s8, s24, s2
	s_addc_u32 s9, s25, s3
	v_lshlrev_b32_e32 v1, 3, v0
	s_add_u32 s2, s26, s2
	global_load_dword v2, v1, s[8:9]
	s_addc_u32 s3, s27, s3
	global_load_dword v1, v1, s[2:3]
	s_mov_b32 s2, 0x66666667
	v_mov_b32_e32 v5, 0
	v_mbcnt_hi_u32_b32 v4, -1, v3
	s_waitcnt vmcnt(1)
	v_mul_hi_i32 v2, v2, s2
	v_mov_b32_dpp v6, v5 quad_perm:[1,0,3,2] row_mask:0xf bank_mask:0xf bound_ctrl:1
	s_waitcnt vmcnt(0)
	v_mul_hi_i32 v1, v1, s2
	v_lshlrev_b32_e32 v5, 2, v4
	v_lshrrev_b32_e32 v8, 31, v2
	v_ashrrev_i32_e32 v2, 2, v2
	v_add_u32_e32 v2, v2, v8
	v_lshrrev_b32_e32 v8, 31, v1
	v_ashrrev_i32_e32 v1, 2, v1
	v_add_u32_e32 v1, v1, v8
	v_cmp_ne_u32_e32 vcc, v2, v1
	v_cndmask_b32_e64 v1, 0, 1, vcc
	v_or_b32_e32 v7, 0xfc, v5
	s_nop 0
	v_mov_b32_dpp v2, v1 quad_perm:[1,0,3,2] row_mask:0xf bank_mask:0xf bound_ctrl:1
	v_add_co_u32_e32 v1, vcc, v1, v2
	v_addc_co_u32_e64 v2, s[2:3], 0, 0, vcc
	v_add_co_u32_e32 v8, vcc, 0, v1
	v_addc_co_u32_e32 v2, vcc, v6, v2, vcc
	v_mov_b32_dpp v1, v1 quad_perm:[2,3,0,1] row_mask:0xf bank_mask:0xf bound_ctrl:1
	v_add_co_u32_e32 v1, vcc, v8, v1
	v_mov_b32_dpp v6, v2 quad_perm:[2,3,0,1] row_mask:0xf bank_mask:0xf bound_ctrl:1
	v_addc_co_u32_e32 v2, vcc, 0, v2, vcc
	v_add_co_u32_e32 v8, vcc, 0, v1
	v_addc_co_u32_e32 v2, vcc, v2, v6, vcc
	v_mov_b32_dpp v1, v1 row_ror:4 row_mask:0xf bank_mask:0xf bound_ctrl:1
	v_add_co_u32_e32 v1, vcc, v8, v1
	v_mov_b32_dpp v6, v2 row_ror:4 row_mask:0xf bank_mask:0xf bound_ctrl:1
	v_addc_co_u32_e32 v2, vcc, 0, v2, vcc
	v_add_co_u32_e32 v8, vcc, 0, v1
	v_addc_co_u32_e32 v2, vcc, v2, v6, vcc
	v_mov_b32_dpp v1, v1 row_ror:8 row_mask:0xf bank_mask:0xf bound_ctrl:1
	v_add_co_u32_e32 v1, vcc, v8, v1
	v_mov_b32_dpp v6, v2 row_ror:8 row_mask:0xf bank_mask:0xf bound_ctrl:1
	v_addc_co_u32_e32 v2, vcc, 0, v2, vcc
	v_add_co_u32_e32 v8, vcc, 0, v1
	v_addc_co_u32_e32 v2, vcc, v2, v6, vcc
	v_mov_b32_dpp v1, v1 row_bcast:15 row_mask:0xf bank_mask:0xf bound_ctrl:1
	v_add_co_u32_e32 v1, vcc, v8, v1
	v_mov_b32_dpp v6, v2 row_bcast:15 row_mask:0xf bank_mask:0xf bound_ctrl:1
	v_addc_co_u32_e32 v2, vcc, 0, v2, vcc
	v_add_co_u32_e32 v8, vcc, 0, v1
	v_addc_co_u32_e32 v2, vcc, v2, v6, vcc
	v_mov_b32_dpp v1, v1 row_bcast:31 row_mask:0xf bank_mask:0xf bound_ctrl:1
	v_add_co_u32_e32 v1, vcc, v8, v1
	v_addc_co_u32_e32 v6, vcc, 0, v2, vcc
	ds_bpermute_b32 v1, v7, v1
	s_nop 0
	v_add_u32_dpp v2, v2, v6 row_bcast:31 row_mask:0xf bank_mask:0xf bound_ctrl:1
	ds_bpermute_b32 v2, v7, v2
	v_cmp_eq_u32_e32 vcc, 0, v4
	s_and_saveexec_b64 s[2:3], vcc
	s_cbranch_execz .LBB846_182
; %bb.181:
	v_lshrrev_b32_e32 v6, 3, v0
	v_and_b32_e32 v6, 24, v6
	s_waitcnt lgkmcnt(0)
	ds_write_b64 v6, v[1:2] offset:32
.LBB846_182:
	s_or_b64 exec, exec, s[2:3]
	v_cmp_gt_u32_e32 vcc, 64, v0
	s_waitcnt lgkmcnt(0)
	s_barrier
	s_and_saveexec_b64 s[2:3], vcc
	s_cbranch_execz .LBB846_184
; %bb.183:
	v_and_b32_e32 v6, 3, v4
	v_lshlrev_b32_e32 v1, 3, v6
	ds_read_b64 v[1:2], v1 offset:32
	v_cmp_ne_u32_e32 vcc, 3, v6
	v_addc_co_u32_e32 v4, vcc, 0, v4, vcc
	v_lshlrev_b32_e32 v4, 2, v4
	s_waitcnt lgkmcnt(0)
	ds_bpermute_b32 v6, v4, v1
	ds_bpermute_b32 v4, v4, v2
	v_or_b32_e32 v5, 8, v5
	s_waitcnt lgkmcnt(1)
	v_add_co_u32_e32 v1, vcc, v1, v6
	v_addc_co_u32_e32 v2, vcc, 0, v2, vcc
	ds_bpermute_b32 v6, v5, v1
	v_add_co_u32_e32 v1, vcc, 0, v1
	s_waitcnt lgkmcnt(1)
	v_addc_co_u32_e32 v2, vcc, v4, v2, vcc
	ds_bpermute_b32 v4, v5, v2
	s_waitcnt lgkmcnt(1)
	v_add_co_u32_e32 v1, vcc, v1, v6
	v_addc_co_u32_e32 v2, vcc, 0, v2, vcc
	v_add_co_u32_e32 v1, vcc, 0, v1
	s_waitcnt lgkmcnt(0)
	v_addc_co_u32_e32 v2, vcc, v2, v4, vcc
.LBB846_184:
	s_or_b64 exec, exec, s[2:3]
	s_branch .LBB846_205
.LBB846_185:
                                        ; implicit-def: $vgpr1_vgpr2
	s_cbranch_execz .LBB846_205
; %bb.186:
	s_sub_i32 s8, s20, s0
	v_cmp_gt_u32_e32 vcc, s8, v0
                                        ; implicit-def: $vgpr1_vgpr2
	s_and_saveexec_b64 s[2:3], vcc
	s_cbranch_execz .LBB846_188
; %bb.187:
	s_lshl_b64 s[0:1], s[0:1], 3
	s_add_u32 s10, s26, s0
	s_addc_u32 s11, s27, s1
	s_add_u32 s0, s24, s0
	s_addc_u32 s1, s25, s1
	v_lshlrev_b32_e32 v1, 3, v0
	global_load_dword v2, v1, s[0:1]
	global_load_dword v4, v1, s[10:11]
	s_mov_b32 s0, 0x66666667
	s_waitcnt vmcnt(1)
	v_mul_hi_i32 v1, v2, s0
	s_waitcnt vmcnt(0)
	v_mul_hi_i32 v2, v4, s0
	s_mov_b32 s0, 0
	v_lshrrev_b32_e32 v4, 31, v1
	v_ashrrev_i32_e32 v1, 2, v1
	v_lshrrev_b32_e32 v5, 31, v2
	v_ashrrev_i32_e32 v2, 2, v2
	v_add_u32_e32 v1, v1, v4
	v_add_u32_e32 v2, v2, v5
	v_cmp_ne_u32_e32 vcc, v1, v2
	v_cndmask_b32_e64 v1, 0, 1, vcc
	v_mov_b32_e32 v2, s0
.LBB846_188:
	s_or_b64 exec, exec, s[2:3]
	v_mbcnt_hi_u32_b32 v3, -1, v3
	v_and_b32_e32 v4, 63, v3
	v_cmp_ne_u32_e32 vcc, 63, v4
	v_addc_co_u32_e32 v6, vcc, 0, v3, vcc
	v_lshlrev_b32_e32 v6, 2, v6
	ds_bpermute_b32 v8, v6, v1
	ds_bpermute_b32 v7, v6, v2
	s_min_u32 s2, s8, 0x100
	v_and_b32_e32 v5, 0xc0, v0
	v_sub_u32_e64 v5, s2, v5 clamp
	v_add_u32_e32 v6, 1, v4
	v_cmp_lt_u32_e32 vcc, v6, v5
	v_mov_b32_e32 v6, v1
	s_and_saveexec_b64 s[0:1], vcc
	s_cbranch_execz .LBB846_190
; %bb.189:
	s_waitcnt lgkmcnt(1)
	v_add_co_u32_e32 v6, vcc, v1, v8
	v_addc_co_u32_e32 v2, vcc, 0, v2, vcc
	v_add_co_u32_e32 v1, vcc, 0, v6
	s_waitcnt lgkmcnt(0)
	v_addc_co_u32_e32 v2, vcc, v7, v2, vcc
.LBB846_190:
	s_or_b64 exec, exec, s[0:1]
	v_cmp_gt_u32_e32 vcc, 62, v4
	s_waitcnt lgkmcnt(0)
	v_cndmask_b32_e64 v7, 0, 2, vcc
	v_add_lshl_u32 v7, v7, v3, 2
	ds_bpermute_b32 v8, v7, v6
	ds_bpermute_b32 v7, v7, v2
	v_add_u32_e32 v9, 2, v4
	v_cmp_lt_u32_e32 vcc, v9, v5
	s_and_saveexec_b64 s[0:1], vcc
	s_cbranch_execz .LBB846_192
; %bb.191:
	s_waitcnt lgkmcnt(1)
	v_add_co_u32_e32 v6, vcc, v1, v8
	v_addc_co_u32_e32 v2, vcc, 0, v2, vcc
	v_add_co_u32_e32 v1, vcc, 0, v6
	s_waitcnt lgkmcnt(0)
	v_addc_co_u32_e32 v2, vcc, v7, v2, vcc
.LBB846_192:
	s_or_b64 exec, exec, s[0:1]
	v_cmp_gt_u32_e32 vcc, 60, v4
	s_waitcnt lgkmcnt(0)
	v_cndmask_b32_e64 v7, 0, 4, vcc
	v_add_lshl_u32 v7, v7, v3, 2
	ds_bpermute_b32 v8, v7, v6
	ds_bpermute_b32 v7, v7, v2
	v_add_u32_e32 v9, 4, v4
	v_cmp_lt_u32_e32 vcc, v9, v5
	;; [unrolled: 19-line block ×4, first 2 shown]
	s_and_saveexec_b64 s[0:1], vcc
	s_cbranch_execz .LBB846_198
; %bb.197:
	s_waitcnt lgkmcnt(1)
	v_add_co_u32_e32 v6, vcc, v1, v8
	v_addc_co_u32_e32 v2, vcc, 0, v2, vcc
	v_add_co_u32_e32 v1, vcc, 0, v6
	s_waitcnt lgkmcnt(0)
	v_addc_co_u32_e32 v2, vcc, v7, v2, vcc
.LBB846_198:
	s_or_b64 exec, exec, s[0:1]
	s_waitcnt lgkmcnt(0)
	v_lshlrev_b32_e32 v7, 2, v3
	v_or_b32_e32 v8, 0x80, v7
	ds_bpermute_b32 v6, v8, v6
	ds_bpermute_b32 v8, v8, v2
	v_add_u32_e32 v4, 32, v4
	s_waitcnt lgkmcnt(1)
	v_add_co_u32_e32 v6, vcc, v1, v6
	v_addc_co_u32_e32 v9, vcc, 0, v2, vcc
	v_add_co_u32_e32 v6, vcc, 0, v6
	s_waitcnt lgkmcnt(0)
	v_addc_co_u32_e32 v8, vcc, v9, v8, vcc
	v_cmp_lt_u32_e32 vcc, v4, v5
	v_cndmask_b32_e32 v2, v2, v8, vcc
	v_cndmask_b32_e32 v1, v1, v6, vcc
	v_cmp_eq_u32_e32 vcc, 0, v3
	s_and_saveexec_b64 s[0:1], vcc
; %bb.199:
	v_lshrrev_b32_e32 v4, 3, v0
	v_and_b32_e32 v4, 24, v4
	ds_write_b64 v4, v[1:2] offset:160
; %bb.200:
	s_or_b64 exec, exec, s[0:1]
	v_cmp_gt_u32_e32 vcc, 4, v0
	s_waitcnt lgkmcnt(0)
	s_barrier
	s_and_saveexec_b64 s[0:1], vcc
	s_cbranch_execz .LBB846_204
; %bb.201:
	v_lshlrev_b32_e32 v1, 3, v3
	ds_read_b64 v[1:2], v1 offset:160
	v_and_b32_e32 v4, 3, v3
	v_cmp_ne_u32_e32 vcc, 3, v4
	v_addc_co_u32_e32 v3, vcc, 0, v3, vcc
	v_lshlrev_b32_e32 v3, 2, v3
	s_waitcnt lgkmcnt(0)
	ds_bpermute_b32 v6, v3, v1
	ds_bpermute_b32 v5, v3, v2
	s_add_i32 s2, s2, 63
	s_lshr_b32 s8, s2, 6
	v_add_u32_e32 v3, 1, v4
	v_cmp_gt_u32_e32 vcc, s8, v3
	v_mov_b32_e32 v3, v1
	s_and_saveexec_b64 s[2:3], vcc
	s_cbranch_execz .LBB846_203
; %bb.202:
	s_waitcnt lgkmcnt(1)
	v_add_co_u32_e32 v3, vcc, v1, v6
	v_addc_co_u32_e32 v2, vcc, 0, v2, vcc
	v_add_co_u32_e32 v1, vcc, 0, v3
	s_waitcnt lgkmcnt(0)
	v_addc_co_u32_e32 v2, vcc, v5, v2, vcc
.LBB846_203:
	s_or_b64 exec, exec, s[2:3]
	s_waitcnt lgkmcnt(0)
	v_or_b32_e32 v5, 8, v7
	ds_bpermute_b32 v3, v5, v3
	ds_bpermute_b32 v5, v5, v2
	v_add_u32_e32 v4, 2, v4
	s_waitcnt lgkmcnt(1)
	v_add_co_u32_e32 v3, vcc, v1, v3
	v_addc_co_u32_e32 v6, vcc, 0, v2, vcc
	v_add_co_u32_e32 v3, vcc, 0, v3
	s_waitcnt lgkmcnt(0)
	v_addc_co_u32_e32 v5, vcc, v6, v5, vcc
	v_cmp_gt_u32_e32 vcc, s8, v4
	v_cndmask_b32_e32 v2, v2, v5, vcc
	v_cndmask_b32_e32 v1, v1, v3, vcc
.LBB846_204:
	s_or_b64 exec, exec, s[0:1]
.LBB846_205:
	v_mov_b32_e32 v3, s6
	v_cmp_eq_u32_e64 s[0:1], 0, v0
	v_mov_b32_e32 v4, s7
.LBB846_206:
	s_and_saveexec_b64 s[2:3], s[0:1]
	s_cbranch_execz .LBB846_208
; %bb.207:
	v_lshlrev_b64 v[3:4], 3, v[3:4]
	s_load_dwordx2 s[0:1], s[4:5], 0x30
	v_mov_b32_e32 v0, s23
	v_add_co_u32_e32 v3, vcc, s22, v3
	v_addc_co_u32_e32 v4, vcc, v0, v4, vcc
	s_cmp_lg_u64 s[20:21], 0
	s_cselect_b64 vcc, -1, 0
	v_cndmask_b32_e32 v0, 0, v1, vcc
	v_cndmask_b32_e32 v2, 0, v2, vcc
	s_waitcnt lgkmcnt(0)
	v_mov_b32_e32 v1, s1
	v_add_co_u32_e32 v0, vcc, s0, v0
	v_addc_co_u32_e32 v1, vcc, v2, v1, vcc
	global_store_dwordx2 v[3:4], v[0:1], off
.LBB846_208:
	s_endpgm
	.section	.rodata,"a",@progbits
	.p2align	6, 0x0
	.amdhsa_kernel _ZN7rocprim17ROCPRIM_400000_NS6detail17trampoline_kernelINS0_14default_configENS1_22reduce_config_selectorIlEEZNS1_11reduce_implILb1ES3_N6thrust23THRUST_200600_302600_NS11hip_rocprim26transform_input_iterator_tIlNS8_12zip_iteratorINS8_5tupleINS8_6detail15normal_iteratorINS8_10device_ptrIyEEEESH_NS8_9null_typeESI_SI_SI_SI_SI_SI_SI_EEEENS9_21zip_adj_not_predicateI22is_equal_div_10_uniqueIyEEEEEPllNS8_4plusIlEEEE10hipError_tPvRmT1_T2_T3_mT4_P12ihipStream_tbEUlT_E1_NS1_11comp_targetILNS1_3genE2ELNS1_11target_archE906ELNS1_3gpuE6ELNS1_3repE0EEENS1_30default_config_static_selectorELNS0_4arch9wavefront6targetE1EEEvSW_
		.amdhsa_group_segment_fixed_size 192
		.amdhsa_private_segment_fixed_size 0
		.amdhsa_kernarg_size 64
		.amdhsa_user_sgpr_count 6
		.amdhsa_user_sgpr_private_segment_buffer 1
		.amdhsa_user_sgpr_dispatch_ptr 0
		.amdhsa_user_sgpr_queue_ptr 0
		.amdhsa_user_sgpr_kernarg_segment_ptr 1
		.amdhsa_user_sgpr_dispatch_id 0
		.amdhsa_user_sgpr_flat_scratch_init 0
		.amdhsa_user_sgpr_private_segment_size 0
		.amdhsa_uses_dynamic_stack 0
		.amdhsa_system_sgpr_private_segment_wavefront_offset 0
		.amdhsa_system_sgpr_workgroup_id_x 1
		.amdhsa_system_sgpr_workgroup_id_y 0
		.amdhsa_system_sgpr_workgroup_id_z 0
		.amdhsa_system_sgpr_workgroup_info 0
		.amdhsa_system_vgpr_workitem_id 0
		.amdhsa_next_free_vgpr 35
		.amdhsa_next_free_sgpr 34
		.amdhsa_reserve_vcc 1
		.amdhsa_reserve_flat_scratch 0
		.amdhsa_float_round_mode_32 0
		.amdhsa_float_round_mode_16_64 0
		.amdhsa_float_denorm_mode_32 3
		.amdhsa_float_denorm_mode_16_64 3
		.amdhsa_dx10_clamp 1
		.amdhsa_ieee_mode 1
		.amdhsa_fp16_overflow 0
		.amdhsa_exception_fp_ieee_invalid_op 0
		.amdhsa_exception_fp_denorm_src 0
		.amdhsa_exception_fp_ieee_div_zero 0
		.amdhsa_exception_fp_ieee_overflow 0
		.amdhsa_exception_fp_ieee_underflow 0
		.amdhsa_exception_fp_ieee_inexact 0
		.amdhsa_exception_int_div_zero 0
	.end_amdhsa_kernel
	.section	.text._ZN7rocprim17ROCPRIM_400000_NS6detail17trampoline_kernelINS0_14default_configENS1_22reduce_config_selectorIlEEZNS1_11reduce_implILb1ES3_N6thrust23THRUST_200600_302600_NS11hip_rocprim26transform_input_iterator_tIlNS8_12zip_iteratorINS8_5tupleINS8_6detail15normal_iteratorINS8_10device_ptrIyEEEESH_NS8_9null_typeESI_SI_SI_SI_SI_SI_SI_EEEENS9_21zip_adj_not_predicateI22is_equal_div_10_uniqueIyEEEEEPllNS8_4plusIlEEEE10hipError_tPvRmT1_T2_T3_mT4_P12ihipStream_tbEUlT_E1_NS1_11comp_targetILNS1_3genE2ELNS1_11target_archE906ELNS1_3gpuE6ELNS1_3repE0EEENS1_30default_config_static_selectorELNS0_4arch9wavefront6targetE1EEEvSW_,"axG",@progbits,_ZN7rocprim17ROCPRIM_400000_NS6detail17trampoline_kernelINS0_14default_configENS1_22reduce_config_selectorIlEEZNS1_11reduce_implILb1ES3_N6thrust23THRUST_200600_302600_NS11hip_rocprim26transform_input_iterator_tIlNS8_12zip_iteratorINS8_5tupleINS8_6detail15normal_iteratorINS8_10device_ptrIyEEEESH_NS8_9null_typeESI_SI_SI_SI_SI_SI_SI_EEEENS9_21zip_adj_not_predicateI22is_equal_div_10_uniqueIyEEEEEPllNS8_4plusIlEEEE10hipError_tPvRmT1_T2_T3_mT4_P12ihipStream_tbEUlT_E1_NS1_11comp_targetILNS1_3genE2ELNS1_11target_archE906ELNS1_3gpuE6ELNS1_3repE0EEENS1_30default_config_static_selectorELNS0_4arch9wavefront6targetE1EEEvSW_,comdat
.Lfunc_end846:
	.size	_ZN7rocprim17ROCPRIM_400000_NS6detail17trampoline_kernelINS0_14default_configENS1_22reduce_config_selectorIlEEZNS1_11reduce_implILb1ES3_N6thrust23THRUST_200600_302600_NS11hip_rocprim26transform_input_iterator_tIlNS8_12zip_iteratorINS8_5tupleINS8_6detail15normal_iteratorINS8_10device_ptrIyEEEESH_NS8_9null_typeESI_SI_SI_SI_SI_SI_SI_EEEENS9_21zip_adj_not_predicateI22is_equal_div_10_uniqueIyEEEEEPllNS8_4plusIlEEEE10hipError_tPvRmT1_T2_T3_mT4_P12ihipStream_tbEUlT_E1_NS1_11comp_targetILNS1_3genE2ELNS1_11target_archE906ELNS1_3gpuE6ELNS1_3repE0EEENS1_30default_config_static_selectorELNS0_4arch9wavefront6targetE1EEEvSW_, .Lfunc_end846-_ZN7rocprim17ROCPRIM_400000_NS6detail17trampoline_kernelINS0_14default_configENS1_22reduce_config_selectorIlEEZNS1_11reduce_implILb1ES3_N6thrust23THRUST_200600_302600_NS11hip_rocprim26transform_input_iterator_tIlNS8_12zip_iteratorINS8_5tupleINS8_6detail15normal_iteratorINS8_10device_ptrIyEEEESH_NS8_9null_typeESI_SI_SI_SI_SI_SI_SI_EEEENS9_21zip_adj_not_predicateI22is_equal_div_10_uniqueIyEEEEEPllNS8_4plusIlEEEE10hipError_tPvRmT1_T2_T3_mT4_P12ihipStream_tbEUlT_E1_NS1_11comp_targetILNS1_3genE2ELNS1_11target_archE906ELNS1_3gpuE6ELNS1_3repE0EEENS1_30default_config_static_selectorELNS0_4arch9wavefront6targetE1EEEvSW_
                                        ; -- End function
	.set _ZN7rocprim17ROCPRIM_400000_NS6detail17trampoline_kernelINS0_14default_configENS1_22reduce_config_selectorIlEEZNS1_11reduce_implILb1ES3_N6thrust23THRUST_200600_302600_NS11hip_rocprim26transform_input_iterator_tIlNS8_12zip_iteratorINS8_5tupleINS8_6detail15normal_iteratorINS8_10device_ptrIyEEEESH_NS8_9null_typeESI_SI_SI_SI_SI_SI_SI_EEEENS9_21zip_adj_not_predicateI22is_equal_div_10_uniqueIyEEEEEPllNS8_4plusIlEEEE10hipError_tPvRmT1_T2_T3_mT4_P12ihipStream_tbEUlT_E1_NS1_11comp_targetILNS1_3genE2ELNS1_11target_archE906ELNS1_3gpuE6ELNS1_3repE0EEENS1_30default_config_static_selectorELNS0_4arch9wavefront6targetE1EEEvSW_.num_vgpr, 35
	.set _ZN7rocprim17ROCPRIM_400000_NS6detail17trampoline_kernelINS0_14default_configENS1_22reduce_config_selectorIlEEZNS1_11reduce_implILb1ES3_N6thrust23THRUST_200600_302600_NS11hip_rocprim26transform_input_iterator_tIlNS8_12zip_iteratorINS8_5tupleINS8_6detail15normal_iteratorINS8_10device_ptrIyEEEESH_NS8_9null_typeESI_SI_SI_SI_SI_SI_SI_EEEENS9_21zip_adj_not_predicateI22is_equal_div_10_uniqueIyEEEEEPllNS8_4plusIlEEEE10hipError_tPvRmT1_T2_T3_mT4_P12ihipStream_tbEUlT_E1_NS1_11comp_targetILNS1_3genE2ELNS1_11target_archE906ELNS1_3gpuE6ELNS1_3repE0EEENS1_30default_config_static_selectorELNS0_4arch9wavefront6targetE1EEEvSW_.num_agpr, 0
	.set _ZN7rocprim17ROCPRIM_400000_NS6detail17trampoline_kernelINS0_14default_configENS1_22reduce_config_selectorIlEEZNS1_11reduce_implILb1ES3_N6thrust23THRUST_200600_302600_NS11hip_rocprim26transform_input_iterator_tIlNS8_12zip_iteratorINS8_5tupleINS8_6detail15normal_iteratorINS8_10device_ptrIyEEEESH_NS8_9null_typeESI_SI_SI_SI_SI_SI_SI_EEEENS9_21zip_adj_not_predicateI22is_equal_div_10_uniqueIyEEEEEPllNS8_4plusIlEEEE10hipError_tPvRmT1_T2_T3_mT4_P12ihipStream_tbEUlT_E1_NS1_11comp_targetILNS1_3genE2ELNS1_11target_archE906ELNS1_3gpuE6ELNS1_3repE0EEENS1_30default_config_static_selectorELNS0_4arch9wavefront6targetE1EEEvSW_.numbered_sgpr, 34
	.set _ZN7rocprim17ROCPRIM_400000_NS6detail17trampoline_kernelINS0_14default_configENS1_22reduce_config_selectorIlEEZNS1_11reduce_implILb1ES3_N6thrust23THRUST_200600_302600_NS11hip_rocprim26transform_input_iterator_tIlNS8_12zip_iteratorINS8_5tupleINS8_6detail15normal_iteratorINS8_10device_ptrIyEEEESH_NS8_9null_typeESI_SI_SI_SI_SI_SI_SI_EEEENS9_21zip_adj_not_predicateI22is_equal_div_10_uniqueIyEEEEEPllNS8_4plusIlEEEE10hipError_tPvRmT1_T2_T3_mT4_P12ihipStream_tbEUlT_E1_NS1_11comp_targetILNS1_3genE2ELNS1_11target_archE906ELNS1_3gpuE6ELNS1_3repE0EEENS1_30default_config_static_selectorELNS0_4arch9wavefront6targetE1EEEvSW_.num_named_barrier, 0
	.set _ZN7rocprim17ROCPRIM_400000_NS6detail17trampoline_kernelINS0_14default_configENS1_22reduce_config_selectorIlEEZNS1_11reduce_implILb1ES3_N6thrust23THRUST_200600_302600_NS11hip_rocprim26transform_input_iterator_tIlNS8_12zip_iteratorINS8_5tupleINS8_6detail15normal_iteratorINS8_10device_ptrIyEEEESH_NS8_9null_typeESI_SI_SI_SI_SI_SI_SI_EEEENS9_21zip_adj_not_predicateI22is_equal_div_10_uniqueIyEEEEEPllNS8_4plusIlEEEE10hipError_tPvRmT1_T2_T3_mT4_P12ihipStream_tbEUlT_E1_NS1_11comp_targetILNS1_3genE2ELNS1_11target_archE906ELNS1_3gpuE6ELNS1_3repE0EEENS1_30default_config_static_selectorELNS0_4arch9wavefront6targetE1EEEvSW_.private_seg_size, 0
	.set _ZN7rocprim17ROCPRIM_400000_NS6detail17trampoline_kernelINS0_14default_configENS1_22reduce_config_selectorIlEEZNS1_11reduce_implILb1ES3_N6thrust23THRUST_200600_302600_NS11hip_rocprim26transform_input_iterator_tIlNS8_12zip_iteratorINS8_5tupleINS8_6detail15normal_iteratorINS8_10device_ptrIyEEEESH_NS8_9null_typeESI_SI_SI_SI_SI_SI_SI_EEEENS9_21zip_adj_not_predicateI22is_equal_div_10_uniqueIyEEEEEPllNS8_4plusIlEEEE10hipError_tPvRmT1_T2_T3_mT4_P12ihipStream_tbEUlT_E1_NS1_11comp_targetILNS1_3genE2ELNS1_11target_archE906ELNS1_3gpuE6ELNS1_3repE0EEENS1_30default_config_static_selectorELNS0_4arch9wavefront6targetE1EEEvSW_.uses_vcc, 1
	.set _ZN7rocprim17ROCPRIM_400000_NS6detail17trampoline_kernelINS0_14default_configENS1_22reduce_config_selectorIlEEZNS1_11reduce_implILb1ES3_N6thrust23THRUST_200600_302600_NS11hip_rocprim26transform_input_iterator_tIlNS8_12zip_iteratorINS8_5tupleINS8_6detail15normal_iteratorINS8_10device_ptrIyEEEESH_NS8_9null_typeESI_SI_SI_SI_SI_SI_SI_EEEENS9_21zip_adj_not_predicateI22is_equal_div_10_uniqueIyEEEEEPllNS8_4plusIlEEEE10hipError_tPvRmT1_T2_T3_mT4_P12ihipStream_tbEUlT_E1_NS1_11comp_targetILNS1_3genE2ELNS1_11target_archE906ELNS1_3gpuE6ELNS1_3repE0EEENS1_30default_config_static_selectorELNS0_4arch9wavefront6targetE1EEEvSW_.uses_flat_scratch, 0
	.set _ZN7rocprim17ROCPRIM_400000_NS6detail17trampoline_kernelINS0_14default_configENS1_22reduce_config_selectorIlEEZNS1_11reduce_implILb1ES3_N6thrust23THRUST_200600_302600_NS11hip_rocprim26transform_input_iterator_tIlNS8_12zip_iteratorINS8_5tupleINS8_6detail15normal_iteratorINS8_10device_ptrIyEEEESH_NS8_9null_typeESI_SI_SI_SI_SI_SI_SI_EEEENS9_21zip_adj_not_predicateI22is_equal_div_10_uniqueIyEEEEEPllNS8_4plusIlEEEE10hipError_tPvRmT1_T2_T3_mT4_P12ihipStream_tbEUlT_E1_NS1_11comp_targetILNS1_3genE2ELNS1_11target_archE906ELNS1_3gpuE6ELNS1_3repE0EEENS1_30default_config_static_selectorELNS0_4arch9wavefront6targetE1EEEvSW_.has_dyn_sized_stack, 0
	.set _ZN7rocprim17ROCPRIM_400000_NS6detail17trampoline_kernelINS0_14default_configENS1_22reduce_config_selectorIlEEZNS1_11reduce_implILb1ES3_N6thrust23THRUST_200600_302600_NS11hip_rocprim26transform_input_iterator_tIlNS8_12zip_iteratorINS8_5tupleINS8_6detail15normal_iteratorINS8_10device_ptrIyEEEESH_NS8_9null_typeESI_SI_SI_SI_SI_SI_SI_EEEENS9_21zip_adj_not_predicateI22is_equal_div_10_uniqueIyEEEEEPllNS8_4plusIlEEEE10hipError_tPvRmT1_T2_T3_mT4_P12ihipStream_tbEUlT_E1_NS1_11comp_targetILNS1_3genE2ELNS1_11target_archE906ELNS1_3gpuE6ELNS1_3repE0EEENS1_30default_config_static_selectorELNS0_4arch9wavefront6targetE1EEEvSW_.has_recursion, 0
	.set _ZN7rocprim17ROCPRIM_400000_NS6detail17trampoline_kernelINS0_14default_configENS1_22reduce_config_selectorIlEEZNS1_11reduce_implILb1ES3_N6thrust23THRUST_200600_302600_NS11hip_rocprim26transform_input_iterator_tIlNS8_12zip_iteratorINS8_5tupleINS8_6detail15normal_iteratorINS8_10device_ptrIyEEEESH_NS8_9null_typeESI_SI_SI_SI_SI_SI_SI_EEEENS9_21zip_adj_not_predicateI22is_equal_div_10_uniqueIyEEEEEPllNS8_4plusIlEEEE10hipError_tPvRmT1_T2_T3_mT4_P12ihipStream_tbEUlT_E1_NS1_11comp_targetILNS1_3genE2ELNS1_11target_archE906ELNS1_3gpuE6ELNS1_3repE0EEENS1_30default_config_static_selectorELNS0_4arch9wavefront6targetE1EEEvSW_.has_indirect_call, 0
	.section	.AMDGPU.csdata,"",@progbits
; Kernel info:
; codeLenInByte = 13880
; TotalNumSgprs: 38
; NumVgprs: 35
; ScratchSize: 0
; MemoryBound: 0
; FloatMode: 240
; IeeeMode: 1
; LDSByteSize: 192 bytes/workgroup (compile time only)
; SGPRBlocks: 4
; VGPRBlocks: 8
; NumSGPRsForWavesPerEU: 38
; NumVGPRsForWavesPerEU: 35
; Occupancy: 7
; WaveLimiterHint : 0
; COMPUTE_PGM_RSRC2:SCRATCH_EN: 0
; COMPUTE_PGM_RSRC2:USER_SGPR: 6
; COMPUTE_PGM_RSRC2:TRAP_HANDLER: 0
; COMPUTE_PGM_RSRC2:TGID_X_EN: 1
; COMPUTE_PGM_RSRC2:TGID_Y_EN: 0
; COMPUTE_PGM_RSRC2:TGID_Z_EN: 0
; COMPUTE_PGM_RSRC2:TIDIG_COMP_CNT: 0
	.section	.text._ZN7rocprim17ROCPRIM_400000_NS6detail17trampoline_kernelINS0_14default_configENS1_22reduce_config_selectorIlEEZNS1_11reduce_implILb1ES3_N6thrust23THRUST_200600_302600_NS11hip_rocprim26transform_input_iterator_tIlNS8_12zip_iteratorINS8_5tupleINS8_6detail15normal_iteratorINS8_10device_ptrIyEEEESH_NS8_9null_typeESI_SI_SI_SI_SI_SI_SI_EEEENS9_21zip_adj_not_predicateI22is_equal_div_10_uniqueIyEEEEEPllNS8_4plusIlEEEE10hipError_tPvRmT1_T2_T3_mT4_P12ihipStream_tbEUlT_E1_NS1_11comp_targetILNS1_3genE10ELNS1_11target_archE1201ELNS1_3gpuE5ELNS1_3repE0EEENS1_30default_config_static_selectorELNS0_4arch9wavefront6targetE1EEEvSW_,"axG",@progbits,_ZN7rocprim17ROCPRIM_400000_NS6detail17trampoline_kernelINS0_14default_configENS1_22reduce_config_selectorIlEEZNS1_11reduce_implILb1ES3_N6thrust23THRUST_200600_302600_NS11hip_rocprim26transform_input_iterator_tIlNS8_12zip_iteratorINS8_5tupleINS8_6detail15normal_iteratorINS8_10device_ptrIyEEEESH_NS8_9null_typeESI_SI_SI_SI_SI_SI_SI_EEEENS9_21zip_adj_not_predicateI22is_equal_div_10_uniqueIyEEEEEPllNS8_4plusIlEEEE10hipError_tPvRmT1_T2_T3_mT4_P12ihipStream_tbEUlT_E1_NS1_11comp_targetILNS1_3genE10ELNS1_11target_archE1201ELNS1_3gpuE5ELNS1_3repE0EEENS1_30default_config_static_selectorELNS0_4arch9wavefront6targetE1EEEvSW_,comdat
	.protected	_ZN7rocprim17ROCPRIM_400000_NS6detail17trampoline_kernelINS0_14default_configENS1_22reduce_config_selectorIlEEZNS1_11reduce_implILb1ES3_N6thrust23THRUST_200600_302600_NS11hip_rocprim26transform_input_iterator_tIlNS8_12zip_iteratorINS8_5tupleINS8_6detail15normal_iteratorINS8_10device_ptrIyEEEESH_NS8_9null_typeESI_SI_SI_SI_SI_SI_SI_EEEENS9_21zip_adj_not_predicateI22is_equal_div_10_uniqueIyEEEEEPllNS8_4plusIlEEEE10hipError_tPvRmT1_T2_T3_mT4_P12ihipStream_tbEUlT_E1_NS1_11comp_targetILNS1_3genE10ELNS1_11target_archE1201ELNS1_3gpuE5ELNS1_3repE0EEENS1_30default_config_static_selectorELNS0_4arch9wavefront6targetE1EEEvSW_ ; -- Begin function _ZN7rocprim17ROCPRIM_400000_NS6detail17trampoline_kernelINS0_14default_configENS1_22reduce_config_selectorIlEEZNS1_11reduce_implILb1ES3_N6thrust23THRUST_200600_302600_NS11hip_rocprim26transform_input_iterator_tIlNS8_12zip_iteratorINS8_5tupleINS8_6detail15normal_iteratorINS8_10device_ptrIyEEEESH_NS8_9null_typeESI_SI_SI_SI_SI_SI_SI_EEEENS9_21zip_adj_not_predicateI22is_equal_div_10_uniqueIyEEEEEPllNS8_4plusIlEEEE10hipError_tPvRmT1_T2_T3_mT4_P12ihipStream_tbEUlT_E1_NS1_11comp_targetILNS1_3genE10ELNS1_11target_archE1201ELNS1_3gpuE5ELNS1_3repE0EEENS1_30default_config_static_selectorELNS0_4arch9wavefront6targetE1EEEvSW_
	.globl	_ZN7rocprim17ROCPRIM_400000_NS6detail17trampoline_kernelINS0_14default_configENS1_22reduce_config_selectorIlEEZNS1_11reduce_implILb1ES3_N6thrust23THRUST_200600_302600_NS11hip_rocprim26transform_input_iterator_tIlNS8_12zip_iteratorINS8_5tupleINS8_6detail15normal_iteratorINS8_10device_ptrIyEEEESH_NS8_9null_typeESI_SI_SI_SI_SI_SI_SI_EEEENS9_21zip_adj_not_predicateI22is_equal_div_10_uniqueIyEEEEEPllNS8_4plusIlEEEE10hipError_tPvRmT1_T2_T3_mT4_P12ihipStream_tbEUlT_E1_NS1_11comp_targetILNS1_3genE10ELNS1_11target_archE1201ELNS1_3gpuE5ELNS1_3repE0EEENS1_30default_config_static_selectorELNS0_4arch9wavefront6targetE1EEEvSW_
	.p2align	8
	.type	_ZN7rocprim17ROCPRIM_400000_NS6detail17trampoline_kernelINS0_14default_configENS1_22reduce_config_selectorIlEEZNS1_11reduce_implILb1ES3_N6thrust23THRUST_200600_302600_NS11hip_rocprim26transform_input_iterator_tIlNS8_12zip_iteratorINS8_5tupleINS8_6detail15normal_iteratorINS8_10device_ptrIyEEEESH_NS8_9null_typeESI_SI_SI_SI_SI_SI_SI_EEEENS9_21zip_adj_not_predicateI22is_equal_div_10_uniqueIyEEEEEPllNS8_4plusIlEEEE10hipError_tPvRmT1_T2_T3_mT4_P12ihipStream_tbEUlT_E1_NS1_11comp_targetILNS1_3genE10ELNS1_11target_archE1201ELNS1_3gpuE5ELNS1_3repE0EEENS1_30default_config_static_selectorELNS0_4arch9wavefront6targetE1EEEvSW_,@function
_ZN7rocprim17ROCPRIM_400000_NS6detail17trampoline_kernelINS0_14default_configENS1_22reduce_config_selectorIlEEZNS1_11reduce_implILb1ES3_N6thrust23THRUST_200600_302600_NS11hip_rocprim26transform_input_iterator_tIlNS8_12zip_iteratorINS8_5tupleINS8_6detail15normal_iteratorINS8_10device_ptrIyEEEESH_NS8_9null_typeESI_SI_SI_SI_SI_SI_SI_EEEENS9_21zip_adj_not_predicateI22is_equal_div_10_uniqueIyEEEEEPllNS8_4plusIlEEEE10hipError_tPvRmT1_T2_T3_mT4_P12ihipStream_tbEUlT_E1_NS1_11comp_targetILNS1_3genE10ELNS1_11target_archE1201ELNS1_3gpuE5ELNS1_3repE0EEENS1_30default_config_static_selectorELNS0_4arch9wavefront6targetE1EEEvSW_: ; @_ZN7rocprim17ROCPRIM_400000_NS6detail17trampoline_kernelINS0_14default_configENS1_22reduce_config_selectorIlEEZNS1_11reduce_implILb1ES3_N6thrust23THRUST_200600_302600_NS11hip_rocprim26transform_input_iterator_tIlNS8_12zip_iteratorINS8_5tupleINS8_6detail15normal_iteratorINS8_10device_ptrIyEEEESH_NS8_9null_typeESI_SI_SI_SI_SI_SI_SI_EEEENS9_21zip_adj_not_predicateI22is_equal_div_10_uniqueIyEEEEEPllNS8_4plusIlEEEE10hipError_tPvRmT1_T2_T3_mT4_P12ihipStream_tbEUlT_E1_NS1_11comp_targetILNS1_3genE10ELNS1_11target_archE1201ELNS1_3gpuE5ELNS1_3repE0EEENS1_30default_config_static_selectorELNS0_4arch9wavefront6targetE1EEEvSW_
; %bb.0:
	.section	.rodata,"a",@progbits
	.p2align	6, 0x0
	.amdhsa_kernel _ZN7rocprim17ROCPRIM_400000_NS6detail17trampoline_kernelINS0_14default_configENS1_22reduce_config_selectorIlEEZNS1_11reduce_implILb1ES3_N6thrust23THRUST_200600_302600_NS11hip_rocprim26transform_input_iterator_tIlNS8_12zip_iteratorINS8_5tupleINS8_6detail15normal_iteratorINS8_10device_ptrIyEEEESH_NS8_9null_typeESI_SI_SI_SI_SI_SI_SI_EEEENS9_21zip_adj_not_predicateI22is_equal_div_10_uniqueIyEEEEEPllNS8_4plusIlEEEE10hipError_tPvRmT1_T2_T3_mT4_P12ihipStream_tbEUlT_E1_NS1_11comp_targetILNS1_3genE10ELNS1_11target_archE1201ELNS1_3gpuE5ELNS1_3repE0EEENS1_30default_config_static_selectorELNS0_4arch9wavefront6targetE1EEEvSW_
		.amdhsa_group_segment_fixed_size 0
		.amdhsa_private_segment_fixed_size 0
		.amdhsa_kernarg_size 64
		.amdhsa_user_sgpr_count 6
		.amdhsa_user_sgpr_private_segment_buffer 1
		.amdhsa_user_sgpr_dispatch_ptr 0
		.amdhsa_user_sgpr_queue_ptr 0
		.amdhsa_user_sgpr_kernarg_segment_ptr 1
		.amdhsa_user_sgpr_dispatch_id 0
		.amdhsa_user_sgpr_flat_scratch_init 0
		.amdhsa_user_sgpr_private_segment_size 0
		.amdhsa_uses_dynamic_stack 0
		.amdhsa_system_sgpr_private_segment_wavefront_offset 0
		.amdhsa_system_sgpr_workgroup_id_x 1
		.amdhsa_system_sgpr_workgroup_id_y 0
		.amdhsa_system_sgpr_workgroup_id_z 0
		.amdhsa_system_sgpr_workgroup_info 0
		.amdhsa_system_vgpr_workitem_id 0
		.amdhsa_next_free_vgpr 1
		.amdhsa_next_free_sgpr 0
		.amdhsa_reserve_vcc 0
		.amdhsa_reserve_flat_scratch 0
		.amdhsa_float_round_mode_32 0
		.amdhsa_float_round_mode_16_64 0
		.amdhsa_float_denorm_mode_32 3
		.amdhsa_float_denorm_mode_16_64 3
		.amdhsa_dx10_clamp 1
		.amdhsa_ieee_mode 1
		.amdhsa_fp16_overflow 0
		.amdhsa_exception_fp_ieee_invalid_op 0
		.amdhsa_exception_fp_denorm_src 0
		.amdhsa_exception_fp_ieee_div_zero 0
		.amdhsa_exception_fp_ieee_overflow 0
		.amdhsa_exception_fp_ieee_underflow 0
		.amdhsa_exception_fp_ieee_inexact 0
		.amdhsa_exception_int_div_zero 0
	.end_amdhsa_kernel
	.section	.text._ZN7rocprim17ROCPRIM_400000_NS6detail17trampoline_kernelINS0_14default_configENS1_22reduce_config_selectorIlEEZNS1_11reduce_implILb1ES3_N6thrust23THRUST_200600_302600_NS11hip_rocprim26transform_input_iterator_tIlNS8_12zip_iteratorINS8_5tupleINS8_6detail15normal_iteratorINS8_10device_ptrIyEEEESH_NS8_9null_typeESI_SI_SI_SI_SI_SI_SI_EEEENS9_21zip_adj_not_predicateI22is_equal_div_10_uniqueIyEEEEEPllNS8_4plusIlEEEE10hipError_tPvRmT1_T2_T3_mT4_P12ihipStream_tbEUlT_E1_NS1_11comp_targetILNS1_3genE10ELNS1_11target_archE1201ELNS1_3gpuE5ELNS1_3repE0EEENS1_30default_config_static_selectorELNS0_4arch9wavefront6targetE1EEEvSW_,"axG",@progbits,_ZN7rocprim17ROCPRIM_400000_NS6detail17trampoline_kernelINS0_14default_configENS1_22reduce_config_selectorIlEEZNS1_11reduce_implILb1ES3_N6thrust23THRUST_200600_302600_NS11hip_rocprim26transform_input_iterator_tIlNS8_12zip_iteratorINS8_5tupleINS8_6detail15normal_iteratorINS8_10device_ptrIyEEEESH_NS8_9null_typeESI_SI_SI_SI_SI_SI_SI_EEEENS9_21zip_adj_not_predicateI22is_equal_div_10_uniqueIyEEEEEPllNS8_4plusIlEEEE10hipError_tPvRmT1_T2_T3_mT4_P12ihipStream_tbEUlT_E1_NS1_11comp_targetILNS1_3genE10ELNS1_11target_archE1201ELNS1_3gpuE5ELNS1_3repE0EEENS1_30default_config_static_selectorELNS0_4arch9wavefront6targetE1EEEvSW_,comdat
.Lfunc_end847:
	.size	_ZN7rocprim17ROCPRIM_400000_NS6detail17trampoline_kernelINS0_14default_configENS1_22reduce_config_selectorIlEEZNS1_11reduce_implILb1ES3_N6thrust23THRUST_200600_302600_NS11hip_rocprim26transform_input_iterator_tIlNS8_12zip_iteratorINS8_5tupleINS8_6detail15normal_iteratorINS8_10device_ptrIyEEEESH_NS8_9null_typeESI_SI_SI_SI_SI_SI_SI_EEEENS9_21zip_adj_not_predicateI22is_equal_div_10_uniqueIyEEEEEPllNS8_4plusIlEEEE10hipError_tPvRmT1_T2_T3_mT4_P12ihipStream_tbEUlT_E1_NS1_11comp_targetILNS1_3genE10ELNS1_11target_archE1201ELNS1_3gpuE5ELNS1_3repE0EEENS1_30default_config_static_selectorELNS0_4arch9wavefront6targetE1EEEvSW_, .Lfunc_end847-_ZN7rocprim17ROCPRIM_400000_NS6detail17trampoline_kernelINS0_14default_configENS1_22reduce_config_selectorIlEEZNS1_11reduce_implILb1ES3_N6thrust23THRUST_200600_302600_NS11hip_rocprim26transform_input_iterator_tIlNS8_12zip_iteratorINS8_5tupleINS8_6detail15normal_iteratorINS8_10device_ptrIyEEEESH_NS8_9null_typeESI_SI_SI_SI_SI_SI_SI_EEEENS9_21zip_adj_not_predicateI22is_equal_div_10_uniqueIyEEEEEPllNS8_4plusIlEEEE10hipError_tPvRmT1_T2_T3_mT4_P12ihipStream_tbEUlT_E1_NS1_11comp_targetILNS1_3genE10ELNS1_11target_archE1201ELNS1_3gpuE5ELNS1_3repE0EEENS1_30default_config_static_selectorELNS0_4arch9wavefront6targetE1EEEvSW_
                                        ; -- End function
	.set _ZN7rocprim17ROCPRIM_400000_NS6detail17trampoline_kernelINS0_14default_configENS1_22reduce_config_selectorIlEEZNS1_11reduce_implILb1ES3_N6thrust23THRUST_200600_302600_NS11hip_rocprim26transform_input_iterator_tIlNS8_12zip_iteratorINS8_5tupleINS8_6detail15normal_iteratorINS8_10device_ptrIyEEEESH_NS8_9null_typeESI_SI_SI_SI_SI_SI_SI_EEEENS9_21zip_adj_not_predicateI22is_equal_div_10_uniqueIyEEEEEPllNS8_4plusIlEEEE10hipError_tPvRmT1_T2_T3_mT4_P12ihipStream_tbEUlT_E1_NS1_11comp_targetILNS1_3genE10ELNS1_11target_archE1201ELNS1_3gpuE5ELNS1_3repE0EEENS1_30default_config_static_selectorELNS0_4arch9wavefront6targetE1EEEvSW_.num_vgpr, 0
	.set _ZN7rocprim17ROCPRIM_400000_NS6detail17trampoline_kernelINS0_14default_configENS1_22reduce_config_selectorIlEEZNS1_11reduce_implILb1ES3_N6thrust23THRUST_200600_302600_NS11hip_rocprim26transform_input_iterator_tIlNS8_12zip_iteratorINS8_5tupleINS8_6detail15normal_iteratorINS8_10device_ptrIyEEEESH_NS8_9null_typeESI_SI_SI_SI_SI_SI_SI_EEEENS9_21zip_adj_not_predicateI22is_equal_div_10_uniqueIyEEEEEPllNS8_4plusIlEEEE10hipError_tPvRmT1_T2_T3_mT4_P12ihipStream_tbEUlT_E1_NS1_11comp_targetILNS1_3genE10ELNS1_11target_archE1201ELNS1_3gpuE5ELNS1_3repE0EEENS1_30default_config_static_selectorELNS0_4arch9wavefront6targetE1EEEvSW_.num_agpr, 0
	.set _ZN7rocprim17ROCPRIM_400000_NS6detail17trampoline_kernelINS0_14default_configENS1_22reduce_config_selectorIlEEZNS1_11reduce_implILb1ES3_N6thrust23THRUST_200600_302600_NS11hip_rocprim26transform_input_iterator_tIlNS8_12zip_iteratorINS8_5tupleINS8_6detail15normal_iteratorINS8_10device_ptrIyEEEESH_NS8_9null_typeESI_SI_SI_SI_SI_SI_SI_EEEENS9_21zip_adj_not_predicateI22is_equal_div_10_uniqueIyEEEEEPllNS8_4plusIlEEEE10hipError_tPvRmT1_T2_T3_mT4_P12ihipStream_tbEUlT_E1_NS1_11comp_targetILNS1_3genE10ELNS1_11target_archE1201ELNS1_3gpuE5ELNS1_3repE0EEENS1_30default_config_static_selectorELNS0_4arch9wavefront6targetE1EEEvSW_.numbered_sgpr, 0
	.set _ZN7rocprim17ROCPRIM_400000_NS6detail17trampoline_kernelINS0_14default_configENS1_22reduce_config_selectorIlEEZNS1_11reduce_implILb1ES3_N6thrust23THRUST_200600_302600_NS11hip_rocprim26transform_input_iterator_tIlNS8_12zip_iteratorINS8_5tupleINS8_6detail15normal_iteratorINS8_10device_ptrIyEEEESH_NS8_9null_typeESI_SI_SI_SI_SI_SI_SI_EEEENS9_21zip_adj_not_predicateI22is_equal_div_10_uniqueIyEEEEEPllNS8_4plusIlEEEE10hipError_tPvRmT1_T2_T3_mT4_P12ihipStream_tbEUlT_E1_NS1_11comp_targetILNS1_3genE10ELNS1_11target_archE1201ELNS1_3gpuE5ELNS1_3repE0EEENS1_30default_config_static_selectorELNS0_4arch9wavefront6targetE1EEEvSW_.num_named_barrier, 0
	.set _ZN7rocprim17ROCPRIM_400000_NS6detail17trampoline_kernelINS0_14default_configENS1_22reduce_config_selectorIlEEZNS1_11reduce_implILb1ES3_N6thrust23THRUST_200600_302600_NS11hip_rocprim26transform_input_iterator_tIlNS8_12zip_iteratorINS8_5tupleINS8_6detail15normal_iteratorINS8_10device_ptrIyEEEESH_NS8_9null_typeESI_SI_SI_SI_SI_SI_SI_EEEENS9_21zip_adj_not_predicateI22is_equal_div_10_uniqueIyEEEEEPllNS8_4plusIlEEEE10hipError_tPvRmT1_T2_T3_mT4_P12ihipStream_tbEUlT_E1_NS1_11comp_targetILNS1_3genE10ELNS1_11target_archE1201ELNS1_3gpuE5ELNS1_3repE0EEENS1_30default_config_static_selectorELNS0_4arch9wavefront6targetE1EEEvSW_.private_seg_size, 0
	.set _ZN7rocprim17ROCPRIM_400000_NS6detail17trampoline_kernelINS0_14default_configENS1_22reduce_config_selectorIlEEZNS1_11reduce_implILb1ES3_N6thrust23THRUST_200600_302600_NS11hip_rocprim26transform_input_iterator_tIlNS8_12zip_iteratorINS8_5tupleINS8_6detail15normal_iteratorINS8_10device_ptrIyEEEESH_NS8_9null_typeESI_SI_SI_SI_SI_SI_SI_EEEENS9_21zip_adj_not_predicateI22is_equal_div_10_uniqueIyEEEEEPllNS8_4plusIlEEEE10hipError_tPvRmT1_T2_T3_mT4_P12ihipStream_tbEUlT_E1_NS1_11comp_targetILNS1_3genE10ELNS1_11target_archE1201ELNS1_3gpuE5ELNS1_3repE0EEENS1_30default_config_static_selectorELNS0_4arch9wavefront6targetE1EEEvSW_.uses_vcc, 0
	.set _ZN7rocprim17ROCPRIM_400000_NS6detail17trampoline_kernelINS0_14default_configENS1_22reduce_config_selectorIlEEZNS1_11reduce_implILb1ES3_N6thrust23THRUST_200600_302600_NS11hip_rocprim26transform_input_iterator_tIlNS8_12zip_iteratorINS8_5tupleINS8_6detail15normal_iteratorINS8_10device_ptrIyEEEESH_NS8_9null_typeESI_SI_SI_SI_SI_SI_SI_EEEENS9_21zip_adj_not_predicateI22is_equal_div_10_uniqueIyEEEEEPllNS8_4plusIlEEEE10hipError_tPvRmT1_T2_T3_mT4_P12ihipStream_tbEUlT_E1_NS1_11comp_targetILNS1_3genE10ELNS1_11target_archE1201ELNS1_3gpuE5ELNS1_3repE0EEENS1_30default_config_static_selectorELNS0_4arch9wavefront6targetE1EEEvSW_.uses_flat_scratch, 0
	.set _ZN7rocprim17ROCPRIM_400000_NS6detail17trampoline_kernelINS0_14default_configENS1_22reduce_config_selectorIlEEZNS1_11reduce_implILb1ES3_N6thrust23THRUST_200600_302600_NS11hip_rocprim26transform_input_iterator_tIlNS8_12zip_iteratorINS8_5tupleINS8_6detail15normal_iteratorINS8_10device_ptrIyEEEESH_NS8_9null_typeESI_SI_SI_SI_SI_SI_SI_EEEENS9_21zip_adj_not_predicateI22is_equal_div_10_uniqueIyEEEEEPllNS8_4plusIlEEEE10hipError_tPvRmT1_T2_T3_mT4_P12ihipStream_tbEUlT_E1_NS1_11comp_targetILNS1_3genE10ELNS1_11target_archE1201ELNS1_3gpuE5ELNS1_3repE0EEENS1_30default_config_static_selectorELNS0_4arch9wavefront6targetE1EEEvSW_.has_dyn_sized_stack, 0
	.set _ZN7rocprim17ROCPRIM_400000_NS6detail17trampoline_kernelINS0_14default_configENS1_22reduce_config_selectorIlEEZNS1_11reduce_implILb1ES3_N6thrust23THRUST_200600_302600_NS11hip_rocprim26transform_input_iterator_tIlNS8_12zip_iteratorINS8_5tupleINS8_6detail15normal_iteratorINS8_10device_ptrIyEEEESH_NS8_9null_typeESI_SI_SI_SI_SI_SI_SI_EEEENS9_21zip_adj_not_predicateI22is_equal_div_10_uniqueIyEEEEEPllNS8_4plusIlEEEE10hipError_tPvRmT1_T2_T3_mT4_P12ihipStream_tbEUlT_E1_NS1_11comp_targetILNS1_3genE10ELNS1_11target_archE1201ELNS1_3gpuE5ELNS1_3repE0EEENS1_30default_config_static_selectorELNS0_4arch9wavefront6targetE1EEEvSW_.has_recursion, 0
	.set _ZN7rocprim17ROCPRIM_400000_NS6detail17trampoline_kernelINS0_14default_configENS1_22reduce_config_selectorIlEEZNS1_11reduce_implILb1ES3_N6thrust23THRUST_200600_302600_NS11hip_rocprim26transform_input_iterator_tIlNS8_12zip_iteratorINS8_5tupleINS8_6detail15normal_iteratorINS8_10device_ptrIyEEEESH_NS8_9null_typeESI_SI_SI_SI_SI_SI_SI_EEEENS9_21zip_adj_not_predicateI22is_equal_div_10_uniqueIyEEEEEPllNS8_4plusIlEEEE10hipError_tPvRmT1_T2_T3_mT4_P12ihipStream_tbEUlT_E1_NS1_11comp_targetILNS1_3genE10ELNS1_11target_archE1201ELNS1_3gpuE5ELNS1_3repE0EEENS1_30default_config_static_selectorELNS0_4arch9wavefront6targetE1EEEvSW_.has_indirect_call, 0
	.section	.AMDGPU.csdata,"",@progbits
; Kernel info:
; codeLenInByte = 0
; TotalNumSgprs: 4
; NumVgprs: 0
; ScratchSize: 0
; MemoryBound: 0
; FloatMode: 240
; IeeeMode: 1
; LDSByteSize: 0 bytes/workgroup (compile time only)
; SGPRBlocks: 0
; VGPRBlocks: 0
; NumSGPRsForWavesPerEU: 4
; NumVGPRsForWavesPerEU: 1
; Occupancy: 10
; WaveLimiterHint : 0
; COMPUTE_PGM_RSRC2:SCRATCH_EN: 0
; COMPUTE_PGM_RSRC2:USER_SGPR: 6
; COMPUTE_PGM_RSRC2:TRAP_HANDLER: 0
; COMPUTE_PGM_RSRC2:TGID_X_EN: 1
; COMPUTE_PGM_RSRC2:TGID_Y_EN: 0
; COMPUTE_PGM_RSRC2:TGID_Z_EN: 0
; COMPUTE_PGM_RSRC2:TIDIG_COMP_CNT: 0
	.section	.text._ZN7rocprim17ROCPRIM_400000_NS6detail17trampoline_kernelINS0_14default_configENS1_22reduce_config_selectorIlEEZNS1_11reduce_implILb1ES3_N6thrust23THRUST_200600_302600_NS11hip_rocprim26transform_input_iterator_tIlNS8_12zip_iteratorINS8_5tupleINS8_6detail15normal_iteratorINS8_10device_ptrIyEEEESH_NS8_9null_typeESI_SI_SI_SI_SI_SI_SI_EEEENS9_21zip_adj_not_predicateI22is_equal_div_10_uniqueIyEEEEEPllNS8_4plusIlEEEE10hipError_tPvRmT1_T2_T3_mT4_P12ihipStream_tbEUlT_E1_NS1_11comp_targetILNS1_3genE10ELNS1_11target_archE1200ELNS1_3gpuE4ELNS1_3repE0EEENS1_30default_config_static_selectorELNS0_4arch9wavefront6targetE1EEEvSW_,"axG",@progbits,_ZN7rocprim17ROCPRIM_400000_NS6detail17trampoline_kernelINS0_14default_configENS1_22reduce_config_selectorIlEEZNS1_11reduce_implILb1ES3_N6thrust23THRUST_200600_302600_NS11hip_rocprim26transform_input_iterator_tIlNS8_12zip_iteratorINS8_5tupleINS8_6detail15normal_iteratorINS8_10device_ptrIyEEEESH_NS8_9null_typeESI_SI_SI_SI_SI_SI_SI_EEEENS9_21zip_adj_not_predicateI22is_equal_div_10_uniqueIyEEEEEPllNS8_4plusIlEEEE10hipError_tPvRmT1_T2_T3_mT4_P12ihipStream_tbEUlT_E1_NS1_11comp_targetILNS1_3genE10ELNS1_11target_archE1200ELNS1_3gpuE4ELNS1_3repE0EEENS1_30default_config_static_selectorELNS0_4arch9wavefront6targetE1EEEvSW_,comdat
	.protected	_ZN7rocprim17ROCPRIM_400000_NS6detail17trampoline_kernelINS0_14default_configENS1_22reduce_config_selectorIlEEZNS1_11reduce_implILb1ES3_N6thrust23THRUST_200600_302600_NS11hip_rocprim26transform_input_iterator_tIlNS8_12zip_iteratorINS8_5tupleINS8_6detail15normal_iteratorINS8_10device_ptrIyEEEESH_NS8_9null_typeESI_SI_SI_SI_SI_SI_SI_EEEENS9_21zip_adj_not_predicateI22is_equal_div_10_uniqueIyEEEEEPllNS8_4plusIlEEEE10hipError_tPvRmT1_T2_T3_mT4_P12ihipStream_tbEUlT_E1_NS1_11comp_targetILNS1_3genE10ELNS1_11target_archE1200ELNS1_3gpuE4ELNS1_3repE0EEENS1_30default_config_static_selectorELNS0_4arch9wavefront6targetE1EEEvSW_ ; -- Begin function _ZN7rocprim17ROCPRIM_400000_NS6detail17trampoline_kernelINS0_14default_configENS1_22reduce_config_selectorIlEEZNS1_11reduce_implILb1ES3_N6thrust23THRUST_200600_302600_NS11hip_rocprim26transform_input_iterator_tIlNS8_12zip_iteratorINS8_5tupleINS8_6detail15normal_iteratorINS8_10device_ptrIyEEEESH_NS8_9null_typeESI_SI_SI_SI_SI_SI_SI_EEEENS9_21zip_adj_not_predicateI22is_equal_div_10_uniqueIyEEEEEPllNS8_4plusIlEEEE10hipError_tPvRmT1_T2_T3_mT4_P12ihipStream_tbEUlT_E1_NS1_11comp_targetILNS1_3genE10ELNS1_11target_archE1200ELNS1_3gpuE4ELNS1_3repE0EEENS1_30default_config_static_selectorELNS0_4arch9wavefront6targetE1EEEvSW_
	.globl	_ZN7rocprim17ROCPRIM_400000_NS6detail17trampoline_kernelINS0_14default_configENS1_22reduce_config_selectorIlEEZNS1_11reduce_implILb1ES3_N6thrust23THRUST_200600_302600_NS11hip_rocprim26transform_input_iterator_tIlNS8_12zip_iteratorINS8_5tupleINS8_6detail15normal_iteratorINS8_10device_ptrIyEEEESH_NS8_9null_typeESI_SI_SI_SI_SI_SI_SI_EEEENS9_21zip_adj_not_predicateI22is_equal_div_10_uniqueIyEEEEEPllNS8_4plusIlEEEE10hipError_tPvRmT1_T2_T3_mT4_P12ihipStream_tbEUlT_E1_NS1_11comp_targetILNS1_3genE10ELNS1_11target_archE1200ELNS1_3gpuE4ELNS1_3repE0EEENS1_30default_config_static_selectorELNS0_4arch9wavefront6targetE1EEEvSW_
	.p2align	8
	.type	_ZN7rocprim17ROCPRIM_400000_NS6detail17trampoline_kernelINS0_14default_configENS1_22reduce_config_selectorIlEEZNS1_11reduce_implILb1ES3_N6thrust23THRUST_200600_302600_NS11hip_rocprim26transform_input_iterator_tIlNS8_12zip_iteratorINS8_5tupleINS8_6detail15normal_iteratorINS8_10device_ptrIyEEEESH_NS8_9null_typeESI_SI_SI_SI_SI_SI_SI_EEEENS9_21zip_adj_not_predicateI22is_equal_div_10_uniqueIyEEEEEPllNS8_4plusIlEEEE10hipError_tPvRmT1_T2_T3_mT4_P12ihipStream_tbEUlT_E1_NS1_11comp_targetILNS1_3genE10ELNS1_11target_archE1200ELNS1_3gpuE4ELNS1_3repE0EEENS1_30default_config_static_selectorELNS0_4arch9wavefront6targetE1EEEvSW_,@function
_ZN7rocprim17ROCPRIM_400000_NS6detail17trampoline_kernelINS0_14default_configENS1_22reduce_config_selectorIlEEZNS1_11reduce_implILb1ES3_N6thrust23THRUST_200600_302600_NS11hip_rocprim26transform_input_iterator_tIlNS8_12zip_iteratorINS8_5tupleINS8_6detail15normal_iteratorINS8_10device_ptrIyEEEESH_NS8_9null_typeESI_SI_SI_SI_SI_SI_SI_EEEENS9_21zip_adj_not_predicateI22is_equal_div_10_uniqueIyEEEEEPllNS8_4plusIlEEEE10hipError_tPvRmT1_T2_T3_mT4_P12ihipStream_tbEUlT_E1_NS1_11comp_targetILNS1_3genE10ELNS1_11target_archE1200ELNS1_3gpuE4ELNS1_3repE0EEENS1_30default_config_static_selectorELNS0_4arch9wavefront6targetE1EEEvSW_: ; @_ZN7rocprim17ROCPRIM_400000_NS6detail17trampoline_kernelINS0_14default_configENS1_22reduce_config_selectorIlEEZNS1_11reduce_implILb1ES3_N6thrust23THRUST_200600_302600_NS11hip_rocprim26transform_input_iterator_tIlNS8_12zip_iteratorINS8_5tupleINS8_6detail15normal_iteratorINS8_10device_ptrIyEEEESH_NS8_9null_typeESI_SI_SI_SI_SI_SI_SI_EEEENS9_21zip_adj_not_predicateI22is_equal_div_10_uniqueIyEEEEEPllNS8_4plusIlEEEE10hipError_tPvRmT1_T2_T3_mT4_P12ihipStream_tbEUlT_E1_NS1_11comp_targetILNS1_3genE10ELNS1_11target_archE1200ELNS1_3gpuE4ELNS1_3repE0EEENS1_30default_config_static_selectorELNS0_4arch9wavefront6targetE1EEEvSW_
; %bb.0:
	.section	.rodata,"a",@progbits
	.p2align	6, 0x0
	.amdhsa_kernel _ZN7rocprim17ROCPRIM_400000_NS6detail17trampoline_kernelINS0_14default_configENS1_22reduce_config_selectorIlEEZNS1_11reduce_implILb1ES3_N6thrust23THRUST_200600_302600_NS11hip_rocprim26transform_input_iterator_tIlNS8_12zip_iteratorINS8_5tupleINS8_6detail15normal_iteratorINS8_10device_ptrIyEEEESH_NS8_9null_typeESI_SI_SI_SI_SI_SI_SI_EEEENS9_21zip_adj_not_predicateI22is_equal_div_10_uniqueIyEEEEEPllNS8_4plusIlEEEE10hipError_tPvRmT1_T2_T3_mT4_P12ihipStream_tbEUlT_E1_NS1_11comp_targetILNS1_3genE10ELNS1_11target_archE1200ELNS1_3gpuE4ELNS1_3repE0EEENS1_30default_config_static_selectorELNS0_4arch9wavefront6targetE1EEEvSW_
		.amdhsa_group_segment_fixed_size 0
		.amdhsa_private_segment_fixed_size 0
		.amdhsa_kernarg_size 64
		.amdhsa_user_sgpr_count 6
		.amdhsa_user_sgpr_private_segment_buffer 1
		.amdhsa_user_sgpr_dispatch_ptr 0
		.amdhsa_user_sgpr_queue_ptr 0
		.amdhsa_user_sgpr_kernarg_segment_ptr 1
		.amdhsa_user_sgpr_dispatch_id 0
		.amdhsa_user_sgpr_flat_scratch_init 0
		.amdhsa_user_sgpr_private_segment_size 0
		.amdhsa_uses_dynamic_stack 0
		.amdhsa_system_sgpr_private_segment_wavefront_offset 0
		.amdhsa_system_sgpr_workgroup_id_x 1
		.amdhsa_system_sgpr_workgroup_id_y 0
		.amdhsa_system_sgpr_workgroup_id_z 0
		.amdhsa_system_sgpr_workgroup_info 0
		.amdhsa_system_vgpr_workitem_id 0
		.amdhsa_next_free_vgpr 1
		.amdhsa_next_free_sgpr 0
		.amdhsa_reserve_vcc 0
		.amdhsa_reserve_flat_scratch 0
		.amdhsa_float_round_mode_32 0
		.amdhsa_float_round_mode_16_64 0
		.amdhsa_float_denorm_mode_32 3
		.amdhsa_float_denorm_mode_16_64 3
		.amdhsa_dx10_clamp 1
		.amdhsa_ieee_mode 1
		.amdhsa_fp16_overflow 0
		.amdhsa_exception_fp_ieee_invalid_op 0
		.amdhsa_exception_fp_denorm_src 0
		.amdhsa_exception_fp_ieee_div_zero 0
		.amdhsa_exception_fp_ieee_overflow 0
		.amdhsa_exception_fp_ieee_underflow 0
		.amdhsa_exception_fp_ieee_inexact 0
		.amdhsa_exception_int_div_zero 0
	.end_amdhsa_kernel
	.section	.text._ZN7rocprim17ROCPRIM_400000_NS6detail17trampoline_kernelINS0_14default_configENS1_22reduce_config_selectorIlEEZNS1_11reduce_implILb1ES3_N6thrust23THRUST_200600_302600_NS11hip_rocprim26transform_input_iterator_tIlNS8_12zip_iteratorINS8_5tupleINS8_6detail15normal_iteratorINS8_10device_ptrIyEEEESH_NS8_9null_typeESI_SI_SI_SI_SI_SI_SI_EEEENS9_21zip_adj_not_predicateI22is_equal_div_10_uniqueIyEEEEEPllNS8_4plusIlEEEE10hipError_tPvRmT1_T2_T3_mT4_P12ihipStream_tbEUlT_E1_NS1_11comp_targetILNS1_3genE10ELNS1_11target_archE1200ELNS1_3gpuE4ELNS1_3repE0EEENS1_30default_config_static_selectorELNS0_4arch9wavefront6targetE1EEEvSW_,"axG",@progbits,_ZN7rocprim17ROCPRIM_400000_NS6detail17trampoline_kernelINS0_14default_configENS1_22reduce_config_selectorIlEEZNS1_11reduce_implILb1ES3_N6thrust23THRUST_200600_302600_NS11hip_rocprim26transform_input_iterator_tIlNS8_12zip_iteratorINS8_5tupleINS8_6detail15normal_iteratorINS8_10device_ptrIyEEEESH_NS8_9null_typeESI_SI_SI_SI_SI_SI_SI_EEEENS9_21zip_adj_not_predicateI22is_equal_div_10_uniqueIyEEEEEPllNS8_4plusIlEEEE10hipError_tPvRmT1_T2_T3_mT4_P12ihipStream_tbEUlT_E1_NS1_11comp_targetILNS1_3genE10ELNS1_11target_archE1200ELNS1_3gpuE4ELNS1_3repE0EEENS1_30default_config_static_selectorELNS0_4arch9wavefront6targetE1EEEvSW_,comdat
.Lfunc_end848:
	.size	_ZN7rocprim17ROCPRIM_400000_NS6detail17trampoline_kernelINS0_14default_configENS1_22reduce_config_selectorIlEEZNS1_11reduce_implILb1ES3_N6thrust23THRUST_200600_302600_NS11hip_rocprim26transform_input_iterator_tIlNS8_12zip_iteratorINS8_5tupleINS8_6detail15normal_iteratorINS8_10device_ptrIyEEEESH_NS8_9null_typeESI_SI_SI_SI_SI_SI_SI_EEEENS9_21zip_adj_not_predicateI22is_equal_div_10_uniqueIyEEEEEPllNS8_4plusIlEEEE10hipError_tPvRmT1_T2_T3_mT4_P12ihipStream_tbEUlT_E1_NS1_11comp_targetILNS1_3genE10ELNS1_11target_archE1200ELNS1_3gpuE4ELNS1_3repE0EEENS1_30default_config_static_selectorELNS0_4arch9wavefront6targetE1EEEvSW_, .Lfunc_end848-_ZN7rocprim17ROCPRIM_400000_NS6detail17trampoline_kernelINS0_14default_configENS1_22reduce_config_selectorIlEEZNS1_11reduce_implILb1ES3_N6thrust23THRUST_200600_302600_NS11hip_rocprim26transform_input_iterator_tIlNS8_12zip_iteratorINS8_5tupleINS8_6detail15normal_iteratorINS8_10device_ptrIyEEEESH_NS8_9null_typeESI_SI_SI_SI_SI_SI_SI_EEEENS9_21zip_adj_not_predicateI22is_equal_div_10_uniqueIyEEEEEPllNS8_4plusIlEEEE10hipError_tPvRmT1_T2_T3_mT4_P12ihipStream_tbEUlT_E1_NS1_11comp_targetILNS1_3genE10ELNS1_11target_archE1200ELNS1_3gpuE4ELNS1_3repE0EEENS1_30default_config_static_selectorELNS0_4arch9wavefront6targetE1EEEvSW_
                                        ; -- End function
	.set _ZN7rocprim17ROCPRIM_400000_NS6detail17trampoline_kernelINS0_14default_configENS1_22reduce_config_selectorIlEEZNS1_11reduce_implILb1ES3_N6thrust23THRUST_200600_302600_NS11hip_rocprim26transform_input_iterator_tIlNS8_12zip_iteratorINS8_5tupleINS8_6detail15normal_iteratorINS8_10device_ptrIyEEEESH_NS8_9null_typeESI_SI_SI_SI_SI_SI_SI_EEEENS9_21zip_adj_not_predicateI22is_equal_div_10_uniqueIyEEEEEPllNS8_4plusIlEEEE10hipError_tPvRmT1_T2_T3_mT4_P12ihipStream_tbEUlT_E1_NS1_11comp_targetILNS1_3genE10ELNS1_11target_archE1200ELNS1_3gpuE4ELNS1_3repE0EEENS1_30default_config_static_selectorELNS0_4arch9wavefront6targetE1EEEvSW_.num_vgpr, 0
	.set _ZN7rocprim17ROCPRIM_400000_NS6detail17trampoline_kernelINS0_14default_configENS1_22reduce_config_selectorIlEEZNS1_11reduce_implILb1ES3_N6thrust23THRUST_200600_302600_NS11hip_rocprim26transform_input_iterator_tIlNS8_12zip_iteratorINS8_5tupleINS8_6detail15normal_iteratorINS8_10device_ptrIyEEEESH_NS8_9null_typeESI_SI_SI_SI_SI_SI_SI_EEEENS9_21zip_adj_not_predicateI22is_equal_div_10_uniqueIyEEEEEPllNS8_4plusIlEEEE10hipError_tPvRmT1_T2_T3_mT4_P12ihipStream_tbEUlT_E1_NS1_11comp_targetILNS1_3genE10ELNS1_11target_archE1200ELNS1_3gpuE4ELNS1_3repE0EEENS1_30default_config_static_selectorELNS0_4arch9wavefront6targetE1EEEvSW_.num_agpr, 0
	.set _ZN7rocprim17ROCPRIM_400000_NS6detail17trampoline_kernelINS0_14default_configENS1_22reduce_config_selectorIlEEZNS1_11reduce_implILb1ES3_N6thrust23THRUST_200600_302600_NS11hip_rocprim26transform_input_iterator_tIlNS8_12zip_iteratorINS8_5tupleINS8_6detail15normal_iteratorINS8_10device_ptrIyEEEESH_NS8_9null_typeESI_SI_SI_SI_SI_SI_SI_EEEENS9_21zip_adj_not_predicateI22is_equal_div_10_uniqueIyEEEEEPllNS8_4plusIlEEEE10hipError_tPvRmT1_T2_T3_mT4_P12ihipStream_tbEUlT_E1_NS1_11comp_targetILNS1_3genE10ELNS1_11target_archE1200ELNS1_3gpuE4ELNS1_3repE0EEENS1_30default_config_static_selectorELNS0_4arch9wavefront6targetE1EEEvSW_.numbered_sgpr, 0
	.set _ZN7rocprim17ROCPRIM_400000_NS6detail17trampoline_kernelINS0_14default_configENS1_22reduce_config_selectorIlEEZNS1_11reduce_implILb1ES3_N6thrust23THRUST_200600_302600_NS11hip_rocprim26transform_input_iterator_tIlNS8_12zip_iteratorINS8_5tupleINS8_6detail15normal_iteratorINS8_10device_ptrIyEEEESH_NS8_9null_typeESI_SI_SI_SI_SI_SI_SI_EEEENS9_21zip_adj_not_predicateI22is_equal_div_10_uniqueIyEEEEEPllNS8_4plusIlEEEE10hipError_tPvRmT1_T2_T3_mT4_P12ihipStream_tbEUlT_E1_NS1_11comp_targetILNS1_3genE10ELNS1_11target_archE1200ELNS1_3gpuE4ELNS1_3repE0EEENS1_30default_config_static_selectorELNS0_4arch9wavefront6targetE1EEEvSW_.num_named_barrier, 0
	.set _ZN7rocprim17ROCPRIM_400000_NS6detail17trampoline_kernelINS0_14default_configENS1_22reduce_config_selectorIlEEZNS1_11reduce_implILb1ES3_N6thrust23THRUST_200600_302600_NS11hip_rocprim26transform_input_iterator_tIlNS8_12zip_iteratorINS8_5tupleINS8_6detail15normal_iteratorINS8_10device_ptrIyEEEESH_NS8_9null_typeESI_SI_SI_SI_SI_SI_SI_EEEENS9_21zip_adj_not_predicateI22is_equal_div_10_uniqueIyEEEEEPllNS8_4plusIlEEEE10hipError_tPvRmT1_T2_T3_mT4_P12ihipStream_tbEUlT_E1_NS1_11comp_targetILNS1_3genE10ELNS1_11target_archE1200ELNS1_3gpuE4ELNS1_3repE0EEENS1_30default_config_static_selectorELNS0_4arch9wavefront6targetE1EEEvSW_.private_seg_size, 0
	.set _ZN7rocprim17ROCPRIM_400000_NS6detail17trampoline_kernelINS0_14default_configENS1_22reduce_config_selectorIlEEZNS1_11reduce_implILb1ES3_N6thrust23THRUST_200600_302600_NS11hip_rocprim26transform_input_iterator_tIlNS8_12zip_iteratorINS8_5tupleINS8_6detail15normal_iteratorINS8_10device_ptrIyEEEESH_NS8_9null_typeESI_SI_SI_SI_SI_SI_SI_EEEENS9_21zip_adj_not_predicateI22is_equal_div_10_uniqueIyEEEEEPllNS8_4plusIlEEEE10hipError_tPvRmT1_T2_T3_mT4_P12ihipStream_tbEUlT_E1_NS1_11comp_targetILNS1_3genE10ELNS1_11target_archE1200ELNS1_3gpuE4ELNS1_3repE0EEENS1_30default_config_static_selectorELNS0_4arch9wavefront6targetE1EEEvSW_.uses_vcc, 0
	.set _ZN7rocprim17ROCPRIM_400000_NS6detail17trampoline_kernelINS0_14default_configENS1_22reduce_config_selectorIlEEZNS1_11reduce_implILb1ES3_N6thrust23THRUST_200600_302600_NS11hip_rocprim26transform_input_iterator_tIlNS8_12zip_iteratorINS8_5tupleINS8_6detail15normal_iteratorINS8_10device_ptrIyEEEESH_NS8_9null_typeESI_SI_SI_SI_SI_SI_SI_EEEENS9_21zip_adj_not_predicateI22is_equal_div_10_uniqueIyEEEEEPllNS8_4plusIlEEEE10hipError_tPvRmT1_T2_T3_mT4_P12ihipStream_tbEUlT_E1_NS1_11comp_targetILNS1_3genE10ELNS1_11target_archE1200ELNS1_3gpuE4ELNS1_3repE0EEENS1_30default_config_static_selectorELNS0_4arch9wavefront6targetE1EEEvSW_.uses_flat_scratch, 0
	.set _ZN7rocprim17ROCPRIM_400000_NS6detail17trampoline_kernelINS0_14default_configENS1_22reduce_config_selectorIlEEZNS1_11reduce_implILb1ES3_N6thrust23THRUST_200600_302600_NS11hip_rocprim26transform_input_iterator_tIlNS8_12zip_iteratorINS8_5tupleINS8_6detail15normal_iteratorINS8_10device_ptrIyEEEESH_NS8_9null_typeESI_SI_SI_SI_SI_SI_SI_EEEENS9_21zip_adj_not_predicateI22is_equal_div_10_uniqueIyEEEEEPllNS8_4plusIlEEEE10hipError_tPvRmT1_T2_T3_mT4_P12ihipStream_tbEUlT_E1_NS1_11comp_targetILNS1_3genE10ELNS1_11target_archE1200ELNS1_3gpuE4ELNS1_3repE0EEENS1_30default_config_static_selectorELNS0_4arch9wavefront6targetE1EEEvSW_.has_dyn_sized_stack, 0
	.set _ZN7rocprim17ROCPRIM_400000_NS6detail17trampoline_kernelINS0_14default_configENS1_22reduce_config_selectorIlEEZNS1_11reduce_implILb1ES3_N6thrust23THRUST_200600_302600_NS11hip_rocprim26transform_input_iterator_tIlNS8_12zip_iteratorINS8_5tupleINS8_6detail15normal_iteratorINS8_10device_ptrIyEEEESH_NS8_9null_typeESI_SI_SI_SI_SI_SI_SI_EEEENS9_21zip_adj_not_predicateI22is_equal_div_10_uniqueIyEEEEEPllNS8_4plusIlEEEE10hipError_tPvRmT1_T2_T3_mT4_P12ihipStream_tbEUlT_E1_NS1_11comp_targetILNS1_3genE10ELNS1_11target_archE1200ELNS1_3gpuE4ELNS1_3repE0EEENS1_30default_config_static_selectorELNS0_4arch9wavefront6targetE1EEEvSW_.has_recursion, 0
	.set _ZN7rocprim17ROCPRIM_400000_NS6detail17trampoline_kernelINS0_14default_configENS1_22reduce_config_selectorIlEEZNS1_11reduce_implILb1ES3_N6thrust23THRUST_200600_302600_NS11hip_rocprim26transform_input_iterator_tIlNS8_12zip_iteratorINS8_5tupleINS8_6detail15normal_iteratorINS8_10device_ptrIyEEEESH_NS8_9null_typeESI_SI_SI_SI_SI_SI_SI_EEEENS9_21zip_adj_not_predicateI22is_equal_div_10_uniqueIyEEEEEPllNS8_4plusIlEEEE10hipError_tPvRmT1_T2_T3_mT4_P12ihipStream_tbEUlT_E1_NS1_11comp_targetILNS1_3genE10ELNS1_11target_archE1200ELNS1_3gpuE4ELNS1_3repE0EEENS1_30default_config_static_selectorELNS0_4arch9wavefront6targetE1EEEvSW_.has_indirect_call, 0
	.section	.AMDGPU.csdata,"",@progbits
; Kernel info:
; codeLenInByte = 0
; TotalNumSgprs: 4
; NumVgprs: 0
; ScratchSize: 0
; MemoryBound: 0
; FloatMode: 240
; IeeeMode: 1
; LDSByteSize: 0 bytes/workgroup (compile time only)
; SGPRBlocks: 0
; VGPRBlocks: 0
; NumSGPRsForWavesPerEU: 4
; NumVGPRsForWavesPerEU: 1
; Occupancy: 10
; WaveLimiterHint : 0
; COMPUTE_PGM_RSRC2:SCRATCH_EN: 0
; COMPUTE_PGM_RSRC2:USER_SGPR: 6
; COMPUTE_PGM_RSRC2:TRAP_HANDLER: 0
; COMPUTE_PGM_RSRC2:TGID_X_EN: 1
; COMPUTE_PGM_RSRC2:TGID_Y_EN: 0
; COMPUTE_PGM_RSRC2:TGID_Z_EN: 0
; COMPUTE_PGM_RSRC2:TIDIG_COMP_CNT: 0
	.section	.text._ZN7rocprim17ROCPRIM_400000_NS6detail17trampoline_kernelINS0_14default_configENS1_22reduce_config_selectorIlEEZNS1_11reduce_implILb1ES3_N6thrust23THRUST_200600_302600_NS11hip_rocprim26transform_input_iterator_tIlNS8_12zip_iteratorINS8_5tupleINS8_6detail15normal_iteratorINS8_10device_ptrIyEEEESH_NS8_9null_typeESI_SI_SI_SI_SI_SI_SI_EEEENS9_21zip_adj_not_predicateI22is_equal_div_10_uniqueIyEEEEEPllNS8_4plusIlEEEE10hipError_tPvRmT1_T2_T3_mT4_P12ihipStream_tbEUlT_E1_NS1_11comp_targetILNS1_3genE9ELNS1_11target_archE1100ELNS1_3gpuE3ELNS1_3repE0EEENS1_30default_config_static_selectorELNS0_4arch9wavefront6targetE1EEEvSW_,"axG",@progbits,_ZN7rocprim17ROCPRIM_400000_NS6detail17trampoline_kernelINS0_14default_configENS1_22reduce_config_selectorIlEEZNS1_11reduce_implILb1ES3_N6thrust23THRUST_200600_302600_NS11hip_rocprim26transform_input_iterator_tIlNS8_12zip_iteratorINS8_5tupleINS8_6detail15normal_iteratorINS8_10device_ptrIyEEEESH_NS8_9null_typeESI_SI_SI_SI_SI_SI_SI_EEEENS9_21zip_adj_not_predicateI22is_equal_div_10_uniqueIyEEEEEPllNS8_4plusIlEEEE10hipError_tPvRmT1_T2_T3_mT4_P12ihipStream_tbEUlT_E1_NS1_11comp_targetILNS1_3genE9ELNS1_11target_archE1100ELNS1_3gpuE3ELNS1_3repE0EEENS1_30default_config_static_selectorELNS0_4arch9wavefront6targetE1EEEvSW_,comdat
	.protected	_ZN7rocprim17ROCPRIM_400000_NS6detail17trampoline_kernelINS0_14default_configENS1_22reduce_config_selectorIlEEZNS1_11reduce_implILb1ES3_N6thrust23THRUST_200600_302600_NS11hip_rocprim26transform_input_iterator_tIlNS8_12zip_iteratorINS8_5tupleINS8_6detail15normal_iteratorINS8_10device_ptrIyEEEESH_NS8_9null_typeESI_SI_SI_SI_SI_SI_SI_EEEENS9_21zip_adj_not_predicateI22is_equal_div_10_uniqueIyEEEEEPllNS8_4plusIlEEEE10hipError_tPvRmT1_T2_T3_mT4_P12ihipStream_tbEUlT_E1_NS1_11comp_targetILNS1_3genE9ELNS1_11target_archE1100ELNS1_3gpuE3ELNS1_3repE0EEENS1_30default_config_static_selectorELNS0_4arch9wavefront6targetE1EEEvSW_ ; -- Begin function _ZN7rocprim17ROCPRIM_400000_NS6detail17trampoline_kernelINS0_14default_configENS1_22reduce_config_selectorIlEEZNS1_11reduce_implILb1ES3_N6thrust23THRUST_200600_302600_NS11hip_rocprim26transform_input_iterator_tIlNS8_12zip_iteratorINS8_5tupleINS8_6detail15normal_iteratorINS8_10device_ptrIyEEEESH_NS8_9null_typeESI_SI_SI_SI_SI_SI_SI_EEEENS9_21zip_adj_not_predicateI22is_equal_div_10_uniqueIyEEEEEPllNS8_4plusIlEEEE10hipError_tPvRmT1_T2_T3_mT4_P12ihipStream_tbEUlT_E1_NS1_11comp_targetILNS1_3genE9ELNS1_11target_archE1100ELNS1_3gpuE3ELNS1_3repE0EEENS1_30default_config_static_selectorELNS0_4arch9wavefront6targetE1EEEvSW_
	.globl	_ZN7rocprim17ROCPRIM_400000_NS6detail17trampoline_kernelINS0_14default_configENS1_22reduce_config_selectorIlEEZNS1_11reduce_implILb1ES3_N6thrust23THRUST_200600_302600_NS11hip_rocprim26transform_input_iterator_tIlNS8_12zip_iteratorINS8_5tupleINS8_6detail15normal_iteratorINS8_10device_ptrIyEEEESH_NS8_9null_typeESI_SI_SI_SI_SI_SI_SI_EEEENS9_21zip_adj_not_predicateI22is_equal_div_10_uniqueIyEEEEEPllNS8_4plusIlEEEE10hipError_tPvRmT1_T2_T3_mT4_P12ihipStream_tbEUlT_E1_NS1_11comp_targetILNS1_3genE9ELNS1_11target_archE1100ELNS1_3gpuE3ELNS1_3repE0EEENS1_30default_config_static_selectorELNS0_4arch9wavefront6targetE1EEEvSW_
	.p2align	8
	.type	_ZN7rocprim17ROCPRIM_400000_NS6detail17trampoline_kernelINS0_14default_configENS1_22reduce_config_selectorIlEEZNS1_11reduce_implILb1ES3_N6thrust23THRUST_200600_302600_NS11hip_rocprim26transform_input_iterator_tIlNS8_12zip_iteratorINS8_5tupleINS8_6detail15normal_iteratorINS8_10device_ptrIyEEEESH_NS8_9null_typeESI_SI_SI_SI_SI_SI_SI_EEEENS9_21zip_adj_not_predicateI22is_equal_div_10_uniqueIyEEEEEPllNS8_4plusIlEEEE10hipError_tPvRmT1_T2_T3_mT4_P12ihipStream_tbEUlT_E1_NS1_11comp_targetILNS1_3genE9ELNS1_11target_archE1100ELNS1_3gpuE3ELNS1_3repE0EEENS1_30default_config_static_selectorELNS0_4arch9wavefront6targetE1EEEvSW_,@function
_ZN7rocprim17ROCPRIM_400000_NS6detail17trampoline_kernelINS0_14default_configENS1_22reduce_config_selectorIlEEZNS1_11reduce_implILb1ES3_N6thrust23THRUST_200600_302600_NS11hip_rocprim26transform_input_iterator_tIlNS8_12zip_iteratorINS8_5tupleINS8_6detail15normal_iteratorINS8_10device_ptrIyEEEESH_NS8_9null_typeESI_SI_SI_SI_SI_SI_SI_EEEENS9_21zip_adj_not_predicateI22is_equal_div_10_uniqueIyEEEEEPllNS8_4plusIlEEEE10hipError_tPvRmT1_T2_T3_mT4_P12ihipStream_tbEUlT_E1_NS1_11comp_targetILNS1_3genE9ELNS1_11target_archE1100ELNS1_3gpuE3ELNS1_3repE0EEENS1_30default_config_static_selectorELNS0_4arch9wavefront6targetE1EEEvSW_: ; @_ZN7rocprim17ROCPRIM_400000_NS6detail17trampoline_kernelINS0_14default_configENS1_22reduce_config_selectorIlEEZNS1_11reduce_implILb1ES3_N6thrust23THRUST_200600_302600_NS11hip_rocprim26transform_input_iterator_tIlNS8_12zip_iteratorINS8_5tupleINS8_6detail15normal_iteratorINS8_10device_ptrIyEEEESH_NS8_9null_typeESI_SI_SI_SI_SI_SI_SI_EEEENS9_21zip_adj_not_predicateI22is_equal_div_10_uniqueIyEEEEEPllNS8_4plusIlEEEE10hipError_tPvRmT1_T2_T3_mT4_P12ihipStream_tbEUlT_E1_NS1_11comp_targetILNS1_3genE9ELNS1_11target_archE1100ELNS1_3gpuE3ELNS1_3repE0EEENS1_30default_config_static_selectorELNS0_4arch9wavefront6targetE1EEEvSW_
; %bb.0:
	.section	.rodata,"a",@progbits
	.p2align	6, 0x0
	.amdhsa_kernel _ZN7rocprim17ROCPRIM_400000_NS6detail17trampoline_kernelINS0_14default_configENS1_22reduce_config_selectorIlEEZNS1_11reduce_implILb1ES3_N6thrust23THRUST_200600_302600_NS11hip_rocprim26transform_input_iterator_tIlNS8_12zip_iteratorINS8_5tupleINS8_6detail15normal_iteratorINS8_10device_ptrIyEEEESH_NS8_9null_typeESI_SI_SI_SI_SI_SI_SI_EEEENS9_21zip_adj_not_predicateI22is_equal_div_10_uniqueIyEEEEEPllNS8_4plusIlEEEE10hipError_tPvRmT1_T2_T3_mT4_P12ihipStream_tbEUlT_E1_NS1_11comp_targetILNS1_3genE9ELNS1_11target_archE1100ELNS1_3gpuE3ELNS1_3repE0EEENS1_30default_config_static_selectorELNS0_4arch9wavefront6targetE1EEEvSW_
		.amdhsa_group_segment_fixed_size 0
		.amdhsa_private_segment_fixed_size 0
		.amdhsa_kernarg_size 64
		.amdhsa_user_sgpr_count 6
		.amdhsa_user_sgpr_private_segment_buffer 1
		.amdhsa_user_sgpr_dispatch_ptr 0
		.amdhsa_user_sgpr_queue_ptr 0
		.amdhsa_user_sgpr_kernarg_segment_ptr 1
		.amdhsa_user_sgpr_dispatch_id 0
		.amdhsa_user_sgpr_flat_scratch_init 0
		.amdhsa_user_sgpr_private_segment_size 0
		.amdhsa_uses_dynamic_stack 0
		.amdhsa_system_sgpr_private_segment_wavefront_offset 0
		.amdhsa_system_sgpr_workgroup_id_x 1
		.amdhsa_system_sgpr_workgroup_id_y 0
		.amdhsa_system_sgpr_workgroup_id_z 0
		.amdhsa_system_sgpr_workgroup_info 0
		.amdhsa_system_vgpr_workitem_id 0
		.amdhsa_next_free_vgpr 1
		.amdhsa_next_free_sgpr 0
		.amdhsa_reserve_vcc 0
		.amdhsa_reserve_flat_scratch 0
		.amdhsa_float_round_mode_32 0
		.amdhsa_float_round_mode_16_64 0
		.amdhsa_float_denorm_mode_32 3
		.amdhsa_float_denorm_mode_16_64 3
		.amdhsa_dx10_clamp 1
		.amdhsa_ieee_mode 1
		.amdhsa_fp16_overflow 0
		.amdhsa_exception_fp_ieee_invalid_op 0
		.amdhsa_exception_fp_denorm_src 0
		.amdhsa_exception_fp_ieee_div_zero 0
		.amdhsa_exception_fp_ieee_overflow 0
		.amdhsa_exception_fp_ieee_underflow 0
		.amdhsa_exception_fp_ieee_inexact 0
		.amdhsa_exception_int_div_zero 0
	.end_amdhsa_kernel
	.section	.text._ZN7rocprim17ROCPRIM_400000_NS6detail17trampoline_kernelINS0_14default_configENS1_22reduce_config_selectorIlEEZNS1_11reduce_implILb1ES3_N6thrust23THRUST_200600_302600_NS11hip_rocprim26transform_input_iterator_tIlNS8_12zip_iteratorINS8_5tupleINS8_6detail15normal_iteratorINS8_10device_ptrIyEEEESH_NS8_9null_typeESI_SI_SI_SI_SI_SI_SI_EEEENS9_21zip_adj_not_predicateI22is_equal_div_10_uniqueIyEEEEEPllNS8_4plusIlEEEE10hipError_tPvRmT1_T2_T3_mT4_P12ihipStream_tbEUlT_E1_NS1_11comp_targetILNS1_3genE9ELNS1_11target_archE1100ELNS1_3gpuE3ELNS1_3repE0EEENS1_30default_config_static_selectorELNS0_4arch9wavefront6targetE1EEEvSW_,"axG",@progbits,_ZN7rocprim17ROCPRIM_400000_NS6detail17trampoline_kernelINS0_14default_configENS1_22reduce_config_selectorIlEEZNS1_11reduce_implILb1ES3_N6thrust23THRUST_200600_302600_NS11hip_rocprim26transform_input_iterator_tIlNS8_12zip_iteratorINS8_5tupleINS8_6detail15normal_iteratorINS8_10device_ptrIyEEEESH_NS8_9null_typeESI_SI_SI_SI_SI_SI_SI_EEEENS9_21zip_adj_not_predicateI22is_equal_div_10_uniqueIyEEEEEPllNS8_4plusIlEEEE10hipError_tPvRmT1_T2_T3_mT4_P12ihipStream_tbEUlT_E1_NS1_11comp_targetILNS1_3genE9ELNS1_11target_archE1100ELNS1_3gpuE3ELNS1_3repE0EEENS1_30default_config_static_selectorELNS0_4arch9wavefront6targetE1EEEvSW_,comdat
.Lfunc_end849:
	.size	_ZN7rocprim17ROCPRIM_400000_NS6detail17trampoline_kernelINS0_14default_configENS1_22reduce_config_selectorIlEEZNS1_11reduce_implILb1ES3_N6thrust23THRUST_200600_302600_NS11hip_rocprim26transform_input_iterator_tIlNS8_12zip_iteratorINS8_5tupleINS8_6detail15normal_iteratorINS8_10device_ptrIyEEEESH_NS8_9null_typeESI_SI_SI_SI_SI_SI_SI_EEEENS9_21zip_adj_not_predicateI22is_equal_div_10_uniqueIyEEEEEPllNS8_4plusIlEEEE10hipError_tPvRmT1_T2_T3_mT4_P12ihipStream_tbEUlT_E1_NS1_11comp_targetILNS1_3genE9ELNS1_11target_archE1100ELNS1_3gpuE3ELNS1_3repE0EEENS1_30default_config_static_selectorELNS0_4arch9wavefront6targetE1EEEvSW_, .Lfunc_end849-_ZN7rocprim17ROCPRIM_400000_NS6detail17trampoline_kernelINS0_14default_configENS1_22reduce_config_selectorIlEEZNS1_11reduce_implILb1ES3_N6thrust23THRUST_200600_302600_NS11hip_rocprim26transform_input_iterator_tIlNS8_12zip_iteratorINS8_5tupleINS8_6detail15normal_iteratorINS8_10device_ptrIyEEEESH_NS8_9null_typeESI_SI_SI_SI_SI_SI_SI_EEEENS9_21zip_adj_not_predicateI22is_equal_div_10_uniqueIyEEEEEPllNS8_4plusIlEEEE10hipError_tPvRmT1_T2_T3_mT4_P12ihipStream_tbEUlT_E1_NS1_11comp_targetILNS1_3genE9ELNS1_11target_archE1100ELNS1_3gpuE3ELNS1_3repE0EEENS1_30default_config_static_selectorELNS0_4arch9wavefront6targetE1EEEvSW_
                                        ; -- End function
	.set _ZN7rocprim17ROCPRIM_400000_NS6detail17trampoline_kernelINS0_14default_configENS1_22reduce_config_selectorIlEEZNS1_11reduce_implILb1ES3_N6thrust23THRUST_200600_302600_NS11hip_rocprim26transform_input_iterator_tIlNS8_12zip_iteratorINS8_5tupleINS8_6detail15normal_iteratorINS8_10device_ptrIyEEEESH_NS8_9null_typeESI_SI_SI_SI_SI_SI_SI_EEEENS9_21zip_adj_not_predicateI22is_equal_div_10_uniqueIyEEEEEPllNS8_4plusIlEEEE10hipError_tPvRmT1_T2_T3_mT4_P12ihipStream_tbEUlT_E1_NS1_11comp_targetILNS1_3genE9ELNS1_11target_archE1100ELNS1_3gpuE3ELNS1_3repE0EEENS1_30default_config_static_selectorELNS0_4arch9wavefront6targetE1EEEvSW_.num_vgpr, 0
	.set _ZN7rocprim17ROCPRIM_400000_NS6detail17trampoline_kernelINS0_14default_configENS1_22reduce_config_selectorIlEEZNS1_11reduce_implILb1ES3_N6thrust23THRUST_200600_302600_NS11hip_rocprim26transform_input_iterator_tIlNS8_12zip_iteratorINS8_5tupleINS8_6detail15normal_iteratorINS8_10device_ptrIyEEEESH_NS8_9null_typeESI_SI_SI_SI_SI_SI_SI_EEEENS9_21zip_adj_not_predicateI22is_equal_div_10_uniqueIyEEEEEPllNS8_4plusIlEEEE10hipError_tPvRmT1_T2_T3_mT4_P12ihipStream_tbEUlT_E1_NS1_11comp_targetILNS1_3genE9ELNS1_11target_archE1100ELNS1_3gpuE3ELNS1_3repE0EEENS1_30default_config_static_selectorELNS0_4arch9wavefront6targetE1EEEvSW_.num_agpr, 0
	.set _ZN7rocprim17ROCPRIM_400000_NS6detail17trampoline_kernelINS0_14default_configENS1_22reduce_config_selectorIlEEZNS1_11reduce_implILb1ES3_N6thrust23THRUST_200600_302600_NS11hip_rocprim26transform_input_iterator_tIlNS8_12zip_iteratorINS8_5tupleINS8_6detail15normal_iteratorINS8_10device_ptrIyEEEESH_NS8_9null_typeESI_SI_SI_SI_SI_SI_SI_EEEENS9_21zip_adj_not_predicateI22is_equal_div_10_uniqueIyEEEEEPllNS8_4plusIlEEEE10hipError_tPvRmT1_T2_T3_mT4_P12ihipStream_tbEUlT_E1_NS1_11comp_targetILNS1_3genE9ELNS1_11target_archE1100ELNS1_3gpuE3ELNS1_3repE0EEENS1_30default_config_static_selectorELNS0_4arch9wavefront6targetE1EEEvSW_.numbered_sgpr, 0
	.set _ZN7rocprim17ROCPRIM_400000_NS6detail17trampoline_kernelINS0_14default_configENS1_22reduce_config_selectorIlEEZNS1_11reduce_implILb1ES3_N6thrust23THRUST_200600_302600_NS11hip_rocprim26transform_input_iterator_tIlNS8_12zip_iteratorINS8_5tupleINS8_6detail15normal_iteratorINS8_10device_ptrIyEEEESH_NS8_9null_typeESI_SI_SI_SI_SI_SI_SI_EEEENS9_21zip_adj_not_predicateI22is_equal_div_10_uniqueIyEEEEEPllNS8_4plusIlEEEE10hipError_tPvRmT1_T2_T3_mT4_P12ihipStream_tbEUlT_E1_NS1_11comp_targetILNS1_3genE9ELNS1_11target_archE1100ELNS1_3gpuE3ELNS1_3repE0EEENS1_30default_config_static_selectorELNS0_4arch9wavefront6targetE1EEEvSW_.num_named_barrier, 0
	.set _ZN7rocprim17ROCPRIM_400000_NS6detail17trampoline_kernelINS0_14default_configENS1_22reduce_config_selectorIlEEZNS1_11reduce_implILb1ES3_N6thrust23THRUST_200600_302600_NS11hip_rocprim26transform_input_iterator_tIlNS8_12zip_iteratorINS8_5tupleINS8_6detail15normal_iteratorINS8_10device_ptrIyEEEESH_NS8_9null_typeESI_SI_SI_SI_SI_SI_SI_EEEENS9_21zip_adj_not_predicateI22is_equal_div_10_uniqueIyEEEEEPllNS8_4plusIlEEEE10hipError_tPvRmT1_T2_T3_mT4_P12ihipStream_tbEUlT_E1_NS1_11comp_targetILNS1_3genE9ELNS1_11target_archE1100ELNS1_3gpuE3ELNS1_3repE0EEENS1_30default_config_static_selectorELNS0_4arch9wavefront6targetE1EEEvSW_.private_seg_size, 0
	.set _ZN7rocprim17ROCPRIM_400000_NS6detail17trampoline_kernelINS0_14default_configENS1_22reduce_config_selectorIlEEZNS1_11reduce_implILb1ES3_N6thrust23THRUST_200600_302600_NS11hip_rocprim26transform_input_iterator_tIlNS8_12zip_iteratorINS8_5tupleINS8_6detail15normal_iteratorINS8_10device_ptrIyEEEESH_NS8_9null_typeESI_SI_SI_SI_SI_SI_SI_EEEENS9_21zip_adj_not_predicateI22is_equal_div_10_uniqueIyEEEEEPllNS8_4plusIlEEEE10hipError_tPvRmT1_T2_T3_mT4_P12ihipStream_tbEUlT_E1_NS1_11comp_targetILNS1_3genE9ELNS1_11target_archE1100ELNS1_3gpuE3ELNS1_3repE0EEENS1_30default_config_static_selectorELNS0_4arch9wavefront6targetE1EEEvSW_.uses_vcc, 0
	.set _ZN7rocprim17ROCPRIM_400000_NS6detail17trampoline_kernelINS0_14default_configENS1_22reduce_config_selectorIlEEZNS1_11reduce_implILb1ES3_N6thrust23THRUST_200600_302600_NS11hip_rocprim26transform_input_iterator_tIlNS8_12zip_iteratorINS8_5tupleINS8_6detail15normal_iteratorINS8_10device_ptrIyEEEESH_NS8_9null_typeESI_SI_SI_SI_SI_SI_SI_EEEENS9_21zip_adj_not_predicateI22is_equal_div_10_uniqueIyEEEEEPllNS8_4plusIlEEEE10hipError_tPvRmT1_T2_T3_mT4_P12ihipStream_tbEUlT_E1_NS1_11comp_targetILNS1_3genE9ELNS1_11target_archE1100ELNS1_3gpuE3ELNS1_3repE0EEENS1_30default_config_static_selectorELNS0_4arch9wavefront6targetE1EEEvSW_.uses_flat_scratch, 0
	.set _ZN7rocprim17ROCPRIM_400000_NS6detail17trampoline_kernelINS0_14default_configENS1_22reduce_config_selectorIlEEZNS1_11reduce_implILb1ES3_N6thrust23THRUST_200600_302600_NS11hip_rocprim26transform_input_iterator_tIlNS8_12zip_iteratorINS8_5tupleINS8_6detail15normal_iteratorINS8_10device_ptrIyEEEESH_NS8_9null_typeESI_SI_SI_SI_SI_SI_SI_EEEENS9_21zip_adj_not_predicateI22is_equal_div_10_uniqueIyEEEEEPllNS8_4plusIlEEEE10hipError_tPvRmT1_T2_T3_mT4_P12ihipStream_tbEUlT_E1_NS1_11comp_targetILNS1_3genE9ELNS1_11target_archE1100ELNS1_3gpuE3ELNS1_3repE0EEENS1_30default_config_static_selectorELNS0_4arch9wavefront6targetE1EEEvSW_.has_dyn_sized_stack, 0
	.set _ZN7rocprim17ROCPRIM_400000_NS6detail17trampoline_kernelINS0_14default_configENS1_22reduce_config_selectorIlEEZNS1_11reduce_implILb1ES3_N6thrust23THRUST_200600_302600_NS11hip_rocprim26transform_input_iterator_tIlNS8_12zip_iteratorINS8_5tupleINS8_6detail15normal_iteratorINS8_10device_ptrIyEEEESH_NS8_9null_typeESI_SI_SI_SI_SI_SI_SI_EEEENS9_21zip_adj_not_predicateI22is_equal_div_10_uniqueIyEEEEEPllNS8_4plusIlEEEE10hipError_tPvRmT1_T2_T3_mT4_P12ihipStream_tbEUlT_E1_NS1_11comp_targetILNS1_3genE9ELNS1_11target_archE1100ELNS1_3gpuE3ELNS1_3repE0EEENS1_30default_config_static_selectorELNS0_4arch9wavefront6targetE1EEEvSW_.has_recursion, 0
	.set _ZN7rocprim17ROCPRIM_400000_NS6detail17trampoline_kernelINS0_14default_configENS1_22reduce_config_selectorIlEEZNS1_11reduce_implILb1ES3_N6thrust23THRUST_200600_302600_NS11hip_rocprim26transform_input_iterator_tIlNS8_12zip_iteratorINS8_5tupleINS8_6detail15normal_iteratorINS8_10device_ptrIyEEEESH_NS8_9null_typeESI_SI_SI_SI_SI_SI_SI_EEEENS9_21zip_adj_not_predicateI22is_equal_div_10_uniqueIyEEEEEPllNS8_4plusIlEEEE10hipError_tPvRmT1_T2_T3_mT4_P12ihipStream_tbEUlT_E1_NS1_11comp_targetILNS1_3genE9ELNS1_11target_archE1100ELNS1_3gpuE3ELNS1_3repE0EEENS1_30default_config_static_selectorELNS0_4arch9wavefront6targetE1EEEvSW_.has_indirect_call, 0
	.section	.AMDGPU.csdata,"",@progbits
; Kernel info:
; codeLenInByte = 0
; TotalNumSgprs: 4
; NumVgprs: 0
; ScratchSize: 0
; MemoryBound: 0
; FloatMode: 240
; IeeeMode: 1
; LDSByteSize: 0 bytes/workgroup (compile time only)
; SGPRBlocks: 0
; VGPRBlocks: 0
; NumSGPRsForWavesPerEU: 4
; NumVGPRsForWavesPerEU: 1
; Occupancy: 10
; WaveLimiterHint : 0
; COMPUTE_PGM_RSRC2:SCRATCH_EN: 0
; COMPUTE_PGM_RSRC2:USER_SGPR: 6
; COMPUTE_PGM_RSRC2:TRAP_HANDLER: 0
; COMPUTE_PGM_RSRC2:TGID_X_EN: 1
; COMPUTE_PGM_RSRC2:TGID_Y_EN: 0
; COMPUTE_PGM_RSRC2:TGID_Z_EN: 0
; COMPUTE_PGM_RSRC2:TIDIG_COMP_CNT: 0
	.section	.text._ZN7rocprim17ROCPRIM_400000_NS6detail17trampoline_kernelINS0_14default_configENS1_22reduce_config_selectorIlEEZNS1_11reduce_implILb1ES3_N6thrust23THRUST_200600_302600_NS11hip_rocprim26transform_input_iterator_tIlNS8_12zip_iteratorINS8_5tupleINS8_6detail15normal_iteratorINS8_10device_ptrIyEEEESH_NS8_9null_typeESI_SI_SI_SI_SI_SI_SI_EEEENS9_21zip_adj_not_predicateI22is_equal_div_10_uniqueIyEEEEEPllNS8_4plusIlEEEE10hipError_tPvRmT1_T2_T3_mT4_P12ihipStream_tbEUlT_E1_NS1_11comp_targetILNS1_3genE8ELNS1_11target_archE1030ELNS1_3gpuE2ELNS1_3repE0EEENS1_30default_config_static_selectorELNS0_4arch9wavefront6targetE1EEEvSW_,"axG",@progbits,_ZN7rocprim17ROCPRIM_400000_NS6detail17trampoline_kernelINS0_14default_configENS1_22reduce_config_selectorIlEEZNS1_11reduce_implILb1ES3_N6thrust23THRUST_200600_302600_NS11hip_rocprim26transform_input_iterator_tIlNS8_12zip_iteratorINS8_5tupleINS8_6detail15normal_iteratorINS8_10device_ptrIyEEEESH_NS8_9null_typeESI_SI_SI_SI_SI_SI_SI_EEEENS9_21zip_adj_not_predicateI22is_equal_div_10_uniqueIyEEEEEPllNS8_4plusIlEEEE10hipError_tPvRmT1_T2_T3_mT4_P12ihipStream_tbEUlT_E1_NS1_11comp_targetILNS1_3genE8ELNS1_11target_archE1030ELNS1_3gpuE2ELNS1_3repE0EEENS1_30default_config_static_selectorELNS0_4arch9wavefront6targetE1EEEvSW_,comdat
	.protected	_ZN7rocprim17ROCPRIM_400000_NS6detail17trampoline_kernelINS0_14default_configENS1_22reduce_config_selectorIlEEZNS1_11reduce_implILb1ES3_N6thrust23THRUST_200600_302600_NS11hip_rocprim26transform_input_iterator_tIlNS8_12zip_iteratorINS8_5tupleINS8_6detail15normal_iteratorINS8_10device_ptrIyEEEESH_NS8_9null_typeESI_SI_SI_SI_SI_SI_SI_EEEENS9_21zip_adj_not_predicateI22is_equal_div_10_uniqueIyEEEEEPllNS8_4plusIlEEEE10hipError_tPvRmT1_T2_T3_mT4_P12ihipStream_tbEUlT_E1_NS1_11comp_targetILNS1_3genE8ELNS1_11target_archE1030ELNS1_3gpuE2ELNS1_3repE0EEENS1_30default_config_static_selectorELNS0_4arch9wavefront6targetE1EEEvSW_ ; -- Begin function _ZN7rocprim17ROCPRIM_400000_NS6detail17trampoline_kernelINS0_14default_configENS1_22reduce_config_selectorIlEEZNS1_11reduce_implILb1ES3_N6thrust23THRUST_200600_302600_NS11hip_rocprim26transform_input_iterator_tIlNS8_12zip_iteratorINS8_5tupleINS8_6detail15normal_iteratorINS8_10device_ptrIyEEEESH_NS8_9null_typeESI_SI_SI_SI_SI_SI_SI_EEEENS9_21zip_adj_not_predicateI22is_equal_div_10_uniqueIyEEEEEPllNS8_4plusIlEEEE10hipError_tPvRmT1_T2_T3_mT4_P12ihipStream_tbEUlT_E1_NS1_11comp_targetILNS1_3genE8ELNS1_11target_archE1030ELNS1_3gpuE2ELNS1_3repE0EEENS1_30default_config_static_selectorELNS0_4arch9wavefront6targetE1EEEvSW_
	.globl	_ZN7rocprim17ROCPRIM_400000_NS6detail17trampoline_kernelINS0_14default_configENS1_22reduce_config_selectorIlEEZNS1_11reduce_implILb1ES3_N6thrust23THRUST_200600_302600_NS11hip_rocprim26transform_input_iterator_tIlNS8_12zip_iteratorINS8_5tupleINS8_6detail15normal_iteratorINS8_10device_ptrIyEEEESH_NS8_9null_typeESI_SI_SI_SI_SI_SI_SI_EEEENS9_21zip_adj_not_predicateI22is_equal_div_10_uniqueIyEEEEEPllNS8_4plusIlEEEE10hipError_tPvRmT1_T2_T3_mT4_P12ihipStream_tbEUlT_E1_NS1_11comp_targetILNS1_3genE8ELNS1_11target_archE1030ELNS1_3gpuE2ELNS1_3repE0EEENS1_30default_config_static_selectorELNS0_4arch9wavefront6targetE1EEEvSW_
	.p2align	8
	.type	_ZN7rocprim17ROCPRIM_400000_NS6detail17trampoline_kernelINS0_14default_configENS1_22reduce_config_selectorIlEEZNS1_11reduce_implILb1ES3_N6thrust23THRUST_200600_302600_NS11hip_rocprim26transform_input_iterator_tIlNS8_12zip_iteratorINS8_5tupleINS8_6detail15normal_iteratorINS8_10device_ptrIyEEEESH_NS8_9null_typeESI_SI_SI_SI_SI_SI_SI_EEEENS9_21zip_adj_not_predicateI22is_equal_div_10_uniqueIyEEEEEPllNS8_4plusIlEEEE10hipError_tPvRmT1_T2_T3_mT4_P12ihipStream_tbEUlT_E1_NS1_11comp_targetILNS1_3genE8ELNS1_11target_archE1030ELNS1_3gpuE2ELNS1_3repE0EEENS1_30default_config_static_selectorELNS0_4arch9wavefront6targetE1EEEvSW_,@function
_ZN7rocprim17ROCPRIM_400000_NS6detail17trampoline_kernelINS0_14default_configENS1_22reduce_config_selectorIlEEZNS1_11reduce_implILb1ES3_N6thrust23THRUST_200600_302600_NS11hip_rocprim26transform_input_iterator_tIlNS8_12zip_iteratorINS8_5tupleINS8_6detail15normal_iteratorINS8_10device_ptrIyEEEESH_NS8_9null_typeESI_SI_SI_SI_SI_SI_SI_EEEENS9_21zip_adj_not_predicateI22is_equal_div_10_uniqueIyEEEEEPllNS8_4plusIlEEEE10hipError_tPvRmT1_T2_T3_mT4_P12ihipStream_tbEUlT_E1_NS1_11comp_targetILNS1_3genE8ELNS1_11target_archE1030ELNS1_3gpuE2ELNS1_3repE0EEENS1_30default_config_static_selectorELNS0_4arch9wavefront6targetE1EEEvSW_: ; @_ZN7rocprim17ROCPRIM_400000_NS6detail17trampoline_kernelINS0_14default_configENS1_22reduce_config_selectorIlEEZNS1_11reduce_implILb1ES3_N6thrust23THRUST_200600_302600_NS11hip_rocprim26transform_input_iterator_tIlNS8_12zip_iteratorINS8_5tupleINS8_6detail15normal_iteratorINS8_10device_ptrIyEEEESH_NS8_9null_typeESI_SI_SI_SI_SI_SI_SI_EEEENS9_21zip_adj_not_predicateI22is_equal_div_10_uniqueIyEEEEEPllNS8_4plusIlEEEE10hipError_tPvRmT1_T2_T3_mT4_P12ihipStream_tbEUlT_E1_NS1_11comp_targetILNS1_3genE8ELNS1_11target_archE1030ELNS1_3gpuE2ELNS1_3repE0EEENS1_30default_config_static_selectorELNS0_4arch9wavefront6targetE1EEEvSW_
; %bb.0:
	.section	.rodata,"a",@progbits
	.p2align	6, 0x0
	.amdhsa_kernel _ZN7rocprim17ROCPRIM_400000_NS6detail17trampoline_kernelINS0_14default_configENS1_22reduce_config_selectorIlEEZNS1_11reduce_implILb1ES3_N6thrust23THRUST_200600_302600_NS11hip_rocprim26transform_input_iterator_tIlNS8_12zip_iteratorINS8_5tupleINS8_6detail15normal_iteratorINS8_10device_ptrIyEEEESH_NS8_9null_typeESI_SI_SI_SI_SI_SI_SI_EEEENS9_21zip_adj_not_predicateI22is_equal_div_10_uniqueIyEEEEEPllNS8_4plusIlEEEE10hipError_tPvRmT1_T2_T3_mT4_P12ihipStream_tbEUlT_E1_NS1_11comp_targetILNS1_3genE8ELNS1_11target_archE1030ELNS1_3gpuE2ELNS1_3repE0EEENS1_30default_config_static_selectorELNS0_4arch9wavefront6targetE1EEEvSW_
		.amdhsa_group_segment_fixed_size 0
		.amdhsa_private_segment_fixed_size 0
		.amdhsa_kernarg_size 64
		.amdhsa_user_sgpr_count 6
		.amdhsa_user_sgpr_private_segment_buffer 1
		.amdhsa_user_sgpr_dispatch_ptr 0
		.amdhsa_user_sgpr_queue_ptr 0
		.amdhsa_user_sgpr_kernarg_segment_ptr 1
		.amdhsa_user_sgpr_dispatch_id 0
		.amdhsa_user_sgpr_flat_scratch_init 0
		.amdhsa_user_sgpr_private_segment_size 0
		.amdhsa_uses_dynamic_stack 0
		.amdhsa_system_sgpr_private_segment_wavefront_offset 0
		.amdhsa_system_sgpr_workgroup_id_x 1
		.amdhsa_system_sgpr_workgroup_id_y 0
		.amdhsa_system_sgpr_workgroup_id_z 0
		.amdhsa_system_sgpr_workgroup_info 0
		.amdhsa_system_vgpr_workitem_id 0
		.amdhsa_next_free_vgpr 1
		.amdhsa_next_free_sgpr 0
		.amdhsa_reserve_vcc 0
		.amdhsa_reserve_flat_scratch 0
		.amdhsa_float_round_mode_32 0
		.amdhsa_float_round_mode_16_64 0
		.amdhsa_float_denorm_mode_32 3
		.amdhsa_float_denorm_mode_16_64 3
		.amdhsa_dx10_clamp 1
		.amdhsa_ieee_mode 1
		.amdhsa_fp16_overflow 0
		.amdhsa_exception_fp_ieee_invalid_op 0
		.amdhsa_exception_fp_denorm_src 0
		.amdhsa_exception_fp_ieee_div_zero 0
		.amdhsa_exception_fp_ieee_overflow 0
		.amdhsa_exception_fp_ieee_underflow 0
		.amdhsa_exception_fp_ieee_inexact 0
		.amdhsa_exception_int_div_zero 0
	.end_amdhsa_kernel
	.section	.text._ZN7rocprim17ROCPRIM_400000_NS6detail17trampoline_kernelINS0_14default_configENS1_22reduce_config_selectorIlEEZNS1_11reduce_implILb1ES3_N6thrust23THRUST_200600_302600_NS11hip_rocprim26transform_input_iterator_tIlNS8_12zip_iteratorINS8_5tupleINS8_6detail15normal_iteratorINS8_10device_ptrIyEEEESH_NS8_9null_typeESI_SI_SI_SI_SI_SI_SI_EEEENS9_21zip_adj_not_predicateI22is_equal_div_10_uniqueIyEEEEEPllNS8_4plusIlEEEE10hipError_tPvRmT1_T2_T3_mT4_P12ihipStream_tbEUlT_E1_NS1_11comp_targetILNS1_3genE8ELNS1_11target_archE1030ELNS1_3gpuE2ELNS1_3repE0EEENS1_30default_config_static_selectorELNS0_4arch9wavefront6targetE1EEEvSW_,"axG",@progbits,_ZN7rocprim17ROCPRIM_400000_NS6detail17trampoline_kernelINS0_14default_configENS1_22reduce_config_selectorIlEEZNS1_11reduce_implILb1ES3_N6thrust23THRUST_200600_302600_NS11hip_rocprim26transform_input_iterator_tIlNS8_12zip_iteratorINS8_5tupleINS8_6detail15normal_iteratorINS8_10device_ptrIyEEEESH_NS8_9null_typeESI_SI_SI_SI_SI_SI_SI_EEEENS9_21zip_adj_not_predicateI22is_equal_div_10_uniqueIyEEEEEPllNS8_4plusIlEEEE10hipError_tPvRmT1_T2_T3_mT4_P12ihipStream_tbEUlT_E1_NS1_11comp_targetILNS1_3genE8ELNS1_11target_archE1030ELNS1_3gpuE2ELNS1_3repE0EEENS1_30default_config_static_selectorELNS0_4arch9wavefront6targetE1EEEvSW_,comdat
.Lfunc_end850:
	.size	_ZN7rocprim17ROCPRIM_400000_NS6detail17trampoline_kernelINS0_14default_configENS1_22reduce_config_selectorIlEEZNS1_11reduce_implILb1ES3_N6thrust23THRUST_200600_302600_NS11hip_rocprim26transform_input_iterator_tIlNS8_12zip_iteratorINS8_5tupleINS8_6detail15normal_iteratorINS8_10device_ptrIyEEEESH_NS8_9null_typeESI_SI_SI_SI_SI_SI_SI_EEEENS9_21zip_adj_not_predicateI22is_equal_div_10_uniqueIyEEEEEPllNS8_4plusIlEEEE10hipError_tPvRmT1_T2_T3_mT4_P12ihipStream_tbEUlT_E1_NS1_11comp_targetILNS1_3genE8ELNS1_11target_archE1030ELNS1_3gpuE2ELNS1_3repE0EEENS1_30default_config_static_selectorELNS0_4arch9wavefront6targetE1EEEvSW_, .Lfunc_end850-_ZN7rocprim17ROCPRIM_400000_NS6detail17trampoline_kernelINS0_14default_configENS1_22reduce_config_selectorIlEEZNS1_11reduce_implILb1ES3_N6thrust23THRUST_200600_302600_NS11hip_rocprim26transform_input_iterator_tIlNS8_12zip_iteratorINS8_5tupleINS8_6detail15normal_iteratorINS8_10device_ptrIyEEEESH_NS8_9null_typeESI_SI_SI_SI_SI_SI_SI_EEEENS9_21zip_adj_not_predicateI22is_equal_div_10_uniqueIyEEEEEPllNS8_4plusIlEEEE10hipError_tPvRmT1_T2_T3_mT4_P12ihipStream_tbEUlT_E1_NS1_11comp_targetILNS1_3genE8ELNS1_11target_archE1030ELNS1_3gpuE2ELNS1_3repE0EEENS1_30default_config_static_selectorELNS0_4arch9wavefront6targetE1EEEvSW_
                                        ; -- End function
	.set _ZN7rocprim17ROCPRIM_400000_NS6detail17trampoline_kernelINS0_14default_configENS1_22reduce_config_selectorIlEEZNS1_11reduce_implILb1ES3_N6thrust23THRUST_200600_302600_NS11hip_rocprim26transform_input_iterator_tIlNS8_12zip_iteratorINS8_5tupleINS8_6detail15normal_iteratorINS8_10device_ptrIyEEEESH_NS8_9null_typeESI_SI_SI_SI_SI_SI_SI_EEEENS9_21zip_adj_not_predicateI22is_equal_div_10_uniqueIyEEEEEPllNS8_4plusIlEEEE10hipError_tPvRmT1_T2_T3_mT4_P12ihipStream_tbEUlT_E1_NS1_11comp_targetILNS1_3genE8ELNS1_11target_archE1030ELNS1_3gpuE2ELNS1_3repE0EEENS1_30default_config_static_selectorELNS0_4arch9wavefront6targetE1EEEvSW_.num_vgpr, 0
	.set _ZN7rocprim17ROCPRIM_400000_NS6detail17trampoline_kernelINS0_14default_configENS1_22reduce_config_selectorIlEEZNS1_11reduce_implILb1ES3_N6thrust23THRUST_200600_302600_NS11hip_rocprim26transform_input_iterator_tIlNS8_12zip_iteratorINS8_5tupleINS8_6detail15normal_iteratorINS8_10device_ptrIyEEEESH_NS8_9null_typeESI_SI_SI_SI_SI_SI_SI_EEEENS9_21zip_adj_not_predicateI22is_equal_div_10_uniqueIyEEEEEPllNS8_4plusIlEEEE10hipError_tPvRmT1_T2_T3_mT4_P12ihipStream_tbEUlT_E1_NS1_11comp_targetILNS1_3genE8ELNS1_11target_archE1030ELNS1_3gpuE2ELNS1_3repE0EEENS1_30default_config_static_selectorELNS0_4arch9wavefront6targetE1EEEvSW_.num_agpr, 0
	.set _ZN7rocprim17ROCPRIM_400000_NS6detail17trampoline_kernelINS0_14default_configENS1_22reduce_config_selectorIlEEZNS1_11reduce_implILb1ES3_N6thrust23THRUST_200600_302600_NS11hip_rocprim26transform_input_iterator_tIlNS8_12zip_iteratorINS8_5tupleINS8_6detail15normal_iteratorINS8_10device_ptrIyEEEESH_NS8_9null_typeESI_SI_SI_SI_SI_SI_SI_EEEENS9_21zip_adj_not_predicateI22is_equal_div_10_uniqueIyEEEEEPllNS8_4plusIlEEEE10hipError_tPvRmT1_T2_T3_mT4_P12ihipStream_tbEUlT_E1_NS1_11comp_targetILNS1_3genE8ELNS1_11target_archE1030ELNS1_3gpuE2ELNS1_3repE0EEENS1_30default_config_static_selectorELNS0_4arch9wavefront6targetE1EEEvSW_.numbered_sgpr, 0
	.set _ZN7rocprim17ROCPRIM_400000_NS6detail17trampoline_kernelINS0_14default_configENS1_22reduce_config_selectorIlEEZNS1_11reduce_implILb1ES3_N6thrust23THRUST_200600_302600_NS11hip_rocprim26transform_input_iterator_tIlNS8_12zip_iteratorINS8_5tupleINS8_6detail15normal_iteratorINS8_10device_ptrIyEEEESH_NS8_9null_typeESI_SI_SI_SI_SI_SI_SI_EEEENS9_21zip_adj_not_predicateI22is_equal_div_10_uniqueIyEEEEEPllNS8_4plusIlEEEE10hipError_tPvRmT1_T2_T3_mT4_P12ihipStream_tbEUlT_E1_NS1_11comp_targetILNS1_3genE8ELNS1_11target_archE1030ELNS1_3gpuE2ELNS1_3repE0EEENS1_30default_config_static_selectorELNS0_4arch9wavefront6targetE1EEEvSW_.num_named_barrier, 0
	.set _ZN7rocprim17ROCPRIM_400000_NS6detail17trampoline_kernelINS0_14default_configENS1_22reduce_config_selectorIlEEZNS1_11reduce_implILb1ES3_N6thrust23THRUST_200600_302600_NS11hip_rocprim26transform_input_iterator_tIlNS8_12zip_iteratorINS8_5tupleINS8_6detail15normal_iteratorINS8_10device_ptrIyEEEESH_NS8_9null_typeESI_SI_SI_SI_SI_SI_SI_EEEENS9_21zip_adj_not_predicateI22is_equal_div_10_uniqueIyEEEEEPllNS8_4plusIlEEEE10hipError_tPvRmT1_T2_T3_mT4_P12ihipStream_tbEUlT_E1_NS1_11comp_targetILNS1_3genE8ELNS1_11target_archE1030ELNS1_3gpuE2ELNS1_3repE0EEENS1_30default_config_static_selectorELNS0_4arch9wavefront6targetE1EEEvSW_.private_seg_size, 0
	.set _ZN7rocprim17ROCPRIM_400000_NS6detail17trampoline_kernelINS0_14default_configENS1_22reduce_config_selectorIlEEZNS1_11reduce_implILb1ES3_N6thrust23THRUST_200600_302600_NS11hip_rocprim26transform_input_iterator_tIlNS8_12zip_iteratorINS8_5tupleINS8_6detail15normal_iteratorINS8_10device_ptrIyEEEESH_NS8_9null_typeESI_SI_SI_SI_SI_SI_SI_EEEENS9_21zip_adj_not_predicateI22is_equal_div_10_uniqueIyEEEEEPllNS8_4plusIlEEEE10hipError_tPvRmT1_T2_T3_mT4_P12ihipStream_tbEUlT_E1_NS1_11comp_targetILNS1_3genE8ELNS1_11target_archE1030ELNS1_3gpuE2ELNS1_3repE0EEENS1_30default_config_static_selectorELNS0_4arch9wavefront6targetE1EEEvSW_.uses_vcc, 0
	.set _ZN7rocprim17ROCPRIM_400000_NS6detail17trampoline_kernelINS0_14default_configENS1_22reduce_config_selectorIlEEZNS1_11reduce_implILb1ES3_N6thrust23THRUST_200600_302600_NS11hip_rocprim26transform_input_iterator_tIlNS8_12zip_iteratorINS8_5tupleINS8_6detail15normal_iteratorINS8_10device_ptrIyEEEESH_NS8_9null_typeESI_SI_SI_SI_SI_SI_SI_EEEENS9_21zip_adj_not_predicateI22is_equal_div_10_uniqueIyEEEEEPllNS8_4plusIlEEEE10hipError_tPvRmT1_T2_T3_mT4_P12ihipStream_tbEUlT_E1_NS1_11comp_targetILNS1_3genE8ELNS1_11target_archE1030ELNS1_3gpuE2ELNS1_3repE0EEENS1_30default_config_static_selectorELNS0_4arch9wavefront6targetE1EEEvSW_.uses_flat_scratch, 0
	.set _ZN7rocprim17ROCPRIM_400000_NS6detail17trampoline_kernelINS0_14default_configENS1_22reduce_config_selectorIlEEZNS1_11reduce_implILb1ES3_N6thrust23THRUST_200600_302600_NS11hip_rocprim26transform_input_iterator_tIlNS8_12zip_iteratorINS8_5tupleINS8_6detail15normal_iteratorINS8_10device_ptrIyEEEESH_NS8_9null_typeESI_SI_SI_SI_SI_SI_SI_EEEENS9_21zip_adj_not_predicateI22is_equal_div_10_uniqueIyEEEEEPllNS8_4plusIlEEEE10hipError_tPvRmT1_T2_T3_mT4_P12ihipStream_tbEUlT_E1_NS1_11comp_targetILNS1_3genE8ELNS1_11target_archE1030ELNS1_3gpuE2ELNS1_3repE0EEENS1_30default_config_static_selectorELNS0_4arch9wavefront6targetE1EEEvSW_.has_dyn_sized_stack, 0
	.set _ZN7rocprim17ROCPRIM_400000_NS6detail17trampoline_kernelINS0_14default_configENS1_22reduce_config_selectorIlEEZNS1_11reduce_implILb1ES3_N6thrust23THRUST_200600_302600_NS11hip_rocprim26transform_input_iterator_tIlNS8_12zip_iteratorINS8_5tupleINS8_6detail15normal_iteratorINS8_10device_ptrIyEEEESH_NS8_9null_typeESI_SI_SI_SI_SI_SI_SI_EEEENS9_21zip_adj_not_predicateI22is_equal_div_10_uniqueIyEEEEEPllNS8_4plusIlEEEE10hipError_tPvRmT1_T2_T3_mT4_P12ihipStream_tbEUlT_E1_NS1_11comp_targetILNS1_3genE8ELNS1_11target_archE1030ELNS1_3gpuE2ELNS1_3repE0EEENS1_30default_config_static_selectorELNS0_4arch9wavefront6targetE1EEEvSW_.has_recursion, 0
	.set _ZN7rocprim17ROCPRIM_400000_NS6detail17trampoline_kernelINS0_14default_configENS1_22reduce_config_selectorIlEEZNS1_11reduce_implILb1ES3_N6thrust23THRUST_200600_302600_NS11hip_rocprim26transform_input_iterator_tIlNS8_12zip_iteratorINS8_5tupleINS8_6detail15normal_iteratorINS8_10device_ptrIyEEEESH_NS8_9null_typeESI_SI_SI_SI_SI_SI_SI_EEEENS9_21zip_adj_not_predicateI22is_equal_div_10_uniqueIyEEEEEPllNS8_4plusIlEEEE10hipError_tPvRmT1_T2_T3_mT4_P12ihipStream_tbEUlT_E1_NS1_11comp_targetILNS1_3genE8ELNS1_11target_archE1030ELNS1_3gpuE2ELNS1_3repE0EEENS1_30default_config_static_selectorELNS0_4arch9wavefront6targetE1EEEvSW_.has_indirect_call, 0
	.section	.AMDGPU.csdata,"",@progbits
; Kernel info:
; codeLenInByte = 0
; TotalNumSgprs: 4
; NumVgprs: 0
; ScratchSize: 0
; MemoryBound: 0
; FloatMode: 240
; IeeeMode: 1
; LDSByteSize: 0 bytes/workgroup (compile time only)
; SGPRBlocks: 0
; VGPRBlocks: 0
; NumSGPRsForWavesPerEU: 4
; NumVGPRsForWavesPerEU: 1
; Occupancy: 10
; WaveLimiterHint : 0
; COMPUTE_PGM_RSRC2:SCRATCH_EN: 0
; COMPUTE_PGM_RSRC2:USER_SGPR: 6
; COMPUTE_PGM_RSRC2:TRAP_HANDLER: 0
; COMPUTE_PGM_RSRC2:TGID_X_EN: 1
; COMPUTE_PGM_RSRC2:TGID_Y_EN: 0
; COMPUTE_PGM_RSRC2:TGID_Z_EN: 0
; COMPUTE_PGM_RSRC2:TIDIG_COMP_CNT: 0
	.section	.text._ZN7rocprim17ROCPRIM_400000_NS6detail17trampoline_kernelINS0_14default_configENS1_22reduce_config_selectorIlEEZNS1_11reduce_implILb1ES3_N6thrust23THRUST_200600_302600_NS11hip_rocprim26transform_input_iterator_tIlNS8_12zip_iteratorINS8_5tupleINS8_6detail15normal_iteratorINS8_10device_ptrIjEEEESH_NS8_9null_typeESI_SI_SI_SI_SI_SI_SI_EEEENS9_21zip_adj_not_predicateINS8_8equal_toIjEEEEEEPllNS8_4plusIlEEEE10hipError_tPvRmT1_T2_T3_mT4_P12ihipStream_tbEUlT_E0_NS1_11comp_targetILNS1_3genE0ELNS1_11target_archE4294967295ELNS1_3gpuE0ELNS1_3repE0EEENS1_30default_config_static_selectorELNS0_4arch9wavefront6targetE1EEEvSW_,"axG",@progbits,_ZN7rocprim17ROCPRIM_400000_NS6detail17trampoline_kernelINS0_14default_configENS1_22reduce_config_selectorIlEEZNS1_11reduce_implILb1ES3_N6thrust23THRUST_200600_302600_NS11hip_rocprim26transform_input_iterator_tIlNS8_12zip_iteratorINS8_5tupleINS8_6detail15normal_iteratorINS8_10device_ptrIjEEEESH_NS8_9null_typeESI_SI_SI_SI_SI_SI_SI_EEEENS9_21zip_adj_not_predicateINS8_8equal_toIjEEEEEEPllNS8_4plusIlEEEE10hipError_tPvRmT1_T2_T3_mT4_P12ihipStream_tbEUlT_E0_NS1_11comp_targetILNS1_3genE0ELNS1_11target_archE4294967295ELNS1_3gpuE0ELNS1_3repE0EEENS1_30default_config_static_selectorELNS0_4arch9wavefront6targetE1EEEvSW_,comdat
	.protected	_ZN7rocprim17ROCPRIM_400000_NS6detail17trampoline_kernelINS0_14default_configENS1_22reduce_config_selectorIlEEZNS1_11reduce_implILb1ES3_N6thrust23THRUST_200600_302600_NS11hip_rocprim26transform_input_iterator_tIlNS8_12zip_iteratorINS8_5tupleINS8_6detail15normal_iteratorINS8_10device_ptrIjEEEESH_NS8_9null_typeESI_SI_SI_SI_SI_SI_SI_EEEENS9_21zip_adj_not_predicateINS8_8equal_toIjEEEEEEPllNS8_4plusIlEEEE10hipError_tPvRmT1_T2_T3_mT4_P12ihipStream_tbEUlT_E0_NS1_11comp_targetILNS1_3genE0ELNS1_11target_archE4294967295ELNS1_3gpuE0ELNS1_3repE0EEENS1_30default_config_static_selectorELNS0_4arch9wavefront6targetE1EEEvSW_ ; -- Begin function _ZN7rocprim17ROCPRIM_400000_NS6detail17trampoline_kernelINS0_14default_configENS1_22reduce_config_selectorIlEEZNS1_11reduce_implILb1ES3_N6thrust23THRUST_200600_302600_NS11hip_rocprim26transform_input_iterator_tIlNS8_12zip_iteratorINS8_5tupleINS8_6detail15normal_iteratorINS8_10device_ptrIjEEEESH_NS8_9null_typeESI_SI_SI_SI_SI_SI_SI_EEEENS9_21zip_adj_not_predicateINS8_8equal_toIjEEEEEEPllNS8_4plusIlEEEE10hipError_tPvRmT1_T2_T3_mT4_P12ihipStream_tbEUlT_E0_NS1_11comp_targetILNS1_3genE0ELNS1_11target_archE4294967295ELNS1_3gpuE0ELNS1_3repE0EEENS1_30default_config_static_selectorELNS0_4arch9wavefront6targetE1EEEvSW_
	.globl	_ZN7rocprim17ROCPRIM_400000_NS6detail17trampoline_kernelINS0_14default_configENS1_22reduce_config_selectorIlEEZNS1_11reduce_implILb1ES3_N6thrust23THRUST_200600_302600_NS11hip_rocprim26transform_input_iterator_tIlNS8_12zip_iteratorINS8_5tupleINS8_6detail15normal_iteratorINS8_10device_ptrIjEEEESH_NS8_9null_typeESI_SI_SI_SI_SI_SI_SI_EEEENS9_21zip_adj_not_predicateINS8_8equal_toIjEEEEEEPllNS8_4plusIlEEEE10hipError_tPvRmT1_T2_T3_mT4_P12ihipStream_tbEUlT_E0_NS1_11comp_targetILNS1_3genE0ELNS1_11target_archE4294967295ELNS1_3gpuE0ELNS1_3repE0EEENS1_30default_config_static_selectorELNS0_4arch9wavefront6targetE1EEEvSW_
	.p2align	8
	.type	_ZN7rocprim17ROCPRIM_400000_NS6detail17trampoline_kernelINS0_14default_configENS1_22reduce_config_selectorIlEEZNS1_11reduce_implILb1ES3_N6thrust23THRUST_200600_302600_NS11hip_rocprim26transform_input_iterator_tIlNS8_12zip_iteratorINS8_5tupleINS8_6detail15normal_iteratorINS8_10device_ptrIjEEEESH_NS8_9null_typeESI_SI_SI_SI_SI_SI_SI_EEEENS9_21zip_adj_not_predicateINS8_8equal_toIjEEEEEEPllNS8_4plusIlEEEE10hipError_tPvRmT1_T2_T3_mT4_P12ihipStream_tbEUlT_E0_NS1_11comp_targetILNS1_3genE0ELNS1_11target_archE4294967295ELNS1_3gpuE0ELNS1_3repE0EEENS1_30default_config_static_selectorELNS0_4arch9wavefront6targetE1EEEvSW_,@function
_ZN7rocprim17ROCPRIM_400000_NS6detail17trampoline_kernelINS0_14default_configENS1_22reduce_config_selectorIlEEZNS1_11reduce_implILb1ES3_N6thrust23THRUST_200600_302600_NS11hip_rocprim26transform_input_iterator_tIlNS8_12zip_iteratorINS8_5tupleINS8_6detail15normal_iteratorINS8_10device_ptrIjEEEESH_NS8_9null_typeESI_SI_SI_SI_SI_SI_SI_EEEENS9_21zip_adj_not_predicateINS8_8equal_toIjEEEEEEPllNS8_4plusIlEEEE10hipError_tPvRmT1_T2_T3_mT4_P12ihipStream_tbEUlT_E0_NS1_11comp_targetILNS1_3genE0ELNS1_11target_archE4294967295ELNS1_3gpuE0ELNS1_3repE0EEENS1_30default_config_static_selectorELNS0_4arch9wavefront6targetE1EEEvSW_: ; @_ZN7rocprim17ROCPRIM_400000_NS6detail17trampoline_kernelINS0_14default_configENS1_22reduce_config_selectorIlEEZNS1_11reduce_implILb1ES3_N6thrust23THRUST_200600_302600_NS11hip_rocprim26transform_input_iterator_tIlNS8_12zip_iteratorINS8_5tupleINS8_6detail15normal_iteratorINS8_10device_ptrIjEEEESH_NS8_9null_typeESI_SI_SI_SI_SI_SI_SI_EEEENS9_21zip_adj_not_predicateINS8_8equal_toIjEEEEEEPllNS8_4plusIlEEEE10hipError_tPvRmT1_T2_T3_mT4_P12ihipStream_tbEUlT_E0_NS1_11comp_targetILNS1_3genE0ELNS1_11target_archE4294967295ELNS1_3gpuE0ELNS1_3repE0EEENS1_30default_config_static_selectorELNS0_4arch9wavefront6targetE1EEEvSW_
; %bb.0:
	.section	.rodata,"a",@progbits
	.p2align	6, 0x0
	.amdhsa_kernel _ZN7rocprim17ROCPRIM_400000_NS6detail17trampoline_kernelINS0_14default_configENS1_22reduce_config_selectorIlEEZNS1_11reduce_implILb1ES3_N6thrust23THRUST_200600_302600_NS11hip_rocprim26transform_input_iterator_tIlNS8_12zip_iteratorINS8_5tupleINS8_6detail15normal_iteratorINS8_10device_ptrIjEEEESH_NS8_9null_typeESI_SI_SI_SI_SI_SI_SI_EEEENS9_21zip_adj_not_predicateINS8_8equal_toIjEEEEEEPllNS8_4plusIlEEEE10hipError_tPvRmT1_T2_T3_mT4_P12ihipStream_tbEUlT_E0_NS1_11comp_targetILNS1_3genE0ELNS1_11target_archE4294967295ELNS1_3gpuE0ELNS1_3repE0EEENS1_30default_config_static_selectorELNS0_4arch9wavefront6targetE1EEEvSW_
		.amdhsa_group_segment_fixed_size 0
		.amdhsa_private_segment_fixed_size 0
		.amdhsa_kernarg_size 80
		.amdhsa_user_sgpr_count 6
		.amdhsa_user_sgpr_private_segment_buffer 1
		.amdhsa_user_sgpr_dispatch_ptr 0
		.amdhsa_user_sgpr_queue_ptr 0
		.amdhsa_user_sgpr_kernarg_segment_ptr 1
		.amdhsa_user_sgpr_dispatch_id 0
		.amdhsa_user_sgpr_flat_scratch_init 0
		.amdhsa_user_sgpr_private_segment_size 0
		.amdhsa_uses_dynamic_stack 0
		.amdhsa_system_sgpr_private_segment_wavefront_offset 0
		.amdhsa_system_sgpr_workgroup_id_x 1
		.amdhsa_system_sgpr_workgroup_id_y 0
		.amdhsa_system_sgpr_workgroup_id_z 0
		.amdhsa_system_sgpr_workgroup_info 0
		.amdhsa_system_vgpr_workitem_id 0
		.amdhsa_next_free_vgpr 1
		.amdhsa_next_free_sgpr 0
		.amdhsa_reserve_vcc 0
		.amdhsa_reserve_flat_scratch 0
		.amdhsa_float_round_mode_32 0
		.amdhsa_float_round_mode_16_64 0
		.amdhsa_float_denorm_mode_32 3
		.amdhsa_float_denorm_mode_16_64 3
		.amdhsa_dx10_clamp 1
		.amdhsa_ieee_mode 1
		.amdhsa_fp16_overflow 0
		.amdhsa_exception_fp_ieee_invalid_op 0
		.amdhsa_exception_fp_denorm_src 0
		.amdhsa_exception_fp_ieee_div_zero 0
		.amdhsa_exception_fp_ieee_overflow 0
		.amdhsa_exception_fp_ieee_underflow 0
		.amdhsa_exception_fp_ieee_inexact 0
		.amdhsa_exception_int_div_zero 0
	.end_amdhsa_kernel
	.section	.text._ZN7rocprim17ROCPRIM_400000_NS6detail17trampoline_kernelINS0_14default_configENS1_22reduce_config_selectorIlEEZNS1_11reduce_implILb1ES3_N6thrust23THRUST_200600_302600_NS11hip_rocprim26transform_input_iterator_tIlNS8_12zip_iteratorINS8_5tupleINS8_6detail15normal_iteratorINS8_10device_ptrIjEEEESH_NS8_9null_typeESI_SI_SI_SI_SI_SI_SI_EEEENS9_21zip_adj_not_predicateINS8_8equal_toIjEEEEEEPllNS8_4plusIlEEEE10hipError_tPvRmT1_T2_T3_mT4_P12ihipStream_tbEUlT_E0_NS1_11comp_targetILNS1_3genE0ELNS1_11target_archE4294967295ELNS1_3gpuE0ELNS1_3repE0EEENS1_30default_config_static_selectorELNS0_4arch9wavefront6targetE1EEEvSW_,"axG",@progbits,_ZN7rocprim17ROCPRIM_400000_NS6detail17trampoline_kernelINS0_14default_configENS1_22reduce_config_selectorIlEEZNS1_11reduce_implILb1ES3_N6thrust23THRUST_200600_302600_NS11hip_rocprim26transform_input_iterator_tIlNS8_12zip_iteratorINS8_5tupleINS8_6detail15normal_iteratorINS8_10device_ptrIjEEEESH_NS8_9null_typeESI_SI_SI_SI_SI_SI_SI_EEEENS9_21zip_adj_not_predicateINS8_8equal_toIjEEEEEEPllNS8_4plusIlEEEE10hipError_tPvRmT1_T2_T3_mT4_P12ihipStream_tbEUlT_E0_NS1_11comp_targetILNS1_3genE0ELNS1_11target_archE4294967295ELNS1_3gpuE0ELNS1_3repE0EEENS1_30default_config_static_selectorELNS0_4arch9wavefront6targetE1EEEvSW_,comdat
.Lfunc_end851:
	.size	_ZN7rocprim17ROCPRIM_400000_NS6detail17trampoline_kernelINS0_14default_configENS1_22reduce_config_selectorIlEEZNS1_11reduce_implILb1ES3_N6thrust23THRUST_200600_302600_NS11hip_rocprim26transform_input_iterator_tIlNS8_12zip_iteratorINS8_5tupleINS8_6detail15normal_iteratorINS8_10device_ptrIjEEEESH_NS8_9null_typeESI_SI_SI_SI_SI_SI_SI_EEEENS9_21zip_adj_not_predicateINS8_8equal_toIjEEEEEEPllNS8_4plusIlEEEE10hipError_tPvRmT1_T2_T3_mT4_P12ihipStream_tbEUlT_E0_NS1_11comp_targetILNS1_3genE0ELNS1_11target_archE4294967295ELNS1_3gpuE0ELNS1_3repE0EEENS1_30default_config_static_selectorELNS0_4arch9wavefront6targetE1EEEvSW_, .Lfunc_end851-_ZN7rocprim17ROCPRIM_400000_NS6detail17trampoline_kernelINS0_14default_configENS1_22reduce_config_selectorIlEEZNS1_11reduce_implILb1ES3_N6thrust23THRUST_200600_302600_NS11hip_rocprim26transform_input_iterator_tIlNS8_12zip_iteratorINS8_5tupleINS8_6detail15normal_iteratorINS8_10device_ptrIjEEEESH_NS8_9null_typeESI_SI_SI_SI_SI_SI_SI_EEEENS9_21zip_adj_not_predicateINS8_8equal_toIjEEEEEEPllNS8_4plusIlEEEE10hipError_tPvRmT1_T2_T3_mT4_P12ihipStream_tbEUlT_E0_NS1_11comp_targetILNS1_3genE0ELNS1_11target_archE4294967295ELNS1_3gpuE0ELNS1_3repE0EEENS1_30default_config_static_selectorELNS0_4arch9wavefront6targetE1EEEvSW_
                                        ; -- End function
	.set _ZN7rocprim17ROCPRIM_400000_NS6detail17trampoline_kernelINS0_14default_configENS1_22reduce_config_selectorIlEEZNS1_11reduce_implILb1ES3_N6thrust23THRUST_200600_302600_NS11hip_rocprim26transform_input_iterator_tIlNS8_12zip_iteratorINS8_5tupleINS8_6detail15normal_iteratorINS8_10device_ptrIjEEEESH_NS8_9null_typeESI_SI_SI_SI_SI_SI_SI_EEEENS9_21zip_adj_not_predicateINS8_8equal_toIjEEEEEEPllNS8_4plusIlEEEE10hipError_tPvRmT1_T2_T3_mT4_P12ihipStream_tbEUlT_E0_NS1_11comp_targetILNS1_3genE0ELNS1_11target_archE4294967295ELNS1_3gpuE0ELNS1_3repE0EEENS1_30default_config_static_selectorELNS0_4arch9wavefront6targetE1EEEvSW_.num_vgpr, 0
	.set _ZN7rocprim17ROCPRIM_400000_NS6detail17trampoline_kernelINS0_14default_configENS1_22reduce_config_selectorIlEEZNS1_11reduce_implILb1ES3_N6thrust23THRUST_200600_302600_NS11hip_rocprim26transform_input_iterator_tIlNS8_12zip_iteratorINS8_5tupleINS8_6detail15normal_iteratorINS8_10device_ptrIjEEEESH_NS8_9null_typeESI_SI_SI_SI_SI_SI_SI_EEEENS9_21zip_adj_not_predicateINS8_8equal_toIjEEEEEEPllNS8_4plusIlEEEE10hipError_tPvRmT1_T2_T3_mT4_P12ihipStream_tbEUlT_E0_NS1_11comp_targetILNS1_3genE0ELNS1_11target_archE4294967295ELNS1_3gpuE0ELNS1_3repE0EEENS1_30default_config_static_selectorELNS0_4arch9wavefront6targetE1EEEvSW_.num_agpr, 0
	.set _ZN7rocprim17ROCPRIM_400000_NS6detail17trampoline_kernelINS0_14default_configENS1_22reduce_config_selectorIlEEZNS1_11reduce_implILb1ES3_N6thrust23THRUST_200600_302600_NS11hip_rocprim26transform_input_iterator_tIlNS8_12zip_iteratorINS8_5tupleINS8_6detail15normal_iteratorINS8_10device_ptrIjEEEESH_NS8_9null_typeESI_SI_SI_SI_SI_SI_SI_EEEENS9_21zip_adj_not_predicateINS8_8equal_toIjEEEEEEPllNS8_4plusIlEEEE10hipError_tPvRmT1_T2_T3_mT4_P12ihipStream_tbEUlT_E0_NS1_11comp_targetILNS1_3genE0ELNS1_11target_archE4294967295ELNS1_3gpuE0ELNS1_3repE0EEENS1_30default_config_static_selectorELNS0_4arch9wavefront6targetE1EEEvSW_.numbered_sgpr, 0
	.set _ZN7rocprim17ROCPRIM_400000_NS6detail17trampoline_kernelINS0_14default_configENS1_22reduce_config_selectorIlEEZNS1_11reduce_implILb1ES3_N6thrust23THRUST_200600_302600_NS11hip_rocprim26transform_input_iterator_tIlNS8_12zip_iteratorINS8_5tupleINS8_6detail15normal_iteratorINS8_10device_ptrIjEEEESH_NS8_9null_typeESI_SI_SI_SI_SI_SI_SI_EEEENS9_21zip_adj_not_predicateINS8_8equal_toIjEEEEEEPllNS8_4plusIlEEEE10hipError_tPvRmT1_T2_T3_mT4_P12ihipStream_tbEUlT_E0_NS1_11comp_targetILNS1_3genE0ELNS1_11target_archE4294967295ELNS1_3gpuE0ELNS1_3repE0EEENS1_30default_config_static_selectorELNS0_4arch9wavefront6targetE1EEEvSW_.num_named_barrier, 0
	.set _ZN7rocprim17ROCPRIM_400000_NS6detail17trampoline_kernelINS0_14default_configENS1_22reduce_config_selectorIlEEZNS1_11reduce_implILb1ES3_N6thrust23THRUST_200600_302600_NS11hip_rocprim26transform_input_iterator_tIlNS8_12zip_iteratorINS8_5tupleINS8_6detail15normal_iteratorINS8_10device_ptrIjEEEESH_NS8_9null_typeESI_SI_SI_SI_SI_SI_SI_EEEENS9_21zip_adj_not_predicateINS8_8equal_toIjEEEEEEPllNS8_4plusIlEEEE10hipError_tPvRmT1_T2_T3_mT4_P12ihipStream_tbEUlT_E0_NS1_11comp_targetILNS1_3genE0ELNS1_11target_archE4294967295ELNS1_3gpuE0ELNS1_3repE0EEENS1_30default_config_static_selectorELNS0_4arch9wavefront6targetE1EEEvSW_.private_seg_size, 0
	.set _ZN7rocprim17ROCPRIM_400000_NS6detail17trampoline_kernelINS0_14default_configENS1_22reduce_config_selectorIlEEZNS1_11reduce_implILb1ES3_N6thrust23THRUST_200600_302600_NS11hip_rocprim26transform_input_iterator_tIlNS8_12zip_iteratorINS8_5tupleINS8_6detail15normal_iteratorINS8_10device_ptrIjEEEESH_NS8_9null_typeESI_SI_SI_SI_SI_SI_SI_EEEENS9_21zip_adj_not_predicateINS8_8equal_toIjEEEEEEPllNS8_4plusIlEEEE10hipError_tPvRmT1_T2_T3_mT4_P12ihipStream_tbEUlT_E0_NS1_11comp_targetILNS1_3genE0ELNS1_11target_archE4294967295ELNS1_3gpuE0ELNS1_3repE0EEENS1_30default_config_static_selectorELNS0_4arch9wavefront6targetE1EEEvSW_.uses_vcc, 0
	.set _ZN7rocprim17ROCPRIM_400000_NS6detail17trampoline_kernelINS0_14default_configENS1_22reduce_config_selectorIlEEZNS1_11reduce_implILb1ES3_N6thrust23THRUST_200600_302600_NS11hip_rocprim26transform_input_iterator_tIlNS8_12zip_iteratorINS8_5tupleINS8_6detail15normal_iteratorINS8_10device_ptrIjEEEESH_NS8_9null_typeESI_SI_SI_SI_SI_SI_SI_EEEENS9_21zip_adj_not_predicateINS8_8equal_toIjEEEEEEPllNS8_4plusIlEEEE10hipError_tPvRmT1_T2_T3_mT4_P12ihipStream_tbEUlT_E0_NS1_11comp_targetILNS1_3genE0ELNS1_11target_archE4294967295ELNS1_3gpuE0ELNS1_3repE0EEENS1_30default_config_static_selectorELNS0_4arch9wavefront6targetE1EEEvSW_.uses_flat_scratch, 0
	.set _ZN7rocprim17ROCPRIM_400000_NS6detail17trampoline_kernelINS0_14default_configENS1_22reduce_config_selectorIlEEZNS1_11reduce_implILb1ES3_N6thrust23THRUST_200600_302600_NS11hip_rocprim26transform_input_iterator_tIlNS8_12zip_iteratorINS8_5tupleINS8_6detail15normal_iteratorINS8_10device_ptrIjEEEESH_NS8_9null_typeESI_SI_SI_SI_SI_SI_SI_EEEENS9_21zip_adj_not_predicateINS8_8equal_toIjEEEEEEPllNS8_4plusIlEEEE10hipError_tPvRmT1_T2_T3_mT4_P12ihipStream_tbEUlT_E0_NS1_11comp_targetILNS1_3genE0ELNS1_11target_archE4294967295ELNS1_3gpuE0ELNS1_3repE0EEENS1_30default_config_static_selectorELNS0_4arch9wavefront6targetE1EEEvSW_.has_dyn_sized_stack, 0
	.set _ZN7rocprim17ROCPRIM_400000_NS6detail17trampoline_kernelINS0_14default_configENS1_22reduce_config_selectorIlEEZNS1_11reduce_implILb1ES3_N6thrust23THRUST_200600_302600_NS11hip_rocprim26transform_input_iterator_tIlNS8_12zip_iteratorINS8_5tupleINS8_6detail15normal_iteratorINS8_10device_ptrIjEEEESH_NS8_9null_typeESI_SI_SI_SI_SI_SI_SI_EEEENS9_21zip_adj_not_predicateINS8_8equal_toIjEEEEEEPllNS8_4plusIlEEEE10hipError_tPvRmT1_T2_T3_mT4_P12ihipStream_tbEUlT_E0_NS1_11comp_targetILNS1_3genE0ELNS1_11target_archE4294967295ELNS1_3gpuE0ELNS1_3repE0EEENS1_30default_config_static_selectorELNS0_4arch9wavefront6targetE1EEEvSW_.has_recursion, 0
	.set _ZN7rocprim17ROCPRIM_400000_NS6detail17trampoline_kernelINS0_14default_configENS1_22reduce_config_selectorIlEEZNS1_11reduce_implILb1ES3_N6thrust23THRUST_200600_302600_NS11hip_rocprim26transform_input_iterator_tIlNS8_12zip_iteratorINS8_5tupleINS8_6detail15normal_iteratorINS8_10device_ptrIjEEEESH_NS8_9null_typeESI_SI_SI_SI_SI_SI_SI_EEEENS9_21zip_adj_not_predicateINS8_8equal_toIjEEEEEEPllNS8_4plusIlEEEE10hipError_tPvRmT1_T2_T3_mT4_P12ihipStream_tbEUlT_E0_NS1_11comp_targetILNS1_3genE0ELNS1_11target_archE4294967295ELNS1_3gpuE0ELNS1_3repE0EEENS1_30default_config_static_selectorELNS0_4arch9wavefront6targetE1EEEvSW_.has_indirect_call, 0
	.section	.AMDGPU.csdata,"",@progbits
; Kernel info:
; codeLenInByte = 0
; TotalNumSgprs: 4
; NumVgprs: 0
; ScratchSize: 0
; MemoryBound: 0
; FloatMode: 240
; IeeeMode: 1
; LDSByteSize: 0 bytes/workgroup (compile time only)
; SGPRBlocks: 0
; VGPRBlocks: 0
; NumSGPRsForWavesPerEU: 4
; NumVGPRsForWavesPerEU: 1
; Occupancy: 10
; WaveLimiterHint : 0
; COMPUTE_PGM_RSRC2:SCRATCH_EN: 0
; COMPUTE_PGM_RSRC2:USER_SGPR: 6
; COMPUTE_PGM_RSRC2:TRAP_HANDLER: 0
; COMPUTE_PGM_RSRC2:TGID_X_EN: 1
; COMPUTE_PGM_RSRC2:TGID_Y_EN: 0
; COMPUTE_PGM_RSRC2:TGID_Z_EN: 0
; COMPUTE_PGM_RSRC2:TIDIG_COMP_CNT: 0
	.section	.text._ZN7rocprim17ROCPRIM_400000_NS6detail17trampoline_kernelINS0_14default_configENS1_22reduce_config_selectorIlEEZNS1_11reduce_implILb1ES3_N6thrust23THRUST_200600_302600_NS11hip_rocprim26transform_input_iterator_tIlNS8_12zip_iteratorINS8_5tupleINS8_6detail15normal_iteratorINS8_10device_ptrIjEEEESH_NS8_9null_typeESI_SI_SI_SI_SI_SI_SI_EEEENS9_21zip_adj_not_predicateINS8_8equal_toIjEEEEEEPllNS8_4plusIlEEEE10hipError_tPvRmT1_T2_T3_mT4_P12ihipStream_tbEUlT_E0_NS1_11comp_targetILNS1_3genE5ELNS1_11target_archE942ELNS1_3gpuE9ELNS1_3repE0EEENS1_30default_config_static_selectorELNS0_4arch9wavefront6targetE1EEEvSW_,"axG",@progbits,_ZN7rocprim17ROCPRIM_400000_NS6detail17trampoline_kernelINS0_14default_configENS1_22reduce_config_selectorIlEEZNS1_11reduce_implILb1ES3_N6thrust23THRUST_200600_302600_NS11hip_rocprim26transform_input_iterator_tIlNS8_12zip_iteratorINS8_5tupleINS8_6detail15normal_iteratorINS8_10device_ptrIjEEEESH_NS8_9null_typeESI_SI_SI_SI_SI_SI_SI_EEEENS9_21zip_adj_not_predicateINS8_8equal_toIjEEEEEEPllNS8_4plusIlEEEE10hipError_tPvRmT1_T2_T3_mT4_P12ihipStream_tbEUlT_E0_NS1_11comp_targetILNS1_3genE5ELNS1_11target_archE942ELNS1_3gpuE9ELNS1_3repE0EEENS1_30default_config_static_selectorELNS0_4arch9wavefront6targetE1EEEvSW_,comdat
	.protected	_ZN7rocprim17ROCPRIM_400000_NS6detail17trampoline_kernelINS0_14default_configENS1_22reduce_config_selectorIlEEZNS1_11reduce_implILb1ES3_N6thrust23THRUST_200600_302600_NS11hip_rocprim26transform_input_iterator_tIlNS8_12zip_iteratorINS8_5tupleINS8_6detail15normal_iteratorINS8_10device_ptrIjEEEESH_NS8_9null_typeESI_SI_SI_SI_SI_SI_SI_EEEENS9_21zip_adj_not_predicateINS8_8equal_toIjEEEEEEPllNS8_4plusIlEEEE10hipError_tPvRmT1_T2_T3_mT4_P12ihipStream_tbEUlT_E0_NS1_11comp_targetILNS1_3genE5ELNS1_11target_archE942ELNS1_3gpuE9ELNS1_3repE0EEENS1_30default_config_static_selectorELNS0_4arch9wavefront6targetE1EEEvSW_ ; -- Begin function _ZN7rocprim17ROCPRIM_400000_NS6detail17trampoline_kernelINS0_14default_configENS1_22reduce_config_selectorIlEEZNS1_11reduce_implILb1ES3_N6thrust23THRUST_200600_302600_NS11hip_rocprim26transform_input_iterator_tIlNS8_12zip_iteratorINS8_5tupleINS8_6detail15normal_iteratorINS8_10device_ptrIjEEEESH_NS8_9null_typeESI_SI_SI_SI_SI_SI_SI_EEEENS9_21zip_adj_not_predicateINS8_8equal_toIjEEEEEEPllNS8_4plusIlEEEE10hipError_tPvRmT1_T2_T3_mT4_P12ihipStream_tbEUlT_E0_NS1_11comp_targetILNS1_3genE5ELNS1_11target_archE942ELNS1_3gpuE9ELNS1_3repE0EEENS1_30default_config_static_selectorELNS0_4arch9wavefront6targetE1EEEvSW_
	.globl	_ZN7rocprim17ROCPRIM_400000_NS6detail17trampoline_kernelINS0_14default_configENS1_22reduce_config_selectorIlEEZNS1_11reduce_implILb1ES3_N6thrust23THRUST_200600_302600_NS11hip_rocprim26transform_input_iterator_tIlNS8_12zip_iteratorINS8_5tupleINS8_6detail15normal_iteratorINS8_10device_ptrIjEEEESH_NS8_9null_typeESI_SI_SI_SI_SI_SI_SI_EEEENS9_21zip_adj_not_predicateINS8_8equal_toIjEEEEEEPllNS8_4plusIlEEEE10hipError_tPvRmT1_T2_T3_mT4_P12ihipStream_tbEUlT_E0_NS1_11comp_targetILNS1_3genE5ELNS1_11target_archE942ELNS1_3gpuE9ELNS1_3repE0EEENS1_30default_config_static_selectorELNS0_4arch9wavefront6targetE1EEEvSW_
	.p2align	8
	.type	_ZN7rocprim17ROCPRIM_400000_NS6detail17trampoline_kernelINS0_14default_configENS1_22reduce_config_selectorIlEEZNS1_11reduce_implILb1ES3_N6thrust23THRUST_200600_302600_NS11hip_rocprim26transform_input_iterator_tIlNS8_12zip_iteratorINS8_5tupleINS8_6detail15normal_iteratorINS8_10device_ptrIjEEEESH_NS8_9null_typeESI_SI_SI_SI_SI_SI_SI_EEEENS9_21zip_adj_not_predicateINS8_8equal_toIjEEEEEEPllNS8_4plusIlEEEE10hipError_tPvRmT1_T2_T3_mT4_P12ihipStream_tbEUlT_E0_NS1_11comp_targetILNS1_3genE5ELNS1_11target_archE942ELNS1_3gpuE9ELNS1_3repE0EEENS1_30default_config_static_selectorELNS0_4arch9wavefront6targetE1EEEvSW_,@function
_ZN7rocprim17ROCPRIM_400000_NS6detail17trampoline_kernelINS0_14default_configENS1_22reduce_config_selectorIlEEZNS1_11reduce_implILb1ES3_N6thrust23THRUST_200600_302600_NS11hip_rocprim26transform_input_iterator_tIlNS8_12zip_iteratorINS8_5tupleINS8_6detail15normal_iteratorINS8_10device_ptrIjEEEESH_NS8_9null_typeESI_SI_SI_SI_SI_SI_SI_EEEENS9_21zip_adj_not_predicateINS8_8equal_toIjEEEEEEPllNS8_4plusIlEEEE10hipError_tPvRmT1_T2_T3_mT4_P12ihipStream_tbEUlT_E0_NS1_11comp_targetILNS1_3genE5ELNS1_11target_archE942ELNS1_3gpuE9ELNS1_3repE0EEENS1_30default_config_static_selectorELNS0_4arch9wavefront6targetE1EEEvSW_: ; @_ZN7rocprim17ROCPRIM_400000_NS6detail17trampoline_kernelINS0_14default_configENS1_22reduce_config_selectorIlEEZNS1_11reduce_implILb1ES3_N6thrust23THRUST_200600_302600_NS11hip_rocprim26transform_input_iterator_tIlNS8_12zip_iteratorINS8_5tupleINS8_6detail15normal_iteratorINS8_10device_ptrIjEEEESH_NS8_9null_typeESI_SI_SI_SI_SI_SI_SI_EEEENS9_21zip_adj_not_predicateINS8_8equal_toIjEEEEEEPllNS8_4plusIlEEEE10hipError_tPvRmT1_T2_T3_mT4_P12ihipStream_tbEUlT_E0_NS1_11comp_targetILNS1_3genE5ELNS1_11target_archE942ELNS1_3gpuE9ELNS1_3repE0EEENS1_30default_config_static_selectorELNS0_4arch9wavefront6targetE1EEEvSW_
; %bb.0:
	.section	.rodata,"a",@progbits
	.p2align	6, 0x0
	.amdhsa_kernel _ZN7rocprim17ROCPRIM_400000_NS6detail17trampoline_kernelINS0_14default_configENS1_22reduce_config_selectorIlEEZNS1_11reduce_implILb1ES3_N6thrust23THRUST_200600_302600_NS11hip_rocprim26transform_input_iterator_tIlNS8_12zip_iteratorINS8_5tupleINS8_6detail15normal_iteratorINS8_10device_ptrIjEEEESH_NS8_9null_typeESI_SI_SI_SI_SI_SI_SI_EEEENS9_21zip_adj_not_predicateINS8_8equal_toIjEEEEEEPllNS8_4plusIlEEEE10hipError_tPvRmT1_T2_T3_mT4_P12ihipStream_tbEUlT_E0_NS1_11comp_targetILNS1_3genE5ELNS1_11target_archE942ELNS1_3gpuE9ELNS1_3repE0EEENS1_30default_config_static_selectorELNS0_4arch9wavefront6targetE1EEEvSW_
		.amdhsa_group_segment_fixed_size 0
		.amdhsa_private_segment_fixed_size 0
		.amdhsa_kernarg_size 80
		.amdhsa_user_sgpr_count 6
		.amdhsa_user_sgpr_private_segment_buffer 1
		.amdhsa_user_sgpr_dispatch_ptr 0
		.amdhsa_user_sgpr_queue_ptr 0
		.amdhsa_user_sgpr_kernarg_segment_ptr 1
		.amdhsa_user_sgpr_dispatch_id 0
		.amdhsa_user_sgpr_flat_scratch_init 0
		.amdhsa_user_sgpr_private_segment_size 0
		.amdhsa_uses_dynamic_stack 0
		.amdhsa_system_sgpr_private_segment_wavefront_offset 0
		.amdhsa_system_sgpr_workgroup_id_x 1
		.amdhsa_system_sgpr_workgroup_id_y 0
		.amdhsa_system_sgpr_workgroup_id_z 0
		.amdhsa_system_sgpr_workgroup_info 0
		.amdhsa_system_vgpr_workitem_id 0
		.amdhsa_next_free_vgpr 1
		.amdhsa_next_free_sgpr 0
		.amdhsa_reserve_vcc 0
		.amdhsa_reserve_flat_scratch 0
		.amdhsa_float_round_mode_32 0
		.amdhsa_float_round_mode_16_64 0
		.amdhsa_float_denorm_mode_32 3
		.amdhsa_float_denorm_mode_16_64 3
		.amdhsa_dx10_clamp 1
		.amdhsa_ieee_mode 1
		.amdhsa_fp16_overflow 0
		.amdhsa_exception_fp_ieee_invalid_op 0
		.amdhsa_exception_fp_denorm_src 0
		.amdhsa_exception_fp_ieee_div_zero 0
		.amdhsa_exception_fp_ieee_overflow 0
		.amdhsa_exception_fp_ieee_underflow 0
		.amdhsa_exception_fp_ieee_inexact 0
		.amdhsa_exception_int_div_zero 0
	.end_amdhsa_kernel
	.section	.text._ZN7rocprim17ROCPRIM_400000_NS6detail17trampoline_kernelINS0_14default_configENS1_22reduce_config_selectorIlEEZNS1_11reduce_implILb1ES3_N6thrust23THRUST_200600_302600_NS11hip_rocprim26transform_input_iterator_tIlNS8_12zip_iteratorINS8_5tupleINS8_6detail15normal_iteratorINS8_10device_ptrIjEEEESH_NS8_9null_typeESI_SI_SI_SI_SI_SI_SI_EEEENS9_21zip_adj_not_predicateINS8_8equal_toIjEEEEEEPllNS8_4plusIlEEEE10hipError_tPvRmT1_T2_T3_mT4_P12ihipStream_tbEUlT_E0_NS1_11comp_targetILNS1_3genE5ELNS1_11target_archE942ELNS1_3gpuE9ELNS1_3repE0EEENS1_30default_config_static_selectorELNS0_4arch9wavefront6targetE1EEEvSW_,"axG",@progbits,_ZN7rocprim17ROCPRIM_400000_NS6detail17trampoline_kernelINS0_14default_configENS1_22reduce_config_selectorIlEEZNS1_11reduce_implILb1ES3_N6thrust23THRUST_200600_302600_NS11hip_rocprim26transform_input_iterator_tIlNS8_12zip_iteratorINS8_5tupleINS8_6detail15normal_iteratorINS8_10device_ptrIjEEEESH_NS8_9null_typeESI_SI_SI_SI_SI_SI_SI_EEEENS9_21zip_adj_not_predicateINS8_8equal_toIjEEEEEEPllNS8_4plusIlEEEE10hipError_tPvRmT1_T2_T3_mT4_P12ihipStream_tbEUlT_E0_NS1_11comp_targetILNS1_3genE5ELNS1_11target_archE942ELNS1_3gpuE9ELNS1_3repE0EEENS1_30default_config_static_selectorELNS0_4arch9wavefront6targetE1EEEvSW_,comdat
.Lfunc_end852:
	.size	_ZN7rocprim17ROCPRIM_400000_NS6detail17trampoline_kernelINS0_14default_configENS1_22reduce_config_selectorIlEEZNS1_11reduce_implILb1ES3_N6thrust23THRUST_200600_302600_NS11hip_rocprim26transform_input_iterator_tIlNS8_12zip_iteratorINS8_5tupleINS8_6detail15normal_iteratorINS8_10device_ptrIjEEEESH_NS8_9null_typeESI_SI_SI_SI_SI_SI_SI_EEEENS9_21zip_adj_not_predicateINS8_8equal_toIjEEEEEEPllNS8_4plusIlEEEE10hipError_tPvRmT1_T2_T3_mT4_P12ihipStream_tbEUlT_E0_NS1_11comp_targetILNS1_3genE5ELNS1_11target_archE942ELNS1_3gpuE9ELNS1_3repE0EEENS1_30default_config_static_selectorELNS0_4arch9wavefront6targetE1EEEvSW_, .Lfunc_end852-_ZN7rocprim17ROCPRIM_400000_NS6detail17trampoline_kernelINS0_14default_configENS1_22reduce_config_selectorIlEEZNS1_11reduce_implILb1ES3_N6thrust23THRUST_200600_302600_NS11hip_rocprim26transform_input_iterator_tIlNS8_12zip_iteratorINS8_5tupleINS8_6detail15normal_iteratorINS8_10device_ptrIjEEEESH_NS8_9null_typeESI_SI_SI_SI_SI_SI_SI_EEEENS9_21zip_adj_not_predicateINS8_8equal_toIjEEEEEEPllNS8_4plusIlEEEE10hipError_tPvRmT1_T2_T3_mT4_P12ihipStream_tbEUlT_E0_NS1_11comp_targetILNS1_3genE5ELNS1_11target_archE942ELNS1_3gpuE9ELNS1_3repE0EEENS1_30default_config_static_selectorELNS0_4arch9wavefront6targetE1EEEvSW_
                                        ; -- End function
	.set _ZN7rocprim17ROCPRIM_400000_NS6detail17trampoline_kernelINS0_14default_configENS1_22reduce_config_selectorIlEEZNS1_11reduce_implILb1ES3_N6thrust23THRUST_200600_302600_NS11hip_rocprim26transform_input_iterator_tIlNS8_12zip_iteratorINS8_5tupleINS8_6detail15normal_iteratorINS8_10device_ptrIjEEEESH_NS8_9null_typeESI_SI_SI_SI_SI_SI_SI_EEEENS9_21zip_adj_not_predicateINS8_8equal_toIjEEEEEEPllNS8_4plusIlEEEE10hipError_tPvRmT1_T2_T3_mT4_P12ihipStream_tbEUlT_E0_NS1_11comp_targetILNS1_3genE5ELNS1_11target_archE942ELNS1_3gpuE9ELNS1_3repE0EEENS1_30default_config_static_selectorELNS0_4arch9wavefront6targetE1EEEvSW_.num_vgpr, 0
	.set _ZN7rocprim17ROCPRIM_400000_NS6detail17trampoline_kernelINS0_14default_configENS1_22reduce_config_selectorIlEEZNS1_11reduce_implILb1ES3_N6thrust23THRUST_200600_302600_NS11hip_rocprim26transform_input_iterator_tIlNS8_12zip_iteratorINS8_5tupleINS8_6detail15normal_iteratorINS8_10device_ptrIjEEEESH_NS8_9null_typeESI_SI_SI_SI_SI_SI_SI_EEEENS9_21zip_adj_not_predicateINS8_8equal_toIjEEEEEEPllNS8_4plusIlEEEE10hipError_tPvRmT1_T2_T3_mT4_P12ihipStream_tbEUlT_E0_NS1_11comp_targetILNS1_3genE5ELNS1_11target_archE942ELNS1_3gpuE9ELNS1_3repE0EEENS1_30default_config_static_selectorELNS0_4arch9wavefront6targetE1EEEvSW_.num_agpr, 0
	.set _ZN7rocprim17ROCPRIM_400000_NS6detail17trampoline_kernelINS0_14default_configENS1_22reduce_config_selectorIlEEZNS1_11reduce_implILb1ES3_N6thrust23THRUST_200600_302600_NS11hip_rocprim26transform_input_iterator_tIlNS8_12zip_iteratorINS8_5tupleINS8_6detail15normal_iteratorINS8_10device_ptrIjEEEESH_NS8_9null_typeESI_SI_SI_SI_SI_SI_SI_EEEENS9_21zip_adj_not_predicateINS8_8equal_toIjEEEEEEPllNS8_4plusIlEEEE10hipError_tPvRmT1_T2_T3_mT4_P12ihipStream_tbEUlT_E0_NS1_11comp_targetILNS1_3genE5ELNS1_11target_archE942ELNS1_3gpuE9ELNS1_3repE0EEENS1_30default_config_static_selectorELNS0_4arch9wavefront6targetE1EEEvSW_.numbered_sgpr, 0
	.set _ZN7rocprim17ROCPRIM_400000_NS6detail17trampoline_kernelINS0_14default_configENS1_22reduce_config_selectorIlEEZNS1_11reduce_implILb1ES3_N6thrust23THRUST_200600_302600_NS11hip_rocprim26transform_input_iterator_tIlNS8_12zip_iteratorINS8_5tupleINS8_6detail15normal_iteratorINS8_10device_ptrIjEEEESH_NS8_9null_typeESI_SI_SI_SI_SI_SI_SI_EEEENS9_21zip_adj_not_predicateINS8_8equal_toIjEEEEEEPllNS8_4plusIlEEEE10hipError_tPvRmT1_T2_T3_mT4_P12ihipStream_tbEUlT_E0_NS1_11comp_targetILNS1_3genE5ELNS1_11target_archE942ELNS1_3gpuE9ELNS1_3repE0EEENS1_30default_config_static_selectorELNS0_4arch9wavefront6targetE1EEEvSW_.num_named_barrier, 0
	.set _ZN7rocprim17ROCPRIM_400000_NS6detail17trampoline_kernelINS0_14default_configENS1_22reduce_config_selectorIlEEZNS1_11reduce_implILb1ES3_N6thrust23THRUST_200600_302600_NS11hip_rocprim26transform_input_iterator_tIlNS8_12zip_iteratorINS8_5tupleINS8_6detail15normal_iteratorINS8_10device_ptrIjEEEESH_NS8_9null_typeESI_SI_SI_SI_SI_SI_SI_EEEENS9_21zip_adj_not_predicateINS8_8equal_toIjEEEEEEPllNS8_4plusIlEEEE10hipError_tPvRmT1_T2_T3_mT4_P12ihipStream_tbEUlT_E0_NS1_11comp_targetILNS1_3genE5ELNS1_11target_archE942ELNS1_3gpuE9ELNS1_3repE0EEENS1_30default_config_static_selectorELNS0_4arch9wavefront6targetE1EEEvSW_.private_seg_size, 0
	.set _ZN7rocprim17ROCPRIM_400000_NS6detail17trampoline_kernelINS0_14default_configENS1_22reduce_config_selectorIlEEZNS1_11reduce_implILb1ES3_N6thrust23THRUST_200600_302600_NS11hip_rocprim26transform_input_iterator_tIlNS8_12zip_iteratorINS8_5tupleINS8_6detail15normal_iteratorINS8_10device_ptrIjEEEESH_NS8_9null_typeESI_SI_SI_SI_SI_SI_SI_EEEENS9_21zip_adj_not_predicateINS8_8equal_toIjEEEEEEPllNS8_4plusIlEEEE10hipError_tPvRmT1_T2_T3_mT4_P12ihipStream_tbEUlT_E0_NS1_11comp_targetILNS1_3genE5ELNS1_11target_archE942ELNS1_3gpuE9ELNS1_3repE0EEENS1_30default_config_static_selectorELNS0_4arch9wavefront6targetE1EEEvSW_.uses_vcc, 0
	.set _ZN7rocprim17ROCPRIM_400000_NS6detail17trampoline_kernelINS0_14default_configENS1_22reduce_config_selectorIlEEZNS1_11reduce_implILb1ES3_N6thrust23THRUST_200600_302600_NS11hip_rocprim26transform_input_iterator_tIlNS8_12zip_iteratorINS8_5tupleINS8_6detail15normal_iteratorINS8_10device_ptrIjEEEESH_NS8_9null_typeESI_SI_SI_SI_SI_SI_SI_EEEENS9_21zip_adj_not_predicateINS8_8equal_toIjEEEEEEPllNS8_4plusIlEEEE10hipError_tPvRmT1_T2_T3_mT4_P12ihipStream_tbEUlT_E0_NS1_11comp_targetILNS1_3genE5ELNS1_11target_archE942ELNS1_3gpuE9ELNS1_3repE0EEENS1_30default_config_static_selectorELNS0_4arch9wavefront6targetE1EEEvSW_.uses_flat_scratch, 0
	.set _ZN7rocprim17ROCPRIM_400000_NS6detail17trampoline_kernelINS0_14default_configENS1_22reduce_config_selectorIlEEZNS1_11reduce_implILb1ES3_N6thrust23THRUST_200600_302600_NS11hip_rocprim26transform_input_iterator_tIlNS8_12zip_iteratorINS8_5tupleINS8_6detail15normal_iteratorINS8_10device_ptrIjEEEESH_NS8_9null_typeESI_SI_SI_SI_SI_SI_SI_EEEENS9_21zip_adj_not_predicateINS8_8equal_toIjEEEEEEPllNS8_4plusIlEEEE10hipError_tPvRmT1_T2_T3_mT4_P12ihipStream_tbEUlT_E0_NS1_11comp_targetILNS1_3genE5ELNS1_11target_archE942ELNS1_3gpuE9ELNS1_3repE0EEENS1_30default_config_static_selectorELNS0_4arch9wavefront6targetE1EEEvSW_.has_dyn_sized_stack, 0
	.set _ZN7rocprim17ROCPRIM_400000_NS6detail17trampoline_kernelINS0_14default_configENS1_22reduce_config_selectorIlEEZNS1_11reduce_implILb1ES3_N6thrust23THRUST_200600_302600_NS11hip_rocprim26transform_input_iterator_tIlNS8_12zip_iteratorINS8_5tupleINS8_6detail15normal_iteratorINS8_10device_ptrIjEEEESH_NS8_9null_typeESI_SI_SI_SI_SI_SI_SI_EEEENS9_21zip_adj_not_predicateINS8_8equal_toIjEEEEEEPllNS8_4plusIlEEEE10hipError_tPvRmT1_T2_T3_mT4_P12ihipStream_tbEUlT_E0_NS1_11comp_targetILNS1_3genE5ELNS1_11target_archE942ELNS1_3gpuE9ELNS1_3repE0EEENS1_30default_config_static_selectorELNS0_4arch9wavefront6targetE1EEEvSW_.has_recursion, 0
	.set _ZN7rocprim17ROCPRIM_400000_NS6detail17trampoline_kernelINS0_14default_configENS1_22reduce_config_selectorIlEEZNS1_11reduce_implILb1ES3_N6thrust23THRUST_200600_302600_NS11hip_rocprim26transform_input_iterator_tIlNS8_12zip_iteratorINS8_5tupleINS8_6detail15normal_iteratorINS8_10device_ptrIjEEEESH_NS8_9null_typeESI_SI_SI_SI_SI_SI_SI_EEEENS9_21zip_adj_not_predicateINS8_8equal_toIjEEEEEEPllNS8_4plusIlEEEE10hipError_tPvRmT1_T2_T3_mT4_P12ihipStream_tbEUlT_E0_NS1_11comp_targetILNS1_3genE5ELNS1_11target_archE942ELNS1_3gpuE9ELNS1_3repE0EEENS1_30default_config_static_selectorELNS0_4arch9wavefront6targetE1EEEvSW_.has_indirect_call, 0
	.section	.AMDGPU.csdata,"",@progbits
; Kernel info:
; codeLenInByte = 0
; TotalNumSgprs: 4
; NumVgprs: 0
; ScratchSize: 0
; MemoryBound: 0
; FloatMode: 240
; IeeeMode: 1
; LDSByteSize: 0 bytes/workgroup (compile time only)
; SGPRBlocks: 0
; VGPRBlocks: 0
; NumSGPRsForWavesPerEU: 4
; NumVGPRsForWavesPerEU: 1
; Occupancy: 10
; WaveLimiterHint : 0
; COMPUTE_PGM_RSRC2:SCRATCH_EN: 0
; COMPUTE_PGM_RSRC2:USER_SGPR: 6
; COMPUTE_PGM_RSRC2:TRAP_HANDLER: 0
; COMPUTE_PGM_RSRC2:TGID_X_EN: 1
; COMPUTE_PGM_RSRC2:TGID_Y_EN: 0
; COMPUTE_PGM_RSRC2:TGID_Z_EN: 0
; COMPUTE_PGM_RSRC2:TIDIG_COMP_CNT: 0
	.section	.text._ZN7rocprim17ROCPRIM_400000_NS6detail17trampoline_kernelINS0_14default_configENS1_22reduce_config_selectorIlEEZNS1_11reduce_implILb1ES3_N6thrust23THRUST_200600_302600_NS11hip_rocprim26transform_input_iterator_tIlNS8_12zip_iteratorINS8_5tupleINS8_6detail15normal_iteratorINS8_10device_ptrIjEEEESH_NS8_9null_typeESI_SI_SI_SI_SI_SI_SI_EEEENS9_21zip_adj_not_predicateINS8_8equal_toIjEEEEEEPllNS8_4plusIlEEEE10hipError_tPvRmT1_T2_T3_mT4_P12ihipStream_tbEUlT_E0_NS1_11comp_targetILNS1_3genE4ELNS1_11target_archE910ELNS1_3gpuE8ELNS1_3repE0EEENS1_30default_config_static_selectorELNS0_4arch9wavefront6targetE1EEEvSW_,"axG",@progbits,_ZN7rocprim17ROCPRIM_400000_NS6detail17trampoline_kernelINS0_14default_configENS1_22reduce_config_selectorIlEEZNS1_11reduce_implILb1ES3_N6thrust23THRUST_200600_302600_NS11hip_rocprim26transform_input_iterator_tIlNS8_12zip_iteratorINS8_5tupleINS8_6detail15normal_iteratorINS8_10device_ptrIjEEEESH_NS8_9null_typeESI_SI_SI_SI_SI_SI_SI_EEEENS9_21zip_adj_not_predicateINS8_8equal_toIjEEEEEEPllNS8_4plusIlEEEE10hipError_tPvRmT1_T2_T3_mT4_P12ihipStream_tbEUlT_E0_NS1_11comp_targetILNS1_3genE4ELNS1_11target_archE910ELNS1_3gpuE8ELNS1_3repE0EEENS1_30default_config_static_selectorELNS0_4arch9wavefront6targetE1EEEvSW_,comdat
	.protected	_ZN7rocprim17ROCPRIM_400000_NS6detail17trampoline_kernelINS0_14default_configENS1_22reduce_config_selectorIlEEZNS1_11reduce_implILb1ES3_N6thrust23THRUST_200600_302600_NS11hip_rocprim26transform_input_iterator_tIlNS8_12zip_iteratorINS8_5tupleINS8_6detail15normal_iteratorINS8_10device_ptrIjEEEESH_NS8_9null_typeESI_SI_SI_SI_SI_SI_SI_EEEENS9_21zip_adj_not_predicateINS8_8equal_toIjEEEEEEPllNS8_4plusIlEEEE10hipError_tPvRmT1_T2_T3_mT4_P12ihipStream_tbEUlT_E0_NS1_11comp_targetILNS1_3genE4ELNS1_11target_archE910ELNS1_3gpuE8ELNS1_3repE0EEENS1_30default_config_static_selectorELNS0_4arch9wavefront6targetE1EEEvSW_ ; -- Begin function _ZN7rocprim17ROCPRIM_400000_NS6detail17trampoline_kernelINS0_14default_configENS1_22reduce_config_selectorIlEEZNS1_11reduce_implILb1ES3_N6thrust23THRUST_200600_302600_NS11hip_rocprim26transform_input_iterator_tIlNS8_12zip_iteratorINS8_5tupleINS8_6detail15normal_iteratorINS8_10device_ptrIjEEEESH_NS8_9null_typeESI_SI_SI_SI_SI_SI_SI_EEEENS9_21zip_adj_not_predicateINS8_8equal_toIjEEEEEEPllNS8_4plusIlEEEE10hipError_tPvRmT1_T2_T3_mT4_P12ihipStream_tbEUlT_E0_NS1_11comp_targetILNS1_3genE4ELNS1_11target_archE910ELNS1_3gpuE8ELNS1_3repE0EEENS1_30default_config_static_selectorELNS0_4arch9wavefront6targetE1EEEvSW_
	.globl	_ZN7rocprim17ROCPRIM_400000_NS6detail17trampoline_kernelINS0_14default_configENS1_22reduce_config_selectorIlEEZNS1_11reduce_implILb1ES3_N6thrust23THRUST_200600_302600_NS11hip_rocprim26transform_input_iterator_tIlNS8_12zip_iteratorINS8_5tupleINS8_6detail15normal_iteratorINS8_10device_ptrIjEEEESH_NS8_9null_typeESI_SI_SI_SI_SI_SI_SI_EEEENS9_21zip_adj_not_predicateINS8_8equal_toIjEEEEEEPllNS8_4plusIlEEEE10hipError_tPvRmT1_T2_T3_mT4_P12ihipStream_tbEUlT_E0_NS1_11comp_targetILNS1_3genE4ELNS1_11target_archE910ELNS1_3gpuE8ELNS1_3repE0EEENS1_30default_config_static_selectorELNS0_4arch9wavefront6targetE1EEEvSW_
	.p2align	8
	.type	_ZN7rocprim17ROCPRIM_400000_NS6detail17trampoline_kernelINS0_14default_configENS1_22reduce_config_selectorIlEEZNS1_11reduce_implILb1ES3_N6thrust23THRUST_200600_302600_NS11hip_rocprim26transform_input_iterator_tIlNS8_12zip_iteratorINS8_5tupleINS8_6detail15normal_iteratorINS8_10device_ptrIjEEEESH_NS8_9null_typeESI_SI_SI_SI_SI_SI_SI_EEEENS9_21zip_adj_not_predicateINS8_8equal_toIjEEEEEEPllNS8_4plusIlEEEE10hipError_tPvRmT1_T2_T3_mT4_P12ihipStream_tbEUlT_E0_NS1_11comp_targetILNS1_3genE4ELNS1_11target_archE910ELNS1_3gpuE8ELNS1_3repE0EEENS1_30default_config_static_selectorELNS0_4arch9wavefront6targetE1EEEvSW_,@function
_ZN7rocprim17ROCPRIM_400000_NS6detail17trampoline_kernelINS0_14default_configENS1_22reduce_config_selectorIlEEZNS1_11reduce_implILb1ES3_N6thrust23THRUST_200600_302600_NS11hip_rocprim26transform_input_iterator_tIlNS8_12zip_iteratorINS8_5tupleINS8_6detail15normal_iteratorINS8_10device_ptrIjEEEESH_NS8_9null_typeESI_SI_SI_SI_SI_SI_SI_EEEENS9_21zip_adj_not_predicateINS8_8equal_toIjEEEEEEPllNS8_4plusIlEEEE10hipError_tPvRmT1_T2_T3_mT4_P12ihipStream_tbEUlT_E0_NS1_11comp_targetILNS1_3genE4ELNS1_11target_archE910ELNS1_3gpuE8ELNS1_3repE0EEENS1_30default_config_static_selectorELNS0_4arch9wavefront6targetE1EEEvSW_: ; @_ZN7rocprim17ROCPRIM_400000_NS6detail17trampoline_kernelINS0_14default_configENS1_22reduce_config_selectorIlEEZNS1_11reduce_implILb1ES3_N6thrust23THRUST_200600_302600_NS11hip_rocprim26transform_input_iterator_tIlNS8_12zip_iteratorINS8_5tupleINS8_6detail15normal_iteratorINS8_10device_ptrIjEEEESH_NS8_9null_typeESI_SI_SI_SI_SI_SI_SI_EEEENS9_21zip_adj_not_predicateINS8_8equal_toIjEEEEEEPllNS8_4plusIlEEEE10hipError_tPvRmT1_T2_T3_mT4_P12ihipStream_tbEUlT_E0_NS1_11comp_targetILNS1_3genE4ELNS1_11target_archE910ELNS1_3gpuE8ELNS1_3repE0EEENS1_30default_config_static_selectorELNS0_4arch9wavefront6targetE1EEEvSW_
; %bb.0:
	.section	.rodata,"a",@progbits
	.p2align	6, 0x0
	.amdhsa_kernel _ZN7rocprim17ROCPRIM_400000_NS6detail17trampoline_kernelINS0_14default_configENS1_22reduce_config_selectorIlEEZNS1_11reduce_implILb1ES3_N6thrust23THRUST_200600_302600_NS11hip_rocprim26transform_input_iterator_tIlNS8_12zip_iteratorINS8_5tupleINS8_6detail15normal_iteratorINS8_10device_ptrIjEEEESH_NS8_9null_typeESI_SI_SI_SI_SI_SI_SI_EEEENS9_21zip_adj_not_predicateINS8_8equal_toIjEEEEEEPllNS8_4plusIlEEEE10hipError_tPvRmT1_T2_T3_mT4_P12ihipStream_tbEUlT_E0_NS1_11comp_targetILNS1_3genE4ELNS1_11target_archE910ELNS1_3gpuE8ELNS1_3repE0EEENS1_30default_config_static_selectorELNS0_4arch9wavefront6targetE1EEEvSW_
		.amdhsa_group_segment_fixed_size 0
		.amdhsa_private_segment_fixed_size 0
		.amdhsa_kernarg_size 80
		.amdhsa_user_sgpr_count 6
		.amdhsa_user_sgpr_private_segment_buffer 1
		.amdhsa_user_sgpr_dispatch_ptr 0
		.amdhsa_user_sgpr_queue_ptr 0
		.amdhsa_user_sgpr_kernarg_segment_ptr 1
		.amdhsa_user_sgpr_dispatch_id 0
		.amdhsa_user_sgpr_flat_scratch_init 0
		.amdhsa_user_sgpr_private_segment_size 0
		.amdhsa_uses_dynamic_stack 0
		.amdhsa_system_sgpr_private_segment_wavefront_offset 0
		.amdhsa_system_sgpr_workgroup_id_x 1
		.amdhsa_system_sgpr_workgroup_id_y 0
		.amdhsa_system_sgpr_workgroup_id_z 0
		.amdhsa_system_sgpr_workgroup_info 0
		.amdhsa_system_vgpr_workitem_id 0
		.amdhsa_next_free_vgpr 1
		.amdhsa_next_free_sgpr 0
		.amdhsa_reserve_vcc 0
		.amdhsa_reserve_flat_scratch 0
		.amdhsa_float_round_mode_32 0
		.amdhsa_float_round_mode_16_64 0
		.amdhsa_float_denorm_mode_32 3
		.amdhsa_float_denorm_mode_16_64 3
		.amdhsa_dx10_clamp 1
		.amdhsa_ieee_mode 1
		.amdhsa_fp16_overflow 0
		.amdhsa_exception_fp_ieee_invalid_op 0
		.amdhsa_exception_fp_denorm_src 0
		.amdhsa_exception_fp_ieee_div_zero 0
		.amdhsa_exception_fp_ieee_overflow 0
		.amdhsa_exception_fp_ieee_underflow 0
		.amdhsa_exception_fp_ieee_inexact 0
		.amdhsa_exception_int_div_zero 0
	.end_amdhsa_kernel
	.section	.text._ZN7rocprim17ROCPRIM_400000_NS6detail17trampoline_kernelINS0_14default_configENS1_22reduce_config_selectorIlEEZNS1_11reduce_implILb1ES3_N6thrust23THRUST_200600_302600_NS11hip_rocprim26transform_input_iterator_tIlNS8_12zip_iteratorINS8_5tupleINS8_6detail15normal_iteratorINS8_10device_ptrIjEEEESH_NS8_9null_typeESI_SI_SI_SI_SI_SI_SI_EEEENS9_21zip_adj_not_predicateINS8_8equal_toIjEEEEEEPllNS8_4plusIlEEEE10hipError_tPvRmT1_T2_T3_mT4_P12ihipStream_tbEUlT_E0_NS1_11comp_targetILNS1_3genE4ELNS1_11target_archE910ELNS1_3gpuE8ELNS1_3repE0EEENS1_30default_config_static_selectorELNS0_4arch9wavefront6targetE1EEEvSW_,"axG",@progbits,_ZN7rocprim17ROCPRIM_400000_NS6detail17trampoline_kernelINS0_14default_configENS1_22reduce_config_selectorIlEEZNS1_11reduce_implILb1ES3_N6thrust23THRUST_200600_302600_NS11hip_rocprim26transform_input_iterator_tIlNS8_12zip_iteratorINS8_5tupleINS8_6detail15normal_iteratorINS8_10device_ptrIjEEEESH_NS8_9null_typeESI_SI_SI_SI_SI_SI_SI_EEEENS9_21zip_adj_not_predicateINS8_8equal_toIjEEEEEEPllNS8_4plusIlEEEE10hipError_tPvRmT1_T2_T3_mT4_P12ihipStream_tbEUlT_E0_NS1_11comp_targetILNS1_3genE4ELNS1_11target_archE910ELNS1_3gpuE8ELNS1_3repE0EEENS1_30default_config_static_selectorELNS0_4arch9wavefront6targetE1EEEvSW_,comdat
.Lfunc_end853:
	.size	_ZN7rocprim17ROCPRIM_400000_NS6detail17trampoline_kernelINS0_14default_configENS1_22reduce_config_selectorIlEEZNS1_11reduce_implILb1ES3_N6thrust23THRUST_200600_302600_NS11hip_rocprim26transform_input_iterator_tIlNS8_12zip_iteratorINS8_5tupleINS8_6detail15normal_iteratorINS8_10device_ptrIjEEEESH_NS8_9null_typeESI_SI_SI_SI_SI_SI_SI_EEEENS9_21zip_adj_not_predicateINS8_8equal_toIjEEEEEEPllNS8_4plusIlEEEE10hipError_tPvRmT1_T2_T3_mT4_P12ihipStream_tbEUlT_E0_NS1_11comp_targetILNS1_3genE4ELNS1_11target_archE910ELNS1_3gpuE8ELNS1_3repE0EEENS1_30default_config_static_selectorELNS0_4arch9wavefront6targetE1EEEvSW_, .Lfunc_end853-_ZN7rocprim17ROCPRIM_400000_NS6detail17trampoline_kernelINS0_14default_configENS1_22reduce_config_selectorIlEEZNS1_11reduce_implILb1ES3_N6thrust23THRUST_200600_302600_NS11hip_rocprim26transform_input_iterator_tIlNS8_12zip_iteratorINS8_5tupleINS8_6detail15normal_iteratorINS8_10device_ptrIjEEEESH_NS8_9null_typeESI_SI_SI_SI_SI_SI_SI_EEEENS9_21zip_adj_not_predicateINS8_8equal_toIjEEEEEEPllNS8_4plusIlEEEE10hipError_tPvRmT1_T2_T3_mT4_P12ihipStream_tbEUlT_E0_NS1_11comp_targetILNS1_3genE4ELNS1_11target_archE910ELNS1_3gpuE8ELNS1_3repE0EEENS1_30default_config_static_selectorELNS0_4arch9wavefront6targetE1EEEvSW_
                                        ; -- End function
	.set _ZN7rocprim17ROCPRIM_400000_NS6detail17trampoline_kernelINS0_14default_configENS1_22reduce_config_selectorIlEEZNS1_11reduce_implILb1ES3_N6thrust23THRUST_200600_302600_NS11hip_rocprim26transform_input_iterator_tIlNS8_12zip_iteratorINS8_5tupleINS8_6detail15normal_iteratorINS8_10device_ptrIjEEEESH_NS8_9null_typeESI_SI_SI_SI_SI_SI_SI_EEEENS9_21zip_adj_not_predicateINS8_8equal_toIjEEEEEEPllNS8_4plusIlEEEE10hipError_tPvRmT1_T2_T3_mT4_P12ihipStream_tbEUlT_E0_NS1_11comp_targetILNS1_3genE4ELNS1_11target_archE910ELNS1_3gpuE8ELNS1_3repE0EEENS1_30default_config_static_selectorELNS0_4arch9wavefront6targetE1EEEvSW_.num_vgpr, 0
	.set _ZN7rocprim17ROCPRIM_400000_NS6detail17trampoline_kernelINS0_14default_configENS1_22reduce_config_selectorIlEEZNS1_11reduce_implILb1ES3_N6thrust23THRUST_200600_302600_NS11hip_rocprim26transform_input_iterator_tIlNS8_12zip_iteratorINS8_5tupleINS8_6detail15normal_iteratorINS8_10device_ptrIjEEEESH_NS8_9null_typeESI_SI_SI_SI_SI_SI_SI_EEEENS9_21zip_adj_not_predicateINS8_8equal_toIjEEEEEEPllNS8_4plusIlEEEE10hipError_tPvRmT1_T2_T3_mT4_P12ihipStream_tbEUlT_E0_NS1_11comp_targetILNS1_3genE4ELNS1_11target_archE910ELNS1_3gpuE8ELNS1_3repE0EEENS1_30default_config_static_selectorELNS0_4arch9wavefront6targetE1EEEvSW_.num_agpr, 0
	.set _ZN7rocprim17ROCPRIM_400000_NS6detail17trampoline_kernelINS0_14default_configENS1_22reduce_config_selectorIlEEZNS1_11reduce_implILb1ES3_N6thrust23THRUST_200600_302600_NS11hip_rocprim26transform_input_iterator_tIlNS8_12zip_iteratorINS8_5tupleINS8_6detail15normal_iteratorINS8_10device_ptrIjEEEESH_NS8_9null_typeESI_SI_SI_SI_SI_SI_SI_EEEENS9_21zip_adj_not_predicateINS8_8equal_toIjEEEEEEPllNS8_4plusIlEEEE10hipError_tPvRmT1_T2_T3_mT4_P12ihipStream_tbEUlT_E0_NS1_11comp_targetILNS1_3genE4ELNS1_11target_archE910ELNS1_3gpuE8ELNS1_3repE0EEENS1_30default_config_static_selectorELNS0_4arch9wavefront6targetE1EEEvSW_.numbered_sgpr, 0
	.set _ZN7rocprim17ROCPRIM_400000_NS6detail17trampoline_kernelINS0_14default_configENS1_22reduce_config_selectorIlEEZNS1_11reduce_implILb1ES3_N6thrust23THRUST_200600_302600_NS11hip_rocprim26transform_input_iterator_tIlNS8_12zip_iteratorINS8_5tupleINS8_6detail15normal_iteratorINS8_10device_ptrIjEEEESH_NS8_9null_typeESI_SI_SI_SI_SI_SI_SI_EEEENS9_21zip_adj_not_predicateINS8_8equal_toIjEEEEEEPllNS8_4plusIlEEEE10hipError_tPvRmT1_T2_T3_mT4_P12ihipStream_tbEUlT_E0_NS1_11comp_targetILNS1_3genE4ELNS1_11target_archE910ELNS1_3gpuE8ELNS1_3repE0EEENS1_30default_config_static_selectorELNS0_4arch9wavefront6targetE1EEEvSW_.num_named_barrier, 0
	.set _ZN7rocprim17ROCPRIM_400000_NS6detail17trampoline_kernelINS0_14default_configENS1_22reduce_config_selectorIlEEZNS1_11reduce_implILb1ES3_N6thrust23THRUST_200600_302600_NS11hip_rocprim26transform_input_iterator_tIlNS8_12zip_iteratorINS8_5tupleINS8_6detail15normal_iteratorINS8_10device_ptrIjEEEESH_NS8_9null_typeESI_SI_SI_SI_SI_SI_SI_EEEENS9_21zip_adj_not_predicateINS8_8equal_toIjEEEEEEPllNS8_4plusIlEEEE10hipError_tPvRmT1_T2_T3_mT4_P12ihipStream_tbEUlT_E0_NS1_11comp_targetILNS1_3genE4ELNS1_11target_archE910ELNS1_3gpuE8ELNS1_3repE0EEENS1_30default_config_static_selectorELNS0_4arch9wavefront6targetE1EEEvSW_.private_seg_size, 0
	.set _ZN7rocprim17ROCPRIM_400000_NS6detail17trampoline_kernelINS0_14default_configENS1_22reduce_config_selectorIlEEZNS1_11reduce_implILb1ES3_N6thrust23THRUST_200600_302600_NS11hip_rocprim26transform_input_iterator_tIlNS8_12zip_iteratorINS8_5tupleINS8_6detail15normal_iteratorINS8_10device_ptrIjEEEESH_NS8_9null_typeESI_SI_SI_SI_SI_SI_SI_EEEENS9_21zip_adj_not_predicateINS8_8equal_toIjEEEEEEPllNS8_4plusIlEEEE10hipError_tPvRmT1_T2_T3_mT4_P12ihipStream_tbEUlT_E0_NS1_11comp_targetILNS1_3genE4ELNS1_11target_archE910ELNS1_3gpuE8ELNS1_3repE0EEENS1_30default_config_static_selectorELNS0_4arch9wavefront6targetE1EEEvSW_.uses_vcc, 0
	.set _ZN7rocprim17ROCPRIM_400000_NS6detail17trampoline_kernelINS0_14default_configENS1_22reduce_config_selectorIlEEZNS1_11reduce_implILb1ES3_N6thrust23THRUST_200600_302600_NS11hip_rocprim26transform_input_iterator_tIlNS8_12zip_iteratorINS8_5tupleINS8_6detail15normal_iteratorINS8_10device_ptrIjEEEESH_NS8_9null_typeESI_SI_SI_SI_SI_SI_SI_EEEENS9_21zip_adj_not_predicateINS8_8equal_toIjEEEEEEPllNS8_4plusIlEEEE10hipError_tPvRmT1_T2_T3_mT4_P12ihipStream_tbEUlT_E0_NS1_11comp_targetILNS1_3genE4ELNS1_11target_archE910ELNS1_3gpuE8ELNS1_3repE0EEENS1_30default_config_static_selectorELNS0_4arch9wavefront6targetE1EEEvSW_.uses_flat_scratch, 0
	.set _ZN7rocprim17ROCPRIM_400000_NS6detail17trampoline_kernelINS0_14default_configENS1_22reduce_config_selectorIlEEZNS1_11reduce_implILb1ES3_N6thrust23THRUST_200600_302600_NS11hip_rocprim26transform_input_iterator_tIlNS8_12zip_iteratorINS8_5tupleINS8_6detail15normal_iteratorINS8_10device_ptrIjEEEESH_NS8_9null_typeESI_SI_SI_SI_SI_SI_SI_EEEENS9_21zip_adj_not_predicateINS8_8equal_toIjEEEEEEPllNS8_4plusIlEEEE10hipError_tPvRmT1_T2_T3_mT4_P12ihipStream_tbEUlT_E0_NS1_11comp_targetILNS1_3genE4ELNS1_11target_archE910ELNS1_3gpuE8ELNS1_3repE0EEENS1_30default_config_static_selectorELNS0_4arch9wavefront6targetE1EEEvSW_.has_dyn_sized_stack, 0
	.set _ZN7rocprim17ROCPRIM_400000_NS6detail17trampoline_kernelINS0_14default_configENS1_22reduce_config_selectorIlEEZNS1_11reduce_implILb1ES3_N6thrust23THRUST_200600_302600_NS11hip_rocprim26transform_input_iterator_tIlNS8_12zip_iteratorINS8_5tupleINS8_6detail15normal_iteratorINS8_10device_ptrIjEEEESH_NS8_9null_typeESI_SI_SI_SI_SI_SI_SI_EEEENS9_21zip_adj_not_predicateINS8_8equal_toIjEEEEEEPllNS8_4plusIlEEEE10hipError_tPvRmT1_T2_T3_mT4_P12ihipStream_tbEUlT_E0_NS1_11comp_targetILNS1_3genE4ELNS1_11target_archE910ELNS1_3gpuE8ELNS1_3repE0EEENS1_30default_config_static_selectorELNS0_4arch9wavefront6targetE1EEEvSW_.has_recursion, 0
	.set _ZN7rocprim17ROCPRIM_400000_NS6detail17trampoline_kernelINS0_14default_configENS1_22reduce_config_selectorIlEEZNS1_11reduce_implILb1ES3_N6thrust23THRUST_200600_302600_NS11hip_rocprim26transform_input_iterator_tIlNS8_12zip_iteratorINS8_5tupleINS8_6detail15normal_iteratorINS8_10device_ptrIjEEEESH_NS8_9null_typeESI_SI_SI_SI_SI_SI_SI_EEEENS9_21zip_adj_not_predicateINS8_8equal_toIjEEEEEEPllNS8_4plusIlEEEE10hipError_tPvRmT1_T2_T3_mT4_P12ihipStream_tbEUlT_E0_NS1_11comp_targetILNS1_3genE4ELNS1_11target_archE910ELNS1_3gpuE8ELNS1_3repE0EEENS1_30default_config_static_selectorELNS0_4arch9wavefront6targetE1EEEvSW_.has_indirect_call, 0
	.section	.AMDGPU.csdata,"",@progbits
; Kernel info:
; codeLenInByte = 0
; TotalNumSgprs: 4
; NumVgprs: 0
; ScratchSize: 0
; MemoryBound: 0
; FloatMode: 240
; IeeeMode: 1
; LDSByteSize: 0 bytes/workgroup (compile time only)
; SGPRBlocks: 0
; VGPRBlocks: 0
; NumSGPRsForWavesPerEU: 4
; NumVGPRsForWavesPerEU: 1
; Occupancy: 10
; WaveLimiterHint : 0
; COMPUTE_PGM_RSRC2:SCRATCH_EN: 0
; COMPUTE_PGM_RSRC2:USER_SGPR: 6
; COMPUTE_PGM_RSRC2:TRAP_HANDLER: 0
; COMPUTE_PGM_RSRC2:TGID_X_EN: 1
; COMPUTE_PGM_RSRC2:TGID_Y_EN: 0
; COMPUTE_PGM_RSRC2:TGID_Z_EN: 0
; COMPUTE_PGM_RSRC2:TIDIG_COMP_CNT: 0
	.section	.text._ZN7rocprim17ROCPRIM_400000_NS6detail17trampoline_kernelINS0_14default_configENS1_22reduce_config_selectorIlEEZNS1_11reduce_implILb1ES3_N6thrust23THRUST_200600_302600_NS11hip_rocprim26transform_input_iterator_tIlNS8_12zip_iteratorINS8_5tupleINS8_6detail15normal_iteratorINS8_10device_ptrIjEEEESH_NS8_9null_typeESI_SI_SI_SI_SI_SI_SI_EEEENS9_21zip_adj_not_predicateINS8_8equal_toIjEEEEEEPllNS8_4plusIlEEEE10hipError_tPvRmT1_T2_T3_mT4_P12ihipStream_tbEUlT_E0_NS1_11comp_targetILNS1_3genE3ELNS1_11target_archE908ELNS1_3gpuE7ELNS1_3repE0EEENS1_30default_config_static_selectorELNS0_4arch9wavefront6targetE1EEEvSW_,"axG",@progbits,_ZN7rocprim17ROCPRIM_400000_NS6detail17trampoline_kernelINS0_14default_configENS1_22reduce_config_selectorIlEEZNS1_11reduce_implILb1ES3_N6thrust23THRUST_200600_302600_NS11hip_rocprim26transform_input_iterator_tIlNS8_12zip_iteratorINS8_5tupleINS8_6detail15normal_iteratorINS8_10device_ptrIjEEEESH_NS8_9null_typeESI_SI_SI_SI_SI_SI_SI_EEEENS9_21zip_adj_not_predicateINS8_8equal_toIjEEEEEEPllNS8_4plusIlEEEE10hipError_tPvRmT1_T2_T3_mT4_P12ihipStream_tbEUlT_E0_NS1_11comp_targetILNS1_3genE3ELNS1_11target_archE908ELNS1_3gpuE7ELNS1_3repE0EEENS1_30default_config_static_selectorELNS0_4arch9wavefront6targetE1EEEvSW_,comdat
	.protected	_ZN7rocprim17ROCPRIM_400000_NS6detail17trampoline_kernelINS0_14default_configENS1_22reduce_config_selectorIlEEZNS1_11reduce_implILb1ES3_N6thrust23THRUST_200600_302600_NS11hip_rocprim26transform_input_iterator_tIlNS8_12zip_iteratorINS8_5tupleINS8_6detail15normal_iteratorINS8_10device_ptrIjEEEESH_NS8_9null_typeESI_SI_SI_SI_SI_SI_SI_EEEENS9_21zip_adj_not_predicateINS8_8equal_toIjEEEEEEPllNS8_4plusIlEEEE10hipError_tPvRmT1_T2_T3_mT4_P12ihipStream_tbEUlT_E0_NS1_11comp_targetILNS1_3genE3ELNS1_11target_archE908ELNS1_3gpuE7ELNS1_3repE0EEENS1_30default_config_static_selectorELNS0_4arch9wavefront6targetE1EEEvSW_ ; -- Begin function _ZN7rocprim17ROCPRIM_400000_NS6detail17trampoline_kernelINS0_14default_configENS1_22reduce_config_selectorIlEEZNS1_11reduce_implILb1ES3_N6thrust23THRUST_200600_302600_NS11hip_rocprim26transform_input_iterator_tIlNS8_12zip_iteratorINS8_5tupleINS8_6detail15normal_iteratorINS8_10device_ptrIjEEEESH_NS8_9null_typeESI_SI_SI_SI_SI_SI_SI_EEEENS9_21zip_adj_not_predicateINS8_8equal_toIjEEEEEEPllNS8_4plusIlEEEE10hipError_tPvRmT1_T2_T3_mT4_P12ihipStream_tbEUlT_E0_NS1_11comp_targetILNS1_3genE3ELNS1_11target_archE908ELNS1_3gpuE7ELNS1_3repE0EEENS1_30default_config_static_selectorELNS0_4arch9wavefront6targetE1EEEvSW_
	.globl	_ZN7rocprim17ROCPRIM_400000_NS6detail17trampoline_kernelINS0_14default_configENS1_22reduce_config_selectorIlEEZNS1_11reduce_implILb1ES3_N6thrust23THRUST_200600_302600_NS11hip_rocprim26transform_input_iterator_tIlNS8_12zip_iteratorINS8_5tupleINS8_6detail15normal_iteratorINS8_10device_ptrIjEEEESH_NS8_9null_typeESI_SI_SI_SI_SI_SI_SI_EEEENS9_21zip_adj_not_predicateINS8_8equal_toIjEEEEEEPllNS8_4plusIlEEEE10hipError_tPvRmT1_T2_T3_mT4_P12ihipStream_tbEUlT_E0_NS1_11comp_targetILNS1_3genE3ELNS1_11target_archE908ELNS1_3gpuE7ELNS1_3repE0EEENS1_30default_config_static_selectorELNS0_4arch9wavefront6targetE1EEEvSW_
	.p2align	8
	.type	_ZN7rocprim17ROCPRIM_400000_NS6detail17trampoline_kernelINS0_14default_configENS1_22reduce_config_selectorIlEEZNS1_11reduce_implILb1ES3_N6thrust23THRUST_200600_302600_NS11hip_rocprim26transform_input_iterator_tIlNS8_12zip_iteratorINS8_5tupleINS8_6detail15normal_iteratorINS8_10device_ptrIjEEEESH_NS8_9null_typeESI_SI_SI_SI_SI_SI_SI_EEEENS9_21zip_adj_not_predicateINS8_8equal_toIjEEEEEEPllNS8_4plusIlEEEE10hipError_tPvRmT1_T2_T3_mT4_P12ihipStream_tbEUlT_E0_NS1_11comp_targetILNS1_3genE3ELNS1_11target_archE908ELNS1_3gpuE7ELNS1_3repE0EEENS1_30default_config_static_selectorELNS0_4arch9wavefront6targetE1EEEvSW_,@function
_ZN7rocprim17ROCPRIM_400000_NS6detail17trampoline_kernelINS0_14default_configENS1_22reduce_config_selectorIlEEZNS1_11reduce_implILb1ES3_N6thrust23THRUST_200600_302600_NS11hip_rocprim26transform_input_iterator_tIlNS8_12zip_iteratorINS8_5tupleINS8_6detail15normal_iteratorINS8_10device_ptrIjEEEESH_NS8_9null_typeESI_SI_SI_SI_SI_SI_SI_EEEENS9_21zip_adj_not_predicateINS8_8equal_toIjEEEEEEPllNS8_4plusIlEEEE10hipError_tPvRmT1_T2_T3_mT4_P12ihipStream_tbEUlT_E0_NS1_11comp_targetILNS1_3genE3ELNS1_11target_archE908ELNS1_3gpuE7ELNS1_3repE0EEENS1_30default_config_static_selectorELNS0_4arch9wavefront6targetE1EEEvSW_: ; @_ZN7rocprim17ROCPRIM_400000_NS6detail17trampoline_kernelINS0_14default_configENS1_22reduce_config_selectorIlEEZNS1_11reduce_implILb1ES3_N6thrust23THRUST_200600_302600_NS11hip_rocprim26transform_input_iterator_tIlNS8_12zip_iteratorINS8_5tupleINS8_6detail15normal_iteratorINS8_10device_ptrIjEEEESH_NS8_9null_typeESI_SI_SI_SI_SI_SI_SI_EEEENS9_21zip_adj_not_predicateINS8_8equal_toIjEEEEEEPllNS8_4plusIlEEEE10hipError_tPvRmT1_T2_T3_mT4_P12ihipStream_tbEUlT_E0_NS1_11comp_targetILNS1_3genE3ELNS1_11target_archE908ELNS1_3gpuE7ELNS1_3repE0EEENS1_30default_config_static_selectorELNS0_4arch9wavefront6targetE1EEEvSW_
; %bb.0:
	.section	.rodata,"a",@progbits
	.p2align	6, 0x0
	.amdhsa_kernel _ZN7rocprim17ROCPRIM_400000_NS6detail17trampoline_kernelINS0_14default_configENS1_22reduce_config_selectorIlEEZNS1_11reduce_implILb1ES3_N6thrust23THRUST_200600_302600_NS11hip_rocprim26transform_input_iterator_tIlNS8_12zip_iteratorINS8_5tupleINS8_6detail15normal_iteratorINS8_10device_ptrIjEEEESH_NS8_9null_typeESI_SI_SI_SI_SI_SI_SI_EEEENS9_21zip_adj_not_predicateINS8_8equal_toIjEEEEEEPllNS8_4plusIlEEEE10hipError_tPvRmT1_T2_T3_mT4_P12ihipStream_tbEUlT_E0_NS1_11comp_targetILNS1_3genE3ELNS1_11target_archE908ELNS1_3gpuE7ELNS1_3repE0EEENS1_30default_config_static_selectorELNS0_4arch9wavefront6targetE1EEEvSW_
		.amdhsa_group_segment_fixed_size 0
		.amdhsa_private_segment_fixed_size 0
		.amdhsa_kernarg_size 80
		.amdhsa_user_sgpr_count 6
		.amdhsa_user_sgpr_private_segment_buffer 1
		.amdhsa_user_sgpr_dispatch_ptr 0
		.amdhsa_user_sgpr_queue_ptr 0
		.amdhsa_user_sgpr_kernarg_segment_ptr 1
		.amdhsa_user_sgpr_dispatch_id 0
		.amdhsa_user_sgpr_flat_scratch_init 0
		.amdhsa_user_sgpr_private_segment_size 0
		.amdhsa_uses_dynamic_stack 0
		.amdhsa_system_sgpr_private_segment_wavefront_offset 0
		.amdhsa_system_sgpr_workgroup_id_x 1
		.amdhsa_system_sgpr_workgroup_id_y 0
		.amdhsa_system_sgpr_workgroup_id_z 0
		.amdhsa_system_sgpr_workgroup_info 0
		.amdhsa_system_vgpr_workitem_id 0
		.amdhsa_next_free_vgpr 1
		.amdhsa_next_free_sgpr 0
		.amdhsa_reserve_vcc 0
		.amdhsa_reserve_flat_scratch 0
		.amdhsa_float_round_mode_32 0
		.amdhsa_float_round_mode_16_64 0
		.amdhsa_float_denorm_mode_32 3
		.amdhsa_float_denorm_mode_16_64 3
		.amdhsa_dx10_clamp 1
		.amdhsa_ieee_mode 1
		.amdhsa_fp16_overflow 0
		.amdhsa_exception_fp_ieee_invalid_op 0
		.amdhsa_exception_fp_denorm_src 0
		.amdhsa_exception_fp_ieee_div_zero 0
		.amdhsa_exception_fp_ieee_overflow 0
		.amdhsa_exception_fp_ieee_underflow 0
		.amdhsa_exception_fp_ieee_inexact 0
		.amdhsa_exception_int_div_zero 0
	.end_amdhsa_kernel
	.section	.text._ZN7rocprim17ROCPRIM_400000_NS6detail17trampoline_kernelINS0_14default_configENS1_22reduce_config_selectorIlEEZNS1_11reduce_implILb1ES3_N6thrust23THRUST_200600_302600_NS11hip_rocprim26transform_input_iterator_tIlNS8_12zip_iteratorINS8_5tupleINS8_6detail15normal_iteratorINS8_10device_ptrIjEEEESH_NS8_9null_typeESI_SI_SI_SI_SI_SI_SI_EEEENS9_21zip_adj_not_predicateINS8_8equal_toIjEEEEEEPllNS8_4plusIlEEEE10hipError_tPvRmT1_T2_T3_mT4_P12ihipStream_tbEUlT_E0_NS1_11comp_targetILNS1_3genE3ELNS1_11target_archE908ELNS1_3gpuE7ELNS1_3repE0EEENS1_30default_config_static_selectorELNS0_4arch9wavefront6targetE1EEEvSW_,"axG",@progbits,_ZN7rocprim17ROCPRIM_400000_NS6detail17trampoline_kernelINS0_14default_configENS1_22reduce_config_selectorIlEEZNS1_11reduce_implILb1ES3_N6thrust23THRUST_200600_302600_NS11hip_rocprim26transform_input_iterator_tIlNS8_12zip_iteratorINS8_5tupleINS8_6detail15normal_iteratorINS8_10device_ptrIjEEEESH_NS8_9null_typeESI_SI_SI_SI_SI_SI_SI_EEEENS9_21zip_adj_not_predicateINS8_8equal_toIjEEEEEEPllNS8_4plusIlEEEE10hipError_tPvRmT1_T2_T3_mT4_P12ihipStream_tbEUlT_E0_NS1_11comp_targetILNS1_3genE3ELNS1_11target_archE908ELNS1_3gpuE7ELNS1_3repE0EEENS1_30default_config_static_selectorELNS0_4arch9wavefront6targetE1EEEvSW_,comdat
.Lfunc_end854:
	.size	_ZN7rocprim17ROCPRIM_400000_NS6detail17trampoline_kernelINS0_14default_configENS1_22reduce_config_selectorIlEEZNS1_11reduce_implILb1ES3_N6thrust23THRUST_200600_302600_NS11hip_rocprim26transform_input_iterator_tIlNS8_12zip_iteratorINS8_5tupleINS8_6detail15normal_iteratorINS8_10device_ptrIjEEEESH_NS8_9null_typeESI_SI_SI_SI_SI_SI_SI_EEEENS9_21zip_adj_not_predicateINS8_8equal_toIjEEEEEEPllNS8_4plusIlEEEE10hipError_tPvRmT1_T2_T3_mT4_P12ihipStream_tbEUlT_E0_NS1_11comp_targetILNS1_3genE3ELNS1_11target_archE908ELNS1_3gpuE7ELNS1_3repE0EEENS1_30default_config_static_selectorELNS0_4arch9wavefront6targetE1EEEvSW_, .Lfunc_end854-_ZN7rocprim17ROCPRIM_400000_NS6detail17trampoline_kernelINS0_14default_configENS1_22reduce_config_selectorIlEEZNS1_11reduce_implILb1ES3_N6thrust23THRUST_200600_302600_NS11hip_rocprim26transform_input_iterator_tIlNS8_12zip_iteratorINS8_5tupleINS8_6detail15normal_iteratorINS8_10device_ptrIjEEEESH_NS8_9null_typeESI_SI_SI_SI_SI_SI_SI_EEEENS9_21zip_adj_not_predicateINS8_8equal_toIjEEEEEEPllNS8_4plusIlEEEE10hipError_tPvRmT1_T2_T3_mT4_P12ihipStream_tbEUlT_E0_NS1_11comp_targetILNS1_3genE3ELNS1_11target_archE908ELNS1_3gpuE7ELNS1_3repE0EEENS1_30default_config_static_selectorELNS0_4arch9wavefront6targetE1EEEvSW_
                                        ; -- End function
	.set _ZN7rocprim17ROCPRIM_400000_NS6detail17trampoline_kernelINS0_14default_configENS1_22reduce_config_selectorIlEEZNS1_11reduce_implILb1ES3_N6thrust23THRUST_200600_302600_NS11hip_rocprim26transform_input_iterator_tIlNS8_12zip_iteratorINS8_5tupleINS8_6detail15normal_iteratorINS8_10device_ptrIjEEEESH_NS8_9null_typeESI_SI_SI_SI_SI_SI_SI_EEEENS9_21zip_adj_not_predicateINS8_8equal_toIjEEEEEEPllNS8_4plusIlEEEE10hipError_tPvRmT1_T2_T3_mT4_P12ihipStream_tbEUlT_E0_NS1_11comp_targetILNS1_3genE3ELNS1_11target_archE908ELNS1_3gpuE7ELNS1_3repE0EEENS1_30default_config_static_selectorELNS0_4arch9wavefront6targetE1EEEvSW_.num_vgpr, 0
	.set _ZN7rocprim17ROCPRIM_400000_NS6detail17trampoline_kernelINS0_14default_configENS1_22reduce_config_selectorIlEEZNS1_11reduce_implILb1ES3_N6thrust23THRUST_200600_302600_NS11hip_rocprim26transform_input_iterator_tIlNS8_12zip_iteratorINS8_5tupleINS8_6detail15normal_iteratorINS8_10device_ptrIjEEEESH_NS8_9null_typeESI_SI_SI_SI_SI_SI_SI_EEEENS9_21zip_adj_not_predicateINS8_8equal_toIjEEEEEEPllNS8_4plusIlEEEE10hipError_tPvRmT1_T2_T3_mT4_P12ihipStream_tbEUlT_E0_NS1_11comp_targetILNS1_3genE3ELNS1_11target_archE908ELNS1_3gpuE7ELNS1_3repE0EEENS1_30default_config_static_selectorELNS0_4arch9wavefront6targetE1EEEvSW_.num_agpr, 0
	.set _ZN7rocprim17ROCPRIM_400000_NS6detail17trampoline_kernelINS0_14default_configENS1_22reduce_config_selectorIlEEZNS1_11reduce_implILb1ES3_N6thrust23THRUST_200600_302600_NS11hip_rocprim26transform_input_iterator_tIlNS8_12zip_iteratorINS8_5tupleINS8_6detail15normal_iteratorINS8_10device_ptrIjEEEESH_NS8_9null_typeESI_SI_SI_SI_SI_SI_SI_EEEENS9_21zip_adj_not_predicateINS8_8equal_toIjEEEEEEPllNS8_4plusIlEEEE10hipError_tPvRmT1_T2_T3_mT4_P12ihipStream_tbEUlT_E0_NS1_11comp_targetILNS1_3genE3ELNS1_11target_archE908ELNS1_3gpuE7ELNS1_3repE0EEENS1_30default_config_static_selectorELNS0_4arch9wavefront6targetE1EEEvSW_.numbered_sgpr, 0
	.set _ZN7rocprim17ROCPRIM_400000_NS6detail17trampoline_kernelINS0_14default_configENS1_22reduce_config_selectorIlEEZNS1_11reduce_implILb1ES3_N6thrust23THRUST_200600_302600_NS11hip_rocprim26transform_input_iterator_tIlNS8_12zip_iteratorINS8_5tupleINS8_6detail15normal_iteratorINS8_10device_ptrIjEEEESH_NS8_9null_typeESI_SI_SI_SI_SI_SI_SI_EEEENS9_21zip_adj_not_predicateINS8_8equal_toIjEEEEEEPllNS8_4plusIlEEEE10hipError_tPvRmT1_T2_T3_mT4_P12ihipStream_tbEUlT_E0_NS1_11comp_targetILNS1_3genE3ELNS1_11target_archE908ELNS1_3gpuE7ELNS1_3repE0EEENS1_30default_config_static_selectorELNS0_4arch9wavefront6targetE1EEEvSW_.num_named_barrier, 0
	.set _ZN7rocprim17ROCPRIM_400000_NS6detail17trampoline_kernelINS0_14default_configENS1_22reduce_config_selectorIlEEZNS1_11reduce_implILb1ES3_N6thrust23THRUST_200600_302600_NS11hip_rocprim26transform_input_iterator_tIlNS8_12zip_iteratorINS8_5tupleINS8_6detail15normal_iteratorINS8_10device_ptrIjEEEESH_NS8_9null_typeESI_SI_SI_SI_SI_SI_SI_EEEENS9_21zip_adj_not_predicateINS8_8equal_toIjEEEEEEPllNS8_4plusIlEEEE10hipError_tPvRmT1_T2_T3_mT4_P12ihipStream_tbEUlT_E0_NS1_11comp_targetILNS1_3genE3ELNS1_11target_archE908ELNS1_3gpuE7ELNS1_3repE0EEENS1_30default_config_static_selectorELNS0_4arch9wavefront6targetE1EEEvSW_.private_seg_size, 0
	.set _ZN7rocprim17ROCPRIM_400000_NS6detail17trampoline_kernelINS0_14default_configENS1_22reduce_config_selectorIlEEZNS1_11reduce_implILb1ES3_N6thrust23THRUST_200600_302600_NS11hip_rocprim26transform_input_iterator_tIlNS8_12zip_iteratorINS8_5tupleINS8_6detail15normal_iteratorINS8_10device_ptrIjEEEESH_NS8_9null_typeESI_SI_SI_SI_SI_SI_SI_EEEENS9_21zip_adj_not_predicateINS8_8equal_toIjEEEEEEPllNS8_4plusIlEEEE10hipError_tPvRmT1_T2_T3_mT4_P12ihipStream_tbEUlT_E0_NS1_11comp_targetILNS1_3genE3ELNS1_11target_archE908ELNS1_3gpuE7ELNS1_3repE0EEENS1_30default_config_static_selectorELNS0_4arch9wavefront6targetE1EEEvSW_.uses_vcc, 0
	.set _ZN7rocprim17ROCPRIM_400000_NS6detail17trampoline_kernelINS0_14default_configENS1_22reduce_config_selectorIlEEZNS1_11reduce_implILb1ES3_N6thrust23THRUST_200600_302600_NS11hip_rocprim26transform_input_iterator_tIlNS8_12zip_iteratorINS8_5tupleINS8_6detail15normal_iteratorINS8_10device_ptrIjEEEESH_NS8_9null_typeESI_SI_SI_SI_SI_SI_SI_EEEENS9_21zip_adj_not_predicateINS8_8equal_toIjEEEEEEPllNS8_4plusIlEEEE10hipError_tPvRmT1_T2_T3_mT4_P12ihipStream_tbEUlT_E0_NS1_11comp_targetILNS1_3genE3ELNS1_11target_archE908ELNS1_3gpuE7ELNS1_3repE0EEENS1_30default_config_static_selectorELNS0_4arch9wavefront6targetE1EEEvSW_.uses_flat_scratch, 0
	.set _ZN7rocprim17ROCPRIM_400000_NS6detail17trampoline_kernelINS0_14default_configENS1_22reduce_config_selectorIlEEZNS1_11reduce_implILb1ES3_N6thrust23THRUST_200600_302600_NS11hip_rocprim26transform_input_iterator_tIlNS8_12zip_iteratorINS8_5tupleINS8_6detail15normal_iteratorINS8_10device_ptrIjEEEESH_NS8_9null_typeESI_SI_SI_SI_SI_SI_SI_EEEENS9_21zip_adj_not_predicateINS8_8equal_toIjEEEEEEPllNS8_4plusIlEEEE10hipError_tPvRmT1_T2_T3_mT4_P12ihipStream_tbEUlT_E0_NS1_11comp_targetILNS1_3genE3ELNS1_11target_archE908ELNS1_3gpuE7ELNS1_3repE0EEENS1_30default_config_static_selectorELNS0_4arch9wavefront6targetE1EEEvSW_.has_dyn_sized_stack, 0
	.set _ZN7rocprim17ROCPRIM_400000_NS6detail17trampoline_kernelINS0_14default_configENS1_22reduce_config_selectorIlEEZNS1_11reduce_implILb1ES3_N6thrust23THRUST_200600_302600_NS11hip_rocprim26transform_input_iterator_tIlNS8_12zip_iteratorINS8_5tupleINS8_6detail15normal_iteratorINS8_10device_ptrIjEEEESH_NS8_9null_typeESI_SI_SI_SI_SI_SI_SI_EEEENS9_21zip_adj_not_predicateINS8_8equal_toIjEEEEEEPllNS8_4plusIlEEEE10hipError_tPvRmT1_T2_T3_mT4_P12ihipStream_tbEUlT_E0_NS1_11comp_targetILNS1_3genE3ELNS1_11target_archE908ELNS1_3gpuE7ELNS1_3repE0EEENS1_30default_config_static_selectorELNS0_4arch9wavefront6targetE1EEEvSW_.has_recursion, 0
	.set _ZN7rocprim17ROCPRIM_400000_NS6detail17trampoline_kernelINS0_14default_configENS1_22reduce_config_selectorIlEEZNS1_11reduce_implILb1ES3_N6thrust23THRUST_200600_302600_NS11hip_rocprim26transform_input_iterator_tIlNS8_12zip_iteratorINS8_5tupleINS8_6detail15normal_iteratorINS8_10device_ptrIjEEEESH_NS8_9null_typeESI_SI_SI_SI_SI_SI_SI_EEEENS9_21zip_adj_not_predicateINS8_8equal_toIjEEEEEEPllNS8_4plusIlEEEE10hipError_tPvRmT1_T2_T3_mT4_P12ihipStream_tbEUlT_E0_NS1_11comp_targetILNS1_3genE3ELNS1_11target_archE908ELNS1_3gpuE7ELNS1_3repE0EEENS1_30default_config_static_selectorELNS0_4arch9wavefront6targetE1EEEvSW_.has_indirect_call, 0
	.section	.AMDGPU.csdata,"",@progbits
; Kernel info:
; codeLenInByte = 0
; TotalNumSgprs: 4
; NumVgprs: 0
; ScratchSize: 0
; MemoryBound: 0
; FloatMode: 240
; IeeeMode: 1
; LDSByteSize: 0 bytes/workgroup (compile time only)
; SGPRBlocks: 0
; VGPRBlocks: 0
; NumSGPRsForWavesPerEU: 4
; NumVGPRsForWavesPerEU: 1
; Occupancy: 10
; WaveLimiterHint : 0
; COMPUTE_PGM_RSRC2:SCRATCH_EN: 0
; COMPUTE_PGM_RSRC2:USER_SGPR: 6
; COMPUTE_PGM_RSRC2:TRAP_HANDLER: 0
; COMPUTE_PGM_RSRC2:TGID_X_EN: 1
; COMPUTE_PGM_RSRC2:TGID_Y_EN: 0
; COMPUTE_PGM_RSRC2:TGID_Z_EN: 0
; COMPUTE_PGM_RSRC2:TIDIG_COMP_CNT: 0
	.section	.text._ZN7rocprim17ROCPRIM_400000_NS6detail17trampoline_kernelINS0_14default_configENS1_22reduce_config_selectorIlEEZNS1_11reduce_implILb1ES3_N6thrust23THRUST_200600_302600_NS11hip_rocprim26transform_input_iterator_tIlNS8_12zip_iteratorINS8_5tupleINS8_6detail15normal_iteratorINS8_10device_ptrIjEEEESH_NS8_9null_typeESI_SI_SI_SI_SI_SI_SI_EEEENS9_21zip_adj_not_predicateINS8_8equal_toIjEEEEEEPllNS8_4plusIlEEEE10hipError_tPvRmT1_T2_T3_mT4_P12ihipStream_tbEUlT_E0_NS1_11comp_targetILNS1_3genE2ELNS1_11target_archE906ELNS1_3gpuE6ELNS1_3repE0EEENS1_30default_config_static_selectorELNS0_4arch9wavefront6targetE1EEEvSW_,"axG",@progbits,_ZN7rocprim17ROCPRIM_400000_NS6detail17trampoline_kernelINS0_14default_configENS1_22reduce_config_selectorIlEEZNS1_11reduce_implILb1ES3_N6thrust23THRUST_200600_302600_NS11hip_rocprim26transform_input_iterator_tIlNS8_12zip_iteratorINS8_5tupleINS8_6detail15normal_iteratorINS8_10device_ptrIjEEEESH_NS8_9null_typeESI_SI_SI_SI_SI_SI_SI_EEEENS9_21zip_adj_not_predicateINS8_8equal_toIjEEEEEEPllNS8_4plusIlEEEE10hipError_tPvRmT1_T2_T3_mT4_P12ihipStream_tbEUlT_E0_NS1_11comp_targetILNS1_3genE2ELNS1_11target_archE906ELNS1_3gpuE6ELNS1_3repE0EEENS1_30default_config_static_selectorELNS0_4arch9wavefront6targetE1EEEvSW_,comdat
	.protected	_ZN7rocprim17ROCPRIM_400000_NS6detail17trampoline_kernelINS0_14default_configENS1_22reduce_config_selectorIlEEZNS1_11reduce_implILb1ES3_N6thrust23THRUST_200600_302600_NS11hip_rocprim26transform_input_iterator_tIlNS8_12zip_iteratorINS8_5tupleINS8_6detail15normal_iteratorINS8_10device_ptrIjEEEESH_NS8_9null_typeESI_SI_SI_SI_SI_SI_SI_EEEENS9_21zip_adj_not_predicateINS8_8equal_toIjEEEEEEPllNS8_4plusIlEEEE10hipError_tPvRmT1_T2_T3_mT4_P12ihipStream_tbEUlT_E0_NS1_11comp_targetILNS1_3genE2ELNS1_11target_archE906ELNS1_3gpuE6ELNS1_3repE0EEENS1_30default_config_static_selectorELNS0_4arch9wavefront6targetE1EEEvSW_ ; -- Begin function _ZN7rocprim17ROCPRIM_400000_NS6detail17trampoline_kernelINS0_14default_configENS1_22reduce_config_selectorIlEEZNS1_11reduce_implILb1ES3_N6thrust23THRUST_200600_302600_NS11hip_rocprim26transform_input_iterator_tIlNS8_12zip_iteratorINS8_5tupleINS8_6detail15normal_iteratorINS8_10device_ptrIjEEEESH_NS8_9null_typeESI_SI_SI_SI_SI_SI_SI_EEEENS9_21zip_adj_not_predicateINS8_8equal_toIjEEEEEEPllNS8_4plusIlEEEE10hipError_tPvRmT1_T2_T3_mT4_P12ihipStream_tbEUlT_E0_NS1_11comp_targetILNS1_3genE2ELNS1_11target_archE906ELNS1_3gpuE6ELNS1_3repE0EEENS1_30default_config_static_selectorELNS0_4arch9wavefront6targetE1EEEvSW_
	.globl	_ZN7rocprim17ROCPRIM_400000_NS6detail17trampoline_kernelINS0_14default_configENS1_22reduce_config_selectorIlEEZNS1_11reduce_implILb1ES3_N6thrust23THRUST_200600_302600_NS11hip_rocprim26transform_input_iterator_tIlNS8_12zip_iteratorINS8_5tupleINS8_6detail15normal_iteratorINS8_10device_ptrIjEEEESH_NS8_9null_typeESI_SI_SI_SI_SI_SI_SI_EEEENS9_21zip_adj_not_predicateINS8_8equal_toIjEEEEEEPllNS8_4plusIlEEEE10hipError_tPvRmT1_T2_T3_mT4_P12ihipStream_tbEUlT_E0_NS1_11comp_targetILNS1_3genE2ELNS1_11target_archE906ELNS1_3gpuE6ELNS1_3repE0EEENS1_30default_config_static_selectorELNS0_4arch9wavefront6targetE1EEEvSW_
	.p2align	8
	.type	_ZN7rocprim17ROCPRIM_400000_NS6detail17trampoline_kernelINS0_14default_configENS1_22reduce_config_selectorIlEEZNS1_11reduce_implILb1ES3_N6thrust23THRUST_200600_302600_NS11hip_rocprim26transform_input_iterator_tIlNS8_12zip_iteratorINS8_5tupleINS8_6detail15normal_iteratorINS8_10device_ptrIjEEEESH_NS8_9null_typeESI_SI_SI_SI_SI_SI_SI_EEEENS9_21zip_adj_not_predicateINS8_8equal_toIjEEEEEEPllNS8_4plusIlEEEE10hipError_tPvRmT1_T2_T3_mT4_P12ihipStream_tbEUlT_E0_NS1_11comp_targetILNS1_3genE2ELNS1_11target_archE906ELNS1_3gpuE6ELNS1_3repE0EEENS1_30default_config_static_selectorELNS0_4arch9wavefront6targetE1EEEvSW_,@function
_ZN7rocprim17ROCPRIM_400000_NS6detail17trampoline_kernelINS0_14default_configENS1_22reduce_config_selectorIlEEZNS1_11reduce_implILb1ES3_N6thrust23THRUST_200600_302600_NS11hip_rocprim26transform_input_iterator_tIlNS8_12zip_iteratorINS8_5tupleINS8_6detail15normal_iteratorINS8_10device_ptrIjEEEESH_NS8_9null_typeESI_SI_SI_SI_SI_SI_SI_EEEENS9_21zip_adj_not_predicateINS8_8equal_toIjEEEEEEPllNS8_4plusIlEEEE10hipError_tPvRmT1_T2_T3_mT4_P12ihipStream_tbEUlT_E0_NS1_11comp_targetILNS1_3genE2ELNS1_11target_archE906ELNS1_3gpuE6ELNS1_3repE0EEENS1_30default_config_static_selectorELNS0_4arch9wavefront6targetE1EEEvSW_: ; @_ZN7rocprim17ROCPRIM_400000_NS6detail17trampoline_kernelINS0_14default_configENS1_22reduce_config_selectorIlEEZNS1_11reduce_implILb1ES3_N6thrust23THRUST_200600_302600_NS11hip_rocprim26transform_input_iterator_tIlNS8_12zip_iteratorINS8_5tupleINS8_6detail15normal_iteratorINS8_10device_ptrIjEEEESH_NS8_9null_typeESI_SI_SI_SI_SI_SI_SI_EEEENS9_21zip_adj_not_predicateINS8_8equal_toIjEEEEEEPllNS8_4plusIlEEEE10hipError_tPvRmT1_T2_T3_mT4_P12ihipStream_tbEUlT_E0_NS1_11comp_targetILNS1_3genE2ELNS1_11target_archE906ELNS1_3gpuE6ELNS1_3repE0EEENS1_30default_config_static_selectorELNS0_4arch9wavefront6targetE1EEEvSW_
; %bb.0:
	s_load_dwordx8 s[8:15], s[4:5], 0x18
	s_load_dwordx4 s[0:3], s[4:5], 0x0
	s_load_dwordx4 s[16:19], s[4:5], 0x38
	v_lshlrev_b32_e32 v6, 2, v0
	v_mbcnt_lo_u32_b32 v5, -1, 0
	s_waitcnt lgkmcnt(0)
	s_lshl_b64 s[4:5], s[8:9], 2
	s_add_u32 s0, s0, s4
	s_addc_u32 s1, s1, s5
	s_add_u32 s20, s2, s4
	s_addc_u32 s21, s3, s5
	s_lshl_b32 s4, s6, 9
	s_mov_b32 s5, 0
	s_lshr_b64 s[8:9], s[10:11], 9
	s_lshl_b64 s[2:3], s[4:5], 2
	s_add_u32 s0, s0, s2
	s_addc_u32 s1, s1, s3
	s_add_u32 s2, s20, s2
	s_mov_b32 s7, s5
	s_addc_u32 s3, s21, s3
	s_cmp_lg_u64 s[8:9], s[6:7]
	s_cbranch_scc0 .LBB855_6
; %bb.1:
	global_load_dword v1, v6, s[0:1]
	global_load_dword v2, v6, s[2:3]
	global_load_dword v7, v6, s[2:3] offset:1024
	global_load_dword v8, v6, s[0:1] offset:1024
	v_mov_b32_e32 v4, 0
	v_mbcnt_hi_u32_b32 v3, -1, v5
	s_waitcnt vmcnt(2)
	v_cmp_ne_u32_e32 vcc, v1, v2
	v_cndmask_b32_e64 v1, 0, 1, vcc
	s_waitcnt vmcnt(0)
	v_cmp_ne_u32_e32 vcc, v8, v7
	v_addc_co_u32_e32 v1, vcc, 0, v1, vcc
	v_mov_b32_dpp v9, v4 quad_perm:[1,0,3,2] row_mask:0xf bank_mask:0xf bound_ctrl:1
	s_nop 0
	v_mov_b32_dpp v2, v1 quad_perm:[1,0,3,2] row_mask:0xf bank_mask:0xf bound_ctrl:1
	v_add_co_u32_e32 v1, vcc, v1, v2
	v_addc_co_u32_e64 v2, s[8:9], 0, 0, vcc
	v_add_co_u32_e32 v7, vcc, 0, v1
	v_addc_co_u32_e32 v2, vcc, v9, v2, vcc
	v_mov_b32_dpp v1, v1 quad_perm:[2,3,0,1] row_mask:0xf bank_mask:0xf bound_ctrl:1
	v_add_co_u32_e32 v1, vcc, v7, v1
	v_mov_b32_dpp v8, v2 quad_perm:[2,3,0,1] row_mask:0xf bank_mask:0xf bound_ctrl:1
	v_addc_co_u32_e32 v2, vcc, 0, v2, vcc
	v_add_co_u32_e32 v7, vcc, 0, v1
	v_addc_co_u32_e32 v2, vcc, v2, v8, vcc
	v_mov_b32_dpp v1, v1 row_ror:4 row_mask:0xf bank_mask:0xf bound_ctrl:1
	v_add_co_u32_e32 v1, vcc, v7, v1
	v_mov_b32_dpp v8, v2 row_ror:4 row_mask:0xf bank_mask:0xf bound_ctrl:1
	v_addc_co_u32_e32 v2, vcc, 0, v2, vcc
	v_add_co_u32_e32 v7, vcc, 0, v1
	v_addc_co_u32_e32 v2, vcc, v2, v8, vcc
	v_mov_b32_dpp v1, v1 row_ror:8 row_mask:0xf bank_mask:0xf bound_ctrl:1
	v_add_co_u32_e32 v1, vcc, v7, v1
	v_mov_b32_dpp v8, v2 row_ror:8 row_mask:0xf bank_mask:0xf bound_ctrl:1
	v_addc_co_u32_e32 v2, vcc, 0, v2, vcc
	v_add_co_u32_e32 v7, vcc, 0, v1
	v_addc_co_u32_e32 v2, vcc, v2, v8, vcc
	v_mov_b32_dpp v1, v1 row_bcast:15 row_mask:0xf bank_mask:0xf bound_ctrl:1
	v_add_co_u32_e32 v1, vcc, v7, v1
	v_mov_b32_dpp v8, v2 row_bcast:15 row_mask:0xf bank_mask:0xf bound_ctrl:1
	v_addc_co_u32_e32 v2, vcc, 0, v2, vcc
	v_add_co_u32_e32 v7, vcc, 0, v1
	v_addc_co_u32_e32 v2, vcc, v2, v8, vcc
	v_mov_b32_dpp v1, v1 row_bcast:31 row_mask:0xf bank_mask:0xf bound_ctrl:1
	v_add_co_u32_e32 v1, vcc, v7, v1
	v_lshlrev_b32_e32 v4, 2, v3
	v_addc_co_u32_e32 v7, vcc, 0, v2, vcc
	v_or_b32_e32 v10, 0xfc, v4
	s_nop 0
	v_add_u32_dpp v2, v2, v7 row_bcast:31 row_mask:0xf bank_mask:0xf bound_ctrl:1
	ds_bpermute_b32 v1, v10, v1
	ds_bpermute_b32 v2, v10, v2
	v_cmp_eq_u32_e32 vcc, 0, v3
	s_and_saveexec_b64 s[8:9], vcc
	s_cbranch_execz .LBB855_3
; %bb.2:
	v_lshrrev_b32_e32 v7, 3, v0
	v_and_b32_e32 v7, 24, v7
	s_waitcnt lgkmcnt(0)
	ds_write_b64 v7, v[1:2]
.LBB855_3:
	s_or_b64 exec, exec, s[8:9]
	v_cmp_gt_u32_e32 vcc, 64, v0
	s_waitcnt lgkmcnt(0)
	s_barrier
	s_and_saveexec_b64 s[8:9], vcc
	s_cbranch_execz .LBB855_5
; %bb.4:
	v_and_b32_e32 v7, 3, v3
	v_lshlrev_b32_e32 v1, 3, v7
	ds_read_b64 v[1:2], v1
	v_cmp_ne_u32_e32 vcc, 3, v7
	v_addc_co_u32_e32 v3, vcc, 0, v3, vcc
	v_lshlrev_b32_e32 v3, 2, v3
	s_waitcnt lgkmcnt(0)
	ds_bpermute_b32 v7, v3, v1
	ds_bpermute_b32 v3, v3, v2
	v_or_b32_e32 v4, 8, v4
	s_waitcnt lgkmcnt(1)
	v_add_co_u32_e32 v1, vcc, v1, v7
	v_addc_co_u32_e32 v2, vcc, 0, v2, vcc
	ds_bpermute_b32 v7, v4, v1
	v_add_co_u32_e32 v1, vcc, 0, v1
	s_waitcnt lgkmcnt(1)
	v_addc_co_u32_e32 v2, vcc, v3, v2, vcc
	ds_bpermute_b32 v3, v4, v2
	s_waitcnt lgkmcnt(1)
	v_add_co_u32_e32 v1, vcc, v1, v7
	v_addc_co_u32_e32 v2, vcc, 0, v2, vcc
	v_add_co_u32_e32 v1, vcc, 0, v1
	s_waitcnt lgkmcnt(0)
	v_addc_co_u32_e32 v2, vcc, v2, v3, vcc
.LBB855_5:
	s_or_b64 exec, exec, s[8:9]
	s_branch .LBB855_28
.LBB855_6:
                                        ; implicit-def: $vgpr1_vgpr2
	s_cbranch_execz .LBB855_28
; %bb.7:
	s_sub_i32 s8, s10, s4
	v_mov_b32_e32 v1, 0
	v_cmp_gt_u32_e32 vcc, s8, v0
	v_mov_b32_e32 v2, v1
	v_mov_b32_e32 v3, v1
	;; [unrolled: 1-line block ×3, first 2 shown]
	s_and_saveexec_b64 s[4:5], vcc
	s_cbranch_execz .LBB855_9
; %bb.8:
	global_load_dword v2, v6, s[0:1]
	global_load_dword v3, v6, s[2:3]
	v_mov_b32_e32 v8, v1
	v_mov_b32_e32 v9, v1
	;; [unrolled: 1-line block ×3, first 2 shown]
	s_waitcnt vmcnt(0)
	v_cmp_ne_u32_e32 vcc, v2, v3
	v_cndmask_b32_e64 v2, 0, 1, vcc
	v_and_b32_e32 v7, 0xffff, v2
	v_mov_b32_e32 v1, v7
	v_mov_b32_e32 v2, v8
	;; [unrolled: 1-line block ×4, first 2 shown]
.LBB855_9:
	s_or_b64 exec, exec, s[4:5]
	v_or_b32_e32 v7, 0x100, v0
	v_cmp_gt_u32_e32 vcc, s8, v7
	s_and_saveexec_b64 s[4:5], vcc
	s_cbranch_execz .LBB855_11
; %bb.10:
	global_load_dword v3, v6, s[0:1] offset:1024
	global_load_dword v4, v6, s[2:3] offset:1024
	s_mov_b32 s2, 0
	s_waitcnt vmcnt(0)
	v_cmp_ne_u32_e64 s[0:1], v3, v4
	v_cndmask_b32_e64 v3, 0, 1, s[0:1]
	v_mov_b32_e32 v4, s2
.LBB855_11:
	s_or_b64 exec, exec, s[4:5]
	v_cndmask_b32_e32 v3, 0, v3, vcc
	v_cndmask_b32_e32 v4, 0, v4, vcc
	v_add_co_u32_e32 v1, vcc, v3, v1
	v_mbcnt_hi_u32_b32 v3, -1, v5
	v_addc_co_u32_e32 v2, vcc, v4, v2, vcc
	v_and_b32_e32 v4, 63, v3
	v_cmp_ne_u32_e32 vcc, 63, v4
	v_addc_co_u32_e32 v6, vcc, 0, v3, vcc
	v_lshlrev_b32_e32 v6, 2, v6
	ds_bpermute_b32 v8, v6, v1
	ds_bpermute_b32 v7, v6, v2
	s_min_u32 s2, s8, 0x100
	v_and_b32_e32 v5, 0xc0, v0
	v_sub_u32_e64 v5, s2, v5 clamp
	v_add_u32_e32 v6, 1, v4
	v_cmp_lt_u32_e32 vcc, v6, v5
	v_mov_b32_e32 v6, v1
	s_and_saveexec_b64 s[0:1], vcc
	s_cbranch_execz .LBB855_13
; %bb.12:
	s_waitcnt lgkmcnt(1)
	v_add_co_u32_e32 v6, vcc, v1, v8
	v_addc_co_u32_e32 v2, vcc, 0, v2, vcc
	v_add_co_u32_e32 v1, vcc, 0, v6
	s_waitcnt lgkmcnt(0)
	v_addc_co_u32_e32 v2, vcc, v7, v2, vcc
.LBB855_13:
	s_or_b64 exec, exec, s[0:1]
	v_cmp_gt_u32_e32 vcc, 62, v4
	s_waitcnt lgkmcnt(0)
	v_cndmask_b32_e64 v7, 0, 2, vcc
	v_add_lshl_u32 v7, v7, v3, 2
	ds_bpermute_b32 v8, v7, v6
	ds_bpermute_b32 v7, v7, v2
	v_add_u32_e32 v9, 2, v4
	v_cmp_lt_u32_e32 vcc, v9, v5
	s_and_saveexec_b64 s[0:1], vcc
	s_cbranch_execz .LBB855_15
; %bb.14:
	s_waitcnt lgkmcnt(1)
	v_add_co_u32_e32 v6, vcc, v1, v8
	v_addc_co_u32_e32 v2, vcc, 0, v2, vcc
	v_add_co_u32_e32 v1, vcc, 0, v6
	s_waitcnt lgkmcnt(0)
	v_addc_co_u32_e32 v2, vcc, v7, v2, vcc
.LBB855_15:
	s_or_b64 exec, exec, s[0:1]
	v_cmp_gt_u32_e32 vcc, 60, v4
	s_waitcnt lgkmcnt(0)
	v_cndmask_b32_e64 v7, 0, 4, vcc
	v_add_lshl_u32 v7, v7, v3, 2
	ds_bpermute_b32 v8, v7, v6
	ds_bpermute_b32 v7, v7, v2
	v_add_u32_e32 v9, 4, v4
	v_cmp_lt_u32_e32 vcc, v9, v5
	;; [unrolled: 19-line block ×4, first 2 shown]
	s_and_saveexec_b64 s[0:1], vcc
	s_cbranch_execz .LBB855_21
; %bb.20:
	s_waitcnt lgkmcnt(1)
	v_add_co_u32_e32 v6, vcc, v1, v8
	v_addc_co_u32_e32 v2, vcc, 0, v2, vcc
	v_add_co_u32_e32 v1, vcc, 0, v6
	s_waitcnt lgkmcnt(0)
	v_addc_co_u32_e32 v2, vcc, v7, v2, vcc
.LBB855_21:
	s_or_b64 exec, exec, s[0:1]
	s_waitcnt lgkmcnt(0)
	v_lshlrev_b32_e32 v7, 2, v3
	v_or_b32_e32 v8, 0x80, v7
	ds_bpermute_b32 v6, v8, v6
	ds_bpermute_b32 v8, v8, v2
	v_add_u32_e32 v4, 32, v4
	s_waitcnt lgkmcnt(1)
	v_add_co_u32_e32 v6, vcc, v1, v6
	v_addc_co_u32_e32 v9, vcc, 0, v2, vcc
	v_add_co_u32_e32 v6, vcc, 0, v6
	s_waitcnt lgkmcnt(0)
	v_addc_co_u32_e32 v8, vcc, v9, v8, vcc
	v_cmp_lt_u32_e32 vcc, v4, v5
	v_cndmask_b32_e32 v2, v2, v8, vcc
	v_cndmask_b32_e32 v1, v1, v6, vcc
	v_cmp_eq_u32_e32 vcc, 0, v3
	s_and_saveexec_b64 s[0:1], vcc
; %bb.22:
	v_lshrrev_b32_e32 v4, 3, v0
	v_and_b32_e32 v4, 24, v4
	ds_write_b64 v4, v[1:2] offset:32
; %bb.23:
	s_or_b64 exec, exec, s[0:1]
	v_cmp_gt_u32_e32 vcc, 4, v0
	s_waitcnt lgkmcnt(0)
	s_barrier
	s_and_saveexec_b64 s[0:1], vcc
	s_cbranch_execz .LBB855_27
; %bb.24:
	v_lshlrev_b32_e32 v1, 3, v3
	ds_read_b64 v[1:2], v1 offset:32
	v_and_b32_e32 v4, 3, v3
	v_cmp_ne_u32_e32 vcc, 3, v4
	v_addc_co_u32_e32 v3, vcc, 0, v3, vcc
	v_lshlrev_b32_e32 v3, 2, v3
	s_waitcnt lgkmcnt(0)
	ds_bpermute_b32 v6, v3, v1
	ds_bpermute_b32 v5, v3, v2
	s_add_i32 s2, s2, 63
	s_lshr_b32 s4, s2, 6
	v_add_u32_e32 v3, 1, v4
	v_cmp_gt_u32_e32 vcc, s4, v3
	v_mov_b32_e32 v3, v1
	s_and_saveexec_b64 s[2:3], vcc
	s_cbranch_execz .LBB855_26
; %bb.25:
	s_waitcnt lgkmcnt(1)
	v_add_co_u32_e32 v3, vcc, v1, v6
	v_addc_co_u32_e32 v2, vcc, 0, v2, vcc
	v_add_co_u32_e32 v1, vcc, 0, v3
	s_waitcnt lgkmcnt(0)
	v_addc_co_u32_e32 v2, vcc, v5, v2, vcc
.LBB855_26:
	s_or_b64 exec, exec, s[2:3]
	s_waitcnt lgkmcnt(0)
	v_or_b32_e32 v5, 8, v7
	ds_bpermute_b32 v3, v5, v3
	ds_bpermute_b32 v5, v5, v2
	v_add_u32_e32 v4, 2, v4
	s_waitcnt lgkmcnt(1)
	v_add_co_u32_e32 v3, vcc, v1, v3
	v_addc_co_u32_e32 v6, vcc, 0, v2, vcc
	v_add_co_u32_e32 v3, vcc, 0, v3
	s_waitcnt lgkmcnt(0)
	v_addc_co_u32_e32 v5, vcc, v6, v5, vcc
	v_cmp_gt_u32_e32 vcc, s4, v4
	v_cndmask_b32_e32 v2, v2, v5, vcc
	v_cndmask_b32_e32 v1, v1, v3, vcc
.LBB855_27:
	s_or_b64 exec, exec, s[0:1]
.LBB855_28:
	v_cmp_eq_u32_e32 vcc, 0, v0
	s_and_saveexec_b64 s[0:1], vcc
	s_cbranch_execnz .LBB855_30
; %bb.29:
	s_endpgm
.LBB855_30:
	s_mul_i32 s0, s16, s15
	s_mul_hi_u32 s1, s16, s14
	s_add_i32 s0, s1, s0
	s_mul_i32 s1, s17, s14
	s_add_i32 s1, s0, s1
	s_mul_i32 s0, s16, s14
	s_lshl_b64 s[0:1], s[0:1], 3
	s_add_u32 s2, s12, s0
	s_addc_u32 s3, s13, s1
	s_cmp_eq_u64 s[10:11], 0
	v_mov_b32_e32 v0, s19
	s_cselect_b64 vcc, -1, 0
	s_lshl_b64 s[0:1], s[6:7], 3
	v_cndmask_b32_e32 v2, v2, v0, vcc
	v_mov_b32_e32 v0, s18
	s_add_u32 s0, s2, s0
	v_cndmask_b32_e32 v1, v1, v0, vcc
	s_addc_u32 s1, s3, s1
	v_mov_b32_e32 v0, 0
	global_store_dwordx2 v0, v[1:2], s[0:1]
	s_endpgm
	.section	.rodata,"a",@progbits
	.p2align	6, 0x0
	.amdhsa_kernel _ZN7rocprim17ROCPRIM_400000_NS6detail17trampoline_kernelINS0_14default_configENS1_22reduce_config_selectorIlEEZNS1_11reduce_implILb1ES3_N6thrust23THRUST_200600_302600_NS11hip_rocprim26transform_input_iterator_tIlNS8_12zip_iteratorINS8_5tupleINS8_6detail15normal_iteratorINS8_10device_ptrIjEEEESH_NS8_9null_typeESI_SI_SI_SI_SI_SI_SI_EEEENS9_21zip_adj_not_predicateINS8_8equal_toIjEEEEEEPllNS8_4plusIlEEEE10hipError_tPvRmT1_T2_T3_mT4_P12ihipStream_tbEUlT_E0_NS1_11comp_targetILNS1_3genE2ELNS1_11target_archE906ELNS1_3gpuE6ELNS1_3repE0EEENS1_30default_config_static_selectorELNS0_4arch9wavefront6targetE1EEEvSW_
		.amdhsa_group_segment_fixed_size 64
		.amdhsa_private_segment_fixed_size 0
		.amdhsa_kernarg_size 80
		.amdhsa_user_sgpr_count 6
		.amdhsa_user_sgpr_private_segment_buffer 1
		.amdhsa_user_sgpr_dispatch_ptr 0
		.amdhsa_user_sgpr_queue_ptr 0
		.amdhsa_user_sgpr_kernarg_segment_ptr 1
		.amdhsa_user_sgpr_dispatch_id 0
		.amdhsa_user_sgpr_flat_scratch_init 0
		.amdhsa_user_sgpr_private_segment_size 0
		.amdhsa_uses_dynamic_stack 0
		.amdhsa_system_sgpr_private_segment_wavefront_offset 0
		.amdhsa_system_sgpr_workgroup_id_x 1
		.amdhsa_system_sgpr_workgroup_id_y 0
		.amdhsa_system_sgpr_workgroup_id_z 0
		.amdhsa_system_sgpr_workgroup_info 0
		.amdhsa_system_vgpr_workitem_id 0
		.amdhsa_next_free_vgpr 11
		.amdhsa_next_free_sgpr 22
		.amdhsa_reserve_vcc 1
		.amdhsa_reserve_flat_scratch 0
		.amdhsa_float_round_mode_32 0
		.amdhsa_float_round_mode_16_64 0
		.amdhsa_float_denorm_mode_32 3
		.amdhsa_float_denorm_mode_16_64 3
		.amdhsa_dx10_clamp 1
		.amdhsa_ieee_mode 1
		.amdhsa_fp16_overflow 0
		.amdhsa_exception_fp_ieee_invalid_op 0
		.amdhsa_exception_fp_denorm_src 0
		.amdhsa_exception_fp_ieee_div_zero 0
		.amdhsa_exception_fp_ieee_overflow 0
		.amdhsa_exception_fp_ieee_underflow 0
		.amdhsa_exception_fp_ieee_inexact 0
		.amdhsa_exception_int_div_zero 0
	.end_amdhsa_kernel
	.section	.text._ZN7rocprim17ROCPRIM_400000_NS6detail17trampoline_kernelINS0_14default_configENS1_22reduce_config_selectorIlEEZNS1_11reduce_implILb1ES3_N6thrust23THRUST_200600_302600_NS11hip_rocprim26transform_input_iterator_tIlNS8_12zip_iteratorINS8_5tupleINS8_6detail15normal_iteratorINS8_10device_ptrIjEEEESH_NS8_9null_typeESI_SI_SI_SI_SI_SI_SI_EEEENS9_21zip_adj_not_predicateINS8_8equal_toIjEEEEEEPllNS8_4plusIlEEEE10hipError_tPvRmT1_T2_T3_mT4_P12ihipStream_tbEUlT_E0_NS1_11comp_targetILNS1_3genE2ELNS1_11target_archE906ELNS1_3gpuE6ELNS1_3repE0EEENS1_30default_config_static_selectorELNS0_4arch9wavefront6targetE1EEEvSW_,"axG",@progbits,_ZN7rocprim17ROCPRIM_400000_NS6detail17trampoline_kernelINS0_14default_configENS1_22reduce_config_selectorIlEEZNS1_11reduce_implILb1ES3_N6thrust23THRUST_200600_302600_NS11hip_rocprim26transform_input_iterator_tIlNS8_12zip_iteratorINS8_5tupleINS8_6detail15normal_iteratorINS8_10device_ptrIjEEEESH_NS8_9null_typeESI_SI_SI_SI_SI_SI_SI_EEEENS9_21zip_adj_not_predicateINS8_8equal_toIjEEEEEEPllNS8_4plusIlEEEE10hipError_tPvRmT1_T2_T3_mT4_P12ihipStream_tbEUlT_E0_NS1_11comp_targetILNS1_3genE2ELNS1_11target_archE906ELNS1_3gpuE6ELNS1_3repE0EEENS1_30default_config_static_selectorELNS0_4arch9wavefront6targetE1EEEvSW_,comdat
.Lfunc_end855:
	.size	_ZN7rocprim17ROCPRIM_400000_NS6detail17trampoline_kernelINS0_14default_configENS1_22reduce_config_selectorIlEEZNS1_11reduce_implILb1ES3_N6thrust23THRUST_200600_302600_NS11hip_rocprim26transform_input_iterator_tIlNS8_12zip_iteratorINS8_5tupleINS8_6detail15normal_iteratorINS8_10device_ptrIjEEEESH_NS8_9null_typeESI_SI_SI_SI_SI_SI_SI_EEEENS9_21zip_adj_not_predicateINS8_8equal_toIjEEEEEEPllNS8_4plusIlEEEE10hipError_tPvRmT1_T2_T3_mT4_P12ihipStream_tbEUlT_E0_NS1_11comp_targetILNS1_3genE2ELNS1_11target_archE906ELNS1_3gpuE6ELNS1_3repE0EEENS1_30default_config_static_selectorELNS0_4arch9wavefront6targetE1EEEvSW_, .Lfunc_end855-_ZN7rocprim17ROCPRIM_400000_NS6detail17trampoline_kernelINS0_14default_configENS1_22reduce_config_selectorIlEEZNS1_11reduce_implILb1ES3_N6thrust23THRUST_200600_302600_NS11hip_rocprim26transform_input_iterator_tIlNS8_12zip_iteratorINS8_5tupleINS8_6detail15normal_iteratorINS8_10device_ptrIjEEEESH_NS8_9null_typeESI_SI_SI_SI_SI_SI_SI_EEEENS9_21zip_adj_not_predicateINS8_8equal_toIjEEEEEEPllNS8_4plusIlEEEE10hipError_tPvRmT1_T2_T3_mT4_P12ihipStream_tbEUlT_E0_NS1_11comp_targetILNS1_3genE2ELNS1_11target_archE906ELNS1_3gpuE6ELNS1_3repE0EEENS1_30default_config_static_selectorELNS0_4arch9wavefront6targetE1EEEvSW_
                                        ; -- End function
	.set _ZN7rocprim17ROCPRIM_400000_NS6detail17trampoline_kernelINS0_14default_configENS1_22reduce_config_selectorIlEEZNS1_11reduce_implILb1ES3_N6thrust23THRUST_200600_302600_NS11hip_rocprim26transform_input_iterator_tIlNS8_12zip_iteratorINS8_5tupleINS8_6detail15normal_iteratorINS8_10device_ptrIjEEEESH_NS8_9null_typeESI_SI_SI_SI_SI_SI_SI_EEEENS9_21zip_adj_not_predicateINS8_8equal_toIjEEEEEEPllNS8_4plusIlEEEE10hipError_tPvRmT1_T2_T3_mT4_P12ihipStream_tbEUlT_E0_NS1_11comp_targetILNS1_3genE2ELNS1_11target_archE906ELNS1_3gpuE6ELNS1_3repE0EEENS1_30default_config_static_selectorELNS0_4arch9wavefront6targetE1EEEvSW_.num_vgpr, 11
	.set _ZN7rocprim17ROCPRIM_400000_NS6detail17trampoline_kernelINS0_14default_configENS1_22reduce_config_selectorIlEEZNS1_11reduce_implILb1ES3_N6thrust23THRUST_200600_302600_NS11hip_rocprim26transform_input_iterator_tIlNS8_12zip_iteratorINS8_5tupleINS8_6detail15normal_iteratorINS8_10device_ptrIjEEEESH_NS8_9null_typeESI_SI_SI_SI_SI_SI_SI_EEEENS9_21zip_adj_not_predicateINS8_8equal_toIjEEEEEEPllNS8_4plusIlEEEE10hipError_tPvRmT1_T2_T3_mT4_P12ihipStream_tbEUlT_E0_NS1_11comp_targetILNS1_3genE2ELNS1_11target_archE906ELNS1_3gpuE6ELNS1_3repE0EEENS1_30default_config_static_selectorELNS0_4arch9wavefront6targetE1EEEvSW_.num_agpr, 0
	.set _ZN7rocprim17ROCPRIM_400000_NS6detail17trampoline_kernelINS0_14default_configENS1_22reduce_config_selectorIlEEZNS1_11reduce_implILb1ES3_N6thrust23THRUST_200600_302600_NS11hip_rocprim26transform_input_iterator_tIlNS8_12zip_iteratorINS8_5tupleINS8_6detail15normal_iteratorINS8_10device_ptrIjEEEESH_NS8_9null_typeESI_SI_SI_SI_SI_SI_SI_EEEENS9_21zip_adj_not_predicateINS8_8equal_toIjEEEEEEPllNS8_4plusIlEEEE10hipError_tPvRmT1_T2_T3_mT4_P12ihipStream_tbEUlT_E0_NS1_11comp_targetILNS1_3genE2ELNS1_11target_archE906ELNS1_3gpuE6ELNS1_3repE0EEENS1_30default_config_static_selectorELNS0_4arch9wavefront6targetE1EEEvSW_.numbered_sgpr, 22
	.set _ZN7rocprim17ROCPRIM_400000_NS6detail17trampoline_kernelINS0_14default_configENS1_22reduce_config_selectorIlEEZNS1_11reduce_implILb1ES3_N6thrust23THRUST_200600_302600_NS11hip_rocprim26transform_input_iterator_tIlNS8_12zip_iteratorINS8_5tupleINS8_6detail15normal_iteratorINS8_10device_ptrIjEEEESH_NS8_9null_typeESI_SI_SI_SI_SI_SI_SI_EEEENS9_21zip_adj_not_predicateINS8_8equal_toIjEEEEEEPllNS8_4plusIlEEEE10hipError_tPvRmT1_T2_T3_mT4_P12ihipStream_tbEUlT_E0_NS1_11comp_targetILNS1_3genE2ELNS1_11target_archE906ELNS1_3gpuE6ELNS1_3repE0EEENS1_30default_config_static_selectorELNS0_4arch9wavefront6targetE1EEEvSW_.num_named_barrier, 0
	.set _ZN7rocprim17ROCPRIM_400000_NS6detail17trampoline_kernelINS0_14default_configENS1_22reduce_config_selectorIlEEZNS1_11reduce_implILb1ES3_N6thrust23THRUST_200600_302600_NS11hip_rocprim26transform_input_iterator_tIlNS8_12zip_iteratorINS8_5tupleINS8_6detail15normal_iteratorINS8_10device_ptrIjEEEESH_NS8_9null_typeESI_SI_SI_SI_SI_SI_SI_EEEENS9_21zip_adj_not_predicateINS8_8equal_toIjEEEEEEPllNS8_4plusIlEEEE10hipError_tPvRmT1_T2_T3_mT4_P12ihipStream_tbEUlT_E0_NS1_11comp_targetILNS1_3genE2ELNS1_11target_archE906ELNS1_3gpuE6ELNS1_3repE0EEENS1_30default_config_static_selectorELNS0_4arch9wavefront6targetE1EEEvSW_.private_seg_size, 0
	.set _ZN7rocprim17ROCPRIM_400000_NS6detail17trampoline_kernelINS0_14default_configENS1_22reduce_config_selectorIlEEZNS1_11reduce_implILb1ES3_N6thrust23THRUST_200600_302600_NS11hip_rocprim26transform_input_iterator_tIlNS8_12zip_iteratorINS8_5tupleINS8_6detail15normal_iteratorINS8_10device_ptrIjEEEESH_NS8_9null_typeESI_SI_SI_SI_SI_SI_SI_EEEENS9_21zip_adj_not_predicateINS8_8equal_toIjEEEEEEPllNS8_4plusIlEEEE10hipError_tPvRmT1_T2_T3_mT4_P12ihipStream_tbEUlT_E0_NS1_11comp_targetILNS1_3genE2ELNS1_11target_archE906ELNS1_3gpuE6ELNS1_3repE0EEENS1_30default_config_static_selectorELNS0_4arch9wavefront6targetE1EEEvSW_.uses_vcc, 1
	.set _ZN7rocprim17ROCPRIM_400000_NS6detail17trampoline_kernelINS0_14default_configENS1_22reduce_config_selectorIlEEZNS1_11reduce_implILb1ES3_N6thrust23THRUST_200600_302600_NS11hip_rocprim26transform_input_iterator_tIlNS8_12zip_iteratorINS8_5tupleINS8_6detail15normal_iteratorINS8_10device_ptrIjEEEESH_NS8_9null_typeESI_SI_SI_SI_SI_SI_SI_EEEENS9_21zip_adj_not_predicateINS8_8equal_toIjEEEEEEPllNS8_4plusIlEEEE10hipError_tPvRmT1_T2_T3_mT4_P12ihipStream_tbEUlT_E0_NS1_11comp_targetILNS1_3genE2ELNS1_11target_archE906ELNS1_3gpuE6ELNS1_3repE0EEENS1_30default_config_static_selectorELNS0_4arch9wavefront6targetE1EEEvSW_.uses_flat_scratch, 0
	.set _ZN7rocprim17ROCPRIM_400000_NS6detail17trampoline_kernelINS0_14default_configENS1_22reduce_config_selectorIlEEZNS1_11reduce_implILb1ES3_N6thrust23THRUST_200600_302600_NS11hip_rocprim26transform_input_iterator_tIlNS8_12zip_iteratorINS8_5tupleINS8_6detail15normal_iteratorINS8_10device_ptrIjEEEESH_NS8_9null_typeESI_SI_SI_SI_SI_SI_SI_EEEENS9_21zip_adj_not_predicateINS8_8equal_toIjEEEEEEPllNS8_4plusIlEEEE10hipError_tPvRmT1_T2_T3_mT4_P12ihipStream_tbEUlT_E0_NS1_11comp_targetILNS1_3genE2ELNS1_11target_archE906ELNS1_3gpuE6ELNS1_3repE0EEENS1_30default_config_static_selectorELNS0_4arch9wavefront6targetE1EEEvSW_.has_dyn_sized_stack, 0
	.set _ZN7rocprim17ROCPRIM_400000_NS6detail17trampoline_kernelINS0_14default_configENS1_22reduce_config_selectorIlEEZNS1_11reduce_implILb1ES3_N6thrust23THRUST_200600_302600_NS11hip_rocprim26transform_input_iterator_tIlNS8_12zip_iteratorINS8_5tupleINS8_6detail15normal_iteratorINS8_10device_ptrIjEEEESH_NS8_9null_typeESI_SI_SI_SI_SI_SI_SI_EEEENS9_21zip_adj_not_predicateINS8_8equal_toIjEEEEEEPllNS8_4plusIlEEEE10hipError_tPvRmT1_T2_T3_mT4_P12ihipStream_tbEUlT_E0_NS1_11comp_targetILNS1_3genE2ELNS1_11target_archE906ELNS1_3gpuE6ELNS1_3repE0EEENS1_30default_config_static_selectorELNS0_4arch9wavefront6targetE1EEEvSW_.has_recursion, 0
	.set _ZN7rocprim17ROCPRIM_400000_NS6detail17trampoline_kernelINS0_14default_configENS1_22reduce_config_selectorIlEEZNS1_11reduce_implILb1ES3_N6thrust23THRUST_200600_302600_NS11hip_rocprim26transform_input_iterator_tIlNS8_12zip_iteratorINS8_5tupleINS8_6detail15normal_iteratorINS8_10device_ptrIjEEEESH_NS8_9null_typeESI_SI_SI_SI_SI_SI_SI_EEEENS9_21zip_adj_not_predicateINS8_8equal_toIjEEEEEEPllNS8_4plusIlEEEE10hipError_tPvRmT1_T2_T3_mT4_P12ihipStream_tbEUlT_E0_NS1_11comp_targetILNS1_3genE2ELNS1_11target_archE906ELNS1_3gpuE6ELNS1_3repE0EEENS1_30default_config_static_selectorELNS0_4arch9wavefront6targetE1EEEvSW_.has_indirect_call, 0
	.section	.AMDGPU.csdata,"",@progbits
; Kernel info:
; codeLenInByte = 1616
; TotalNumSgprs: 26
; NumVgprs: 11
; ScratchSize: 0
; MemoryBound: 0
; FloatMode: 240
; IeeeMode: 1
; LDSByteSize: 64 bytes/workgroup (compile time only)
; SGPRBlocks: 3
; VGPRBlocks: 2
; NumSGPRsForWavesPerEU: 26
; NumVGPRsForWavesPerEU: 11
; Occupancy: 10
; WaveLimiterHint : 0
; COMPUTE_PGM_RSRC2:SCRATCH_EN: 0
; COMPUTE_PGM_RSRC2:USER_SGPR: 6
; COMPUTE_PGM_RSRC2:TRAP_HANDLER: 0
; COMPUTE_PGM_RSRC2:TGID_X_EN: 1
; COMPUTE_PGM_RSRC2:TGID_Y_EN: 0
; COMPUTE_PGM_RSRC2:TGID_Z_EN: 0
; COMPUTE_PGM_RSRC2:TIDIG_COMP_CNT: 0
	.section	.text._ZN7rocprim17ROCPRIM_400000_NS6detail17trampoline_kernelINS0_14default_configENS1_22reduce_config_selectorIlEEZNS1_11reduce_implILb1ES3_N6thrust23THRUST_200600_302600_NS11hip_rocprim26transform_input_iterator_tIlNS8_12zip_iteratorINS8_5tupleINS8_6detail15normal_iteratorINS8_10device_ptrIjEEEESH_NS8_9null_typeESI_SI_SI_SI_SI_SI_SI_EEEENS9_21zip_adj_not_predicateINS8_8equal_toIjEEEEEEPllNS8_4plusIlEEEE10hipError_tPvRmT1_T2_T3_mT4_P12ihipStream_tbEUlT_E0_NS1_11comp_targetILNS1_3genE10ELNS1_11target_archE1201ELNS1_3gpuE5ELNS1_3repE0EEENS1_30default_config_static_selectorELNS0_4arch9wavefront6targetE1EEEvSW_,"axG",@progbits,_ZN7rocprim17ROCPRIM_400000_NS6detail17trampoline_kernelINS0_14default_configENS1_22reduce_config_selectorIlEEZNS1_11reduce_implILb1ES3_N6thrust23THRUST_200600_302600_NS11hip_rocprim26transform_input_iterator_tIlNS8_12zip_iteratorINS8_5tupleINS8_6detail15normal_iteratorINS8_10device_ptrIjEEEESH_NS8_9null_typeESI_SI_SI_SI_SI_SI_SI_EEEENS9_21zip_adj_not_predicateINS8_8equal_toIjEEEEEEPllNS8_4plusIlEEEE10hipError_tPvRmT1_T2_T3_mT4_P12ihipStream_tbEUlT_E0_NS1_11comp_targetILNS1_3genE10ELNS1_11target_archE1201ELNS1_3gpuE5ELNS1_3repE0EEENS1_30default_config_static_selectorELNS0_4arch9wavefront6targetE1EEEvSW_,comdat
	.protected	_ZN7rocprim17ROCPRIM_400000_NS6detail17trampoline_kernelINS0_14default_configENS1_22reduce_config_selectorIlEEZNS1_11reduce_implILb1ES3_N6thrust23THRUST_200600_302600_NS11hip_rocprim26transform_input_iterator_tIlNS8_12zip_iteratorINS8_5tupleINS8_6detail15normal_iteratorINS8_10device_ptrIjEEEESH_NS8_9null_typeESI_SI_SI_SI_SI_SI_SI_EEEENS9_21zip_adj_not_predicateINS8_8equal_toIjEEEEEEPllNS8_4plusIlEEEE10hipError_tPvRmT1_T2_T3_mT4_P12ihipStream_tbEUlT_E0_NS1_11comp_targetILNS1_3genE10ELNS1_11target_archE1201ELNS1_3gpuE5ELNS1_3repE0EEENS1_30default_config_static_selectorELNS0_4arch9wavefront6targetE1EEEvSW_ ; -- Begin function _ZN7rocprim17ROCPRIM_400000_NS6detail17trampoline_kernelINS0_14default_configENS1_22reduce_config_selectorIlEEZNS1_11reduce_implILb1ES3_N6thrust23THRUST_200600_302600_NS11hip_rocprim26transform_input_iterator_tIlNS8_12zip_iteratorINS8_5tupleINS8_6detail15normal_iteratorINS8_10device_ptrIjEEEESH_NS8_9null_typeESI_SI_SI_SI_SI_SI_SI_EEEENS9_21zip_adj_not_predicateINS8_8equal_toIjEEEEEEPllNS8_4plusIlEEEE10hipError_tPvRmT1_T2_T3_mT4_P12ihipStream_tbEUlT_E0_NS1_11comp_targetILNS1_3genE10ELNS1_11target_archE1201ELNS1_3gpuE5ELNS1_3repE0EEENS1_30default_config_static_selectorELNS0_4arch9wavefront6targetE1EEEvSW_
	.globl	_ZN7rocprim17ROCPRIM_400000_NS6detail17trampoline_kernelINS0_14default_configENS1_22reduce_config_selectorIlEEZNS1_11reduce_implILb1ES3_N6thrust23THRUST_200600_302600_NS11hip_rocprim26transform_input_iterator_tIlNS8_12zip_iteratorINS8_5tupleINS8_6detail15normal_iteratorINS8_10device_ptrIjEEEESH_NS8_9null_typeESI_SI_SI_SI_SI_SI_SI_EEEENS9_21zip_adj_not_predicateINS8_8equal_toIjEEEEEEPllNS8_4plusIlEEEE10hipError_tPvRmT1_T2_T3_mT4_P12ihipStream_tbEUlT_E0_NS1_11comp_targetILNS1_3genE10ELNS1_11target_archE1201ELNS1_3gpuE5ELNS1_3repE0EEENS1_30default_config_static_selectorELNS0_4arch9wavefront6targetE1EEEvSW_
	.p2align	8
	.type	_ZN7rocprim17ROCPRIM_400000_NS6detail17trampoline_kernelINS0_14default_configENS1_22reduce_config_selectorIlEEZNS1_11reduce_implILb1ES3_N6thrust23THRUST_200600_302600_NS11hip_rocprim26transform_input_iterator_tIlNS8_12zip_iteratorINS8_5tupleINS8_6detail15normal_iteratorINS8_10device_ptrIjEEEESH_NS8_9null_typeESI_SI_SI_SI_SI_SI_SI_EEEENS9_21zip_adj_not_predicateINS8_8equal_toIjEEEEEEPllNS8_4plusIlEEEE10hipError_tPvRmT1_T2_T3_mT4_P12ihipStream_tbEUlT_E0_NS1_11comp_targetILNS1_3genE10ELNS1_11target_archE1201ELNS1_3gpuE5ELNS1_3repE0EEENS1_30default_config_static_selectorELNS0_4arch9wavefront6targetE1EEEvSW_,@function
_ZN7rocprim17ROCPRIM_400000_NS6detail17trampoline_kernelINS0_14default_configENS1_22reduce_config_selectorIlEEZNS1_11reduce_implILb1ES3_N6thrust23THRUST_200600_302600_NS11hip_rocprim26transform_input_iterator_tIlNS8_12zip_iteratorINS8_5tupleINS8_6detail15normal_iteratorINS8_10device_ptrIjEEEESH_NS8_9null_typeESI_SI_SI_SI_SI_SI_SI_EEEENS9_21zip_adj_not_predicateINS8_8equal_toIjEEEEEEPllNS8_4plusIlEEEE10hipError_tPvRmT1_T2_T3_mT4_P12ihipStream_tbEUlT_E0_NS1_11comp_targetILNS1_3genE10ELNS1_11target_archE1201ELNS1_3gpuE5ELNS1_3repE0EEENS1_30default_config_static_selectorELNS0_4arch9wavefront6targetE1EEEvSW_: ; @_ZN7rocprim17ROCPRIM_400000_NS6detail17trampoline_kernelINS0_14default_configENS1_22reduce_config_selectorIlEEZNS1_11reduce_implILb1ES3_N6thrust23THRUST_200600_302600_NS11hip_rocprim26transform_input_iterator_tIlNS8_12zip_iteratorINS8_5tupleINS8_6detail15normal_iteratorINS8_10device_ptrIjEEEESH_NS8_9null_typeESI_SI_SI_SI_SI_SI_SI_EEEENS9_21zip_adj_not_predicateINS8_8equal_toIjEEEEEEPllNS8_4plusIlEEEE10hipError_tPvRmT1_T2_T3_mT4_P12ihipStream_tbEUlT_E0_NS1_11comp_targetILNS1_3genE10ELNS1_11target_archE1201ELNS1_3gpuE5ELNS1_3repE0EEENS1_30default_config_static_selectorELNS0_4arch9wavefront6targetE1EEEvSW_
; %bb.0:
	.section	.rodata,"a",@progbits
	.p2align	6, 0x0
	.amdhsa_kernel _ZN7rocprim17ROCPRIM_400000_NS6detail17trampoline_kernelINS0_14default_configENS1_22reduce_config_selectorIlEEZNS1_11reduce_implILb1ES3_N6thrust23THRUST_200600_302600_NS11hip_rocprim26transform_input_iterator_tIlNS8_12zip_iteratorINS8_5tupleINS8_6detail15normal_iteratorINS8_10device_ptrIjEEEESH_NS8_9null_typeESI_SI_SI_SI_SI_SI_SI_EEEENS9_21zip_adj_not_predicateINS8_8equal_toIjEEEEEEPllNS8_4plusIlEEEE10hipError_tPvRmT1_T2_T3_mT4_P12ihipStream_tbEUlT_E0_NS1_11comp_targetILNS1_3genE10ELNS1_11target_archE1201ELNS1_3gpuE5ELNS1_3repE0EEENS1_30default_config_static_selectorELNS0_4arch9wavefront6targetE1EEEvSW_
		.amdhsa_group_segment_fixed_size 0
		.amdhsa_private_segment_fixed_size 0
		.amdhsa_kernarg_size 80
		.amdhsa_user_sgpr_count 6
		.amdhsa_user_sgpr_private_segment_buffer 1
		.amdhsa_user_sgpr_dispatch_ptr 0
		.amdhsa_user_sgpr_queue_ptr 0
		.amdhsa_user_sgpr_kernarg_segment_ptr 1
		.amdhsa_user_sgpr_dispatch_id 0
		.amdhsa_user_sgpr_flat_scratch_init 0
		.amdhsa_user_sgpr_private_segment_size 0
		.amdhsa_uses_dynamic_stack 0
		.amdhsa_system_sgpr_private_segment_wavefront_offset 0
		.amdhsa_system_sgpr_workgroup_id_x 1
		.amdhsa_system_sgpr_workgroup_id_y 0
		.amdhsa_system_sgpr_workgroup_id_z 0
		.amdhsa_system_sgpr_workgroup_info 0
		.amdhsa_system_vgpr_workitem_id 0
		.amdhsa_next_free_vgpr 1
		.amdhsa_next_free_sgpr 0
		.amdhsa_reserve_vcc 0
		.amdhsa_reserve_flat_scratch 0
		.amdhsa_float_round_mode_32 0
		.amdhsa_float_round_mode_16_64 0
		.amdhsa_float_denorm_mode_32 3
		.amdhsa_float_denorm_mode_16_64 3
		.amdhsa_dx10_clamp 1
		.amdhsa_ieee_mode 1
		.amdhsa_fp16_overflow 0
		.amdhsa_exception_fp_ieee_invalid_op 0
		.amdhsa_exception_fp_denorm_src 0
		.amdhsa_exception_fp_ieee_div_zero 0
		.amdhsa_exception_fp_ieee_overflow 0
		.amdhsa_exception_fp_ieee_underflow 0
		.amdhsa_exception_fp_ieee_inexact 0
		.amdhsa_exception_int_div_zero 0
	.end_amdhsa_kernel
	.section	.text._ZN7rocprim17ROCPRIM_400000_NS6detail17trampoline_kernelINS0_14default_configENS1_22reduce_config_selectorIlEEZNS1_11reduce_implILb1ES3_N6thrust23THRUST_200600_302600_NS11hip_rocprim26transform_input_iterator_tIlNS8_12zip_iteratorINS8_5tupleINS8_6detail15normal_iteratorINS8_10device_ptrIjEEEESH_NS8_9null_typeESI_SI_SI_SI_SI_SI_SI_EEEENS9_21zip_adj_not_predicateINS8_8equal_toIjEEEEEEPllNS8_4plusIlEEEE10hipError_tPvRmT1_T2_T3_mT4_P12ihipStream_tbEUlT_E0_NS1_11comp_targetILNS1_3genE10ELNS1_11target_archE1201ELNS1_3gpuE5ELNS1_3repE0EEENS1_30default_config_static_selectorELNS0_4arch9wavefront6targetE1EEEvSW_,"axG",@progbits,_ZN7rocprim17ROCPRIM_400000_NS6detail17trampoline_kernelINS0_14default_configENS1_22reduce_config_selectorIlEEZNS1_11reduce_implILb1ES3_N6thrust23THRUST_200600_302600_NS11hip_rocprim26transform_input_iterator_tIlNS8_12zip_iteratorINS8_5tupleINS8_6detail15normal_iteratorINS8_10device_ptrIjEEEESH_NS8_9null_typeESI_SI_SI_SI_SI_SI_SI_EEEENS9_21zip_adj_not_predicateINS8_8equal_toIjEEEEEEPllNS8_4plusIlEEEE10hipError_tPvRmT1_T2_T3_mT4_P12ihipStream_tbEUlT_E0_NS1_11comp_targetILNS1_3genE10ELNS1_11target_archE1201ELNS1_3gpuE5ELNS1_3repE0EEENS1_30default_config_static_selectorELNS0_4arch9wavefront6targetE1EEEvSW_,comdat
.Lfunc_end856:
	.size	_ZN7rocprim17ROCPRIM_400000_NS6detail17trampoline_kernelINS0_14default_configENS1_22reduce_config_selectorIlEEZNS1_11reduce_implILb1ES3_N6thrust23THRUST_200600_302600_NS11hip_rocprim26transform_input_iterator_tIlNS8_12zip_iteratorINS8_5tupleINS8_6detail15normal_iteratorINS8_10device_ptrIjEEEESH_NS8_9null_typeESI_SI_SI_SI_SI_SI_SI_EEEENS9_21zip_adj_not_predicateINS8_8equal_toIjEEEEEEPllNS8_4plusIlEEEE10hipError_tPvRmT1_T2_T3_mT4_P12ihipStream_tbEUlT_E0_NS1_11comp_targetILNS1_3genE10ELNS1_11target_archE1201ELNS1_3gpuE5ELNS1_3repE0EEENS1_30default_config_static_selectorELNS0_4arch9wavefront6targetE1EEEvSW_, .Lfunc_end856-_ZN7rocprim17ROCPRIM_400000_NS6detail17trampoline_kernelINS0_14default_configENS1_22reduce_config_selectorIlEEZNS1_11reduce_implILb1ES3_N6thrust23THRUST_200600_302600_NS11hip_rocprim26transform_input_iterator_tIlNS8_12zip_iteratorINS8_5tupleINS8_6detail15normal_iteratorINS8_10device_ptrIjEEEESH_NS8_9null_typeESI_SI_SI_SI_SI_SI_SI_EEEENS9_21zip_adj_not_predicateINS8_8equal_toIjEEEEEEPllNS8_4plusIlEEEE10hipError_tPvRmT1_T2_T3_mT4_P12ihipStream_tbEUlT_E0_NS1_11comp_targetILNS1_3genE10ELNS1_11target_archE1201ELNS1_3gpuE5ELNS1_3repE0EEENS1_30default_config_static_selectorELNS0_4arch9wavefront6targetE1EEEvSW_
                                        ; -- End function
	.set _ZN7rocprim17ROCPRIM_400000_NS6detail17trampoline_kernelINS0_14default_configENS1_22reduce_config_selectorIlEEZNS1_11reduce_implILb1ES3_N6thrust23THRUST_200600_302600_NS11hip_rocprim26transform_input_iterator_tIlNS8_12zip_iteratorINS8_5tupleINS8_6detail15normal_iteratorINS8_10device_ptrIjEEEESH_NS8_9null_typeESI_SI_SI_SI_SI_SI_SI_EEEENS9_21zip_adj_not_predicateINS8_8equal_toIjEEEEEEPllNS8_4plusIlEEEE10hipError_tPvRmT1_T2_T3_mT4_P12ihipStream_tbEUlT_E0_NS1_11comp_targetILNS1_3genE10ELNS1_11target_archE1201ELNS1_3gpuE5ELNS1_3repE0EEENS1_30default_config_static_selectorELNS0_4arch9wavefront6targetE1EEEvSW_.num_vgpr, 0
	.set _ZN7rocprim17ROCPRIM_400000_NS6detail17trampoline_kernelINS0_14default_configENS1_22reduce_config_selectorIlEEZNS1_11reduce_implILb1ES3_N6thrust23THRUST_200600_302600_NS11hip_rocprim26transform_input_iterator_tIlNS8_12zip_iteratorINS8_5tupleINS8_6detail15normal_iteratorINS8_10device_ptrIjEEEESH_NS8_9null_typeESI_SI_SI_SI_SI_SI_SI_EEEENS9_21zip_adj_not_predicateINS8_8equal_toIjEEEEEEPllNS8_4plusIlEEEE10hipError_tPvRmT1_T2_T3_mT4_P12ihipStream_tbEUlT_E0_NS1_11comp_targetILNS1_3genE10ELNS1_11target_archE1201ELNS1_3gpuE5ELNS1_3repE0EEENS1_30default_config_static_selectorELNS0_4arch9wavefront6targetE1EEEvSW_.num_agpr, 0
	.set _ZN7rocprim17ROCPRIM_400000_NS6detail17trampoline_kernelINS0_14default_configENS1_22reduce_config_selectorIlEEZNS1_11reduce_implILb1ES3_N6thrust23THRUST_200600_302600_NS11hip_rocprim26transform_input_iterator_tIlNS8_12zip_iteratorINS8_5tupleINS8_6detail15normal_iteratorINS8_10device_ptrIjEEEESH_NS8_9null_typeESI_SI_SI_SI_SI_SI_SI_EEEENS9_21zip_adj_not_predicateINS8_8equal_toIjEEEEEEPllNS8_4plusIlEEEE10hipError_tPvRmT1_T2_T3_mT4_P12ihipStream_tbEUlT_E0_NS1_11comp_targetILNS1_3genE10ELNS1_11target_archE1201ELNS1_3gpuE5ELNS1_3repE0EEENS1_30default_config_static_selectorELNS0_4arch9wavefront6targetE1EEEvSW_.numbered_sgpr, 0
	.set _ZN7rocprim17ROCPRIM_400000_NS6detail17trampoline_kernelINS0_14default_configENS1_22reduce_config_selectorIlEEZNS1_11reduce_implILb1ES3_N6thrust23THRUST_200600_302600_NS11hip_rocprim26transform_input_iterator_tIlNS8_12zip_iteratorINS8_5tupleINS8_6detail15normal_iteratorINS8_10device_ptrIjEEEESH_NS8_9null_typeESI_SI_SI_SI_SI_SI_SI_EEEENS9_21zip_adj_not_predicateINS8_8equal_toIjEEEEEEPllNS8_4plusIlEEEE10hipError_tPvRmT1_T2_T3_mT4_P12ihipStream_tbEUlT_E0_NS1_11comp_targetILNS1_3genE10ELNS1_11target_archE1201ELNS1_3gpuE5ELNS1_3repE0EEENS1_30default_config_static_selectorELNS0_4arch9wavefront6targetE1EEEvSW_.num_named_barrier, 0
	.set _ZN7rocprim17ROCPRIM_400000_NS6detail17trampoline_kernelINS0_14default_configENS1_22reduce_config_selectorIlEEZNS1_11reduce_implILb1ES3_N6thrust23THRUST_200600_302600_NS11hip_rocprim26transform_input_iterator_tIlNS8_12zip_iteratorINS8_5tupleINS8_6detail15normal_iteratorINS8_10device_ptrIjEEEESH_NS8_9null_typeESI_SI_SI_SI_SI_SI_SI_EEEENS9_21zip_adj_not_predicateINS8_8equal_toIjEEEEEEPllNS8_4plusIlEEEE10hipError_tPvRmT1_T2_T3_mT4_P12ihipStream_tbEUlT_E0_NS1_11comp_targetILNS1_3genE10ELNS1_11target_archE1201ELNS1_3gpuE5ELNS1_3repE0EEENS1_30default_config_static_selectorELNS0_4arch9wavefront6targetE1EEEvSW_.private_seg_size, 0
	.set _ZN7rocprim17ROCPRIM_400000_NS6detail17trampoline_kernelINS0_14default_configENS1_22reduce_config_selectorIlEEZNS1_11reduce_implILb1ES3_N6thrust23THRUST_200600_302600_NS11hip_rocprim26transform_input_iterator_tIlNS8_12zip_iteratorINS8_5tupleINS8_6detail15normal_iteratorINS8_10device_ptrIjEEEESH_NS8_9null_typeESI_SI_SI_SI_SI_SI_SI_EEEENS9_21zip_adj_not_predicateINS8_8equal_toIjEEEEEEPllNS8_4plusIlEEEE10hipError_tPvRmT1_T2_T3_mT4_P12ihipStream_tbEUlT_E0_NS1_11comp_targetILNS1_3genE10ELNS1_11target_archE1201ELNS1_3gpuE5ELNS1_3repE0EEENS1_30default_config_static_selectorELNS0_4arch9wavefront6targetE1EEEvSW_.uses_vcc, 0
	.set _ZN7rocprim17ROCPRIM_400000_NS6detail17trampoline_kernelINS0_14default_configENS1_22reduce_config_selectorIlEEZNS1_11reduce_implILb1ES3_N6thrust23THRUST_200600_302600_NS11hip_rocprim26transform_input_iterator_tIlNS8_12zip_iteratorINS8_5tupleINS8_6detail15normal_iteratorINS8_10device_ptrIjEEEESH_NS8_9null_typeESI_SI_SI_SI_SI_SI_SI_EEEENS9_21zip_adj_not_predicateINS8_8equal_toIjEEEEEEPllNS8_4plusIlEEEE10hipError_tPvRmT1_T2_T3_mT4_P12ihipStream_tbEUlT_E0_NS1_11comp_targetILNS1_3genE10ELNS1_11target_archE1201ELNS1_3gpuE5ELNS1_3repE0EEENS1_30default_config_static_selectorELNS0_4arch9wavefront6targetE1EEEvSW_.uses_flat_scratch, 0
	.set _ZN7rocprim17ROCPRIM_400000_NS6detail17trampoline_kernelINS0_14default_configENS1_22reduce_config_selectorIlEEZNS1_11reduce_implILb1ES3_N6thrust23THRUST_200600_302600_NS11hip_rocprim26transform_input_iterator_tIlNS8_12zip_iteratorINS8_5tupleINS8_6detail15normal_iteratorINS8_10device_ptrIjEEEESH_NS8_9null_typeESI_SI_SI_SI_SI_SI_SI_EEEENS9_21zip_adj_not_predicateINS8_8equal_toIjEEEEEEPllNS8_4plusIlEEEE10hipError_tPvRmT1_T2_T3_mT4_P12ihipStream_tbEUlT_E0_NS1_11comp_targetILNS1_3genE10ELNS1_11target_archE1201ELNS1_3gpuE5ELNS1_3repE0EEENS1_30default_config_static_selectorELNS0_4arch9wavefront6targetE1EEEvSW_.has_dyn_sized_stack, 0
	.set _ZN7rocprim17ROCPRIM_400000_NS6detail17trampoline_kernelINS0_14default_configENS1_22reduce_config_selectorIlEEZNS1_11reduce_implILb1ES3_N6thrust23THRUST_200600_302600_NS11hip_rocprim26transform_input_iterator_tIlNS8_12zip_iteratorINS8_5tupleINS8_6detail15normal_iteratorINS8_10device_ptrIjEEEESH_NS8_9null_typeESI_SI_SI_SI_SI_SI_SI_EEEENS9_21zip_adj_not_predicateINS8_8equal_toIjEEEEEEPllNS8_4plusIlEEEE10hipError_tPvRmT1_T2_T3_mT4_P12ihipStream_tbEUlT_E0_NS1_11comp_targetILNS1_3genE10ELNS1_11target_archE1201ELNS1_3gpuE5ELNS1_3repE0EEENS1_30default_config_static_selectorELNS0_4arch9wavefront6targetE1EEEvSW_.has_recursion, 0
	.set _ZN7rocprim17ROCPRIM_400000_NS6detail17trampoline_kernelINS0_14default_configENS1_22reduce_config_selectorIlEEZNS1_11reduce_implILb1ES3_N6thrust23THRUST_200600_302600_NS11hip_rocprim26transform_input_iterator_tIlNS8_12zip_iteratorINS8_5tupleINS8_6detail15normal_iteratorINS8_10device_ptrIjEEEESH_NS8_9null_typeESI_SI_SI_SI_SI_SI_SI_EEEENS9_21zip_adj_not_predicateINS8_8equal_toIjEEEEEEPllNS8_4plusIlEEEE10hipError_tPvRmT1_T2_T3_mT4_P12ihipStream_tbEUlT_E0_NS1_11comp_targetILNS1_3genE10ELNS1_11target_archE1201ELNS1_3gpuE5ELNS1_3repE0EEENS1_30default_config_static_selectorELNS0_4arch9wavefront6targetE1EEEvSW_.has_indirect_call, 0
	.section	.AMDGPU.csdata,"",@progbits
; Kernel info:
; codeLenInByte = 0
; TotalNumSgprs: 4
; NumVgprs: 0
; ScratchSize: 0
; MemoryBound: 0
; FloatMode: 240
; IeeeMode: 1
; LDSByteSize: 0 bytes/workgroup (compile time only)
; SGPRBlocks: 0
; VGPRBlocks: 0
; NumSGPRsForWavesPerEU: 4
; NumVGPRsForWavesPerEU: 1
; Occupancy: 10
; WaveLimiterHint : 0
; COMPUTE_PGM_RSRC2:SCRATCH_EN: 0
; COMPUTE_PGM_RSRC2:USER_SGPR: 6
; COMPUTE_PGM_RSRC2:TRAP_HANDLER: 0
; COMPUTE_PGM_RSRC2:TGID_X_EN: 1
; COMPUTE_PGM_RSRC2:TGID_Y_EN: 0
; COMPUTE_PGM_RSRC2:TGID_Z_EN: 0
; COMPUTE_PGM_RSRC2:TIDIG_COMP_CNT: 0
	.section	.text._ZN7rocprim17ROCPRIM_400000_NS6detail17trampoline_kernelINS0_14default_configENS1_22reduce_config_selectorIlEEZNS1_11reduce_implILb1ES3_N6thrust23THRUST_200600_302600_NS11hip_rocprim26transform_input_iterator_tIlNS8_12zip_iteratorINS8_5tupleINS8_6detail15normal_iteratorINS8_10device_ptrIjEEEESH_NS8_9null_typeESI_SI_SI_SI_SI_SI_SI_EEEENS9_21zip_adj_not_predicateINS8_8equal_toIjEEEEEEPllNS8_4plusIlEEEE10hipError_tPvRmT1_T2_T3_mT4_P12ihipStream_tbEUlT_E0_NS1_11comp_targetILNS1_3genE10ELNS1_11target_archE1200ELNS1_3gpuE4ELNS1_3repE0EEENS1_30default_config_static_selectorELNS0_4arch9wavefront6targetE1EEEvSW_,"axG",@progbits,_ZN7rocprim17ROCPRIM_400000_NS6detail17trampoline_kernelINS0_14default_configENS1_22reduce_config_selectorIlEEZNS1_11reduce_implILb1ES3_N6thrust23THRUST_200600_302600_NS11hip_rocprim26transform_input_iterator_tIlNS8_12zip_iteratorINS8_5tupleINS8_6detail15normal_iteratorINS8_10device_ptrIjEEEESH_NS8_9null_typeESI_SI_SI_SI_SI_SI_SI_EEEENS9_21zip_adj_not_predicateINS8_8equal_toIjEEEEEEPllNS8_4plusIlEEEE10hipError_tPvRmT1_T2_T3_mT4_P12ihipStream_tbEUlT_E0_NS1_11comp_targetILNS1_3genE10ELNS1_11target_archE1200ELNS1_3gpuE4ELNS1_3repE0EEENS1_30default_config_static_selectorELNS0_4arch9wavefront6targetE1EEEvSW_,comdat
	.protected	_ZN7rocprim17ROCPRIM_400000_NS6detail17trampoline_kernelINS0_14default_configENS1_22reduce_config_selectorIlEEZNS1_11reduce_implILb1ES3_N6thrust23THRUST_200600_302600_NS11hip_rocprim26transform_input_iterator_tIlNS8_12zip_iteratorINS8_5tupleINS8_6detail15normal_iteratorINS8_10device_ptrIjEEEESH_NS8_9null_typeESI_SI_SI_SI_SI_SI_SI_EEEENS9_21zip_adj_not_predicateINS8_8equal_toIjEEEEEEPllNS8_4plusIlEEEE10hipError_tPvRmT1_T2_T3_mT4_P12ihipStream_tbEUlT_E0_NS1_11comp_targetILNS1_3genE10ELNS1_11target_archE1200ELNS1_3gpuE4ELNS1_3repE0EEENS1_30default_config_static_selectorELNS0_4arch9wavefront6targetE1EEEvSW_ ; -- Begin function _ZN7rocprim17ROCPRIM_400000_NS6detail17trampoline_kernelINS0_14default_configENS1_22reduce_config_selectorIlEEZNS1_11reduce_implILb1ES3_N6thrust23THRUST_200600_302600_NS11hip_rocprim26transform_input_iterator_tIlNS8_12zip_iteratorINS8_5tupleINS8_6detail15normal_iteratorINS8_10device_ptrIjEEEESH_NS8_9null_typeESI_SI_SI_SI_SI_SI_SI_EEEENS9_21zip_adj_not_predicateINS8_8equal_toIjEEEEEEPllNS8_4plusIlEEEE10hipError_tPvRmT1_T2_T3_mT4_P12ihipStream_tbEUlT_E0_NS1_11comp_targetILNS1_3genE10ELNS1_11target_archE1200ELNS1_3gpuE4ELNS1_3repE0EEENS1_30default_config_static_selectorELNS0_4arch9wavefront6targetE1EEEvSW_
	.globl	_ZN7rocprim17ROCPRIM_400000_NS6detail17trampoline_kernelINS0_14default_configENS1_22reduce_config_selectorIlEEZNS1_11reduce_implILb1ES3_N6thrust23THRUST_200600_302600_NS11hip_rocprim26transform_input_iterator_tIlNS8_12zip_iteratorINS8_5tupleINS8_6detail15normal_iteratorINS8_10device_ptrIjEEEESH_NS8_9null_typeESI_SI_SI_SI_SI_SI_SI_EEEENS9_21zip_adj_not_predicateINS8_8equal_toIjEEEEEEPllNS8_4plusIlEEEE10hipError_tPvRmT1_T2_T3_mT4_P12ihipStream_tbEUlT_E0_NS1_11comp_targetILNS1_3genE10ELNS1_11target_archE1200ELNS1_3gpuE4ELNS1_3repE0EEENS1_30default_config_static_selectorELNS0_4arch9wavefront6targetE1EEEvSW_
	.p2align	8
	.type	_ZN7rocprim17ROCPRIM_400000_NS6detail17trampoline_kernelINS0_14default_configENS1_22reduce_config_selectorIlEEZNS1_11reduce_implILb1ES3_N6thrust23THRUST_200600_302600_NS11hip_rocprim26transform_input_iterator_tIlNS8_12zip_iteratorINS8_5tupleINS8_6detail15normal_iteratorINS8_10device_ptrIjEEEESH_NS8_9null_typeESI_SI_SI_SI_SI_SI_SI_EEEENS9_21zip_adj_not_predicateINS8_8equal_toIjEEEEEEPllNS8_4plusIlEEEE10hipError_tPvRmT1_T2_T3_mT4_P12ihipStream_tbEUlT_E0_NS1_11comp_targetILNS1_3genE10ELNS1_11target_archE1200ELNS1_3gpuE4ELNS1_3repE0EEENS1_30default_config_static_selectorELNS0_4arch9wavefront6targetE1EEEvSW_,@function
_ZN7rocprim17ROCPRIM_400000_NS6detail17trampoline_kernelINS0_14default_configENS1_22reduce_config_selectorIlEEZNS1_11reduce_implILb1ES3_N6thrust23THRUST_200600_302600_NS11hip_rocprim26transform_input_iterator_tIlNS8_12zip_iteratorINS8_5tupleINS8_6detail15normal_iteratorINS8_10device_ptrIjEEEESH_NS8_9null_typeESI_SI_SI_SI_SI_SI_SI_EEEENS9_21zip_adj_not_predicateINS8_8equal_toIjEEEEEEPllNS8_4plusIlEEEE10hipError_tPvRmT1_T2_T3_mT4_P12ihipStream_tbEUlT_E0_NS1_11comp_targetILNS1_3genE10ELNS1_11target_archE1200ELNS1_3gpuE4ELNS1_3repE0EEENS1_30default_config_static_selectorELNS0_4arch9wavefront6targetE1EEEvSW_: ; @_ZN7rocprim17ROCPRIM_400000_NS6detail17trampoline_kernelINS0_14default_configENS1_22reduce_config_selectorIlEEZNS1_11reduce_implILb1ES3_N6thrust23THRUST_200600_302600_NS11hip_rocprim26transform_input_iterator_tIlNS8_12zip_iteratorINS8_5tupleINS8_6detail15normal_iteratorINS8_10device_ptrIjEEEESH_NS8_9null_typeESI_SI_SI_SI_SI_SI_SI_EEEENS9_21zip_adj_not_predicateINS8_8equal_toIjEEEEEEPllNS8_4plusIlEEEE10hipError_tPvRmT1_T2_T3_mT4_P12ihipStream_tbEUlT_E0_NS1_11comp_targetILNS1_3genE10ELNS1_11target_archE1200ELNS1_3gpuE4ELNS1_3repE0EEENS1_30default_config_static_selectorELNS0_4arch9wavefront6targetE1EEEvSW_
; %bb.0:
	.section	.rodata,"a",@progbits
	.p2align	6, 0x0
	.amdhsa_kernel _ZN7rocprim17ROCPRIM_400000_NS6detail17trampoline_kernelINS0_14default_configENS1_22reduce_config_selectorIlEEZNS1_11reduce_implILb1ES3_N6thrust23THRUST_200600_302600_NS11hip_rocprim26transform_input_iterator_tIlNS8_12zip_iteratorINS8_5tupleINS8_6detail15normal_iteratorINS8_10device_ptrIjEEEESH_NS8_9null_typeESI_SI_SI_SI_SI_SI_SI_EEEENS9_21zip_adj_not_predicateINS8_8equal_toIjEEEEEEPllNS8_4plusIlEEEE10hipError_tPvRmT1_T2_T3_mT4_P12ihipStream_tbEUlT_E0_NS1_11comp_targetILNS1_3genE10ELNS1_11target_archE1200ELNS1_3gpuE4ELNS1_3repE0EEENS1_30default_config_static_selectorELNS0_4arch9wavefront6targetE1EEEvSW_
		.amdhsa_group_segment_fixed_size 0
		.amdhsa_private_segment_fixed_size 0
		.amdhsa_kernarg_size 80
		.amdhsa_user_sgpr_count 6
		.amdhsa_user_sgpr_private_segment_buffer 1
		.amdhsa_user_sgpr_dispatch_ptr 0
		.amdhsa_user_sgpr_queue_ptr 0
		.amdhsa_user_sgpr_kernarg_segment_ptr 1
		.amdhsa_user_sgpr_dispatch_id 0
		.amdhsa_user_sgpr_flat_scratch_init 0
		.amdhsa_user_sgpr_private_segment_size 0
		.amdhsa_uses_dynamic_stack 0
		.amdhsa_system_sgpr_private_segment_wavefront_offset 0
		.amdhsa_system_sgpr_workgroup_id_x 1
		.amdhsa_system_sgpr_workgroup_id_y 0
		.amdhsa_system_sgpr_workgroup_id_z 0
		.amdhsa_system_sgpr_workgroup_info 0
		.amdhsa_system_vgpr_workitem_id 0
		.amdhsa_next_free_vgpr 1
		.amdhsa_next_free_sgpr 0
		.amdhsa_reserve_vcc 0
		.amdhsa_reserve_flat_scratch 0
		.amdhsa_float_round_mode_32 0
		.amdhsa_float_round_mode_16_64 0
		.amdhsa_float_denorm_mode_32 3
		.amdhsa_float_denorm_mode_16_64 3
		.amdhsa_dx10_clamp 1
		.amdhsa_ieee_mode 1
		.amdhsa_fp16_overflow 0
		.amdhsa_exception_fp_ieee_invalid_op 0
		.amdhsa_exception_fp_denorm_src 0
		.amdhsa_exception_fp_ieee_div_zero 0
		.amdhsa_exception_fp_ieee_overflow 0
		.amdhsa_exception_fp_ieee_underflow 0
		.amdhsa_exception_fp_ieee_inexact 0
		.amdhsa_exception_int_div_zero 0
	.end_amdhsa_kernel
	.section	.text._ZN7rocprim17ROCPRIM_400000_NS6detail17trampoline_kernelINS0_14default_configENS1_22reduce_config_selectorIlEEZNS1_11reduce_implILb1ES3_N6thrust23THRUST_200600_302600_NS11hip_rocprim26transform_input_iterator_tIlNS8_12zip_iteratorINS8_5tupleINS8_6detail15normal_iteratorINS8_10device_ptrIjEEEESH_NS8_9null_typeESI_SI_SI_SI_SI_SI_SI_EEEENS9_21zip_adj_not_predicateINS8_8equal_toIjEEEEEEPllNS8_4plusIlEEEE10hipError_tPvRmT1_T2_T3_mT4_P12ihipStream_tbEUlT_E0_NS1_11comp_targetILNS1_3genE10ELNS1_11target_archE1200ELNS1_3gpuE4ELNS1_3repE0EEENS1_30default_config_static_selectorELNS0_4arch9wavefront6targetE1EEEvSW_,"axG",@progbits,_ZN7rocprim17ROCPRIM_400000_NS6detail17trampoline_kernelINS0_14default_configENS1_22reduce_config_selectorIlEEZNS1_11reduce_implILb1ES3_N6thrust23THRUST_200600_302600_NS11hip_rocprim26transform_input_iterator_tIlNS8_12zip_iteratorINS8_5tupleINS8_6detail15normal_iteratorINS8_10device_ptrIjEEEESH_NS8_9null_typeESI_SI_SI_SI_SI_SI_SI_EEEENS9_21zip_adj_not_predicateINS8_8equal_toIjEEEEEEPllNS8_4plusIlEEEE10hipError_tPvRmT1_T2_T3_mT4_P12ihipStream_tbEUlT_E0_NS1_11comp_targetILNS1_3genE10ELNS1_11target_archE1200ELNS1_3gpuE4ELNS1_3repE0EEENS1_30default_config_static_selectorELNS0_4arch9wavefront6targetE1EEEvSW_,comdat
.Lfunc_end857:
	.size	_ZN7rocprim17ROCPRIM_400000_NS6detail17trampoline_kernelINS0_14default_configENS1_22reduce_config_selectorIlEEZNS1_11reduce_implILb1ES3_N6thrust23THRUST_200600_302600_NS11hip_rocprim26transform_input_iterator_tIlNS8_12zip_iteratorINS8_5tupleINS8_6detail15normal_iteratorINS8_10device_ptrIjEEEESH_NS8_9null_typeESI_SI_SI_SI_SI_SI_SI_EEEENS9_21zip_adj_not_predicateINS8_8equal_toIjEEEEEEPllNS8_4plusIlEEEE10hipError_tPvRmT1_T2_T3_mT4_P12ihipStream_tbEUlT_E0_NS1_11comp_targetILNS1_3genE10ELNS1_11target_archE1200ELNS1_3gpuE4ELNS1_3repE0EEENS1_30default_config_static_selectorELNS0_4arch9wavefront6targetE1EEEvSW_, .Lfunc_end857-_ZN7rocprim17ROCPRIM_400000_NS6detail17trampoline_kernelINS0_14default_configENS1_22reduce_config_selectorIlEEZNS1_11reduce_implILb1ES3_N6thrust23THRUST_200600_302600_NS11hip_rocprim26transform_input_iterator_tIlNS8_12zip_iteratorINS8_5tupleINS8_6detail15normal_iteratorINS8_10device_ptrIjEEEESH_NS8_9null_typeESI_SI_SI_SI_SI_SI_SI_EEEENS9_21zip_adj_not_predicateINS8_8equal_toIjEEEEEEPllNS8_4plusIlEEEE10hipError_tPvRmT1_T2_T3_mT4_P12ihipStream_tbEUlT_E0_NS1_11comp_targetILNS1_3genE10ELNS1_11target_archE1200ELNS1_3gpuE4ELNS1_3repE0EEENS1_30default_config_static_selectorELNS0_4arch9wavefront6targetE1EEEvSW_
                                        ; -- End function
	.set _ZN7rocprim17ROCPRIM_400000_NS6detail17trampoline_kernelINS0_14default_configENS1_22reduce_config_selectorIlEEZNS1_11reduce_implILb1ES3_N6thrust23THRUST_200600_302600_NS11hip_rocprim26transform_input_iterator_tIlNS8_12zip_iteratorINS8_5tupleINS8_6detail15normal_iteratorINS8_10device_ptrIjEEEESH_NS8_9null_typeESI_SI_SI_SI_SI_SI_SI_EEEENS9_21zip_adj_not_predicateINS8_8equal_toIjEEEEEEPllNS8_4plusIlEEEE10hipError_tPvRmT1_T2_T3_mT4_P12ihipStream_tbEUlT_E0_NS1_11comp_targetILNS1_3genE10ELNS1_11target_archE1200ELNS1_3gpuE4ELNS1_3repE0EEENS1_30default_config_static_selectorELNS0_4arch9wavefront6targetE1EEEvSW_.num_vgpr, 0
	.set _ZN7rocprim17ROCPRIM_400000_NS6detail17trampoline_kernelINS0_14default_configENS1_22reduce_config_selectorIlEEZNS1_11reduce_implILb1ES3_N6thrust23THRUST_200600_302600_NS11hip_rocprim26transform_input_iterator_tIlNS8_12zip_iteratorINS8_5tupleINS8_6detail15normal_iteratorINS8_10device_ptrIjEEEESH_NS8_9null_typeESI_SI_SI_SI_SI_SI_SI_EEEENS9_21zip_adj_not_predicateINS8_8equal_toIjEEEEEEPllNS8_4plusIlEEEE10hipError_tPvRmT1_T2_T3_mT4_P12ihipStream_tbEUlT_E0_NS1_11comp_targetILNS1_3genE10ELNS1_11target_archE1200ELNS1_3gpuE4ELNS1_3repE0EEENS1_30default_config_static_selectorELNS0_4arch9wavefront6targetE1EEEvSW_.num_agpr, 0
	.set _ZN7rocprim17ROCPRIM_400000_NS6detail17trampoline_kernelINS0_14default_configENS1_22reduce_config_selectorIlEEZNS1_11reduce_implILb1ES3_N6thrust23THRUST_200600_302600_NS11hip_rocprim26transform_input_iterator_tIlNS8_12zip_iteratorINS8_5tupleINS8_6detail15normal_iteratorINS8_10device_ptrIjEEEESH_NS8_9null_typeESI_SI_SI_SI_SI_SI_SI_EEEENS9_21zip_adj_not_predicateINS8_8equal_toIjEEEEEEPllNS8_4plusIlEEEE10hipError_tPvRmT1_T2_T3_mT4_P12ihipStream_tbEUlT_E0_NS1_11comp_targetILNS1_3genE10ELNS1_11target_archE1200ELNS1_3gpuE4ELNS1_3repE0EEENS1_30default_config_static_selectorELNS0_4arch9wavefront6targetE1EEEvSW_.numbered_sgpr, 0
	.set _ZN7rocprim17ROCPRIM_400000_NS6detail17trampoline_kernelINS0_14default_configENS1_22reduce_config_selectorIlEEZNS1_11reduce_implILb1ES3_N6thrust23THRUST_200600_302600_NS11hip_rocprim26transform_input_iterator_tIlNS8_12zip_iteratorINS8_5tupleINS8_6detail15normal_iteratorINS8_10device_ptrIjEEEESH_NS8_9null_typeESI_SI_SI_SI_SI_SI_SI_EEEENS9_21zip_adj_not_predicateINS8_8equal_toIjEEEEEEPllNS8_4plusIlEEEE10hipError_tPvRmT1_T2_T3_mT4_P12ihipStream_tbEUlT_E0_NS1_11comp_targetILNS1_3genE10ELNS1_11target_archE1200ELNS1_3gpuE4ELNS1_3repE0EEENS1_30default_config_static_selectorELNS0_4arch9wavefront6targetE1EEEvSW_.num_named_barrier, 0
	.set _ZN7rocprim17ROCPRIM_400000_NS6detail17trampoline_kernelINS0_14default_configENS1_22reduce_config_selectorIlEEZNS1_11reduce_implILb1ES3_N6thrust23THRUST_200600_302600_NS11hip_rocprim26transform_input_iterator_tIlNS8_12zip_iteratorINS8_5tupleINS8_6detail15normal_iteratorINS8_10device_ptrIjEEEESH_NS8_9null_typeESI_SI_SI_SI_SI_SI_SI_EEEENS9_21zip_adj_not_predicateINS8_8equal_toIjEEEEEEPllNS8_4plusIlEEEE10hipError_tPvRmT1_T2_T3_mT4_P12ihipStream_tbEUlT_E0_NS1_11comp_targetILNS1_3genE10ELNS1_11target_archE1200ELNS1_3gpuE4ELNS1_3repE0EEENS1_30default_config_static_selectorELNS0_4arch9wavefront6targetE1EEEvSW_.private_seg_size, 0
	.set _ZN7rocprim17ROCPRIM_400000_NS6detail17trampoline_kernelINS0_14default_configENS1_22reduce_config_selectorIlEEZNS1_11reduce_implILb1ES3_N6thrust23THRUST_200600_302600_NS11hip_rocprim26transform_input_iterator_tIlNS8_12zip_iteratorINS8_5tupleINS8_6detail15normal_iteratorINS8_10device_ptrIjEEEESH_NS8_9null_typeESI_SI_SI_SI_SI_SI_SI_EEEENS9_21zip_adj_not_predicateINS8_8equal_toIjEEEEEEPllNS8_4plusIlEEEE10hipError_tPvRmT1_T2_T3_mT4_P12ihipStream_tbEUlT_E0_NS1_11comp_targetILNS1_3genE10ELNS1_11target_archE1200ELNS1_3gpuE4ELNS1_3repE0EEENS1_30default_config_static_selectorELNS0_4arch9wavefront6targetE1EEEvSW_.uses_vcc, 0
	.set _ZN7rocprim17ROCPRIM_400000_NS6detail17trampoline_kernelINS0_14default_configENS1_22reduce_config_selectorIlEEZNS1_11reduce_implILb1ES3_N6thrust23THRUST_200600_302600_NS11hip_rocprim26transform_input_iterator_tIlNS8_12zip_iteratorINS8_5tupleINS8_6detail15normal_iteratorINS8_10device_ptrIjEEEESH_NS8_9null_typeESI_SI_SI_SI_SI_SI_SI_EEEENS9_21zip_adj_not_predicateINS8_8equal_toIjEEEEEEPllNS8_4plusIlEEEE10hipError_tPvRmT1_T2_T3_mT4_P12ihipStream_tbEUlT_E0_NS1_11comp_targetILNS1_3genE10ELNS1_11target_archE1200ELNS1_3gpuE4ELNS1_3repE0EEENS1_30default_config_static_selectorELNS0_4arch9wavefront6targetE1EEEvSW_.uses_flat_scratch, 0
	.set _ZN7rocprim17ROCPRIM_400000_NS6detail17trampoline_kernelINS0_14default_configENS1_22reduce_config_selectorIlEEZNS1_11reduce_implILb1ES3_N6thrust23THRUST_200600_302600_NS11hip_rocprim26transform_input_iterator_tIlNS8_12zip_iteratorINS8_5tupleINS8_6detail15normal_iteratorINS8_10device_ptrIjEEEESH_NS8_9null_typeESI_SI_SI_SI_SI_SI_SI_EEEENS9_21zip_adj_not_predicateINS8_8equal_toIjEEEEEEPllNS8_4plusIlEEEE10hipError_tPvRmT1_T2_T3_mT4_P12ihipStream_tbEUlT_E0_NS1_11comp_targetILNS1_3genE10ELNS1_11target_archE1200ELNS1_3gpuE4ELNS1_3repE0EEENS1_30default_config_static_selectorELNS0_4arch9wavefront6targetE1EEEvSW_.has_dyn_sized_stack, 0
	.set _ZN7rocprim17ROCPRIM_400000_NS6detail17trampoline_kernelINS0_14default_configENS1_22reduce_config_selectorIlEEZNS1_11reduce_implILb1ES3_N6thrust23THRUST_200600_302600_NS11hip_rocprim26transform_input_iterator_tIlNS8_12zip_iteratorINS8_5tupleINS8_6detail15normal_iteratorINS8_10device_ptrIjEEEESH_NS8_9null_typeESI_SI_SI_SI_SI_SI_SI_EEEENS9_21zip_adj_not_predicateINS8_8equal_toIjEEEEEEPllNS8_4plusIlEEEE10hipError_tPvRmT1_T2_T3_mT4_P12ihipStream_tbEUlT_E0_NS1_11comp_targetILNS1_3genE10ELNS1_11target_archE1200ELNS1_3gpuE4ELNS1_3repE0EEENS1_30default_config_static_selectorELNS0_4arch9wavefront6targetE1EEEvSW_.has_recursion, 0
	.set _ZN7rocprim17ROCPRIM_400000_NS6detail17trampoline_kernelINS0_14default_configENS1_22reduce_config_selectorIlEEZNS1_11reduce_implILb1ES3_N6thrust23THRUST_200600_302600_NS11hip_rocprim26transform_input_iterator_tIlNS8_12zip_iteratorINS8_5tupleINS8_6detail15normal_iteratorINS8_10device_ptrIjEEEESH_NS8_9null_typeESI_SI_SI_SI_SI_SI_SI_EEEENS9_21zip_adj_not_predicateINS8_8equal_toIjEEEEEEPllNS8_4plusIlEEEE10hipError_tPvRmT1_T2_T3_mT4_P12ihipStream_tbEUlT_E0_NS1_11comp_targetILNS1_3genE10ELNS1_11target_archE1200ELNS1_3gpuE4ELNS1_3repE0EEENS1_30default_config_static_selectorELNS0_4arch9wavefront6targetE1EEEvSW_.has_indirect_call, 0
	.section	.AMDGPU.csdata,"",@progbits
; Kernel info:
; codeLenInByte = 0
; TotalNumSgprs: 4
; NumVgprs: 0
; ScratchSize: 0
; MemoryBound: 0
; FloatMode: 240
; IeeeMode: 1
; LDSByteSize: 0 bytes/workgroup (compile time only)
; SGPRBlocks: 0
; VGPRBlocks: 0
; NumSGPRsForWavesPerEU: 4
; NumVGPRsForWavesPerEU: 1
; Occupancy: 10
; WaveLimiterHint : 0
; COMPUTE_PGM_RSRC2:SCRATCH_EN: 0
; COMPUTE_PGM_RSRC2:USER_SGPR: 6
; COMPUTE_PGM_RSRC2:TRAP_HANDLER: 0
; COMPUTE_PGM_RSRC2:TGID_X_EN: 1
; COMPUTE_PGM_RSRC2:TGID_Y_EN: 0
; COMPUTE_PGM_RSRC2:TGID_Z_EN: 0
; COMPUTE_PGM_RSRC2:TIDIG_COMP_CNT: 0
	.section	.text._ZN7rocprim17ROCPRIM_400000_NS6detail17trampoline_kernelINS0_14default_configENS1_22reduce_config_selectorIlEEZNS1_11reduce_implILb1ES3_N6thrust23THRUST_200600_302600_NS11hip_rocprim26transform_input_iterator_tIlNS8_12zip_iteratorINS8_5tupleINS8_6detail15normal_iteratorINS8_10device_ptrIjEEEESH_NS8_9null_typeESI_SI_SI_SI_SI_SI_SI_EEEENS9_21zip_adj_not_predicateINS8_8equal_toIjEEEEEEPllNS8_4plusIlEEEE10hipError_tPvRmT1_T2_T3_mT4_P12ihipStream_tbEUlT_E0_NS1_11comp_targetILNS1_3genE9ELNS1_11target_archE1100ELNS1_3gpuE3ELNS1_3repE0EEENS1_30default_config_static_selectorELNS0_4arch9wavefront6targetE1EEEvSW_,"axG",@progbits,_ZN7rocprim17ROCPRIM_400000_NS6detail17trampoline_kernelINS0_14default_configENS1_22reduce_config_selectorIlEEZNS1_11reduce_implILb1ES3_N6thrust23THRUST_200600_302600_NS11hip_rocprim26transform_input_iterator_tIlNS8_12zip_iteratorINS8_5tupleINS8_6detail15normal_iteratorINS8_10device_ptrIjEEEESH_NS8_9null_typeESI_SI_SI_SI_SI_SI_SI_EEEENS9_21zip_adj_not_predicateINS8_8equal_toIjEEEEEEPllNS8_4plusIlEEEE10hipError_tPvRmT1_T2_T3_mT4_P12ihipStream_tbEUlT_E0_NS1_11comp_targetILNS1_3genE9ELNS1_11target_archE1100ELNS1_3gpuE3ELNS1_3repE0EEENS1_30default_config_static_selectorELNS0_4arch9wavefront6targetE1EEEvSW_,comdat
	.protected	_ZN7rocprim17ROCPRIM_400000_NS6detail17trampoline_kernelINS0_14default_configENS1_22reduce_config_selectorIlEEZNS1_11reduce_implILb1ES3_N6thrust23THRUST_200600_302600_NS11hip_rocprim26transform_input_iterator_tIlNS8_12zip_iteratorINS8_5tupleINS8_6detail15normal_iteratorINS8_10device_ptrIjEEEESH_NS8_9null_typeESI_SI_SI_SI_SI_SI_SI_EEEENS9_21zip_adj_not_predicateINS8_8equal_toIjEEEEEEPllNS8_4plusIlEEEE10hipError_tPvRmT1_T2_T3_mT4_P12ihipStream_tbEUlT_E0_NS1_11comp_targetILNS1_3genE9ELNS1_11target_archE1100ELNS1_3gpuE3ELNS1_3repE0EEENS1_30default_config_static_selectorELNS0_4arch9wavefront6targetE1EEEvSW_ ; -- Begin function _ZN7rocprim17ROCPRIM_400000_NS6detail17trampoline_kernelINS0_14default_configENS1_22reduce_config_selectorIlEEZNS1_11reduce_implILb1ES3_N6thrust23THRUST_200600_302600_NS11hip_rocprim26transform_input_iterator_tIlNS8_12zip_iteratorINS8_5tupleINS8_6detail15normal_iteratorINS8_10device_ptrIjEEEESH_NS8_9null_typeESI_SI_SI_SI_SI_SI_SI_EEEENS9_21zip_adj_not_predicateINS8_8equal_toIjEEEEEEPllNS8_4plusIlEEEE10hipError_tPvRmT1_T2_T3_mT4_P12ihipStream_tbEUlT_E0_NS1_11comp_targetILNS1_3genE9ELNS1_11target_archE1100ELNS1_3gpuE3ELNS1_3repE0EEENS1_30default_config_static_selectorELNS0_4arch9wavefront6targetE1EEEvSW_
	.globl	_ZN7rocprim17ROCPRIM_400000_NS6detail17trampoline_kernelINS0_14default_configENS1_22reduce_config_selectorIlEEZNS1_11reduce_implILb1ES3_N6thrust23THRUST_200600_302600_NS11hip_rocprim26transform_input_iterator_tIlNS8_12zip_iteratorINS8_5tupleINS8_6detail15normal_iteratorINS8_10device_ptrIjEEEESH_NS8_9null_typeESI_SI_SI_SI_SI_SI_SI_EEEENS9_21zip_adj_not_predicateINS8_8equal_toIjEEEEEEPllNS8_4plusIlEEEE10hipError_tPvRmT1_T2_T3_mT4_P12ihipStream_tbEUlT_E0_NS1_11comp_targetILNS1_3genE9ELNS1_11target_archE1100ELNS1_3gpuE3ELNS1_3repE0EEENS1_30default_config_static_selectorELNS0_4arch9wavefront6targetE1EEEvSW_
	.p2align	8
	.type	_ZN7rocprim17ROCPRIM_400000_NS6detail17trampoline_kernelINS0_14default_configENS1_22reduce_config_selectorIlEEZNS1_11reduce_implILb1ES3_N6thrust23THRUST_200600_302600_NS11hip_rocprim26transform_input_iterator_tIlNS8_12zip_iteratorINS8_5tupleINS8_6detail15normal_iteratorINS8_10device_ptrIjEEEESH_NS8_9null_typeESI_SI_SI_SI_SI_SI_SI_EEEENS9_21zip_adj_not_predicateINS8_8equal_toIjEEEEEEPllNS8_4plusIlEEEE10hipError_tPvRmT1_T2_T3_mT4_P12ihipStream_tbEUlT_E0_NS1_11comp_targetILNS1_3genE9ELNS1_11target_archE1100ELNS1_3gpuE3ELNS1_3repE0EEENS1_30default_config_static_selectorELNS0_4arch9wavefront6targetE1EEEvSW_,@function
_ZN7rocprim17ROCPRIM_400000_NS6detail17trampoline_kernelINS0_14default_configENS1_22reduce_config_selectorIlEEZNS1_11reduce_implILb1ES3_N6thrust23THRUST_200600_302600_NS11hip_rocprim26transform_input_iterator_tIlNS8_12zip_iteratorINS8_5tupleINS8_6detail15normal_iteratorINS8_10device_ptrIjEEEESH_NS8_9null_typeESI_SI_SI_SI_SI_SI_SI_EEEENS9_21zip_adj_not_predicateINS8_8equal_toIjEEEEEEPllNS8_4plusIlEEEE10hipError_tPvRmT1_T2_T3_mT4_P12ihipStream_tbEUlT_E0_NS1_11comp_targetILNS1_3genE9ELNS1_11target_archE1100ELNS1_3gpuE3ELNS1_3repE0EEENS1_30default_config_static_selectorELNS0_4arch9wavefront6targetE1EEEvSW_: ; @_ZN7rocprim17ROCPRIM_400000_NS6detail17trampoline_kernelINS0_14default_configENS1_22reduce_config_selectorIlEEZNS1_11reduce_implILb1ES3_N6thrust23THRUST_200600_302600_NS11hip_rocprim26transform_input_iterator_tIlNS8_12zip_iteratorINS8_5tupleINS8_6detail15normal_iteratorINS8_10device_ptrIjEEEESH_NS8_9null_typeESI_SI_SI_SI_SI_SI_SI_EEEENS9_21zip_adj_not_predicateINS8_8equal_toIjEEEEEEPllNS8_4plusIlEEEE10hipError_tPvRmT1_T2_T3_mT4_P12ihipStream_tbEUlT_E0_NS1_11comp_targetILNS1_3genE9ELNS1_11target_archE1100ELNS1_3gpuE3ELNS1_3repE0EEENS1_30default_config_static_selectorELNS0_4arch9wavefront6targetE1EEEvSW_
; %bb.0:
	.section	.rodata,"a",@progbits
	.p2align	6, 0x0
	.amdhsa_kernel _ZN7rocprim17ROCPRIM_400000_NS6detail17trampoline_kernelINS0_14default_configENS1_22reduce_config_selectorIlEEZNS1_11reduce_implILb1ES3_N6thrust23THRUST_200600_302600_NS11hip_rocprim26transform_input_iterator_tIlNS8_12zip_iteratorINS8_5tupleINS8_6detail15normal_iteratorINS8_10device_ptrIjEEEESH_NS8_9null_typeESI_SI_SI_SI_SI_SI_SI_EEEENS9_21zip_adj_not_predicateINS8_8equal_toIjEEEEEEPllNS8_4plusIlEEEE10hipError_tPvRmT1_T2_T3_mT4_P12ihipStream_tbEUlT_E0_NS1_11comp_targetILNS1_3genE9ELNS1_11target_archE1100ELNS1_3gpuE3ELNS1_3repE0EEENS1_30default_config_static_selectorELNS0_4arch9wavefront6targetE1EEEvSW_
		.amdhsa_group_segment_fixed_size 0
		.amdhsa_private_segment_fixed_size 0
		.amdhsa_kernarg_size 80
		.amdhsa_user_sgpr_count 6
		.amdhsa_user_sgpr_private_segment_buffer 1
		.amdhsa_user_sgpr_dispatch_ptr 0
		.amdhsa_user_sgpr_queue_ptr 0
		.amdhsa_user_sgpr_kernarg_segment_ptr 1
		.amdhsa_user_sgpr_dispatch_id 0
		.amdhsa_user_sgpr_flat_scratch_init 0
		.amdhsa_user_sgpr_private_segment_size 0
		.amdhsa_uses_dynamic_stack 0
		.amdhsa_system_sgpr_private_segment_wavefront_offset 0
		.amdhsa_system_sgpr_workgroup_id_x 1
		.amdhsa_system_sgpr_workgroup_id_y 0
		.amdhsa_system_sgpr_workgroup_id_z 0
		.amdhsa_system_sgpr_workgroup_info 0
		.amdhsa_system_vgpr_workitem_id 0
		.amdhsa_next_free_vgpr 1
		.amdhsa_next_free_sgpr 0
		.amdhsa_reserve_vcc 0
		.amdhsa_reserve_flat_scratch 0
		.amdhsa_float_round_mode_32 0
		.amdhsa_float_round_mode_16_64 0
		.amdhsa_float_denorm_mode_32 3
		.amdhsa_float_denorm_mode_16_64 3
		.amdhsa_dx10_clamp 1
		.amdhsa_ieee_mode 1
		.amdhsa_fp16_overflow 0
		.amdhsa_exception_fp_ieee_invalid_op 0
		.amdhsa_exception_fp_denorm_src 0
		.amdhsa_exception_fp_ieee_div_zero 0
		.amdhsa_exception_fp_ieee_overflow 0
		.amdhsa_exception_fp_ieee_underflow 0
		.amdhsa_exception_fp_ieee_inexact 0
		.amdhsa_exception_int_div_zero 0
	.end_amdhsa_kernel
	.section	.text._ZN7rocprim17ROCPRIM_400000_NS6detail17trampoline_kernelINS0_14default_configENS1_22reduce_config_selectorIlEEZNS1_11reduce_implILb1ES3_N6thrust23THRUST_200600_302600_NS11hip_rocprim26transform_input_iterator_tIlNS8_12zip_iteratorINS8_5tupleINS8_6detail15normal_iteratorINS8_10device_ptrIjEEEESH_NS8_9null_typeESI_SI_SI_SI_SI_SI_SI_EEEENS9_21zip_adj_not_predicateINS8_8equal_toIjEEEEEEPllNS8_4plusIlEEEE10hipError_tPvRmT1_T2_T3_mT4_P12ihipStream_tbEUlT_E0_NS1_11comp_targetILNS1_3genE9ELNS1_11target_archE1100ELNS1_3gpuE3ELNS1_3repE0EEENS1_30default_config_static_selectorELNS0_4arch9wavefront6targetE1EEEvSW_,"axG",@progbits,_ZN7rocprim17ROCPRIM_400000_NS6detail17trampoline_kernelINS0_14default_configENS1_22reduce_config_selectorIlEEZNS1_11reduce_implILb1ES3_N6thrust23THRUST_200600_302600_NS11hip_rocprim26transform_input_iterator_tIlNS8_12zip_iteratorINS8_5tupleINS8_6detail15normal_iteratorINS8_10device_ptrIjEEEESH_NS8_9null_typeESI_SI_SI_SI_SI_SI_SI_EEEENS9_21zip_adj_not_predicateINS8_8equal_toIjEEEEEEPllNS8_4plusIlEEEE10hipError_tPvRmT1_T2_T3_mT4_P12ihipStream_tbEUlT_E0_NS1_11comp_targetILNS1_3genE9ELNS1_11target_archE1100ELNS1_3gpuE3ELNS1_3repE0EEENS1_30default_config_static_selectorELNS0_4arch9wavefront6targetE1EEEvSW_,comdat
.Lfunc_end858:
	.size	_ZN7rocprim17ROCPRIM_400000_NS6detail17trampoline_kernelINS0_14default_configENS1_22reduce_config_selectorIlEEZNS1_11reduce_implILb1ES3_N6thrust23THRUST_200600_302600_NS11hip_rocprim26transform_input_iterator_tIlNS8_12zip_iteratorINS8_5tupleINS8_6detail15normal_iteratorINS8_10device_ptrIjEEEESH_NS8_9null_typeESI_SI_SI_SI_SI_SI_SI_EEEENS9_21zip_adj_not_predicateINS8_8equal_toIjEEEEEEPllNS8_4plusIlEEEE10hipError_tPvRmT1_T2_T3_mT4_P12ihipStream_tbEUlT_E0_NS1_11comp_targetILNS1_3genE9ELNS1_11target_archE1100ELNS1_3gpuE3ELNS1_3repE0EEENS1_30default_config_static_selectorELNS0_4arch9wavefront6targetE1EEEvSW_, .Lfunc_end858-_ZN7rocprim17ROCPRIM_400000_NS6detail17trampoline_kernelINS0_14default_configENS1_22reduce_config_selectorIlEEZNS1_11reduce_implILb1ES3_N6thrust23THRUST_200600_302600_NS11hip_rocprim26transform_input_iterator_tIlNS8_12zip_iteratorINS8_5tupleINS8_6detail15normal_iteratorINS8_10device_ptrIjEEEESH_NS8_9null_typeESI_SI_SI_SI_SI_SI_SI_EEEENS9_21zip_adj_not_predicateINS8_8equal_toIjEEEEEEPllNS8_4plusIlEEEE10hipError_tPvRmT1_T2_T3_mT4_P12ihipStream_tbEUlT_E0_NS1_11comp_targetILNS1_3genE9ELNS1_11target_archE1100ELNS1_3gpuE3ELNS1_3repE0EEENS1_30default_config_static_selectorELNS0_4arch9wavefront6targetE1EEEvSW_
                                        ; -- End function
	.set _ZN7rocprim17ROCPRIM_400000_NS6detail17trampoline_kernelINS0_14default_configENS1_22reduce_config_selectorIlEEZNS1_11reduce_implILb1ES3_N6thrust23THRUST_200600_302600_NS11hip_rocprim26transform_input_iterator_tIlNS8_12zip_iteratorINS8_5tupleINS8_6detail15normal_iteratorINS8_10device_ptrIjEEEESH_NS8_9null_typeESI_SI_SI_SI_SI_SI_SI_EEEENS9_21zip_adj_not_predicateINS8_8equal_toIjEEEEEEPllNS8_4plusIlEEEE10hipError_tPvRmT1_T2_T3_mT4_P12ihipStream_tbEUlT_E0_NS1_11comp_targetILNS1_3genE9ELNS1_11target_archE1100ELNS1_3gpuE3ELNS1_3repE0EEENS1_30default_config_static_selectorELNS0_4arch9wavefront6targetE1EEEvSW_.num_vgpr, 0
	.set _ZN7rocprim17ROCPRIM_400000_NS6detail17trampoline_kernelINS0_14default_configENS1_22reduce_config_selectorIlEEZNS1_11reduce_implILb1ES3_N6thrust23THRUST_200600_302600_NS11hip_rocprim26transform_input_iterator_tIlNS8_12zip_iteratorINS8_5tupleINS8_6detail15normal_iteratorINS8_10device_ptrIjEEEESH_NS8_9null_typeESI_SI_SI_SI_SI_SI_SI_EEEENS9_21zip_adj_not_predicateINS8_8equal_toIjEEEEEEPllNS8_4plusIlEEEE10hipError_tPvRmT1_T2_T3_mT4_P12ihipStream_tbEUlT_E0_NS1_11comp_targetILNS1_3genE9ELNS1_11target_archE1100ELNS1_3gpuE3ELNS1_3repE0EEENS1_30default_config_static_selectorELNS0_4arch9wavefront6targetE1EEEvSW_.num_agpr, 0
	.set _ZN7rocprim17ROCPRIM_400000_NS6detail17trampoline_kernelINS0_14default_configENS1_22reduce_config_selectorIlEEZNS1_11reduce_implILb1ES3_N6thrust23THRUST_200600_302600_NS11hip_rocprim26transform_input_iterator_tIlNS8_12zip_iteratorINS8_5tupleINS8_6detail15normal_iteratorINS8_10device_ptrIjEEEESH_NS8_9null_typeESI_SI_SI_SI_SI_SI_SI_EEEENS9_21zip_adj_not_predicateINS8_8equal_toIjEEEEEEPllNS8_4plusIlEEEE10hipError_tPvRmT1_T2_T3_mT4_P12ihipStream_tbEUlT_E0_NS1_11comp_targetILNS1_3genE9ELNS1_11target_archE1100ELNS1_3gpuE3ELNS1_3repE0EEENS1_30default_config_static_selectorELNS0_4arch9wavefront6targetE1EEEvSW_.numbered_sgpr, 0
	.set _ZN7rocprim17ROCPRIM_400000_NS6detail17trampoline_kernelINS0_14default_configENS1_22reduce_config_selectorIlEEZNS1_11reduce_implILb1ES3_N6thrust23THRUST_200600_302600_NS11hip_rocprim26transform_input_iterator_tIlNS8_12zip_iteratorINS8_5tupleINS8_6detail15normal_iteratorINS8_10device_ptrIjEEEESH_NS8_9null_typeESI_SI_SI_SI_SI_SI_SI_EEEENS9_21zip_adj_not_predicateINS8_8equal_toIjEEEEEEPllNS8_4plusIlEEEE10hipError_tPvRmT1_T2_T3_mT4_P12ihipStream_tbEUlT_E0_NS1_11comp_targetILNS1_3genE9ELNS1_11target_archE1100ELNS1_3gpuE3ELNS1_3repE0EEENS1_30default_config_static_selectorELNS0_4arch9wavefront6targetE1EEEvSW_.num_named_barrier, 0
	.set _ZN7rocprim17ROCPRIM_400000_NS6detail17trampoline_kernelINS0_14default_configENS1_22reduce_config_selectorIlEEZNS1_11reduce_implILb1ES3_N6thrust23THRUST_200600_302600_NS11hip_rocprim26transform_input_iterator_tIlNS8_12zip_iteratorINS8_5tupleINS8_6detail15normal_iteratorINS8_10device_ptrIjEEEESH_NS8_9null_typeESI_SI_SI_SI_SI_SI_SI_EEEENS9_21zip_adj_not_predicateINS8_8equal_toIjEEEEEEPllNS8_4plusIlEEEE10hipError_tPvRmT1_T2_T3_mT4_P12ihipStream_tbEUlT_E0_NS1_11comp_targetILNS1_3genE9ELNS1_11target_archE1100ELNS1_3gpuE3ELNS1_3repE0EEENS1_30default_config_static_selectorELNS0_4arch9wavefront6targetE1EEEvSW_.private_seg_size, 0
	.set _ZN7rocprim17ROCPRIM_400000_NS6detail17trampoline_kernelINS0_14default_configENS1_22reduce_config_selectorIlEEZNS1_11reduce_implILb1ES3_N6thrust23THRUST_200600_302600_NS11hip_rocprim26transform_input_iterator_tIlNS8_12zip_iteratorINS8_5tupleINS8_6detail15normal_iteratorINS8_10device_ptrIjEEEESH_NS8_9null_typeESI_SI_SI_SI_SI_SI_SI_EEEENS9_21zip_adj_not_predicateINS8_8equal_toIjEEEEEEPllNS8_4plusIlEEEE10hipError_tPvRmT1_T2_T3_mT4_P12ihipStream_tbEUlT_E0_NS1_11comp_targetILNS1_3genE9ELNS1_11target_archE1100ELNS1_3gpuE3ELNS1_3repE0EEENS1_30default_config_static_selectorELNS0_4arch9wavefront6targetE1EEEvSW_.uses_vcc, 0
	.set _ZN7rocprim17ROCPRIM_400000_NS6detail17trampoline_kernelINS0_14default_configENS1_22reduce_config_selectorIlEEZNS1_11reduce_implILb1ES3_N6thrust23THRUST_200600_302600_NS11hip_rocprim26transform_input_iterator_tIlNS8_12zip_iteratorINS8_5tupleINS8_6detail15normal_iteratorINS8_10device_ptrIjEEEESH_NS8_9null_typeESI_SI_SI_SI_SI_SI_SI_EEEENS9_21zip_adj_not_predicateINS8_8equal_toIjEEEEEEPllNS8_4plusIlEEEE10hipError_tPvRmT1_T2_T3_mT4_P12ihipStream_tbEUlT_E0_NS1_11comp_targetILNS1_3genE9ELNS1_11target_archE1100ELNS1_3gpuE3ELNS1_3repE0EEENS1_30default_config_static_selectorELNS0_4arch9wavefront6targetE1EEEvSW_.uses_flat_scratch, 0
	.set _ZN7rocprim17ROCPRIM_400000_NS6detail17trampoline_kernelINS0_14default_configENS1_22reduce_config_selectorIlEEZNS1_11reduce_implILb1ES3_N6thrust23THRUST_200600_302600_NS11hip_rocprim26transform_input_iterator_tIlNS8_12zip_iteratorINS8_5tupleINS8_6detail15normal_iteratorINS8_10device_ptrIjEEEESH_NS8_9null_typeESI_SI_SI_SI_SI_SI_SI_EEEENS9_21zip_adj_not_predicateINS8_8equal_toIjEEEEEEPllNS8_4plusIlEEEE10hipError_tPvRmT1_T2_T3_mT4_P12ihipStream_tbEUlT_E0_NS1_11comp_targetILNS1_3genE9ELNS1_11target_archE1100ELNS1_3gpuE3ELNS1_3repE0EEENS1_30default_config_static_selectorELNS0_4arch9wavefront6targetE1EEEvSW_.has_dyn_sized_stack, 0
	.set _ZN7rocprim17ROCPRIM_400000_NS6detail17trampoline_kernelINS0_14default_configENS1_22reduce_config_selectorIlEEZNS1_11reduce_implILb1ES3_N6thrust23THRUST_200600_302600_NS11hip_rocprim26transform_input_iterator_tIlNS8_12zip_iteratorINS8_5tupleINS8_6detail15normal_iteratorINS8_10device_ptrIjEEEESH_NS8_9null_typeESI_SI_SI_SI_SI_SI_SI_EEEENS9_21zip_adj_not_predicateINS8_8equal_toIjEEEEEEPllNS8_4plusIlEEEE10hipError_tPvRmT1_T2_T3_mT4_P12ihipStream_tbEUlT_E0_NS1_11comp_targetILNS1_3genE9ELNS1_11target_archE1100ELNS1_3gpuE3ELNS1_3repE0EEENS1_30default_config_static_selectorELNS0_4arch9wavefront6targetE1EEEvSW_.has_recursion, 0
	.set _ZN7rocprim17ROCPRIM_400000_NS6detail17trampoline_kernelINS0_14default_configENS1_22reduce_config_selectorIlEEZNS1_11reduce_implILb1ES3_N6thrust23THRUST_200600_302600_NS11hip_rocprim26transform_input_iterator_tIlNS8_12zip_iteratorINS8_5tupleINS8_6detail15normal_iteratorINS8_10device_ptrIjEEEESH_NS8_9null_typeESI_SI_SI_SI_SI_SI_SI_EEEENS9_21zip_adj_not_predicateINS8_8equal_toIjEEEEEEPllNS8_4plusIlEEEE10hipError_tPvRmT1_T2_T3_mT4_P12ihipStream_tbEUlT_E0_NS1_11comp_targetILNS1_3genE9ELNS1_11target_archE1100ELNS1_3gpuE3ELNS1_3repE0EEENS1_30default_config_static_selectorELNS0_4arch9wavefront6targetE1EEEvSW_.has_indirect_call, 0
	.section	.AMDGPU.csdata,"",@progbits
; Kernel info:
; codeLenInByte = 0
; TotalNumSgprs: 4
; NumVgprs: 0
; ScratchSize: 0
; MemoryBound: 0
; FloatMode: 240
; IeeeMode: 1
; LDSByteSize: 0 bytes/workgroup (compile time only)
; SGPRBlocks: 0
; VGPRBlocks: 0
; NumSGPRsForWavesPerEU: 4
; NumVGPRsForWavesPerEU: 1
; Occupancy: 10
; WaveLimiterHint : 0
; COMPUTE_PGM_RSRC2:SCRATCH_EN: 0
; COMPUTE_PGM_RSRC2:USER_SGPR: 6
; COMPUTE_PGM_RSRC2:TRAP_HANDLER: 0
; COMPUTE_PGM_RSRC2:TGID_X_EN: 1
; COMPUTE_PGM_RSRC2:TGID_Y_EN: 0
; COMPUTE_PGM_RSRC2:TGID_Z_EN: 0
; COMPUTE_PGM_RSRC2:TIDIG_COMP_CNT: 0
	.section	.text._ZN7rocprim17ROCPRIM_400000_NS6detail17trampoline_kernelINS0_14default_configENS1_22reduce_config_selectorIlEEZNS1_11reduce_implILb1ES3_N6thrust23THRUST_200600_302600_NS11hip_rocprim26transform_input_iterator_tIlNS8_12zip_iteratorINS8_5tupleINS8_6detail15normal_iteratorINS8_10device_ptrIjEEEESH_NS8_9null_typeESI_SI_SI_SI_SI_SI_SI_EEEENS9_21zip_adj_not_predicateINS8_8equal_toIjEEEEEEPllNS8_4plusIlEEEE10hipError_tPvRmT1_T2_T3_mT4_P12ihipStream_tbEUlT_E0_NS1_11comp_targetILNS1_3genE8ELNS1_11target_archE1030ELNS1_3gpuE2ELNS1_3repE0EEENS1_30default_config_static_selectorELNS0_4arch9wavefront6targetE1EEEvSW_,"axG",@progbits,_ZN7rocprim17ROCPRIM_400000_NS6detail17trampoline_kernelINS0_14default_configENS1_22reduce_config_selectorIlEEZNS1_11reduce_implILb1ES3_N6thrust23THRUST_200600_302600_NS11hip_rocprim26transform_input_iterator_tIlNS8_12zip_iteratorINS8_5tupleINS8_6detail15normal_iteratorINS8_10device_ptrIjEEEESH_NS8_9null_typeESI_SI_SI_SI_SI_SI_SI_EEEENS9_21zip_adj_not_predicateINS8_8equal_toIjEEEEEEPllNS8_4plusIlEEEE10hipError_tPvRmT1_T2_T3_mT4_P12ihipStream_tbEUlT_E0_NS1_11comp_targetILNS1_3genE8ELNS1_11target_archE1030ELNS1_3gpuE2ELNS1_3repE0EEENS1_30default_config_static_selectorELNS0_4arch9wavefront6targetE1EEEvSW_,comdat
	.protected	_ZN7rocprim17ROCPRIM_400000_NS6detail17trampoline_kernelINS0_14default_configENS1_22reduce_config_selectorIlEEZNS1_11reduce_implILb1ES3_N6thrust23THRUST_200600_302600_NS11hip_rocprim26transform_input_iterator_tIlNS8_12zip_iteratorINS8_5tupleINS8_6detail15normal_iteratorINS8_10device_ptrIjEEEESH_NS8_9null_typeESI_SI_SI_SI_SI_SI_SI_EEEENS9_21zip_adj_not_predicateINS8_8equal_toIjEEEEEEPllNS8_4plusIlEEEE10hipError_tPvRmT1_T2_T3_mT4_P12ihipStream_tbEUlT_E0_NS1_11comp_targetILNS1_3genE8ELNS1_11target_archE1030ELNS1_3gpuE2ELNS1_3repE0EEENS1_30default_config_static_selectorELNS0_4arch9wavefront6targetE1EEEvSW_ ; -- Begin function _ZN7rocprim17ROCPRIM_400000_NS6detail17trampoline_kernelINS0_14default_configENS1_22reduce_config_selectorIlEEZNS1_11reduce_implILb1ES3_N6thrust23THRUST_200600_302600_NS11hip_rocprim26transform_input_iterator_tIlNS8_12zip_iteratorINS8_5tupleINS8_6detail15normal_iteratorINS8_10device_ptrIjEEEESH_NS8_9null_typeESI_SI_SI_SI_SI_SI_SI_EEEENS9_21zip_adj_not_predicateINS8_8equal_toIjEEEEEEPllNS8_4plusIlEEEE10hipError_tPvRmT1_T2_T3_mT4_P12ihipStream_tbEUlT_E0_NS1_11comp_targetILNS1_3genE8ELNS1_11target_archE1030ELNS1_3gpuE2ELNS1_3repE0EEENS1_30default_config_static_selectorELNS0_4arch9wavefront6targetE1EEEvSW_
	.globl	_ZN7rocprim17ROCPRIM_400000_NS6detail17trampoline_kernelINS0_14default_configENS1_22reduce_config_selectorIlEEZNS1_11reduce_implILb1ES3_N6thrust23THRUST_200600_302600_NS11hip_rocprim26transform_input_iterator_tIlNS8_12zip_iteratorINS8_5tupleINS8_6detail15normal_iteratorINS8_10device_ptrIjEEEESH_NS8_9null_typeESI_SI_SI_SI_SI_SI_SI_EEEENS9_21zip_adj_not_predicateINS8_8equal_toIjEEEEEEPllNS8_4plusIlEEEE10hipError_tPvRmT1_T2_T3_mT4_P12ihipStream_tbEUlT_E0_NS1_11comp_targetILNS1_3genE8ELNS1_11target_archE1030ELNS1_3gpuE2ELNS1_3repE0EEENS1_30default_config_static_selectorELNS0_4arch9wavefront6targetE1EEEvSW_
	.p2align	8
	.type	_ZN7rocprim17ROCPRIM_400000_NS6detail17trampoline_kernelINS0_14default_configENS1_22reduce_config_selectorIlEEZNS1_11reduce_implILb1ES3_N6thrust23THRUST_200600_302600_NS11hip_rocprim26transform_input_iterator_tIlNS8_12zip_iteratorINS8_5tupleINS8_6detail15normal_iteratorINS8_10device_ptrIjEEEESH_NS8_9null_typeESI_SI_SI_SI_SI_SI_SI_EEEENS9_21zip_adj_not_predicateINS8_8equal_toIjEEEEEEPllNS8_4plusIlEEEE10hipError_tPvRmT1_T2_T3_mT4_P12ihipStream_tbEUlT_E0_NS1_11comp_targetILNS1_3genE8ELNS1_11target_archE1030ELNS1_3gpuE2ELNS1_3repE0EEENS1_30default_config_static_selectorELNS0_4arch9wavefront6targetE1EEEvSW_,@function
_ZN7rocprim17ROCPRIM_400000_NS6detail17trampoline_kernelINS0_14default_configENS1_22reduce_config_selectorIlEEZNS1_11reduce_implILb1ES3_N6thrust23THRUST_200600_302600_NS11hip_rocprim26transform_input_iterator_tIlNS8_12zip_iteratorINS8_5tupleINS8_6detail15normal_iteratorINS8_10device_ptrIjEEEESH_NS8_9null_typeESI_SI_SI_SI_SI_SI_SI_EEEENS9_21zip_adj_not_predicateINS8_8equal_toIjEEEEEEPllNS8_4plusIlEEEE10hipError_tPvRmT1_T2_T3_mT4_P12ihipStream_tbEUlT_E0_NS1_11comp_targetILNS1_3genE8ELNS1_11target_archE1030ELNS1_3gpuE2ELNS1_3repE0EEENS1_30default_config_static_selectorELNS0_4arch9wavefront6targetE1EEEvSW_: ; @_ZN7rocprim17ROCPRIM_400000_NS6detail17trampoline_kernelINS0_14default_configENS1_22reduce_config_selectorIlEEZNS1_11reduce_implILb1ES3_N6thrust23THRUST_200600_302600_NS11hip_rocprim26transform_input_iterator_tIlNS8_12zip_iteratorINS8_5tupleINS8_6detail15normal_iteratorINS8_10device_ptrIjEEEESH_NS8_9null_typeESI_SI_SI_SI_SI_SI_SI_EEEENS9_21zip_adj_not_predicateINS8_8equal_toIjEEEEEEPllNS8_4plusIlEEEE10hipError_tPvRmT1_T2_T3_mT4_P12ihipStream_tbEUlT_E0_NS1_11comp_targetILNS1_3genE8ELNS1_11target_archE1030ELNS1_3gpuE2ELNS1_3repE0EEENS1_30default_config_static_selectorELNS0_4arch9wavefront6targetE1EEEvSW_
; %bb.0:
	.section	.rodata,"a",@progbits
	.p2align	6, 0x0
	.amdhsa_kernel _ZN7rocprim17ROCPRIM_400000_NS6detail17trampoline_kernelINS0_14default_configENS1_22reduce_config_selectorIlEEZNS1_11reduce_implILb1ES3_N6thrust23THRUST_200600_302600_NS11hip_rocprim26transform_input_iterator_tIlNS8_12zip_iteratorINS8_5tupleINS8_6detail15normal_iteratorINS8_10device_ptrIjEEEESH_NS8_9null_typeESI_SI_SI_SI_SI_SI_SI_EEEENS9_21zip_adj_not_predicateINS8_8equal_toIjEEEEEEPllNS8_4plusIlEEEE10hipError_tPvRmT1_T2_T3_mT4_P12ihipStream_tbEUlT_E0_NS1_11comp_targetILNS1_3genE8ELNS1_11target_archE1030ELNS1_3gpuE2ELNS1_3repE0EEENS1_30default_config_static_selectorELNS0_4arch9wavefront6targetE1EEEvSW_
		.amdhsa_group_segment_fixed_size 0
		.amdhsa_private_segment_fixed_size 0
		.amdhsa_kernarg_size 80
		.amdhsa_user_sgpr_count 6
		.amdhsa_user_sgpr_private_segment_buffer 1
		.amdhsa_user_sgpr_dispatch_ptr 0
		.amdhsa_user_sgpr_queue_ptr 0
		.amdhsa_user_sgpr_kernarg_segment_ptr 1
		.amdhsa_user_sgpr_dispatch_id 0
		.amdhsa_user_sgpr_flat_scratch_init 0
		.amdhsa_user_sgpr_private_segment_size 0
		.amdhsa_uses_dynamic_stack 0
		.amdhsa_system_sgpr_private_segment_wavefront_offset 0
		.amdhsa_system_sgpr_workgroup_id_x 1
		.amdhsa_system_sgpr_workgroup_id_y 0
		.amdhsa_system_sgpr_workgroup_id_z 0
		.amdhsa_system_sgpr_workgroup_info 0
		.amdhsa_system_vgpr_workitem_id 0
		.amdhsa_next_free_vgpr 1
		.amdhsa_next_free_sgpr 0
		.amdhsa_reserve_vcc 0
		.amdhsa_reserve_flat_scratch 0
		.amdhsa_float_round_mode_32 0
		.amdhsa_float_round_mode_16_64 0
		.amdhsa_float_denorm_mode_32 3
		.amdhsa_float_denorm_mode_16_64 3
		.amdhsa_dx10_clamp 1
		.amdhsa_ieee_mode 1
		.amdhsa_fp16_overflow 0
		.amdhsa_exception_fp_ieee_invalid_op 0
		.amdhsa_exception_fp_denorm_src 0
		.amdhsa_exception_fp_ieee_div_zero 0
		.amdhsa_exception_fp_ieee_overflow 0
		.amdhsa_exception_fp_ieee_underflow 0
		.amdhsa_exception_fp_ieee_inexact 0
		.amdhsa_exception_int_div_zero 0
	.end_amdhsa_kernel
	.section	.text._ZN7rocprim17ROCPRIM_400000_NS6detail17trampoline_kernelINS0_14default_configENS1_22reduce_config_selectorIlEEZNS1_11reduce_implILb1ES3_N6thrust23THRUST_200600_302600_NS11hip_rocprim26transform_input_iterator_tIlNS8_12zip_iteratorINS8_5tupleINS8_6detail15normal_iteratorINS8_10device_ptrIjEEEESH_NS8_9null_typeESI_SI_SI_SI_SI_SI_SI_EEEENS9_21zip_adj_not_predicateINS8_8equal_toIjEEEEEEPllNS8_4plusIlEEEE10hipError_tPvRmT1_T2_T3_mT4_P12ihipStream_tbEUlT_E0_NS1_11comp_targetILNS1_3genE8ELNS1_11target_archE1030ELNS1_3gpuE2ELNS1_3repE0EEENS1_30default_config_static_selectorELNS0_4arch9wavefront6targetE1EEEvSW_,"axG",@progbits,_ZN7rocprim17ROCPRIM_400000_NS6detail17trampoline_kernelINS0_14default_configENS1_22reduce_config_selectorIlEEZNS1_11reduce_implILb1ES3_N6thrust23THRUST_200600_302600_NS11hip_rocprim26transform_input_iterator_tIlNS8_12zip_iteratorINS8_5tupleINS8_6detail15normal_iteratorINS8_10device_ptrIjEEEESH_NS8_9null_typeESI_SI_SI_SI_SI_SI_SI_EEEENS9_21zip_adj_not_predicateINS8_8equal_toIjEEEEEEPllNS8_4plusIlEEEE10hipError_tPvRmT1_T2_T3_mT4_P12ihipStream_tbEUlT_E0_NS1_11comp_targetILNS1_3genE8ELNS1_11target_archE1030ELNS1_3gpuE2ELNS1_3repE0EEENS1_30default_config_static_selectorELNS0_4arch9wavefront6targetE1EEEvSW_,comdat
.Lfunc_end859:
	.size	_ZN7rocprim17ROCPRIM_400000_NS6detail17trampoline_kernelINS0_14default_configENS1_22reduce_config_selectorIlEEZNS1_11reduce_implILb1ES3_N6thrust23THRUST_200600_302600_NS11hip_rocprim26transform_input_iterator_tIlNS8_12zip_iteratorINS8_5tupleINS8_6detail15normal_iteratorINS8_10device_ptrIjEEEESH_NS8_9null_typeESI_SI_SI_SI_SI_SI_SI_EEEENS9_21zip_adj_not_predicateINS8_8equal_toIjEEEEEEPllNS8_4plusIlEEEE10hipError_tPvRmT1_T2_T3_mT4_P12ihipStream_tbEUlT_E0_NS1_11comp_targetILNS1_3genE8ELNS1_11target_archE1030ELNS1_3gpuE2ELNS1_3repE0EEENS1_30default_config_static_selectorELNS0_4arch9wavefront6targetE1EEEvSW_, .Lfunc_end859-_ZN7rocprim17ROCPRIM_400000_NS6detail17trampoline_kernelINS0_14default_configENS1_22reduce_config_selectorIlEEZNS1_11reduce_implILb1ES3_N6thrust23THRUST_200600_302600_NS11hip_rocprim26transform_input_iterator_tIlNS8_12zip_iteratorINS8_5tupleINS8_6detail15normal_iteratorINS8_10device_ptrIjEEEESH_NS8_9null_typeESI_SI_SI_SI_SI_SI_SI_EEEENS9_21zip_adj_not_predicateINS8_8equal_toIjEEEEEEPllNS8_4plusIlEEEE10hipError_tPvRmT1_T2_T3_mT4_P12ihipStream_tbEUlT_E0_NS1_11comp_targetILNS1_3genE8ELNS1_11target_archE1030ELNS1_3gpuE2ELNS1_3repE0EEENS1_30default_config_static_selectorELNS0_4arch9wavefront6targetE1EEEvSW_
                                        ; -- End function
	.set _ZN7rocprim17ROCPRIM_400000_NS6detail17trampoline_kernelINS0_14default_configENS1_22reduce_config_selectorIlEEZNS1_11reduce_implILb1ES3_N6thrust23THRUST_200600_302600_NS11hip_rocprim26transform_input_iterator_tIlNS8_12zip_iteratorINS8_5tupleINS8_6detail15normal_iteratorINS8_10device_ptrIjEEEESH_NS8_9null_typeESI_SI_SI_SI_SI_SI_SI_EEEENS9_21zip_adj_not_predicateINS8_8equal_toIjEEEEEEPllNS8_4plusIlEEEE10hipError_tPvRmT1_T2_T3_mT4_P12ihipStream_tbEUlT_E0_NS1_11comp_targetILNS1_3genE8ELNS1_11target_archE1030ELNS1_3gpuE2ELNS1_3repE0EEENS1_30default_config_static_selectorELNS0_4arch9wavefront6targetE1EEEvSW_.num_vgpr, 0
	.set _ZN7rocprim17ROCPRIM_400000_NS6detail17trampoline_kernelINS0_14default_configENS1_22reduce_config_selectorIlEEZNS1_11reduce_implILb1ES3_N6thrust23THRUST_200600_302600_NS11hip_rocprim26transform_input_iterator_tIlNS8_12zip_iteratorINS8_5tupleINS8_6detail15normal_iteratorINS8_10device_ptrIjEEEESH_NS8_9null_typeESI_SI_SI_SI_SI_SI_SI_EEEENS9_21zip_adj_not_predicateINS8_8equal_toIjEEEEEEPllNS8_4plusIlEEEE10hipError_tPvRmT1_T2_T3_mT4_P12ihipStream_tbEUlT_E0_NS1_11comp_targetILNS1_3genE8ELNS1_11target_archE1030ELNS1_3gpuE2ELNS1_3repE0EEENS1_30default_config_static_selectorELNS0_4arch9wavefront6targetE1EEEvSW_.num_agpr, 0
	.set _ZN7rocprim17ROCPRIM_400000_NS6detail17trampoline_kernelINS0_14default_configENS1_22reduce_config_selectorIlEEZNS1_11reduce_implILb1ES3_N6thrust23THRUST_200600_302600_NS11hip_rocprim26transform_input_iterator_tIlNS8_12zip_iteratorINS8_5tupleINS8_6detail15normal_iteratorINS8_10device_ptrIjEEEESH_NS8_9null_typeESI_SI_SI_SI_SI_SI_SI_EEEENS9_21zip_adj_not_predicateINS8_8equal_toIjEEEEEEPllNS8_4plusIlEEEE10hipError_tPvRmT1_T2_T3_mT4_P12ihipStream_tbEUlT_E0_NS1_11comp_targetILNS1_3genE8ELNS1_11target_archE1030ELNS1_3gpuE2ELNS1_3repE0EEENS1_30default_config_static_selectorELNS0_4arch9wavefront6targetE1EEEvSW_.numbered_sgpr, 0
	.set _ZN7rocprim17ROCPRIM_400000_NS6detail17trampoline_kernelINS0_14default_configENS1_22reduce_config_selectorIlEEZNS1_11reduce_implILb1ES3_N6thrust23THRUST_200600_302600_NS11hip_rocprim26transform_input_iterator_tIlNS8_12zip_iteratorINS8_5tupleINS8_6detail15normal_iteratorINS8_10device_ptrIjEEEESH_NS8_9null_typeESI_SI_SI_SI_SI_SI_SI_EEEENS9_21zip_adj_not_predicateINS8_8equal_toIjEEEEEEPllNS8_4plusIlEEEE10hipError_tPvRmT1_T2_T3_mT4_P12ihipStream_tbEUlT_E0_NS1_11comp_targetILNS1_3genE8ELNS1_11target_archE1030ELNS1_3gpuE2ELNS1_3repE0EEENS1_30default_config_static_selectorELNS0_4arch9wavefront6targetE1EEEvSW_.num_named_barrier, 0
	.set _ZN7rocprim17ROCPRIM_400000_NS6detail17trampoline_kernelINS0_14default_configENS1_22reduce_config_selectorIlEEZNS1_11reduce_implILb1ES3_N6thrust23THRUST_200600_302600_NS11hip_rocprim26transform_input_iterator_tIlNS8_12zip_iteratorINS8_5tupleINS8_6detail15normal_iteratorINS8_10device_ptrIjEEEESH_NS8_9null_typeESI_SI_SI_SI_SI_SI_SI_EEEENS9_21zip_adj_not_predicateINS8_8equal_toIjEEEEEEPllNS8_4plusIlEEEE10hipError_tPvRmT1_T2_T3_mT4_P12ihipStream_tbEUlT_E0_NS1_11comp_targetILNS1_3genE8ELNS1_11target_archE1030ELNS1_3gpuE2ELNS1_3repE0EEENS1_30default_config_static_selectorELNS0_4arch9wavefront6targetE1EEEvSW_.private_seg_size, 0
	.set _ZN7rocprim17ROCPRIM_400000_NS6detail17trampoline_kernelINS0_14default_configENS1_22reduce_config_selectorIlEEZNS1_11reduce_implILb1ES3_N6thrust23THRUST_200600_302600_NS11hip_rocprim26transform_input_iterator_tIlNS8_12zip_iteratorINS8_5tupleINS8_6detail15normal_iteratorINS8_10device_ptrIjEEEESH_NS8_9null_typeESI_SI_SI_SI_SI_SI_SI_EEEENS9_21zip_adj_not_predicateINS8_8equal_toIjEEEEEEPllNS8_4plusIlEEEE10hipError_tPvRmT1_T2_T3_mT4_P12ihipStream_tbEUlT_E0_NS1_11comp_targetILNS1_3genE8ELNS1_11target_archE1030ELNS1_3gpuE2ELNS1_3repE0EEENS1_30default_config_static_selectorELNS0_4arch9wavefront6targetE1EEEvSW_.uses_vcc, 0
	.set _ZN7rocprim17ROCPRIM_400000_NS6detail17trampoline_kernelINS0_14default_configENS1_22reduce_config_selectorIlEEZNS1_11reduce_implILb1ES3_N6thrust23THRUST_200600_302600_NS11hip_rocprim26transform_input_iterator_tIlNS8_12zip_iteratorINS8_5tupleINS8_6detail15normal_iteratorINS8_10device_ptrIjEEEESH_NS8_9null_typeESI_SI_SI_SI_SI_SI_SI_EEEENS9_21zip_adj_not_predicateINS8_8equal_toIjEEEEEEPllNS8_4plusIlEEEE10hipError_tPvRmT1_T2_T3_mT4_P12ihipStream_tbEUlT_E0_NS1_11comp_targetILNS1_3genE8ELNS1_11target_archE1030ELNS1_3gpuE2ELNS1_3repE0EEENS1_30default_config_static_selectorELNS0_4arch9wavefront6targetE1EEEvSW_.uses_flat_scratch, 0
	.set _ZN7rocprim17ROCPRIM_400000_NS6detail17trampoline_kernelINS0_14default_configENS1_22reduce_config_selectorIlEEZNS1_11reduce_implILb1ES3_N6thrust23THRUST_200600_302600_NS11hip_rocprim26transform_input_iterator_tIlNS8_12zip_iteratorINS8_5tupleINS8_6detail15normal_iteratorINS8_10device_ptrIjEEEESH_NS8_9null_typeESI_SI_SI_SI_SI_SI_SI_EEEENS9_21zip_adj_not_predicateINS8_8equal_toIjEEEEEEPllNS8_4plusIlEEEE10hipError_tPvRmT1_T2_T3_mT4_P12ihipStream_tbEUlT_E0_NS1_11comp_targetILNS1_3genE8ELNS1_11target_archE1030ELNS1_3gpuE2ELNS1_3repE0EEENS1_30default_config_static_selectorELNS0_4arch9wavefront6targetE1EEEvSW_.has_dyn_sized_stack, 0
	.set _ZN7rocprim17ROCPRIM_400000_NS6detail17trampoline_kernelINS0_14default_configENS1_22reduce_config_selectorIlEEZNS1_11reduce_implILb1ES3_N6thrust23THRUST_200600_302600_NS11hip_rocprim26transform_input_iterator_tIlNS8_12zip_iteratorINS8_5tupleINS8_6detail15normal_iteratorINS8_10device_ptrIjEEEESH_NS8_9null_typeESI_SI_SI_SI_SI_SI_SI_EEEENS9_21zip_adj_not_predicateINS8_8equal_toIjEEEEEEPllNS8_4plusIlEEEE10hipError_tPvRmT1_T2_T3_mT4_P12ihipStream_tbEUlT_E0_NS1_11comp_targetILNS1_3genE8ELNS1_11target_archE1030ELNS1_3gpuE2ELNS1_3repE0EEENS1_30default_config_static_selectorELNS0_4arch9wavefront6targetE1EEEvSW_.has_recursion, 0
	.set _ZN7rocprim17ROCPRIM_400000_NS6detail17trampoline_kernelINS0_14default_configENS1_22reduce_config_selectorIlEEZNS1_11reduce_implILb1ES3_N6thrust23THRUST_200600_302600_NS11hip_rocprim26transform_input_iterator_tIlNS8_12zip_iteratorINS8_5tupleINS8_6detail15normal_iteratorINS8_10device_ptrIjEEEESH_NS8_9null_typeESI_SI_SI_SI_SI_SI_SI_EEEENS9_21zip_adj_not_predicateINS8_8equal_toIjEEEEEEPllNS8_4plusIlEEEE10hipError_tPvRmT1_T2_T3_mT4_P12ihipStream_tbEUlT_E0_NS1_11comp_targetILNS1_3genE8ELNS1_11target_archE1030ELNS1_3gpuE2ELNS1_3repE0EEENS1_30default_config_static_selectorELNS0_4arch9wavefront6targetE1EEEvSW_.has_indirect_call, 0
	.section	.AMDGPU.csdata,"",@progbits
; Kernel info:
; codeLenInByte = 0
; TotalNumSgprs: 4
; NumVgprs: 0
; ScratchSize: 0
; MemoryBound: 0
; FloatMode: 240
; IeeeMode: 1
; LDSByteSize: 0 bytes/workgroup (compile time only)
; SGPRBlocks: 0
; VGPRBlocks: 0
; NumSGPRsForWavesPerEU: 4
; NumVGPRsForWavesPerEU: 1
; Occupancy: 10
; WaveLimiterHint : 0
; COMPUTE_PGM_RSRC2:SCRATCH_EN: 0
; COMPUTE_PGM_RSRC2:USER_SGPR: 6
; COMPUTE_PGM_RSRC2:TRAP_HANDLER: 0
; COMPUTE_PGM_RSRC2:TGID_X_EN: 1
; COMPUTE_PGM_RSRC2:TGID_Y_EN: 0
; COMPUTE_PGM_RSRC2:TGID_Z_EN: 0
; COMPUTE_PGM_RSRC2:TIDIG_COMP_CNT: 0
	.section	.text._ZN7rocprim17ROCPRIM_400000_NS6detail17trampoline_kernelINS0_14default_configENS1_22reduce_config_selectorIlEEZNS1_11reduce_implILb1ES3_N6thrust23THRUST_200600_302600_NS11hip_rocprim26transform_input_iterator_tIlNS8_12zip_iteratorINS8_5tupleINS8_6detail15normal_iteratorINS8_10device_ptrIjEEEESH_NS8_9null_typeESI_SI_SI_SI_SI_SI_SI_EEEENS9_21zip_adj_not_predicateINS8_8equal_toIjEEEEEEPllNS8_4plusIlEEEE10hipError_tPvRmT1_T2_T3_mT4_P12ihipStream_tbEUlT_E1_NS1_11comp_targetILNS1_3genE0ELNS1_11target_archE4294967295ELNS1_3gpuE0ELNS1_3repE0EEENS1_30default_config_static_selectorELNS0_4arch9wavefront6targetE1EEEvSW_,"axG",@progbits,_ZN7rocprim17ROCPRIM_400000_NS6detail17trampoline_kernelINS0_14default_configENS1_22reduce_config_selectorIlEEZNS1_11reduce_implILb1ES3_N6thrust23THRUST_200600_302600_NS11hip_rocprim26transform_input_iterator_tIlNS8_12zip_iteratorINS8_5tupleINS8_6detail15normal_iteratorINS8_10device_ptrIjEEEESH_NS8_9null_typeESI_SI_SI_SI_SI_SI_SI_EEEENS9_21zip_adj_not_predicateINS8_8equal_toIjEEEEEEPllNS8_4plusIlEEEE10hipError_tPvRmT1_T2_T3_mT4_P12ihipStream_tbEUlT_E1_NS1_11comp_targetILNS1_3genE0ELNS1_11target_archE4294967295ELNS1_3gpuE0ELNS1_3repE0EEENS1_30default_config_static_selectorELNS0_4arch9wavefront6targetE1EEEvSW_,comdat
	.protected	_ZN7rocprim17ROCPRIM_400000_NS6detail17trampoline_kernelINS0_14default_configENS1_22reduce_config_selectorIlEEZNS1_11reduce_implILb1ES3_N6thrust23THRUST_200600_302600_NS11hip_rocprim26transform_input_iterator_tIlNS8_12zip_iteratorINS8_5tupleINS8_6detail15normal_iteratorINS8_10device_ptrIjEEEESH_NS8_9null_typeESI_SI_SI_SI_SI_SI_SI_EEEENS9_21zip_adj_not_predicateINS8_8equal_toIjEEEEEEPllNS8_4plusIlEEEE10hipError_tPvRmT1_T2_T3_mT4_P12ihipStream_tbEUlT_E1_NS1_11comp_targetILNS1_3genE0ELNS1_11target_archE4294967295ELNS1_3gpuE0ELNS1_3repE0EEENS1_30default_config_static_selectorELNS0_4arch9wavefront6targetE1EEEvSW_ ; -- Begin function _ZN7rocprim17ROCPRIM_400000_NS6detail17trampoline_kernelINS0_14default_configENS1_22reduce_config_selectorIlEEZNS1_11reduce_implILb1ES3_N6thrust23THRUST_200600_302600_NS11hip_rocprim26transform_input_iterator_tIlNS8_12zip_iteratorINS8_5tupleINS8_6detail15normal_iteratorINS8_10device_ptrIjEEEESH_NS8_9null_typeESI_SI_SI_SI_SI_SI_SI_EEEENS9_21zip_adj_not_predicateINS8_8equal_toIjEEEEEEPllNS8_4plusIlEEEE10hipError_tPvRmT1_T2_T3_mT4_P12ihipStream_tbEUlT_E1_NS1_11comp_targetILNS1_3genE0ELNS1_11target_archE4294967295ELNS1_3gpuE0ELNS1_3repE0EEENS1_30default_config_static_selectorELNS0_4arch9wavefront6targetE1EEEvSW_
	.globl	_ZN7rocprim17ROCPRIM_400000_NS6detail17trampoline_kernelINS0_14default_configENS1_22reduce_config_selectorIlEEZNS1_11reduce_implILb1ES3_N6thrust23THRUST_200600_302600_NS11hip_rocprim26transform_input_iterator_tIlNS8_12zip_iteratorINS8_5tupleINS8_6detail15normal_iteratorINS8_10device_ptrIjEEEESH_NS8_9null_typeESI_SI_SI_SI_SI_SI_SI_EEEENS9_21zip_adj_not_predicateINS8_8equal_toIjEEEEEEPllNS8_4plusIlEEEE10hipError_tPvRmT1_T2_T3_mT4_P12ihipStream_tbEUlT_E1_NS1_11comp_targetILNS1_3genE0ELNS1_11target_archE4294967295ELNS1_3gpuE0ELNS1_3repE0EEENS1_30default_config_static_selectorELNS0_4arch9wavefront6targetE1EEEvSW_
	.p2align	8
	.type	_ZN7rocprim17ROCPRIM_400000_NS6detail17trampoline_kernelINS0_14default_configENS1_22reduce_config_selectorIlEEZNS1_11reduce_implILb1ES3_N6thrust23THRUST_200600_302600_NS11hip_rocprim26transform_input_iterator_tIlNS8_12zip_iteratorINS8_5tupleINS8_6detail15normal_iteratorINS8_10device_ptrIjEEEESH_NS8_9null_typeESI_SI_SI_SI_SI_SI_SI_EEEENS9_21zip_adj_not_predicateINS8_8equal_toIjEEEEEEPllNS8_4plusIlEEEE10hipError_tPvRmT1_T2_T3_mT4_P12ihipStream_tbEUlT_E1_NS1_11comp_targetILNS1_3genE0ELNS1_11target_archE4294967295ELNS1_3gpuE0ELNS1_3repE0EEENS1_30default_config_static_selectorELNS0_4arch9wavefront6targetE1EEEvSW_,@function
_ZN7rocprim17ROCPRIM_400000_NS6detail17trampoline_kernelINS0_14default_configENS1_22reduce_config_selectorIlEEZNS1_11reduce_implILb1ES3_N6thrust23THRUST_200600_302600_NS11hip_rocprim26transform_input_iterator_tIlNS8_12zip_iteratorINS8_5tupleINS8_6detail15normal_iteratorINS8_10device_ptrIjEEEESH_NS8_9null_typeESI_SI_SI_SI_SI_SI_SI_EEEENS9_21zip_adj_not_predicateINS8_8equal_toIjEEEEEEPllNS8_4plusIlEEEE10hipError_tPvRmT1_T2_T3_mT4_P12ihipStream_tbEUlT_E1_NS1_11comp_targetILNS1_3genE0ELNS1_11target_archE4294967295ELNS1_3gpuE0ELNS1_3repE0EEENS1_30default_config_static_selectorELNS0_4arch9wavefront6targetE1EEEvSW_: ; @_ZN7rocprim17ROCPRIM_400000_NS6detail17trampoline_kernelINS0_14default_configENS1_22reduce_config_selectorIlEEZNS1_11reduce_implILb1ES3_N6thrust23THRUST_200600_302600_NS11hip_rocprim26transform_input_iterator_tIlNS8_12zip_iteratorINS8_5tupleINS8_6detail15normal_iteratorINS8_10device_ptrIjEEEESH_NS8_9null_typeESI_SI_SI_SI_SI_SI_SI_EEEENS9_21zip_adj_not_predicateINS8_8equal_toIjEEEEEEPllNS8_4plusIlEEEE10hipError_tPvRmT1_T2_T3_mT4_P12ihipStream_tbEUlT_E1_NS1_11comp_targetILNS1_3genE0ELNS1_11target_archE4294967295ELNS1_3gpuE0ELNS1_3repE0EEENS1_30default_config_static_selectorELNS0_4arch9wavefront6targetE1EEEvSW_
; %bb.0:
	.section	.rodata,"a",@progbits
	.p2align	6, 0x0
	.amdhsa_kernel _ZN7rocprim17ROCPRIM_400000_NS6detail17trampoline_kernelINS0_14default_configENS1_22reduce_config_selectorIlEEZNS1_11reduce_implILb1ES3_N6thrust23THRUST_200600_302600_NS11hip_rocprim26transform_input_iterator_tIlNS8_12zip_iteratorINS8_5tupleINS8_6detail15normal_iteratorINS8_10device_ptrIjEEEESH_NS8_9null_typeESI_SI_SI_SI_SI_SI_SI_EEEENS9_21zip_adj_not_predicateINS8_8equal_toIjEEEEEEPllNS8_4plusIlEEEE10hipError_tPvRmT1_T2_T3_mT4_P12ihipStream_tbEUlT_E1_NS1_11comp_targetILNS1_3genE0ELNS1_11target_archE4294967295ELNS1_3gpuE0ELNS1_3repE0EEENS1_30default_config_static_selectorELNS0_4arch9wavefront6targetE1EEEvSW_
		.amdhsa_group_segment_fixed_size 0
		.amdhsa_private_segment_fixed_size 0
		.amdhsa_kernarg_size 64
		.amdhsa_user_sgpr_count 6
		.amdhsa_user_sgpr_private_segment_buffer 1
		.amdhsa_user_sgpr_dispatch_ptr 0
		.amdhsa_user_sgpr_queue_ptr 0
		.amdhsa_user_sgpr_kernarg_segment_ptr 1
		.amdhsa_user_sgpr_dispatch_id 0
		.amdhsa_user_sgpr_flat_scratch_init 0
		.amdhsa_user_sgpr_private_segment_size 0
		.amdhsa_uses_dynamic_stack 0
		.amdhsa_system_sgpr_private_segment_wavefront_offset 0
		.amdhsa_system_sgpr_workgroup_id_x 1
		.amdhsa_system_sgpr_workgroup_id_y 0
		.amdhsa_system_sgpr_workgroup_id_z 0
		.amdhsa_system_sgpr_workgroup_info 0
		.amdhsa_system_vgpr_workitem_id 0
		.amdhsa_next_free_vgpr 1
		.amdhsa_next_free_sgpr 0
		.amdhsa_reserve_vcc 0
		.amdhsa_reserve_flat_scratch 0
		.amdhsa_float_round_mode_32 0
		.amdhsa_float_round_mode_16_64 0
		.amdhsa_float_denorm_mode_32 3
		.amdhsa_float_denorm_mode_16_64 3
		.amdhsa_dx10_clamp 1
		.amdhsa_ieee_mode 1
		.amdhsa_fp16_overflow 0
		.amdhsa_exception_fp_ieee_invalid_op 0
		.amdhsa_exception_fp_denorm_src 0
		.amdhsa_exception_fp_ieee_div_zero 0
		.amdhsa_exception_fp_ieee_overflow 0
		.amdhsa_exception_fp_ieee_underflow 0
		.amdhsa_exception_fp_ieee_inexact 0
		.amdhsa_exception_int_div_zero 0
	.end_amdhsa_kernel
	.section	.text._ZN7rocprim17ROCPRIM_400000_NS6detail17trampoline_kernelINS0_14default_configENS1_22reduce_config_selectorIlEEZNS1_11reduce_implILb1ES3_N6thrust23THRUST_200600_302600_NS11hip_rocprim26transform_input_iterator_tIlNS8_12zip_iteratorINS8_5tupleINS8_6detail15normal_iteratorINS8_10device_ptrIjEEEESH_NS8_9null_typeESI_SI_SI_SI_SI_SI_SI_EEEENS9_21zip_adj_not_predicateINS8_8equal_toIjEEEEEEPllNS8_4plusIlEEEE10hipError_tPvRmT1_T2_T3_mT4_P12ihipStream_tbEUlT_E1_NS1_11comp_targetILNS1_3genE0ELNS1_11target_archE4294967295ELNS1_3gpuE0ELNS1_3repE0EEENS1_30default_config_static_selectorELNS0_4arch9wavefront6targetE1EEEvSW_,"axG",@progbits,_ZN7rocprim17ROCPRIM_400000_NS6detail17trampoline_kernelINS0_14default_configENS1_22reduce_config_selectorIlEEZNS1_11reduce_implILb1ES3_N6thrust23THRUST_200600_302600_NS11hip_rocprim26transform_input_iterator_tIlNS8_12zip_iteratorINS8_5tupleINS8_6detail15normal_iteratorINS8_10device_ptrIjEEEESH_NS8_9null_typeESI_SI_SI_SI_SI_SI_SI_EEEENS9_21zip_adj_not_predicateINS8_8equal_toIjEEEEEEPllNS8_4plusIlEEEE10hipError_tPvRmT1_T2_T3_mT4_P12ihipStream_tbEUlT_E1_NS1_11comp_targetILNS1_3genE0ELNS1_11target_archE4294967295ELNS1_3gpuE0ELNS1_3repE0EEENS1_30default_config_static_selectorELNS0_4arch9wavefront6targetE1EEEvSW_,comdat
.Lfunc_end860:
	.size	_ZN7rocprim17ROCPRIM_400000_NS6detail17trampoline_kernelINS0_14default_configENS1_22reduce_config_selectorIlEEZNS1_11reduce_implILb1ES3_N6thrust23THRUST_200600_302600_NS11hip_rocprim26transform_input_iterator_tIlNS8_12zip_iteratorINS8_5tupleINS8_6detail15normal_iteratorINS8_10device_ptrIjEEEESH_NS8_9null_typeESI_SI_SI_SI_SI_SI_SI_EEEENS9_21zip_adj_not_predicateINS8_8equal_toIjEEEEEEPllNS8_4plusIlEEEE10hipError_tPvRmT1_T2_T3_mT4_P12ihipStream_tbEUlT_E1_NS1_11comp_targetILNS1_3genE0ELNS1_11target_archE4294967295ELNS1_3gpuE0ELNS1_3repE0EEENS1_30default_config_static_selectorELNS0_4arch9wavefront6targetE1EEEvSW_, .Lfunc_end860-_ZN7rocprim17ROCPRIM_400000_NS6detail17trampoline_kernelINS0_14default_configENS1_22reduce_config_selectorIlEEZNS1_11reduce_implILb1ES3_N6thrust23THRUST_200600_302600_NS11hip_rocprim26transform_input_iterator_tIlNS8_12zip_iteratorINS8_5tupleINS8_6detail15normal_iteratorINS8_10device_ptrIjEEEESH_NS8_9null_typeESI_SI_SI_SI_SI_SI_SI_EEEENS9_21zip_adj_not_predicateINS8_8equal_toIjEEEEEEPllNS8_4plusIlEEEE10hipError_tPvRmT1_T2_T3_mT4_P12ihipStream_tbEUlT_E1_NS1_11comp_targetILNS1_3genE0ELNS1_11target_archE4294967295ELNS1_3gpuE0ELNS1_3repE0EEENS1_30default_config_static_selectorELNS0_4arch9wavefront6targetE1EEEvSW_
                                        ; -- End function
	.set _ZN7rocprim17ROCPRIM_400000_NS6detail17trampoline_kernelINS0_14default_configENS1_22reduce_config_selectorIlEEZNS1_11reduce_implILb1ES3_N6thrust23THRUST_200600_302600_NS11hip_rocprim26transform_input_iterator_tIlNS8_12zip_iteratorINS8_5tupleINS8_6detail15normal_iteratorINS8_10device_ptrIjEEEESH_NS8_9null_typeESI_SI_SI_SI_SI_SI_SI_EEEENS9_21zip_adj_not_predicateINS8_8equal_toIjEEEEEEPllNS8_4plusIlEEEE10hipError_tPvRmT1_T2_T3_mT4_P12ihipStream_tbEUlT_E1_NS1_11comp_targetILNS1_3genE0ELNS1_11target_archE4294967295ELNS1_3gpuE0ELNS1_3repE0EEENS1_30default_config_static_selectorELNS0_4arch9wavefront6targetE1EEEvSW_.num_vgpr, 0
	.set _ZN7rocprim17ROCPRIM_400000_NS6detail17trampoline_kernelINS0_14default_configENS1_22reduce_config_selectorIlEEZNS1_11reduce_implILb1ES3_N6thrust23THRUST_200600_302600_NS11hip_rocprim26transform_input_iterator_tIlNS8_12zip_iteratorINS8_5tupleINS8_6detail15normal_iteratorINS8_10device_ptrIjEEEESH_NS8_9null_typeESI_SI_SI_SI_SI_SI_SI_EEEENS9_21zip_adj_not_predicateINS8_8equal_toIjEEEEEEPllNS8_4plusIlEEEE10hipError_tPvRmT1_T2_T3_mT4_P12ihipStream_tbEUlT_E1_NS1_11comp_targetILNS1_3genE0ELNS1_11target_archE4294967295ELNS1_3gpuE0ELNS1_3repE0EEENS1_30default_config_static_selectorELNS0_4arch9wavefront6targetE1EEEvSW_.num_agpr, 0
	.set _ZN7rocprim17ROCPRIM_400000_NS6detail17trampoline_kernelINS0_14default_configENS1_22reduce_config_selectorIlEEZNS1_11reduce_implILb1ES3_N6thrust23THRUST_200600_302600_NS11hip_rocprim26transform_input_iterator_tIlNS8_12zip_iteratorINS8_5tupleINS8_6detail15normal_iteratorINS8_10device_ptrIjEEEESH_NS8_9null_typeESI_SI_SI_SI_SI_SI_SI_EEEENS9_21zip_adj_not_predicateINS8_8equal_toIjEEEEEEPllNS8_4plusIlEEEE10hipError_tPvRmT1_T2_T3_mT4_P12ihipStream_tbEUlT_E1_NS1_11comp_targetILNS1_3genE0ELNS1_11target_archE4294967295ELNS1_3gpuE0ELNS1_3repE0EEENS1_30default_config_static_selectorELNS0_4arch9wavefront6targetE1EEEvSW_.numbered_sgpr, 0
	.set _ZN7rocprim17ROCPRIM_400000_NS6detail17trampoline_kernelINS0_14default_configENS1_22reduce_config_selectorIlEEZNS1_11reduce_implILb1ES3_N6thrust23THRUST_200600_302600_NS11hip_rocprim26transform_input_iterator_tIlNS8_12zip_iteratorINS8_5tupleINS8_6detail15normal_iteratorINS8_10device_ptrIjEEEESH_NS8_9null_typeESI_SI_SI_SI_SI_SI_SI_EEEENS9_21zip_adj_not_predicateINS8_8equal_toIjEEEEEEPllNS8_4plusIlEEEE10hipError_tPvRmT1_T2_T3_mT4_P12ihipStream_tbEUlT_E1_NS1_11comp_targetILNS1_3genE0ELNS1_11target_archE4294967295ELNS1_3gpuE0ELNS1_3repE0EEENS1_30default_config_static_selectorELNS0_4arch9wavefront6targetE1EEEvSW_.num_named_barrier, 0
	.set _ZN7rocprim17ROCPRIM_400000_NS6detail17trampoline_kernelINS0_14default_configENS1_22reduce_config_selectorIlEEZNS1_11reduce_implILb1ES3_N6thrust23THRUST_200600_302600_NS11hip_rocprim26transform_input_iterator_tIlNS8_12zip_iteratorINS8_5tupleINS8_6detail15normal_iteratorINS8_10device_ptrIjEEEESH_NS8_9null_typeESI_SI_SI_SI_SI_SI_SI_EEEENS9_21zip_adj_not_predicateINS8_8equal_toIjEEEEEEPllNS8_4plusIlEEEE10hipError_tPvRmT1_T2_T3_mT4_P12ihipStream_tbEUlT_E1_NS1_11comp_targetILNS1_3genE0ELNS1_11target_archE4294967295ELNS1_3gpuE0ELNS1_3repE0EEENS1_30default_config_static_selectorELNS0_4arch9wavefront6targetE1EEEvSW_.private_seg_size, 0
	.set _ZN7rocprim17ROCPRIM_400000_NS6detail17trampoline_kernelINS0_14default_configENS1_22reduce_config_selectorIlEEZNS1_11reduce_implILb1ES3_N6thrust23THRUST_200600_302600_NS11hip_rocprim26transform_input_iterator_tIlNS8_12zip_iteratorINS8_5tupleINS8_6detail15normal_iteratorINS8_10device_ptrIjEEEESH_NS8_9null_typeESI_SI_SI_SI_SI_SI_SI_EEEENS9_21zip_adj_not_predicateINS8_8equal_toIjEEEEEEPllNS8_4plusIlEEEE10hipError_tPvRmT1_T2_T3_mT4_P12ihipStream_tbEUlT_E1_NS1_11comp_targetILNS1_3genE0ELNS1_11target_archE4294967295ELNS1_3gpuE0ELNS1_3repE0EEENS1_30default_config_static_selectorELNS0_4arch9wavefront6targetE1EEEvSW_.uses_vcc, 0
	.set _ZN7rocprim17ROCPRIM_400000_NS6detail17trampoline_kernelINS0_14default_configENS1_22reduce_config_selectorIlEEZNS1_11reduce_implILb1ES3_N6thrust23THRUST_200600_302600_NS11hip_rocprim26transform_input_iterator_tIlNS8_12zip_iteratorINS8_5tupleINS8_6detail15normal_iteratorINS8_10device_ptrIjEEEESH_NS8_9null_typeESI_SI_SI_SI_SI_SI_SI_EEEENS9_21zip_adj_not_predicateINS8_8equal_toIjEEEEEEPllNS8_4plusIlEEEE10hipError_tPvRmT1_T2_T3_mT4_P12ihipStream_tbEUlT_E1_NS1_11comp_targetILNS1_3genE0ELNS1_11target_archE4294967295ELNS1_3gpuE0ELNS1_3repE0EEENS1_30default_config_static_selectorELNS0_4arch9wavefront6targetE1EEEvSW_.uses_flat_scratch, 0
	.set _ZN7rocprim17ROCPRIM_400000_NS6detail17trampoline_kernelINS0_14default_configENS1_22reduce_config_selectorIlEEZNS1_11reduce_implILb1ES3_N6thrust23THRUST_200600_302600_NS11hip_rocprim26transform_input_iterator_tIlNS8_12zip_iteratorINS8_5tupleINS8_6detail15normal_iteratorINS8_10device_ptrIjEEEESH_NS8_9null_typeESI_SI_SI_SI_SI_SI_SI_EEEENS9_21zip_adj_not_predicateINS8_8equal_toIjEEEEEEPllNS8_4plusIlEEEE10hipError_tPvRmT1_T2_T3_mT4_P12ihipStream_tbEUlT_E1_NS1_11comp_targetILNS1_3genE0ELNS1_11target_archE4294967295ELNS1_3gpuE0ELNS1_3repE0EEENS1_30default_config_static_selectorELNS0_4arch9wavefront6targetE1EEEvSW_.has_dyn_sized_stack, 0
	.set _ZN7rocprim17ROCPRIM_400000_NS6detail17trampoline_kernelINS0_14default_configENS1_22reduce_config_selectorIlEEZNS1_11reduce_implILb1ES3_N6thrust23THRUST_200600_302600_NS11hip_rocprim26transform_input_iterator_tIlNS8_12zip_iteratorINS8_5tupleINS8_6detail15normal_iteratorINS8_10device_ptrIjEEEESH_NS8_9null_typeESI_SI_SI_SI_SI_SI_SI_EEEENS9_21zip_adj_not_predicateINS8_8equal_toIjEEEEEEPllNS8_4plusIlEEEE10hipError_tPvRmT1_T2_T3_mT4_P12ihipStream_tbEUlT_E1_NS1_11comp_targetILNS1_3genE0ELNS1_11target_archE4294967295ELNS1_3gpuE0ELNS1_3repE0EEENS1_30default_config_static_selectorELNS0_4arch9wavefront6targetE1EEEvSW_.has_recursion, 0
	.set _ZN7rocprim17ROCPRIM_400000_NS6detail17trampoline_kernelINS0_14default_configENS1_22reduce_config_selectorIlEEZNS1_11reduce_implILb1ES3_N6thrust23THRUST_200600_302600_NS11hip_rocprim26transform_input_iterator_tIlNS8_12zip_iteratorINS8_5tupleINS8_6detail15normal_iteratorINS8_10device_ptrIjEEEESH_NS8_9null_typeESI_SI_SI_SI_SI_SI_SI_EEEENS9_21zip_adj_not_predicateINS8_8equal_toIjEEEEEEPllNS8_4plusIlEEEE10hipError_tPvRmT1_T2_T3_mT4_P12ihipStream_tbEUlT_E1_NS1_11comp_targetILNS1_3genE0ELNS1_11target_archE4294967295ELNS1_3gpuE0ELNS1_3repE0EEENS1_30default_config_static_selectorELNS0_4arch9wavefront6targetE1EEEvSW_.has_indirect_call, 0
	.section	.AMDGPU.csdata,"",@progbits
; Kernel info:
; codeLenInByte = 0
; TotalNumSgprs: 4
; NumVgprs: 0
; ScratchSize: 0
; MemoryBound: 0
; FloatMode: 240
; IeeeMode: 1
; LDSByteSize: 0 bytes/workgroup (compile time only)
; SGPRBlocks: 0
; VGPRBlocks: 0
; NumSGPRsForWavesPerEU: 4
; NumVGPRsForWavesPerEU: 1
; Occupancy: 10
; WaveLimiterHint : 0
; COMPUTE_PGM_RSRC2:SCRATCH_EN: 0
; COMPUTE_PGM_RSRC2:USER_SGPR: 6
; COMPUTE_PGM_RSRC2:TRAP_HANDLER: 0
; COMPUTE_PGM_RSRC2:TGID_X_EN: 1
; COMPUTE_PGM_RSRC2:TGID_Y_EN: 0
; COMPUTE_PGM_RSRC2:TGID_Z_EN: 0
; COMPUTE_PGM_RSRC2:TIDIG_COMP_CNT: 0
	.section	.text._ZN7rocprim17ROCPRIM_400000_NS6detail17trampoline_kernelINS0_14default_configENS1_22reduce_config_selectorIlEEZNS1_11reduce_implILb1ES3_N6thrust23THRUST_200600_302600_NS11hip_rocprim26transform_input_iterator_tIlNS8_12zip_iteratorINS8_5tupleINS8_6detail15normal_iteratorINS8_10device_ptrIjEEEESH_NS8_9null_typeESI_SI_SI_SI_SI_SI_SI_EEEENS9_21zip_adj_not_predicateINS8_8equal_toIjEEEEEEPllNS8_4plusIlEEEE10hipError_tPvRmT1_T2_T3_mT4_P12ihipStream_tbEUlT_E1_NS1_11comp_targetILNS1_3genE5ELNS1_11target_archE942ELNS1_3gpuE9ELNS1_3repE0EEENS1_30default_config_static_selectorELNS0_4arch9wavefront6targetE1EEEvSW_,"axG",@progbits,_ZN7rocprim17ROCPRIM_400000_NS6detail17trampoline_kernelINS0_14default_configENS1_22reduce_config_selectorIlEEZNS1_11reduce_implILb1ES3_N6thrust23THRUST_200600_302600_NS11hip_rocprim26transform_input_iterator_tIlNS8_12zip_iteratorINS8_5tupleINS8_6detail15normal_iteratorINS8_10device_ptrIjEEEESH_NS8_9null_typeESI_SI_SI_SI_SI_SI_SI_EEEENS9_21zip_adj_not_predicateINS8_8equal_toIjEEEEEEPllNS8_4plusIlEEEE10hipError_tPvRmT1_T2_T3_mT4_P12ihipStream_tbEUlT_E1_NS1_11comp_targetILNS1_3genE5ELNS1_11target_archE942ELNS1_3gpuE9ELNS1_3repE0EEENS1_30default_config_static_selectorELNS0_4arch9wavefront6targetE1EEEvSW_,comdat
	.protected	_ZN7rocprim17ROCPRIM_400000_NS6detail17trampoline_kernelINS0_14default_configENS1_22reduce_config_selectorIlEEZNS1_11reduce_implILb1ES3_N6thrust23THRUST_200600_302600_NS11hip_rocprim26transform_input_iterator_tIlNS8_12zip_iteratorINS8_5tupleINS8_6detail15normal_iteratorINS8_10device_ptrIjEEEESH_NS8_9null_typeESI_SI_SI_SI_SI_SI_SI_EEEENS9_21zip_adj_not_predicateINS8_8equal_toIjEEEEEEPllNS8_4plusIlEEEE10hipError_tPvRmT1_T2_T3_mT4_P12ihipStream_tbEUlT_E1_NS1_11comp_targetILNS1_3genE5ELNS1_11target_archE942ELNS1_3gpuE9ELNS1_3repE0EEENS1_30default_config_static_selectorELNS0_4arch9wavefront6targetE1EEEvSW_ ; -- Begin function _ZN7rocprim17ROCPRIM_400000_NS6detail17trampoline_kernelINS0_14default_configENS1_22reduce_config_selectorIlEEZNS1_11reduce_implILb1ES3_N6thrust23THRUST_200600_302600_NS11hip_rocprim26transform_input_iterator_tIlNS8_12zip_iteratorINS8_5tupleINS8_6detail15normal_iteratorINS8_10device_ptrIjEEEESH_NS8_9null_typeESI_SI_SI_SI_SI_SI_SI_EEEENS9_21zip_adj_not_predicateINS8_8equal_toIjEEEEEEPllNS8_4plusIlEEEE10hipError_tPvRmT1_T2_T3_mT4_P12ihipStream_tbEUlT_E1_NS1_11comp_targetILNS1_3genE5ELNS1_11target_archE942ELNS1_3gpuE9ELNS1_3repE0EEENS1_30default_config_static_selectorELNS0_4arch9wavefront6targetE1EEEvSW_
	.globl	_ZN7rocprim17ROCPRIM_400000_NS6detail17trampoline_kernelINS0_14default_configENS1_22reduce_config_selectorIlEEZNS1_11reduce_implILb1ES3_N6thrust23THRUST_200600_302600_NS11hip_rocprim26transform_input_iterator_tIlNS8_12zip_iteratorINS8_5tupleINS8_6detail15normal_iteratorINS8_10device_ptrIjEEEESH_NS8_9null_typeESI_SI_SI_SI_SI_SI_SI_EEEENS9_21zip_adj_not_predicateINS8_8equal_toIjEEEEEEPllNS8_4plusIlEEEE10hipError_tPvRmT1_T2_T3_mT4_P12ihipStream_tbEUlT_E1_NS1_11comp_targetILNS1_3genE5ELNS1_11target_archE942ELNS1_3gpuE9ELNS1_3repE0EEENS1_30default_config_static_selectorELNS0_4arch9wavefront6targetE1EEEvSW_
	.p2align	8
	.type	_ZN7rocprim17ROCPRIM_400000_NS6detail17trampoline_kernelINS0_14default_configENS1_22reduce_config_selectorIlEEZNS1_11reduce_implILb1ES3_N6thrust23THRUST_200600_302600_NS11hip_rocprim26transform_input_iterator_tIlNS8_12zip_iteratorINS8_5tupleINS8_6detail15normal_iteratorINS8_10device_ptrIjEEEESH_NS8_9null_typeESI_SI_SI_SI_SI_SI_SI_EEEENS9_21zip_adj_not_predicateINS8_8equal_toIjEEEEEEPllNS8_4plusIlEEEE10hipError_tPvRmT1_T2_T3_mT4_P12ihipStream_tbEUlT_E1_NS1_11comp_targetILNS1_3genE5ELNS1_11target_archE942ELNS1_3gpuE9ELNS1_3repE0EEENS1_30default_config_static_selectorELNS0_4arch9wavefront6targetE1EEEvSW_,@function
_ZN7rocprim17ROCPRIM_400000_NS6detail17trampoline_kernelINS0_14default_configENS1_22reduce_config_selectorIlEEZNS1_11reduce_implILb1ES3_N6thrust23THRUST_200600_302600_NS11hip_rocprim26transform_input_iterator_tIlNS8_12zip_iteratorINS8_5tupleINS8_6detail15normal_iteratorINS8_10device_ptrIjEEEESH_NS8_9null_typeESI_SI_SI_SI_SI_SI_SI_EEEENS9_21zip_adj_not_predicateINS8_8equal_toIjEEEEEEPllNS8_4plusIlEEEE10hipError_tPvRmT1_T2_T3_mT4_P12ihipStream_tbEUlT_E1_NS1_11comp_targetILNS1_3genE5ELNS1_11target_archE942ELNS1_3gpuE9ELNS1_3repE0EEENS1_30default_config_static_selectorELNS0_4arch9wavefront6targetE1EEEvSW_: ; @_ZN7rocprim17ROCPRIM_400000_NS6detail17trampoline_kernelINS0_14default_configENS1_22reduce_config_selectorIlEEZNS1_11reduce_implILb1ES3_N6thrust23THRUST_200600_302600_NS11hip_rocprim26transform_input_iterator_tIlNS8_12zip_iteratorINS8_5tupleINS8_6detail15normal_iteratorINS8_10device_ptrIjEEEESH_NS8_9null_typeESI_SI_SI_SI_SI_SI_SI_EEEENS9_21zip_adj_not_predicateINS8_8equal_toIjEEEEEEPllNS8_4plusIlEEEE10hipError_tPvRmT1_T2_T3_mT4_P12ihipStream_tbEUlT_E1_NS1_11comp_targetILNS1_3genE5ELNS1_11target_archE942ELNS1_3gpuE9ELNS1_3repE0EEENS1_30default_config_static_selectorELNS0_4arch9wavefront6targetE1EEEvSW_
; %bb.0:
	.section	.rodata,"a",@progbits
	.p2align	6, 0x0
	.amdhsa_kernel _ZN7rocprim17ROCPRIM_400000_NS6detail17trampoline_kernelINS0_14default_configENS1_22reduce_config_selectorIlEEZNS1_11reduce_implILb1ES3_N6thrust23THRUST_200600_302600_NS11hip_rocprim26transform_input_iterator_tIlNS8_12zip_iteratorINS8_5tupleINS8_6detail15normal_iteratorINS8_10device_ptrIjEEEESH_NS8_9null_typeESI_SI_SI_SI_SI_SI_SI_EEEENS9_21zip_adj_not_predicateINS8_8equal_toIjEEEEEEPllNS8_4plusIlEEEE10hipError_tPvRmT1_T2_T3_mT4_P12ihipStream_tbEUlT_E1_NS1_11comp_targetILNS1_3genE5ELNS1_11target_archE942ELNS1_3gpuE9ELNS1_3repE0EEENS1_30default_config_static_selectorELNS0_4arch9wavefront6targetE1EEEvSW_
		.amdhsa_group_segment_fixed_size 0
		.amdhsa_private_segment_fixed_size 0
		.amdhsa_kernarg_size 64
		.amdhsa_user_sgpr_count 6
		.amdhsa_user_sgpr_private_segment_buffer 1
		.amdhsa_user_sgpr_dispatch_ptr 0
		.amdhsa_user_sgpr_queue_ptr 0
		.amdhsa_user_sgpr_kernarg_segment_ptr 1
		.amdhsa_user_sgpr_dispatch_id 0
		.amdhsa_user_sgpr_flat_scratch_init 0
		.amdhsa_user_sgpr_private_segment_size 0
		.amdhsa_uses_dynamic_stack 0
		.amdhsa_system_sgpr_private_segment_wavefront_offset 0
		.amdhsa_system_sgpr_workgroup_id_x 1
		.amdhsa_system_sgpr_workgroup_id_y 0
		.amdhsa_system_sgpr_workgroup_id_z 0
		.amdhsa_system_sgpr_workgroup_info 0
		.amdhsa_system_vgpr_workitem_id 0
		.amdhsa_next_free_vgpr 1
		.amdhsa_next_free_sgpr 0
		.amdhsa_reserve_vcc 0
		.amdhsa_reserve_flat_scratch 0
		.amdhsa_float_round_mode_32 0
		.amdhsa_float_round_mode_16_64 0
		.amdhsa_float_denorm_mode_32 3
		.amdhsa_float_denorm_mode_16_64 3
		.amdhsa_dx10_clamp 1
		.amdhsa_ieee_mode 1
		.amdhsa_fp16_overflow 0
		.amdhsa_exception_fp_ieee_invalid_op 0
		.amdhsa_exception_fp_denorm_src 0
		.amdhsa_exception_fp_ieee_div_zero 0
		.amdhsa_exception_fp_ieee_overflow 0
		.amdhsa_exception_fp_ieee_underflow 0
		.amdhsa_exception_fp_ieee_inexact 0
		.amdhsa_exception_int_div_zero 0
	.end_amdhsa_kernel
	.section	.text._ZN7rocprim17ROCPRIM_400000_NS6detail17trampoline_kernelINS0_14default_configENS1_22reduce_config_selectorIlEEZNS1_11reduce_implILb1ES3_N6thrust23THRUST_200600_302600_NS11hip_rocprim26transform_input_iterator_tIlNS8_12zip_iteratorINS8_5tupleINS8_6detail15normal_iteratorINS8_10device_ptrIjEEEESH_NS8_9null_typeESI_SI_SI_SI_SI_SI_SI_EEEENS9_21zip_adj_not_predicateINS8_8equal_toIjEEEEEEPllNS8_4plusIlEEEE10hipError_tPvRmT1_T2_T3_mT4_P12ihipStream_tbEUlT_E1_NS1_11comp_targetILNS1_3genE5ELNS1_11target_archE942ELNS1_3gpuE9ELNS1_3repE0EEENS1_30default_config_static_selectorELNS0_4arch9wavefront6targetE1EEEvSW_,"axG",@progbits,_ZN7rocprim17ROCPRIM_400000_NS6detail17trampoline_kernelINS0_14default_configENS1_22reduce_config_selectorIlEEZNS1_11reduce_implILb1ES3_N6thrust23THRUST_200600_302600_NS11hip_rocprim26transform_input_iterator_tIlNS8_12zip_iteratorINS8_5tupleINS8_6detail15normal_iteratorINS8_10device_ptrIjEEEESH_NS8_9null_typeESI_SI_SI_SI_SI_SI_SI_EEEENS9_21zip_adj_not_predicateINS8_8equal_toIjEEEEEEPllNS8_4plusIlEEEE10hipError_tPvRmT1_T2_T3_mT4_P12ihipStream_tbEUlT_E1_NS1_11comp_targetILNS1_3genE5ELNS1_11target_archE942ELNS1_3gpuE9ELNS1_3repE0EEENS1_30default_config_static_selectorELNS0_4arch9wavefront6targetE1EEEvSW_,comdat
.Lfunc_end861:
	.size	_ZN7rocprim17ROCPRIM_400000_NS6detail17trampoline_kernelINS0_14default_configENS1_22reduce_config_selectorIlEEZNS1_11reduce_implILb1ES3_N6thrust23THRUST_200600_302600_NS11hip_rocprim26transform_input_iterator_tIlNS8_12zip_iteratorINS8_5tupleINS8_6detail15normal_iteratorINS8_10device_ptrIjEEEESH_NS8_9null_typeESI_SI_SI_SI_SI_SI_SI_EEEENS9_21zip_adj_not_predicateINS8_8equal_toIjEEEEEEPllNS8_4plusIlEEEE10hipError_tPvRmT1_T2_T3_mT4_P12ihipStream_tbEUlT_E1_NS1_11comp_targetILNS1_3genE5ELNS1_11target_archE942ELNS1_3gpuE9ELNS1_3repE0EEENS1_30default_config_static_selectorELNS0_4arch9wavefront6targetE1EEEvSW_, .Lfunc_end861-_ZN7rocprim17ROCPRIM_400000_NS6detail17trampoline_kernelINS0_14default_configENS1_22reduce_config_selectorIlEEZNS1_11reduce_implILb1ES3_N6thrust23THRUST_200600_302600_NS11hip_rocprim26transform_input_iterator_tIlNS8_12zip_iteratorINS8_5tupleINS8_6detail15normal_iteratorINS8_10device_ptrIjEEEESH_NS8_9null_typeESI_SI_SI_SI_SI_SI_SI_EEEENS9_21zip_adj_not_predicateINS8_8equal_toIjEEEEEEPllNS8_4plusIlEEEE10hipError_tPvRmT1_T2_T3_mT4_P12ihipStream_tbEUlT_E1_NS1_11comp_targetILNS1_3genE5ELNS1_11target_archE942ELNS1_3gpuE9ELNS1_3repE0EEENS1_30default_config_static_selectorELNS0_4arch9wavefront6targetE1EEEvSW_
                                        ; -- End function
	.set _ZN7rocprim17ROCPRIM_400000_NS6detail17trampoline_kernelINS0_14default_configENS1_22reduce_config_selectorIlEEZNS1_11reduce_implILb1ES3_N6thrust23THRUST_200600_302600_NS11hip_rocprim26transform_input_iterator_tIlNS8_12zip_iteratorINS8_5tupleINS8_6detail15normal_iteratorINS8_10device_ptrIjEEEESH_NS8_9null_typeESI_SI_SI_SI_SI_SI_SI_EEEENS9_21zip_adj_not_predicateINS8_8equal_toIjEEEEEEPllNS8_4plusIlEEEE10hipError_tPvRmT1_T2_T3_mT4_P12ihipStream_tbEUlT_E1_NS1_11comp_targetILNS1_3genE5ELNS1_11target_archE942ELNS1_3gpuE9ELNS1_3repE0EEENS1_30default_config_static_selectorELNS0_4arch9wavefront6targetE1EEEvSW_.num_vgpr, 0
	.set _ZN7rocprim17ROCPRIM_400000_NS6detail17trampoline_kernelINS0_14default_configENS1_22reduce_config_selectorIlEEZNS1_11reduce_implILb1ES3_N6thrust23THRUST_200600_302600_NS11hip_rocprim26transform_input_iterator_tIlNS8_12zip_iteratorINS8_5tupleINS8_6detail15normal_iteratorINS8_10device_ptrIjEEEESH_NS8_9null_typeESI_SI_SI_SI_SI_SI_SI_EEEENS9_21zip_adj_not_predicateINS8_8equal_toIjEEEEEEPllNS8_4plusIlEEEE10hipError_tPvRmT1_T2_T3_mT4_P12ihipStream_tbEUlT_E1_NS1_11comp_targetILNS1_3genE5ELNS1_11target_archE942ELNS1_3gpuE9ELNS1_3repE0EEENS1_30default_config_static_selectorELNS0_4arch9wavefront6targetE1EEEvSW_.num_agpr, 0
	.set _ZN7rocprim17ROCPRIM_400000_NS6detail17trampoline_kernelINS0_14default_configENS1_22reduce_config_selectorIlEEZNS1_11reduce_implILb1ES3_N6thrust23THRUST_200600_302600_NS11hip_rocprim26transform_input_iterator_tIlNS8_12zip_iteratorINS8_5tupleINS8_6detail15normal_iteratorINS8_10device_ptrIjEEEESH_NS8_9null_typeESI_SI_SI_SI_SI_SI_SI_EEEENS9_21zip_adj_not_predicateINS8_8equal_toIjEEEEEEPllNS8_4plusIlEEEE10hipError_tPvRmT1_T2_T3_mT4_P12ihipStream_tbEUlT_E1_NS1_11comp_targetILNS1_3genE5ELNS1_11target_archE942ELNS1_3gpuE9ELNS1_3repE0EEENS1_30default_config_static_selectorELNS0_4arch9wavefront6targetE1EEEvSW_.numbered_sgpr, 0
	.set _ZN7rocprim17ROCPRIM_400000_NS6detail17trampoline_kernelINS0_14default_configENS1_22reduce_config_selectorIlEEZNS1_11reduce_implILb1ES3_N6thrust23THRUST_200600_302600_NS11hip_rocprim26transform_input_iterator_tIlNS8_12zip_iteratorINS8_5tupleINS8_6detail15normal_iteratorINS8_10device_ptrIjEEEESH_NS8_9null_typeESI_SI_SI_SI_SI_SI_SI_EEEENS9_21zip_adj_not_predicateINS8_8equal_toIjEEEEEEPllNS8_4plusIlEEEE10hipError_tPvRmT1_T2_T3_mT4_P12ihipStream_tbEUlT_E1_NS1_11comp_targetILNS1_3genE5ELNS1_11target_archE942ELNS1_3gpuE9ELNS1_3repE0EEENS1_30default_config_static_selectorELNS0_4arch9wavefront6targetE1EEEvSW_.num_named_barrier, 0
	.set _ZN7rocprim17ROCPRIM_400000_NS6detail17trampoline_kernelINS0_14default_configENS1_22reduce_config_selectorIlEEZNS1_11reduce_implILb1ES3_N6thrust23THRUST_200600_302600_NS11hip_rocprim26transform_input_iterator_tIlNS8_12zip_iteratorINS8_5tupleINS8_6detail15normal_iteratorINS8_10device_ptrIjEEEESH_NS8_9null_typeESI_SI_SI_SI_SI_SI_SI_EEEENS9_21zip_adj_not_predicateINS8_8equal_toIjEEEEEEPllNS8_4plusIlEEEE10hipError_tPvRmT1_T2_T3_mT4_P12ihipStream_tbEUlT_E1_NS1_11comp_targetILNS1_3genE5ELNS1_11target_archE942ELNS1_3gpuE9ELNS1_3repE0EEENS1_30default_config_static_selectorELNS0_4arch9wavefront6targetE1EEEvSW_.private_seg_size, 0
	.set _ZN7rocprim17ROCPRIM_400000_NS6detail17trampoline_kernelINS0_14default_configENS1_22reduce_config_selectorIlEEZNS1_11reduce_implILb1ES3_N6thrust23THRUST_200600_302600_NS11hip_rocprim26transform_input_iterator_tIlNS8_12zip_iteratorINS8_5tupleINS8_6detail15normal_iteratorINS8_10device_ptrIjEEEESH_NS8_9null_typeESI_SI_SI_SI_SI_SI_SI_EEEENS9_21zip_adj_not_predicateINS8_8equal_toIjEEEEEEPllNS8_4plusIlEEEE10hipError_tPvRmT1_T2_T3_mT4_P12ihipStream_tbEUlT_E1_NS1_11comp_targetILNS1_3genE5ELNS1_11target_archE942ELNS1_3gpuE9ELNS1_3repE0EEENS1_30default_config_static_selectorELNS0_4arch9wavefront6targetE1EEEvSW_.uses_vcc, 0
	.set _ZN7rocprim17ROCPRIM_400000_NS6detail17trampoline_kernelINS0_14default_configENS1_22reduce_config_selectorIlEEZNS1_11reduce_implILb1ES3_N6thrust23THRUST_200600_302600_NS11hip_rocprim26transform_input_iterator_tIlNS8_12zip_iteratorINS8_5tupleINS8_6detail15normal_iteratorINS8_10device_ptrIjEEEESH_NS8_9null_typeESI_SI_SI_SI_SI_SI_SI_EEEENS9_21zip_adj_not_predicateINS8_8equal_toIjEEEEEEPllNS8_4plusIlEEEE10hipError_tPvRmT1_T2_T3_mT4_P12ihipStream_tbEUlT_E1_NS1_11comp_targetILNS1_3genE5ELNS1_11target_archE942ELNS1_3gpuE9ELNS1_3repE0EEENS1_30default_config_static_selectorELNS0_4arch9wavefront6targetE1EEEvSW_.uses_flat_scratch, 0
	.set _ZN7rocprim17ROCPRIM_400000_NS6detail17trampoline_kernelINS0_14default_configENS1_22reduce_config_selectorIlEEZNS1_11reduce_implILb1ES3_N6thrust23THRUST_200600_302600_NS11hip_rocprim26transform_input_iterator_tIlNS8_12zip_iteratorINS8_5tupleINS8_6detail15normal_iteratorINS8_10device_ptrIjEEEESH_NS8_9null_typeESI_SI_SI_SI_SI_SI_SI_EEEENS9_21zip_adj_not_predicateINS8_8equal_toIjEEEEEEPllNS8_4plusIlEEEE10hipError_tPvRmT1_T2_T3_mT4_P12ihipStream_tbEUlT_E1_NS1_11comp_targetILNS1_3genE5ELNS1_11target_archE942ELNS1_3gpuE9ELNS1_3repE0EEENS1_30default_config_static_selectorELNS0_4arch9wavefront6targetE1EEEvSW_.has_dyn_sized_stack, 0
	.set _ZN7rocprim17ROCPRIM_400000_NS6detail17trampoline_kernelINS0_14default_configENS1_22reduce_config_selectorIlEEZNS1_11reduce_implILb1ES3_N6thrust23THRUST_200600_302600_NS11hip_rocprim26transform_input_iterator_tIlNS8_12zip_iteratorINS8_5tupleINS8_6detail15normal_iteratorINS8_10device_ptrIjEEEESH_NS8_9null_typeESI_SI_SI_SI_SI_SI_SI_EEEENS9_21zip_adj_not_predicateINS8_8equal_toIjEEEEEEPllNS8_4plusIlEEEE10hipError_tPvRmT1_T2_T3_mT4_P12ihipStream_tbEUlT_E1_NS1_11comp_targetILNS1_3genE5ELNS1_11target_archE942ELNS1_3gpuE9ELNS1_3repE0EEENS1_30default_config_static_selectorELNS0_4arch9wavefront6targetE1EEEvSW_.has_recursion, 0
	.set _ZN7rocprim17ROCPRIM_400000_NS6detail17trampoline_kernelINS0_14default_configENS1_22reduce_config_selectorIlEEZNS1_11reduce_implILb1ES3_N6thrust23THRUST_200600_302600_NS11hip_rocprim26transform_input_iterator_tIlNS8_12zip_iteratorINS8_5tupleINS8_6detail15normal_iteratorINS8_10device_ptrIjEEEESH_NS8_9null_typeESI_SI_SI_SI_SI_SI_SI_EEEENS9_21zip_adj_not_predicateINS8_8equal_toIjEEEEEEPllNS8_4plusIlEEEE10hipError_tPvRmT1_T2_T3_mT4_P12ihipStream_tbEUlT_E1_NS1_11comp_targetILNS1_3genE5ELNS1_11target_archE942ELNS1_3gpuE9ELNS1_3repE0EEENS1_30default_config_static_selectorELNS0_4arch9wavefront6targetE1EEEvSW_.has_indirect_call, 0
	.section	.AMDGPU.csdata,"",@progbits
; Kernel info:
; codeLenInByte = 0
; TotalNumSgprs: 4
; NumVgprs: 0
; ScratchSize: 0
; MemoryBound: 0
; FloatMode: 240
; IeeeMode: 1
; LDSByteSize: 0 bytes/workgroup (compile time only)
; SGPRBlocks: 0
; VGPRBlocks: 0
; NumSGPRsForWavesPerEU: 4
; NumVGPRsForWavesPerEU: 1
; Occupancy: 10
; WaveLimiterHint : 0
; COMPUTE_PGM_RSRC2:SCRATCH_EN: 0
; COMPUTE_PGM_RSRC2:USER_SGPR: 6
; COMPUTE_PGM_RSRC2:TRAP_HANDLER: 0
; COMPUTE_PGM_RSRC2:TGID_X_EN: 1
; COMPUTE_PGM_RSRC2:TGID_Y_EN: 0
; COMPUTE_PGM_RSRC2:TGID_Z_EN: 0
; COMPUTE_PGM_RSRC2:TIDIG_COMP_CNT: 0
	.section	.text._ZN7rocprim17ROCPRIM_400000_NS6detail17trampoline_kernelINS0_14default_configENS1_22reduce_config_selectorIlEEZNS1_11reduce_implILb1ES3_N6thrust23THRUST_200600_302600_NS11hip_rocprim26transform_input_iterator_tIlNS8_12zip_iteratorINS8_5tupleINS8_6detail15normal_iteratorINS8_10device_ptrIjEEEESH_NS8_9null_typeESI_SI_SI_SI_SI_SI_SI_EEEENS9_21zip_adj_not_predicateINS8_8equal_toIjEEEEEEPllNS8_4plusIlEEEE10hipError_tPvRmT1_T2_T3_mT4_P12ihipStream_tbEUlT_E1_NS1_11comp_targetILNS1_3genE4ELNS1_11target_archE910ELNS1_3gpuE8ELNS1_3repE0EEENS1_30default_config_static_selectorELNS0_4arch9wavefront6targetE1EEEvSW_,"axG",@progbits,_ZN7rocprim17ROCPRIM_400000_NS6detail17trampoline_kernelINS0_14default_configENS1_22reduce_config_selectorIlEEZNS1_11reduce_implILb1ES3_N6thrust23THRUST_200600_302600_NS11hip_rocprim26transform_input_iterator_tIlNS8_12zip_iteratorINS8_5tupleINS8_6detail15normal_iteratorINS8_10device_ptrIjEEEESH_NS8_9null_typeESI_SI_SI_SI_SI_SI_SI_EEEENS9_21zip_adj_not_predicateINS8_8equal_toIjEEEEEEPllNS8_4plusIlEEEE10hipError_tPvRmT1_T2_T3_mT4_P12ihipStream_tbEUlT_E1_NS1_11comp_targetILNS1_3genE4ELNS1_11target_archE910ELNS1_3gpuE8ELNS1_3repE0EEENS1_30default_config_static_selectorELNS0_4arch9wavefront6targetE1EEEvSW_,comdat
	.protected	_ZN7rocprim17ROCPRIM_400000_NS6detail17trampoline_kernelINS0_14default_configENS1_22reduce_config_selectorIlEEZNS1_11reduce_implILb1ES3_N6thrust23THRUST_200600_302600_NS11hip_rocprim26transform_input_iterator_tIlNS8_12zip_iteratorINS8_5tupleINS8_6detail15normal_iteratorINS8_10device_ptrIjEEEESH_NS8_9null_typeESI_SI_SI_SI_SI_SI_SI_EEEENS9_21zip_adj_not_predicateINS8_8equal_toIjEEEEEEPllNS8_4plusIlEEEE10hipError_tPvRmT1_T2_T3_mT4_P12ihipStream_tbEUlT_E1_NS1_11comp_targetILNS1_3genE4ELNS1_11target_archE910ELNS1_3gpuE8ELNS1_3repE0EEENS1_30default_config_static_selectorELNS0_4arch9wavefront6targetE1EEEvSW_ ; -- Begin function _ZN7rocprim17ROCPRIM_400000_NS6detail17trampoline_kernelINS0_14default_configENS1_22reduce_config_selectorIlEEZNS1_11reduce_implILb1ES3_N6thrust23THRUST_200600_302600_NS11hip_rocprim26transform_input_iterator_tIlNS8_12zip_iteratorINS8_5tupleINS8_6detail15normal_iteratorINS8_10device_ptrIjEEEESH_NS8_9null_typeESI_SI_SI_SI_SI_SI_SI_EEEENS9_21zip_adj_not_predicateINS8_8equal_toIjEEEEEEPllNS8_4plusIlEEEE10hipError_tPvRmT1_T2_T3_mT4_P12ihipStream_tbEUlT_E1_NS1_11comp_targetILNS1_3genE4ELNS1_11target_archE910ELNS1_3gpuE8ELNS1_3repE0EEENS1_30default_config_static_selectorELNS0_4arch9wavefront6targetE1EEEvSW_
	.globl	_ZN7rocprim17ROCPRIM_400000_NS6detail17trampoline_kernelINS0_14default_configENS1_22reduce_config_selectorIlEEZNS1_11reduce_implILb1ES3_N6thrust23THRUST_200600_302600_NS11hip_rocprim26transform_input_iterator_tIlNS8_12zip_iteratorINS8_5tupleINS8_6detail15normal_iteratorINS8_10device_ptrIjEEEESH_NS8_9null_typeESI_SI_SI_SI_SI_SI_SI_EEEENS9_21zip_adj_not_predicateINS8_8equal_toIjEEEEEEPllNS8_4plusIlEEEE10hipError_tPvRmT1_T2_T3_mT4_P12ihipStream_tbEUlT_E1_NS1_11comp_targetILNS1_3genE4ELNS1_11target_archE910ELNS1_3gpuE8ELNS1_3repE0EEENS1_30default_config_static_selectorELNS0_4arch9wavefront6targetE1EEEvSW_
	.p2align	8
	.type	_ZN7rocprim17ROCPRIM_400000_NS6detail17trampoline_kernelINS0_14default_configENS1_22reduce_config_selectorIlEEZNS1_11reduce_implILb1ES3_N6thrust23THRUST_200600_302600_NS11hip_rocprim26transform_input_iterator_tIlNS8_12zip_iteratorINS8_5tupleINS8_6detail15normal_iteratorINS8_10device_ptrIjEEEESH_NS8_9null_typeESI_SI_SI_SI_SI_SI_SI_EEEENS9_21zip_adj_not_predicateINS8_8equal_toIjEEEEEEPllNS8_4plusIlEEEE10hipError_tPvRmT1_T2_T3_mT4_P12ihipStream_tbEUlT_E1_NS1_11comp_targetILNS1_3genE4ELNS1_11target_archE910ELNS1_3gpuE8ELNS1_3repE0EEENS1_30default_config_static_selectorELNS0_4arch9wavefront6targetE1EEEvSW_,@function
_ZN7rocprim17ROCPRIM_400000_NS6detail17trampoline_kernelINS0_14default_configENS1_22reduce_config_selectorIlEEZNS1_11reduce_implILb1ES3_N6thrust23THRUST_200600_302600_NS11hip_rocprim26transform_input_iterator_tIlNS8_12zip_iteratorINS8_5tupleINS8_6detail15normal_iteratorINS8_10device_ptrIjEEEESH_NS8_9null_typeESI_SI_SI_SI_SI_SI_SI_EEEENS9_21zip_adj_not_predicateINS8_8equal_toIjEEEEEEPllNS8_4plusIlEEEE10hipError_tPvRmT1_T2_T3_mT4_P12ihipStream_tbEUlT_E1_NS1_11comp_targetILNS1_3genE4ELNS1_11target_archE910ELNS1_3gpuE8ELNS1_3repE0EEENS1_30default_config_static_selectorELNS0_4arch9wavefront6targetE1EEEvSW_: ; @_ZN7rocprim17ROCPRIM_400000_NS6detail17trampoline_kernelINS0_14default_configENS1_22reduce_config_selectorIlEEZNS1_11reduce_implILb1ES3_N6thrust23THRUST_200600_302600_NS11hip_rocprim26transform_input_iterator_tIlNS8_12zip_iteratorINS8_5tupleINS8_6detail15normal_iteratorINS8_10device_ptrIjEEEESH_NS8_9null_typeESI_SI_SI_SI_SI_SI_SI_EEEENS9_21zip_adj_not_predicateINS8_8equal_toIjEEEEEEPllNS8_4plusIlEEEE10hipError_tPvRmT1_T2_T3_mT4_P12ihipStream_tbEUlT_E1_NS1_11comp_targetILNS1_3genE4ELNS1_11target_archE910ELNS1_3gpuE8ELNS1_3repE0EEENS1_30default_config_static_selectorELNS0_4arch9wavefront6targetE1EEEvSW_
; %bb.0:
	.section	.rodata,"a",@progbits
	.p2align	6, 0x0
	.amdhsa_kernel _ZN7rocprim17ROCPRIM_400000_NS6detail17trampoline_kernelINS0_14default_configENS1_22reduce_config_selectorIlEEZNS1_11reduce_implILb1ES3_N6thrust23THRUST_200600_302600_NS11hip_rocprim26transform_input_iterator_tIlNS8_12zip_iteratorINS8_5tupleINS8_6detail15normal_iteratorINS8_10device_ptrIjEEEESH_NS8_9null_typeESI_SI_SI_SI_SI_SI_SI_EEEENS9_21zip_adj_not_predicateINS8_8equal_toIjEEEEEEPllNS8_4plusIlEEEE10hipError_tPvRmT1_T2_T3_mT4_P12ihipStream_tbEUlT_E1_NS1_11comp_targetILNS1_3genE4ELNS1_11target_archE910ELNS1_3gpuE8ELNS1_3repE0EEENS1_30default_config_static_selectorELNS0_4arch9wavefront6targetE1EEEvSW_
		.amdhsa_group_segment_fixed_size 0
		.amdhsa_private_segment_fixed_size 0
		.amdhsa_kernarg_size 64
		.amdhsa_user_sgpr_count 6
		.amdhsa_user_sgpr_private_segment_buffer 1
		.amdhsa_user_sgpr_dispatch_ptr 0
		.amdhsa_user_sgpr_queue_ptr 0
		.amdhsa_user_sgpr_kernarg_segment_ptr 1
		.amdhsa_user_sgpr_dispatch_id 0
		.amdhsa_user_sgpr_flat_scratch_init 0
		.amdhsa_user_sgpr_private_segment_size 0
		.amdhsa_uses_dynamic_stack 0
		.amdhsa_system_sgpr_private_segment_wavefront_offset 0
		.amdhsa_system_sgpr_workgroup_id_x 1
		.amdhsa_system_sgpr_workgroup_id_y 0
		.amdhsa_system_sgpr_workgroup_id_z 0
		.amdhsa_system_sgpr_workgroup_info 0
		.amdhsa_system_vgpr_workitem_id 0
		.amdhsa_next_free_vgpr 1
		.amdhsa_next_free_sgpr 0
		.amdhsa_reserve_vcc 0
		.amdhsa_reserve_flat_scratch 0
		.amdhsa_float_round_mode_32 0
		.amdhsa_float_round_mode_16_64 0
		.amdhsa_float_denorm_mode_32 3
		.amdhsa_float_denorm_mode_16_64 3
		.amdhsa_dx10_clamp 1
		.amdhsa_ieee_mode 1
		.amdhsa_fp16_overflow 0
		.amdhsa_exception_fp_ieee_invalid_op 0
		.amdhsa_exception_fp_denorm_src 0
		.amdhsa_exception_fp_ieee_div_zero 0
		.amdhsa_exception_fp_ieee_overflow 0
		.amdhsa_exception_fp_ieee_underflow 0
		.amdhsa_exception_fp_ieee_inexact 0
		.amdhsa_exception_int_div_zero 0
	.end_amdhsa_kernel
	.section	.text._ZN7rocprim17ROCPRIM_400000_NS6detail17trampoline_kernelINS0_14default_configENS1_22reduce_config_selectorIlEEZNS1_11reduce_implILb1ES3_N6thrust23THRUST_200600_302600_NS11hip_rocprim26transform_input_iterator_tIlNS8_12zip_iteratorINS8_5tupleINS8_6detail15normal_iteratorINS8_10device_ptrIjEEEESH_NS8_9null_typeESI_SI_SI_SI_SI_SI_SI_EEEENS9_21zip_adj_not_predicateINS8_8equal_toIjEEEEEEPllNS8_4plusIlEEEE10hipError_tPvRmT1_T2_T3_mT4_P12ihipStream_tbEUlT_E1_NS1_11comp_targetILNS1_3genE4ELNS1_11target_archE910ELNS1_3gpuE8ELNS1_3repE0EEENS1_30default_config_static_selectorELNS0_4arch9wavefront6targetE1EEEvSW_,"axG",@progbits,_ZN7rocprim17ROCPRIM_400000_NS6detail17trampoline_kernelINS0_14default_configENS1_22reduce_config_selectorIlEEZNS1_11reduce_implILb1ES3_N6thrust23THRUST_200600_302600_NS11hip_rocprim26transform_input_iterator_tIlNS8_12zip_iteratorINS8_5tupleINS8_6detail15normal_iteratorINS8_10device_ptrIjEEEESH_NS8_9null_typeESI_SI_SI_SI_SI_SI_SI_EEEENS9_21zip_adj_not_predicateINS8_8equal_toIjEEEEEEPllNS8_4plusIlEEEE10hipError_tPvRmT1_T2_T3_mT4_P12ihipStream_tbEUlT_E1_NS1_11comp_targetILNS1_3genE4ELNS1_11target_archE910ELNS1_3gpuE8ELNS1_3repE0EEENS1_30default_config_static_selectorELNS0_4arch9wavefront6targetE1EEEvSW_,comdat
.Lfunc_end862:
	.size	_ZN7rocprim17ROCPRIM_400000_NS6detail17trampoline_kernelINS0_14default_configENS1_22reduce_config_selectorIlEEZNS1_11reduce_implILb1ES3_N6thrust23THRUST_200600_302600_NS11hip_rocprim26transform_input_iterator_tIlNS8_12zip_iteratorINS8_5tupleINS8_6detail15normal_iteratorINS8_10device_ptrIjEEEESH_NS8_9null_typeESI_SI_SI_SI_SI_SI_SI_EEEENS9_21zip_adj_not_predicateINS8_8equal_toIjEEEEEEPllNS8_4plusIlEEEE10hipError_tPvRmT1_T2_T3_mT4_P12ihipStream_tbEUlT_E1_NS1_11comp_targetILNS1_3genE4ELNS1_11target_archE910ELNS1_3gpuE8ELNS1_3repE0EEENS1_30default_config_static_selectorELNS0_4arch9wavefront6targetE1EEEvSW_, .Lfunc_end862-_ZN7rocprim17ROCPRIM_400000_NS6detail17trampoline_kernelINS0_14default_configENS1_22reduce_config_selectorIlEEZNS1_11reduce_implILb1ES3_N6thrust23THRUST_200600_302600_NS11hip_rocprim26transform_input_iterator_tIlNS8_12zip_iteratorINS8_5tupleINS8_6detail15normal_iteratorINS8_10device_ptrIjEEEESH_NS8_9null_typeESI_SI_SI_SI_SI_SI_SI_EEEENS9_21zip_adj_not_predicateINS8_8equal_toIjEEEEEEPllNS8_4plusIlEEEE10hipError_tPvRmT1_T2_T3_mT4_P12ihipStream_tbEUlT_E1_NS1_11comp_targetILNS1_3genE4ELNS1_11target_archE910ELNS1_3gpuE8ELNS1_3repE0EEENS1_30default_config_static_selectorELNS0_4arch9wavefront6targetE1EEEvSW_
                                        ; -- End function
	.set _ZN7rocprim17ROCPRIM_400000_NS6detail17trampoline_kernelINS0_14default_configENS1_22reduce_config_selectorIlEEZNS1_11reduce_implILb1ES3_N6thrust23THRUST_200600_302600_NS11hip_rocprim26transform_input_iterator_tIlNS8_12zip_iteratorINS8_5tupleINS8_6detail15normal_iteratorINS8_10device_ptrIjEEEESH_NS8_9null_typeESI_SI_SI_SI_SI_SI_SI_EEEENS9_21zip_adj_not_predicateINS8_8equal_toIjEEEEEEPllNS8_4plusIlEEEE10hipError_tPvRmT1_T2_T3_mT4_P12ihipStream_tbEUlT_E1_NS1_11comp_targetILNS1_3genE4ELNS1_11target_archE910ELNS1_3gpuE8ELNS1_3repE0EEENS1_30default_config_static_selectorELNS0_4arch9wavefront6targetE1EEEvSW_.num_vgpr, 0
	.set _ZN7rocprim17ROCPRIM_400000_NS6detail17trampoline_kernelINS0_14default_configENS1_22reduce_config_selectorIlEEZNS1_11reduce_implILb1ES3_N6thrust23THRUST_200600_302600_NS11hip_rocprim26transform_input_iterator_tIlNS8_12zip_iteratorINS8_5tupleINS8_6detail15normal_iteratorINS8_10device_ptrIjEEEESH_NS8_9null_typeESI_SI_SI_SI_SI_SI_SI_EEEENS9_21zip_adj_not_predicateINS8_8equal_toIjEEEEEEPllNS8_4plusIlEEEE10hipError_tPvRmT1_T2_T3_mT4_P12ihipStream_tbEUlT_E1_NS1_11comp_targetILNS1_3genE4ELNS1_11target_archE910ELNS1_3gpuE8ELNS1_3repE0EEENS1_30default_config_static_selectorELNS0_4arch9wavefront6targetE1EEEvSW_.num_agpr, 0
	.set _ZN7rocprim17ROCPRIM_400000_NS6detail17trampoline_kernelINS0_14default_configENS1_22reduce_config_selectorIlEEZNS1_11reduce_implILb1ES3_N6thrust23THRUST_200600_302600_NS11hip_rocprim26transform_input_iterator_tIlNS8_12zip_iteratorINS8_5tupleINS8_6detail15normal_iteratorINS8_10device_ptrIjEEEESH_NS8_9null_typeESI_SI_SI_SI_SI_SI_SI_EEEENS9_21zip_adj_not_predicateINS8_8equal_toIjEEEEEEPllNS8_4plusIlEEEE10hipError_tPvRmT1_T2_T3_mT4_P12ihipStream_tbEUlT_E1_NS1_11comp_targetILNS1_3genE4ELNS1_11target_archE910ELNS1_3gpuE8ELNS1_3repE0EEENS1_30default_config_static_selectorELNS0_4arch9wavefront6targetE1EEEvSW_.numbered_sgpr, 0
	.set _ZN7rocprim17ROCPRIM_400000_NS6detail17trampoline_kernelINS0_14default_configENS1_22reduce_config_selectorIlEEZNS1_11reduce_implILb1ES3_N6thrust23THRUST_200600_302600_NS11hip_rocprim26transform_input_iterator_tIlNS8_12zip_iteratorINS8_5tupleINS8_6detail15normal_iteratorINS8_10device_ptrIjEEEESH_NS8_9null_typeESI_SI_SI_SI_SI_SI_SI_EEEENS9_21zip_adj_not_predicateINS8_8equal_toIjEEEEEEPllNS8_4plusIlEEEE10hipError_tPvRmT1_T2_T3_mT4_P12ihipStream_tbEUlT_E1_NS1_11comp_targetILNS1_3genE4ELNS1_11target_archE910ELNS1_3gpuE8ELNS1_3repE0EEENS1_30default_config_static_selectorELNS0_4arch9wavefront6targetE1EEEvSW_.num_named_barrier, 0
	.set _ZN7rocprim17ROCPRIM_400000_NS6detail17trampoline_kernelINS0_14default_configENS1_22reduce_config_selectorIlEEZNS1_11reduce_implILb1ES3_N6thrust23THRUST_200600_302600_NS11hip_rocprim26transform_input_iterator_tIlNS8_12zip_iteratorINS8_5tupleINS8_6detail15normal_iteratorINS8_10device_ptrIjEEEESH_NS8_9null_typeESI_SI_SI_SI_SI_SI_SI_EEEENS9_21zip_adj_not_predicateINS8_8equal_toIjEEEEEEPllNS8_4plusIlEEEE10hipError_tPvRmT1_T2_T3_mT4_P12ihipStream_tbEUlT_E1_NS1_11comp_targetILNS1_3genE4ELNS1_11target_archE910ELNS1_3gpuE8ELNS1_3repE0EEENS1_30default_config_static_selectorELNS0_4arch9wavefront6targetE1EEEvSW_.private_seg_size, 0
	.set _ZN7rocprim17ROCPRIM_400000_NS6detail17trampoline_kernelINS0_14default_configENS1_22reduce_config_selectorIlEEZNS1_11reduce_implILb1ES3_N6thrust23THRUST_200600_302600_NS11hip_rocprim26transform_input_iterator_tIlNS8_12zip_iteratorINS8_5tupleINS8_6detail15normal_iteratorINS8_10device_ptrIjEEEESH_NS8_9null_typeESI_SI_SI_SI_SI_SI_SI_EEEENS9_21zip_adj_not_predicateINS8_8equal_toIjEEEEEEPllNS8_4plusIlEEEE10hipError_tPvRmT1_T2_T3_mT4_P12ihipStream_tbEUlT_E1_NS1_11comp_targetILNS1_3genE4ELNS1_11target_archE910ELNS1_3gpuE8ELNS1_3repE0EEENS1_30default_config_static_selectorELNS0_4arch9wavefront6targetE1EEEvSW_.uses_vcc, 0
	.set _ZN7rocprim17ROCPRIM_400000_NS6detail17trampoline_kernelINS0_14default_configENS1_22reduce_config_selectorIlEEZNS1_11reduce_implILb1ES3_N6thrust23THRUST_200600_302600_NS11hip_rocprim26transform_input_iterator_tIlNS8_12zip_iteratorINS8_5tupleINS8_6detail15normal_iteratorINS8_10device_ptrIjEEEESH_NS8_9null_typeESI_SI_SI_SI_SI_SI_SI_EEEENS9_21zip_adj_not_predicateINS8_8equal_toIjEEEEEEPllNS8_4plusIlEEEE10hipError_tPvRmT1_T2_T3_mT4_P12ihipStream_tbEUlT_E1_NS1_11comp_targetILNS1_3genE4ELNS1_11target_archE910ELNS1_3gpuE8ELNS1_3repE0EEENS1_30default_config_static_selectorELNS0_4arch9wavefront6targetE1EEEvSW_.uses_flat_scratch, 0
	.set _ZN7rocprim17ROCPRIM_400000_NS6detail17trampoline_kernelINS0_14default_configENS1_22reduce_config_selectorIlEEZNS1_11reduce_implILb1ES3_N6thrust23THRUST_200600_302600_NS11hip_rocprim26transform_input_iterator_tIlNS8_12zip_iteratorINS8_5tupleINS8_6detail15normal_iteratorINS8_10device_ptrIjEEEESH_NS8_9null_typeESI_SI_SI_SI_SI_SI_SI_EEEENS9_21zip_adj_not_predicateINS8_8equal_toIjEEEEEEPllNS8_4plusIlEEEE10hipError_tPvRmT1_T2_T3_mT4_P12ihipStream_tbEUlT_E1_NS1_11comp_targetILNS1_3genE4ELNS1_11target_archE910ELNS1_3gpuE8ELNS1_3repE0EEENS1_30default_config_static_selectorELNS0_4arch9wavefront6targetE1EEEvSW_.has_dyn_sized_stack, 0
	.set _ZN7rocprim17ROCPRIM_400000_NS6detail17trampoline_kernelINS0_14default_configENS1_22reduce_config_selectorIlEEZNS1_11reduce_implILb1ES3_N6thrust23THRUST_200600_302600_NS11hip_rocprim26transform_input_iterator_tIlNS8_12zip_iteratorINS8_5tupleINS8_6detail15normal_iteratorINS8_10device_ptrIjEEEESH_NS8_9null_typeESI_SI_SI_SI_SI_SI_SI_EEEENS9_21zip_adj_not_predicateINS8_8equal_toIjEEEEEEPllNS8_4plusIlEEEE10hipError_tPvRmT1_T2_T3_mT4_P12ihipStream_tbEUlT_E1_NS1_11comp_targetILNS1_3genE4ELNS1_11target_archE910ELNS1_3gpuE8ELNS1_3repE0EEENS1_30default_config_static_selectorELNS0_4arch9wavefront6targetE1EEEvSW_.has_recursion, 0
	.set _ZN7rocprim17ROCPRIM_400000_NS6detail17trampoline_kernelINS0_14default_configENS1_22reduce_config_selectorIlEEZNS1_11reduce_implILb1ES3_N6thrust23THRUST_200600_302600_NS11hip_rocprim26transform_input_iterator_tIlNS8_12zip_iteratorINS8_5tupleINS8_6detail15normal_iteratorINS8_10device_ptrIjEEEESH_NS8_9null_typeESI_SI_SI_SI_SI_SI_SI_EEEENS9_21zip_adj_not_predicateINS8_8equal_toIjEEEEEEPllNS8_4plusIlEEEE10hipError_tPvRmT1_T2_T3_mT4_P12ihipStream_tbEUlT_E1_NS1_11comp_targetILNS1_3genE4ELNS1_11target_archE910ELNS1_3gpuE8ELNS1_3repE0EEENS1_30default_config_static_selectorELNS0_4arch9wavefront6targetE1EEEvSW_.has_indirect_call, 0
	.section	.AMDGPU.csdata,"",@progbits
; Kernel info:
; codeLenInByte = 0
; TotalNumSgprs: 4
; NumVgprs: 0
; ScratchSize: 0
; MemoryBound: 0
; FloatMode: 240
; IeeeMode: 1
; LDSByteSize: 0 bytes/workgroup (compile time only)
; SGPRBlocks: 0
; VGPRBlocks: 0
; NumSGPRsForWavesPerEU: 4
; NumVGPRsForWavesPerEU: 1
; Occupancy: 10
; WaveLimiterHint : 0
; COMPUTE_PGM_RSRC2:SCRATCH_EN: 0
; COMPUTE_PGM_RSRC2:USER_SGPR: 6
; COMPUTE_PGM_RSRC2:TRAP_HANDLER: 0
; COMPUTE_PGM_RSRC2:TGID_X_EN: 1
; COMPUTE_PGM_RSRC2:TGID_Y_EN: 0
; COMPUTE_PGM_RSRC2:TGID_Z_EN: 0
; COMPUTE_PGM_RSRC2:TIDIG_COMP_CNT: 0
	.section	.text._ZN7rocprim17ROCPRIM_400000_NS6detail17trampoline_kernelINS0_14default_configENS1_22reduce_config_selectorIlEEZNS1_11reduce_implILb1ES3_N6thrust23THRUST_200600_302600_NS11hip_rocprim26transform_input_iterator_tIlNS8_12zip_iteratorINS8_5tupleINS8_6detail15normal_iteratorINS8_10device_ptrIjEEEESH_NS8_9null_typeESI_SI_SI_SI_SI_SI_SI_EEEENS9_21zip_adj_not_predicateINS8_8equal_toIjEEEEEEPllNS8_4plusIlEEEE10hipError_tPvRmT1_T2_T3_mT4_P12ihipStream_tbEUlT_E1_NS1_11comp_targetILNS1_3genE3ELNS1_11target_archE908ELNS1_3gpuE7ELNS1_3repE0EEENS1_30default_config_static_selectorELNS0_4arch9wavefront6targetE1EEEvSW_,"axG",@progbits,_ZN7rocprim17ROCPRIM_400000_NS6detail17trampoline_kernelINS0_14default_configENS1_22reduce_config_selectorIlEEZNS1_11reduce_implILb1ES3_N6thrust23THRUST_200600_302600_NS11hip_rocprim26transform_input_iterator_tIlNS8_12zip_iteratorINS8_5tupleINS8_6detail15normal_iteratorINS8_10device_ptrIjEEEESH_NS8_9null_typeESI_SI_SI_SI_SI_SI_SI_EEEENS9_21zip_adj_not_predicateINS8_8equal_toIjEEEEEEPllNS8_4plusIlEEEE10hipError_tPvRmT1_T2_T3_mT4_P12ihipStream_tbEUlT_E1_NS1_11comp_targetILNS1_3genE3ELNS1_11target_archE908ELNS1_3gpuE7ELNS1_3repE0EEENS1_30default_config_static_selectorELNS0_4arch9wavefront6targetE1EEEvSW_,comdat
	.protected	_ZN7rocprim17ROCPRIM_400000_NS6detail17trampoline_kernelINS0_14default_configENS1_22reduce_config_selectorIlEEZNS1_11reduce_implILb1ES3_N6thrust23THRUST_200600_302600_NS11hip_rocprim26transform_input_iterator_tIlNS8_12zip_iteratorINS8_5tupleINS8_6detail15normal_iteratorINS8_10device_ptrIjEEEESH_NS8_9null_typeESI_SI_SI_SI_SI_SI_SI_EEEENS9_21zip_adj_not_predicateINS8_8equal_toIjEEEEEEPllNS8_4plusIlEEEE10hipError_tPvRmT1_T2_T3_mT4_P12ihipStream_tbEUlT_E1_NS1_11comp_targetILNS1_3genE3ELNS1_11target_archE908ELNS1_3gpuE7ELNS1_3repE0EEENS1_30default_config_static_selectorELNS0_4arch9wavefront6targetE1EEEvSW_ ; -- Begin function _ZN7rocprim17ROCPRIM_400000_NS6detail17trampoline_kernelINS0_14default_configENS1_22reduce_config_selectorIlEEZNS1_11reduce_implILb1ES3_N6thrust23THRUST_200600_302600_NS11hip_rocprim26transform_input_iterator_tIlNS8_12zip_iteratorINS8_5tupleINS8_6detail15normal_iteratorINS8_10device_ptrIjEEEESH_NS8_9null_typeESI_SI_SI_SI_SI_SI_SI_EEEENS9_21zip_adj_not_predicateINS8_8equal_toIjEEEEEEPllNS8_4plusIlEEEE10hipError_tPvRmT1_T2_T3_mT4_P12ihipStream_tbEUlT_E1_NS1_11comp_targetILNS1_3genE3ELNS1_11target_archE908ELNS1_3gpuE7ELNS1_3repE0EEENS1_30default_config_static_selectorELNS0_4arch9wavefront6targetE1EEEvSW_
	.globl	_ZN7rocprim17ROCPRIM_400000_NS6detail17trampoline_kernelINS0_14default_configENS1_22reduce_config_selectorIlEEZNS1_11reduce_implILb1ES3_N6thrust23THRUST_200600_302600_NS11hip_rocprim26transform_input_iterator_tIlNS8_12zip_iteratorINS8_5tupleINS8_6detail15normal_iteratorINS8_10device_ptrIjEEEESH_NS8_9null_typeESI_SI_SI_SI_SI_SI_SI_EEEENS9_21zip_adj_not_predicateINS8_8equal_toIjEEEEEEPllNS8_4plusIlEEEE10hipError_tPvRmT1_T2_T3_mT4_P12ihipStream_tbEUlT_E1_NS1_11comp_targetILNS1_3genE3ELNS1_11target_archE908ELNS1_3gpuE7ELNS1_3repE0EEENS1_30default_config_static_selectorELNS0_4arch9wavefront6targetE1EEEvSW_
	.p2align	8
	.type	_ZN7rocprim17ROCPRIM_400000_NS6detail17trampoline_kernelINS0_14default_configENS1_22reduce_config_selectorIlEEZNS1_11reduce_implILb1ES3_N6thrust23THRUST_200600_302600_NS11hip_rocprim26transform_input_iterator_tIlNS8_12zip_iteratorINS8_5tupleINS8_6detail15normal_iteratorINS8_10device_ptrIjEEEESH_NS8_9null_typeESI_SI_SI_SI_SI_SI_SI_EEEENS9_21zip_adj_not_predicateINS8_8equal_toIjEEEEEEPllNS8_4plusIlEEEE10hipError_tPvRmT1_T2_T3_mT4_P12ihipStream_tbEUlT_E1_NS1_11comp_targetILNS1_3genE3ELNS1_11target_archE908ELNS1_3gpuE7ELNS1_3repE0EEENS1_30default_config_static_selectorELNS0_4arch9wavefront6targetE1EEEvSW_,@function
_ZN7rocprim17ROCPRIM_400000_NS6detail17trampoline_kernelINS0_14default_configENS1_22reduce_config_selectorIlEEZNS1_11reduce_implILb1ES3_N6thrust23THRUST_200600_302600_NS11hip_rocprim26transform_input_iterator_tIlNS8_12zip_iteratorINS8_5tupleINS8_6detail15normal_iteratorINS8_10device_ptrIjEEEESH_NS8_9null_typeESI_SI_SI_SI_SI_SI_SI_EEEENS9_21zip_adj_not_predicateINS8_8equal_toIjEEEEEEPllNS8_4plusIlEEEE10hipError_tPvRmT1_T2_T3_mT4_P12ihipStream_tbEUlT_E1_NS1_11comp_targetILNS1_3genE3ELNS1_11target_archE908ELNS1_3gpuE7ELNS1_3repE0EEENS1_30default_config_static_selectorELNS0_4arch9wavefront6targetE1EEEvSW_: ; @_ZN7rocprim17ROCPRIM_400000_NS6detail17trampoline_kernelINS0_14default_configENS1_22reduce_config_selectorIlEEZNS1_11reduce_implILb1ES3_N6thrust23THRUST_200600_302600_NS11hip_rocprim26transform_input_iterator_tIlNS8_12zip_iteratorINS8_5tupleINS8_6detail15normal_iteratorINS8_10device_ptrIjEEEESH_NS8_9null_typeESI_SI_SI_SI_SI_SI_SI_EEEENS9_21zip_adj_not_predicateINS8_8equal_toIjEEEEEEPllNS8_4plusIlEEEE10hipError_tPvRmT1_T2_T3_mT4_P12ihipStream_tbEUlT_E1_NS1_11comp_targetILNS1_3genE3ELNS1_11target_archE908ELNS1_3gpuE7ELNS1_3repE0EEENS1_30default_config_static_selectorELNS0_4arch9wavefront6targetE1EEEvSW_
; %bb.0:
	.section	.rodata,"a",@progbits
	.p2align	6, 0x0
	.amdhsa_kernel _ZN7rocprim17ROCPRIM_400000_NS6detail17trampoline_kernelINS0_14default_configENS1_22reduce_config_selectorIlEEZNS1_11reduce_implILb1ES3_N6thrust23THRUST_200600_302600_NS11hip_rocprim26transform_input_iterator_tIlNS8_12zip_iteratorINS8_5tupleINS8_6detail15normal_iteratorINS8_10device_ptrIjEEEESH_NS8_9null_typeESI_SI_SI_SI_SI_SI_SI_EEEENS9_21zip_adj_not_predicateINS8_8equal_toIjEEEEEEPllNS8_4plusIlEEEE10hipError_tPvRmT1_T2_T3_mT4_P12ihipStream_tbEUlT_E1_NS1_11comp_targetILNS1_3genE3ELNS1_11target_archE908ELNS1_3gpuE7ELNS1_3repE0EEENS1_30default_config_static_selectorELNS0_4arch9wavefront6targetE1EEEvSW_
		.amdhsa_group_segment_fixed_size 0
		.amdhsa_private_segment_fixed_size 0
		.amdhsa_kernarg_size 64
		.amdhsa_user_sgpr_count 6
		.amdhsa_user_sgpr_private_segment_buffer 1
		.amdhsa_user_sgpr_dispatch_ptr 0
		.amdhsa_user_sgpr_queue_ptr 0
		.amdhsa_user_sgpr_kernarg_segment_ptr 1
		.amdhsa_user_sgpr_dispatch_id 0
		.amdhsa_user_sgpr_flat_scratch_init 0
		.amdhsa_user_sgpr_private_segment_size 0
		.amdhsa_uses_dynamic_stack 0
		.amdhsa_system_sgpr_private_segment_wavefront_offset 0
		.amdhsa_system_sgpr_workgroup_id_x 1
		.amdhsa_system_sgpr_workgroup_id_y 0
		.amdhsa_system_sgpr_workgroup_id_z 0
		.amdhsa_system_sgpr_workgroup_info 0
		.amdhsa_system_vgpr_workitem_id 0
		.amdhsa_next_free_vgpr 1
		.amdhsa_next_free_sgpr 0
		.amdhsa_reserve_vcc 0
		.amdhsa_reserve_flat_scratch 0
		.amdhsa_float_round_mode_32 0
		.amdhsa_float_round_mode_16_64 0
		.amdhsa_float_denorm_mode_32 3
		.amdhsa_float_denorm_mode_16_64 3
		.amdhsa_dx10_clamp 1
		.amdhsa_ieee_mode 1
		.amdhsa_fp16_overflow 0
		.amdhsa_exception_fp_ieee_invalid_op 0
		.amdhsa_exception_fp_denorm_src 0
		.amdhsa_exception_fp_ieee_div_zero 0
		.amdhsa_exception_fp_ieee_overflow 0
		.amdhsa_exception_fp_ieee_underflow 0
		.amdhsa_exception_fp_ieee_inexact 0
		.amdhsa_exception_int_div_zero 0
	.end_amdhsa_kernel
	.section	.text._ZN7rocprim17ROCPRIM_400000_NS6detail17trampoline_kernelINS0_14default_configENS1_22reduce_config_selectorIlEEZNS1_11reduce_implILb1ES3_N6thrust23THRUST_200600_302600_NS11hip_rocprim26transform_input_iterator_tIlNS8_12zip_iteratorINS8_5tupleINS8_6detail15normal_iteratorINS8_10device_ptrIjEEEESH_NS8_9null_typeESI_SI_SI_SI_SI_SI_SI_EEEENS9_21zip_adj_not_predicateINS8_8equal_toIjEEEEEEPllNS8_4plusIlEEEE10hipError_tPvRmT1_T2_T3_mT4_P12ihipStream_tbEUlT_E1_NS1_11comp_targetILNS1_3genE3ELNS1_11target_archE908ELNS1_3gpuE7ELNS1_3repE0EEENS1_30default_config_static_selectorELNS0_4arch9wavefront6targetE1EEEvSW_,"axG",@progbits,_ZN7rocprim17ROCPRIM_400000_NS6detail17trampoline_kernelINS0_14default_configENS1_22reduce_config_selectorIlEEZNS1_11reduce_implILb1ES3_N6thrust23THRUST_200600_302600_NS11hip_rocprim26transform_input_iterator_tIlNS8_12zip_iteratorINS8_5tupleINS8_6detail15normal_iteratorINS8_10device_ptrIjEEEESH_NS8_9null_typeESI_SI_SI_SI_SI_SI_SI_EEEENS9_21zip_adj_not_predicateINS8_8equal_toIjEEEEEEPllNS8_4plusIlEEEE10hipError_tPvRmT1_T2_T3_mT4_P12ihipStream_tbEUlT_E1_NS1_11comp_targetILNS1_3genE3ELNS1_11target_archE908ELNS1_3gpuE7ELNS1_3repE0EEENS1_30default_config_static_selectorELNS0_4arch9wavefront6targetE1EEEvSW_,comdat
.Lfunc_end863:
	.size	_ZN7rocprim17ROCPRIM_400000_NS6detail17trampoline_kernelINS0_14default_configENS1_22reduce_config_selectorIlEEZNS1_11reduce_implILb1ES3_N6thrust23THRUST_200600_302600_NS11hip_rocprim26transform_input_iterator_tIlNS8_12zip_iteratorINS8_5tupleINS8_6detail15normal_iteratorINS8_10device_ptrIjEEEESH_NS8_9null_typeESI_SI_SI_SI_SI_SI_SI_EEEENS9_21zip_adj_not_predicateINS8_8equal_toIjEEEEEEPllNS8_4plusIlEEEE10hipError_tPvRmT1_T2_T3_mT4_P12ihipStream_tbEUlT_E1_NS1_11comp_targetILNS1_3genE3ELNS1_11target_archE908ELNS1_3gpuE7ELNS1_3repE0EEENS1_30default_config_static_selectorELNS0_4arch9wavefront6targetE1EEEvSW_, .Lfunc_end863-_ZN7rocprim17ROCPRIM_400000_NS6detail17trampoline_kernelINS0_14default_configENS1_22reduce_config_selectorIlEEZNS1_11reduce_implILb1ES3_N6thrust23THRUST_200600_302600_NS11hip_rocprim26transform_input_iterator_tIlNS8_12zip_iteratorINS8_5tupleINS8_6detail15normal_iteratorINS8_10device_ptrIjEEEESH_NS8_9null_typeESI_SI_SI_SI_SI_SI_SI_EEEENS9_21zip_adj_not_predicateINS8_8equal_toIjEEEEEEPllNS8_4plusIlEEEE10hipError_tPvRmT1_T2_T3_mT4_P12ihipStream_tbEUlT_E1_NS1_11comp_targetILNS1_3genE3ELNS1_11target_archE908ELNS1_3gpuE7ELNS1_3repE0EEENS1_30default_config_static_selectorELNS0_4arch9wavefront6targetE1EEEvSW_
                                        ; -- End function
	.set _ZN7rocprim17ROCPRIM_400000_NS6detail17trampoline_kernelINS0_14default_configENS1_22reduce_config_selectorIlEEZNS1_11reduce_implILb1ES3_N6thrust23THRUST_200600_302600_NS11hip_rocprim26transform_input_iterator_tIlNS8_12zip_iteratorINS8_5tupleINS8_6detail15normal_iteratorINS8_10device_ptrIjEEEESH_NS8_9null_typeESI_SI_SI_SI_SI_SI_SI_EEEENS9_21zip_adj_not_predicateINS8_8equal_toIjEEEEEEPllNS8_4plusIlEEEE10hipError_tPvRmT1_T2_T3_mT4_P12ihipStream_tbEUlT_E1_NS1_11comp_targetILNS1_3genE3ELNS1_11target_archE908ELNS1_3gpuE7ELNS1_3repE0EEENS1_30default_config_static_selectorELNS0_4arch9wavefront6targetE1EEEvSW_.num_vgpr, 0
	.set _ZN7rocprim17ROCPRIM_400000_NS6detail17trampoline_kernelINS0_14default_configENS1_22reduce_config_selectorIlEEZNS1_11reduce_implILb1ES3_N6thrust23THRUST_200600_302600_NS11hip_rocprim26transform_input_iterator_tIlNS8_12zip_iteratorINS8_5tupleINS8_6detail15normal_iteratorINS8_10device_ptrIjEEEESH_NS8_9null_typeESI_SI_SI_SI_SI_SI_SI_EEEENS9_21zip_adj_not_predicateINS8_8equal_toIjEEEEEEPllNS8_4plusIlEEEE10hipError_tPvRmT1_T2_T3_mT4_P12ihipStream_tbEUlT_E1_NS1_11comp_targetILNS1_3genE3ELNS1_11target_archE908ELNS1_3gpuE7ELNS1_3repE0EEENS1_30default_config_static_selectorELNS0_4arch9wavefront6targetE1EEEvSW_.num_agpr, 0
	.set _ZN7rocprim17ROCPRIM_400000_NS6detail17trampoline_kernelINS0_14default_configENS1_22reduce_config_selectorIlEEZNS1_11reduce_implILb1ES3_N6thrust23THRUST_200600_302600_NS11hip_rocprim26transform_input_iterator_tIlNS8_12zip_iteratorINS8_5tupleINS8_6detail15normal_iteratorINS8_10device_ptrIjEEEESH_NS8_9null_typeESI_SI_SI_SI_SI_SI_SI_EEEENS9_21zip_adj_not_predicateINS8_8equal_toIjEEEEEEPllNS8_4plusIlEEEE10hipError_tPvRmT1_T2_T3_mT4_P12ihipStream_tbEUlT_E1_NS1_11comp_targetILNS1_3genE3ELNS1_11target_archE908ELNS1_3gpuE7ELNS1_3repE0EEENS1_30default_config_static_selectorELNS0_4arch9wavefront6targetE1EEEvSW_.numbered_sgpr, 0
	.set _ZN7rocprim17ROCPRIM_400000_NS6detail17trampoline_kernelINS0_14default_configENS1_22reduce_config_selectorIlEEZNS1_11reduce_implILb1ES3_N6thrust23THRUST_200600_302600_NS11hip_rocprim26transform_input_iterator_tIlNS8_12zip_iteratorINS8_5tupleINS8_6detail15normal_iteratorINS8_10device_ptrIjEEEESH_NS8_9null_typeESI_SI_SI_SI_SI_SI_SI_EEEENS9_21zip_adj_not_predicateINS8_8equal_toIjEEEEEEPllNS8_4plusIlEEEE10hipError_tPvRmT1_T2_T3_mT4_P12ihipStream_tbEUlT_E1_NS1_11comp_targetILNS1_3genE3ELNS1_11target_archE908ELNS1_3gpuE7ELNS1_3repE0EEENS1_30default_config_static_selectorELNS0_4arch9wavefront6targetE1EEEvSW_.num_named_barrier, 0
	.set _ZN7rocprim17ROCPRIM_400000_NS6detail17trampoline_kernelINS0_14default_configENS1_22reduce_config_selectorIlEEZNS1_11reduce_implILb1ES3_N6thrust23THRUST_200600_302600_NS11hip_rocprim26transform_input_iterator_tIlNS8_12zip_iteratorINS8_5tupleINS8_6detail15normal_iteratorINS8_10device_ptrIjEEEESH_NS8_9null_typeESI_SI_SI_SI_SI_SI_SI_EEEENS9_21zip_adj_not_predicateINS8_8equal_toIjEEEEEEPllNS8_4plusIlEEEE10hipError_tPvRmT1_T2_T3_mT4_P12ihipStream_tbEUlT_E1_NS1_11comp_targetILNS1_3genE3ELNS1_11target_archE908ELNS1_3gpuE7ELNS1_3repE0EEENS1_30default_config_static_selectorELNS0_4arch9wavefront6targetE1EEEvSW_.private_seg_size, 0
	.set _ZN7rocprim17ROCPRIM_400000_NS6detail17trampoline_kernelINS0_14default_configENS1_22reduce_config_selectorIlEEZNS1_11reduce_implILb1ES3_N6thrust23THRUST_200600_302600_NS11hip_rocprim26transform_input_iterator_tIlNS8_12zip_iteratorINS8_5tupleINS8_6detail15normal_iteratorINS8_10device_ptrIjEEEESH_NS8_9null_typeESI_SI_SI_SI_SI_SI_SI_EEEENS9_21zip_adj_not_predicateINS8_8equal_toIjEEEEEEPllNS8_4plusIlEEEE10hipError_tPvRmT1_T2_T3_mT4_P12ihipStream_tbEUlT_E1_NS1_11comp_targetILNS1_3genE3ELNS1_11target_archE908ELNS1_3gpuE7ELNS1_3repE0EEENS1_30default_config_static_selectorELNS0_4arch9wavefront6targetE1EEEvSW_.uses_vcc, 0
	.set _ZN7rocprim17ROCPRIM_400000_NS6detail17trampoline_kernelINS0_14default_configENS1_22reduce_config_selectorIlEEZNS1_11reduce_implILb1ES3_N6thrust23THRUST_200600_302600_NS11hip_rocprim26transform_input_iterator_tIlNS8_12zip_iteratorINS8_5tupleINS8_6detail15normal_iteratorINS8_10device_ptrIjEEEESH_NS8_9null_typeESI_SI_SI_SI_SI_SI_SI_EEEENS9_21zip_adj_not_predicateINS8_8equal_toIjEEEEEEPllNS8_4plusIlEEEE10hipError_tPvRmT1_T2_T3_mT4_P12ihipStream_tbEUlT_E1_NS1_11comp_targetILNS1_3genE3ELNS1_11target_archE908ELNS1_3gpuE7ELNS1_3repE0EEENS1_30default_config_static_selectorELNS0_4arch9wavefront6targetE1EEEvSW_.uses_flat_scratch, 0
	.set _ZN7rocprim17ROCPRIM_400000_NS6detail17trampoline_kernelINS0_14default_configENS1_22reduce_config_selectorIlEEZNS1_11reduce_implILb1ES3_N6thrust23THRUST_200600_302600_NS11hip_rocprim26transform_input_iterator_tIlNS8_12zip_iteratorINS8_5tupleINS8_6detail15normal_iteratorINS8_10device_ptrIjEEEESH_NS8_9null_typeESI_SI_SI_SI_SI_SI_SI_EEEENS9_21zip_adj_not_predicateINS8_8equal_toIjEEEEEEPllNS8_4plusIlEEEE10hipError_tPvRmT1_T2_T3_mT4_P12ihipStream_tbEUlT_E1_NS1_11comp_targetILNS1_3genE3ELNS1_11target_archE908ELNS1_3gpuE7ELNS1_3repE0EEENS1_30default_config_static_selectorELNS0_4arch9wavefront6targetE1EEEvSW_.has_dyn_sized_stack, 0
	.set _ZN7rocprim17ROCPRIM_400000_NS6detail17trampoline_kernelINS0_14default_configENS1_22reduce_config_selectorIlEEZNS1_11reduce_implILb1ES3_N6thrust23THRUST_200600_302600_NS11hip_rocprim26transform_input_iterator_tIlNS8_12zip_iteratorINS8_5tupleINS8_6detail15normal_iteratorINS8_10device_ptrIjEEEESH_NS8_9null_typeESI_SI_SI_SI_SI_SI_SI_EEEENS9_21zip_adj_not_predicateINS8_8equal_toIjEEEEEEPllNS8_4plusIlEEEE10hipError_tPvRmT1_T2_T3_mT4_P12ihipStream_tbEUlT_E1_NS1_11comp_targetILNS1_3genE3ELNS1_11target_archE908ELNS1_3gpuE7ELNS1_3repE0EEENS1_30default_config_static_selectorELNS0_4arch9wavefront6targetE1EEEvSW_.has_recursion, 0
	.set _ZN7rocprim17ROCPRIM_400000_NS6detail17trampoline_kernelINS0_14default_configENS1_22reduce_config_selectorIlEEZNS1_11reduce_implILb1ES3_N6thrust23THRUST_200600_302600_NS11hip_rocprim26transform_input_iterator_tIlNS8_12zip_iteratorINS8_5tupleINS8_6detail15normal_iteratorINS8_10device_ptrIjEEEESH_NS8_9null_typeESI_SI_SI_SI_SI_SI_SI_EEEENS9_21zip_adj_not_predicateINS8_8equal_toIjEEEEEEPllNS8_4plusIlEEEE10hipError_tPvRmT1_T2_T3_mT4_P12ihipStream_tbEUlT_E1_NS1_11comp_targetILNS1_3genE3ELNS1_11target_archE908ELNS1_3gpuE7ELNS1_3repE0EEENS1_30default_config_static_selectorELNS0_4arch9wavefront6targetE1EEEvSW_.has_indirect_call, 0
	.section	.AMDGPU.csdata,"",@progbits
; Kernel info:
; codeLenInByte = 0
; TotalNumSgprs: 4
; NumVgprs: 0
; ScratchSize: 0
; MemoryBound: 0
; FloatMode: 240
; IeeeMode: 1
; LDSByteSize: 0 bytes/workgroup (compile time only)
; SGPRBlocks: 0
; VGPRBlocks: 0
; NumSGPRsForWavesPerEU: 4
; NumVGPRsForWavesPerEU: 1
; Occupancy: 10
; WaveLimiterHint : 0
; COMPUTE_PGM_RSRC2:SCRATCH_EN: 0
; COMPUTE_PGM_RSRC2:USER_SGPR: 6
; COMPUTE_PGM_RSRC2:TRAP_HANDLER: 0
; COMPUTE_PGM_RSRC2:TGID_X_EN: 1
; COMPUTE_PGM_RSRC2:TGID_Y_EN: 0
; COMPUTE_PGM_RSRC2:TGID_Z_EN: 0
; COMPUTE_PGM_RSRC2:TIDIG_COMP_CNT: 0
	.section	.text._ZN7rocprim17ROCPRIM_400000_NS6detail17trampoline_kernelINS0_14default_configENS1_22reduce_config_selectorIlEEZNS1_11reduce_implILb1ES3_N6thrust23THRUST_200600_302600_NS11hip_rocprim26transform_input_iterator_tIlNS8_12zip_iteratorINS8_5tupleINS8_6detail15normal_iteratorINS8_10device_ptrIjEEEESH_NS8_9null_typeESI_SI_SI_SI_SI_SI_SI_EEEENS9_21zip_adj_not_predicateINS8_8equal_toIjEEEEEEPllNS8_4plusIlEEEE10hipError_tPvRmT1_T2_T3_mT4_P12ihipStream_tbEUlT_E1_NS1_11comp_targetILNS1_3genE2ELNS1_11target_archE906ELNS1_3gpuE6ELNS1_3repE0EEENS1_30default_config_static_selectorELNS0_4arch9wavefront6targetE1EEEvSW_,"axG",@progbits,_ZN7rocprim17ROCPRIM_400000_NS6detail17trampoline_kernelINS0_14default_configENS1_22reduce_config_selectorIlEEZNS1_11reduce_implILb1ES3_N6thrust23THRUST_200600_302600_NS11hip_rocprim26transform_input_iterator_tIlNS8_12zip_iteratorINS8_5tupleINS8_6detail15normal_iteratorINS8_10device_ptrIjEEEESH_NS8_9null_typeESI_SI_SI_SI_SI_SI_SI_EEEENS9_21zip_adj_not_predicateINS8_8equal_toIjEEEEEEPllNS8_4plusIlEEEE10hipError_tPvRmT1_T2_T3_mT4_P12ihipStream_tbEUlT_E1_NS1_11comp_targetILNS1_3genE2ELNS1_11target_archE906ELNS1_3gpuE6ELNS1_3repE0EEENS1_30default_config_static_selectorELNS0_4arch9wavefront6targetE1EEEvSW_,comdat
	.protected	_ZN7rocprim17ROCPRIM_400000_NS6detail17trampoline_kernelINS0_14default_configENS1_22reduce_config_selectorIlEEZNS1_11reduce_implILb1ES3_N6thrust23THRUST_200600_302600_NS11hip_rocprim26transform_input_iterator_tIlNS8_12zip_iteratorINS8_5tupleINS8_6detail15normal_iteratorINS8_10device_ptrIjEEEESH_NS8_9null_typeESI_SI_SI_SI_SI_SI_SI_EEEENS9_21zip_adj_not_predicateINS8_8equal_toIjEEEEEEPllNS8_4plusIlEEEE10hipError_tPvRmT1_T2_T3_mT4_P12ihipStream_tbEUlT_E1_NS1_11comp_targetILNS1_3genE2ELNS1_11target_archE906ELNS1_3gpuE6ELNS1_3repE0EEENS1_30default_config_static_selectorELNS0_4arch9wavefront6targetE1EEEvSW_ ; -- Begin function _ZN7rocprim17ROCPRIM_400000_NS6detail17trampoline_kernelINS0_14default_configENS1_22reduce_config_selectorIlEEZNS1_11reduce_implILb1ES3_N6thrust23THRUST_200600_302600_NS11hip_rocprim26transform_input_iterator_tIlNS8_12zip_iteratorINS8_5tupleINS8_6detail15normal_iteratorINS8_10device_ptrIjEEEESH_NS8_9null_typeESI_SI_SI_SI_SI_SI_SI_EEEENS9_21zip_adj_not_predicateINS8_8equal_toIjEEEEEEPllNS8_4plusIlEEEE10hipError_tPvRmT1_T2_T3_mT4_P12ihipStream_tbEUlT_E1_NS1_11comp_targetILNS1_3genE2ELNS1_11target_archE906ELNS1_3gpuE6ELNS1_3repE0EEENS1_30default_config_static_selectorELNS0_4arch9wavefront6targetE1EEEvSW_
	.globl	_ZN7rocprim17ROCPRIM_400000_NS6detail17trampoline_kernelINS0_14default_configENS1_22reduce_config_selectorIlEEZNS1_11reduce_implILb1ES3_N6thrust23THRUST_200600_302600_NS11hip_rocprim26transform_input_iterator_tIlNS8_12zip_iteratorINS8_5tupleINS8_6detail15normal_iteratorINS8_10device_ptrIjEEEESH_NS8_9null_typeESI_SI_SI_SI_SI_SI_SI_EEEENS9_21zip_adj_not_predicateINS8_8equal_toIjEEEEEEPllNS8_4plusIlEEEE10hipError_tPvRmT1_T2_T3_mT4_P12ihipStream_tbEUlT_E1_NS1_11comp_targetILNS1_3genE2ELNS1_11target_archE906ELNS1_3gpuE6ELNS1_3repE0EEENS1_30default_config_static_selectorELNS0_4arch9wavefront6targetE1EEEvSW_
	.p2align	8
	.type	_ZN7rocprim17ROCPRIM_400000_NS6detail17trampoline_kernelINS0_14default_configENS1_22reduce_config_selectorIlEEZNS1_11reduce_implILb1ES3_N6thrust23THRUST_200600_302600_NS11hip_rocprim26transform_input_iterator_tIlNS8_12zip_iteratorINS8_5tupleINS8_6detail15normal_iteratorINS8_10device_ptrIjEEEESH_NS8_9null_typeESI_SI_SI_SI_SI_SI_SI_EEEENS9_21zip_adj_not_predicateINS8_8equal_toIjEEEEEEPllNS8_4plusIlEEEE10hipError_tPvRmT1_T2_T3_mT4_P12ihipStream_tbEUlT_E1_NS1_11comp_targetILNS1_3genE2ELNS1_11target_archE906ELNS1_3gpuE6ELNS1_3repE0EEENS1_30default_config_static_selectorELNS0_4arch9wavefront6targetE1EEEvSW_,@function
_ZN7rocprim17ROCPRIM_400000_NS6detail17trampoline_kernelINS0_14default_configENS1_22reduce_config_selectorIlEEZNS1_11reduce_implILb1ES3_N6thrust23THRUST_200600_302600_NS11hip_rocprim26transform_input_iterator_tIlNS8_12zip_iteratorINS8_5tupleINS8_6detail15normal_iteratorINS8_10device_ptrIjEEEESH_NS8_9null_typeESI_SI_SI_SI_SI_SI_SI_EEEENS9_21zip_adj_not_predicateINS8_8equal_toIjEEEEEEPllNS8_4plusIlEEEE10hipError_tPvRmT1_T2_T3_mT4_P12ihipStream_tbEUlT_E1_NS1_11comp_targetILNS1_3genE2ELNS1_11target_archE906ELNS1_3gpuE6ELNS1_3repE0EEENS1_30default_config_static_selectorELNS0_4arch9wavefront6targetE1EEEvSW_: ; @_ZN7rocprim17ROCPRIM_400000_NS6detail17trampoline_kernelINS0_14default_configENS1_22reduce_config_selectorIlEEZNS1_11reduce_implILb1ES3_N6thrust23THRUST_200600_302600_NS11hip_rocprim26transform_input_iterator_tIlNS8_12zip_iteratorINS8_5tupleINS8_6detail15normal_iteratorINS8_10device_ptrIjEEEESH_NS8_9null_typeESI_SI_SI_SI_SI_SI_SI_EEEENS9_21zip_adj_not_predicateINS8_8equal_toIjEEEEEEPllNS8_4plusIlEEEE10hipError_tPvRmT1_T2_T3_mT4_P12ihipStream_tbEUlT_E1_NS1_11comp_targetILNS1_3genE2ELNS1_11target_archE906ELNS1_3gpuE6ELNS1_3repE0EEENS1_30default_config_static_selectorELNS0_4arch9wavefront6targetE1EEEvSW_
; %bb.0:
	s_load_dword s30, s[4:5], 0x4
	s_load_dwordx4 s[24:27], s[4:5], 0x8
	s_load_dwordx4 s[20:23], s[4:5], 0x20
	s_waitcnt lgkmcnt(0)
	s_cmp_lt_i32 s30, 4
	s_cbranch_scc1 .LBB864_10
; %bb.1:
	s_cmp_gt_i32 s30, 7
	s_cbranch_scc0 .LBB864_11
; %bb.2:
	s_cmp_gt_i32 s30, 15
	s_cbranch_scc0 .LBB864_12
; %bb.3:
	s_mov_b64 s[2:3], 0
	s_cmp_eq_u32 s30, 16
	s_mov_b64 s[0:1], 0
                                        ; implicit-def: $vgpr1_vgpr2
                                        ; implicit-def: $vgpr3_vgpr4
	s_cbranch_scc0 .LBB864_13
; %bb.4:
	s_mov_b32 s7, 0
	s_lshl_b32 s12, s6, 12
	s_mov_b32 s13, s7
	s_lshr_b64 s[0:1], s[20:21], 12
	s_lshl_b64 s[10:11], s[12:13], 2
	s_add_u32 s8, s24, s10
	s_addc_u32 s9, s25, s11
	s_add_u32 s10, s26, s10
	s_addc_u32 s11, s27, s11
	s_cmp_lg_u64 s[0:1], s[6:7]
	s_cbranch_scc0 .LBB864_21
; %bb.5:
	v_lshlrev_b32_e32 v13, 2, v0
	v_mov_b32_e32 v1, s9
	v_add_co_u32_e32 v9, vcc, s8, v13
	v_addc_co_u32_e32 v10, vcc, 0, v1, vcc
	v_mov_b32_e32 v1, s11
	v_add_co_u32_e32 v11, vcc, s10, v13
	v_addc_co_u32_e32 v12, vcc, 0, v1, vcc
	s_movk_i32 s0, 0x2000
	v_add_co_u32_e32 v1, vcc, s0, v9
	v_addc_co_u32_e32 v2, vcc, 0, v10, vcc
	v_add_co_u32_e32 v3, vcc, s0, v11
	v_addc_co_u32_e32 v4, vcc, 0, v12, vcc
	global_load_dword v14, v[1:2], off offset:-4096
	global_load_dword v15, v[3:4], off offset:-4096
	global_load_dword v16, v13, s[10:11] offset:3072
	global_load_dword v17, v13, s[8:9] offset:3072
	s_movk_i32 s0, 0x1000
	v_add_co_u32_e32 v5, vcc, s0, v9
	v_addc_co_u32_e32 v6, vcc, 0, v10, vcc
	v_add_co_u32_e32 v7, vcc, s0, v11
	s_movk_i32 s1, 0x3000
	v_addc_co_u32_e32 v8, vcc, 0, v12, vcc
	v_add_co_u32_e32 v9, vcc, s1, v9
	v_addc_co_u32_e32 v10, vcc, 0, v10, vcc
	v_add_co_u32_e32 v11, vcc, s1, v11
	v_addc_co_u32_e32 v12, vcc, 0, v12, vcc
	global_load_dword v18, v[5:6], off offset:1024
	global_load_dword v19, v[5:6], off offset:2048
	;; [unrolled: 1-line block ×6, first 2 shown]
	global_load_dword v24, v[1:2], off
	global_load_dword v25, v[1:2], off offset:1024
	global_load_dword v26, v[1:2], off offset:2048
	;; [unrolled: 1-line block ×3, first 2 shown]
	global_load_dword v28, v[3:4], off
	global_load_dword v29, v[3:4], off offset:1024
	global_load_dword v30, v[3:4], off offset:2048
	;; [unrolled: 1-line block ×3, first 2 shown]
	global_load_dword v32, v[9:10], off
                                        ; kill: killed $vgpr3 killed $vgpr4
                                        ; kill: killed $vgpr1 killed $vgpr2
                                        ; kill: killed $vgpr7 killed $vgpr8
                                        ; kill: killed $vgpr5 killed $vgpr6
	global_load_dword v1, v[9:10], off offset:1024
	global_load_dword v2, v[9:10], off offset:2048
	s_nop 0
	global_load_dword v3, v[9:10], off offset:3072
	global_load_dword v4, v[11:12], off
	global_load_dword v5, v[11:12], off offset:1024
	global_load_dword v6, v[11:12], off offset:2048
	;; [unrolled: 1-line block ×3, first 2 shown]
	s_waitcnt vmcnt(24)
	v_cmp_ne_u32_e32 vcc, v14, v15
	global_load_dword v8, v13, s[10:11] offset:1024
	global_load_dword v9, v13, s[10:11] offset:2048
	;; [unrolled: 1-line block ×3, first 2 shown]
	global_load_dword v11, v13, s[10:11]
	global_load_dword v12, v13, s[8:9] offset:2048
	global_load_dword v14, v13, s[8:9]
	s_waitcnt vmcnt(28)
	v_cmp_ne_u32_e64 s[0:1], v17, v16
	v_cndmask_b32_e64 v16, 0, 1, vcc
	s_waitcnt vmcnt(24)
	v_cmp_ne_u32_e32 vcc, v18, v21
	v_cndmask_b32_e64 v17, 0, 1, vcc
	s_waitcnt vmcnt(23)
	v_cmp_ne_u32_e32 vcc, v19, v22
	;; [unrolled: 3-line block ×11, first 2 shown]
	v_cndmask_b32_e64 v3, 0, 1, vcc
	v_cndmask_b32_e64 v15, 0, 1, s[0:1]
	v_mov_b32_e32 v13, 0
	s_waitcnt vmcnt(3)
	v_cmp_ne_u32_e32 vcc, v10, v8
	v_cndmask_b32_e64 v5, 0, 1, vcc
	s_waitcnt vmcnt(0)
	v_cmp_ne_u32_e32 vcc, v14, v11
	v_cndmask_b32_e64 v6, 0, 1, vcc
	v_cmp_ne_u32_e32 vcc, v12, v9
	v_addc_co_u32_e32 v5, vcc, v5, v6, vcc
	v_add_co_u32_e32 v5, vcc, v5, v15
	v_addc_co_u32_e64 v6, s[0:1], 0, 0, vcc
	v_add_co_u32_e32 v5, vcc, v5, v16
	v_addc_co_u32_e32 v6, vcc, 0, v6, vcc
	v_add_co_u32_e32 v5, vcc, v5, v17
	v_addc_co_u32_e32 v6, vcc, 0, v6, vcc
	v_add_co_u32_e32 v5, vcc, v5, v18
	v_addc_co_u32_e32 v6, vcc, 0, v6, vcc
	v_add_co_u32_e32 v5, vcc, v5, v19
	v_addc_co_u32_e32 v6, vcc, 0, v6, vcc
	v_add_co_u32_e32 v5, vcc, v5, v20
	v_addc_co_u32_e32 v6, vcc, 0, v6, vcc
	v_add_co_u32_e32 v5, vcc, v5, v21
	v_addc_co_u32_e32 v6, vcc, 0, v6, vcc
	v_add_co_u32_e32 v5, vcc, v5, v22
	v_addc_co_u32_e32 v6, vcc, 0, v6, vcc
	v_add_co_u32_e32 v5, vcc, v5, v23
	v_addc_co_u32_e32 v6, vcc, 0, v6, vcc
	v_add_co_u32_e32 v4, vcc, v5, v4
	v_addc_co_u32_e32 v5, vcc, 0, v6, vcc
	v_add_co_u32_e32 v1, vcc, v4, v1
	v_addc_co_u32_e32 v4, vcc, 0, v5, vcc
	v_add_co_u32_e32 v1, vcc, v1, v2
	v_addc_co_u32_e32 v2, vcc, 0, v4, vcc
	v_add_co_u32_e32 v1, vcc, v1, v3
	v_addc_co_u32_e32 v2, vcc, 0, v2, vcc
	s_nop 0
	v_mov_b32_dpp v4, v1 quad_perm:[1,0,3,2] row_mask:0xf bank_mask:0xf bound_ctrl:1
	v_add_co_u32_e32 v1, vcc, v1, v4
	v_addc_co_u32_e32 v2, vcc, 0, v2, vcc
	v_mov_b32_dpp v5, v13 quad_perm:[1,0,3,2] row_mask:0xf bank_mask:0xf bound_ctrl:1
	v_add_co_u32_e32 v4, vcc, 0, v1
	v_addc_co_u32_e32 v2, vcc, v5, v2, vcc
	v_mov_b32_dpp v1, v1 quad_perm:[2,3,0,1] row_mask:0xf bank_mask:0xf bound_ctrl:1
	v_add_co_u32_e32 v1, vcc, v4, v1
	v_mov_b32_dpp v5, v2 quad_perm:[2,3,0,1] row_mask:0xf bank_mask:0xf bound_ctrl:1
	v_addc_co_u32_e32 v2, vcc, 0, v2, vcc
	v_add_co_u32_e32 v4, vcc, 0, v1
	v_addc_co_u32_e32 v2, vcc, v2, v5, vcc
	v_mov_b32_dpp v1, v1 row_ror:4 row_mask:0xf bank_mask:0xf bound_ctrl:1
	v_add_co_u32_e32 v1, vcc, v4, v1
	v_mov_b32_dpp v5, v2 row_ror:4 row_mask:0xf bank_mask:0xf bound_ctrl:1
	v_addc_co_u32_e32 v2, vcc, 0, v2, vcc
	v_add_co_u32_e32 v4, vcc, 0, v1
	v_addc_co_u32_e32 v2, vcc, v2, v5, vcc
	v_mov_b32_dpp v1, v1 row_ror:8 row_mask:0xf bank_mask:0xf bound_ctrl:1
	v_add_co_u32_e32 v1, vcc, v4, v1
	v_mov_b32_dpp v5, v2 row_ror:8 row_mask:0xf bank_mask:0xf bound_ctrl:1
	v_addc_co_u32_e32 v2, vcc, 0, v2, vcc
	v_add_co_u32_e32 v4, vcc, 0, v1
	v_addc_co_u32_e32 v2, vcc, v2, v5, vcc
	v_mov_b32_dpp v1, v1 row_bcast:15 row_mask:0xf bank_mask:0xf bound_ctrl:1
	v_add_co_u32_e32 v1, vcc, v4, v1
	v_mov_b32_dpp v5, v2 row_bcast:15 row_mask:0xf bank_mask:0xf bound_ctrl:1
	v_addc_co_u32_e32 v2, vcc, 0, v2, vcc
	v_add_co_u32_e32 v4, vcc, 0, v1
	v_addc_co_u32_e32 v2, vcc, v2, v5, vcc
	v_mov_b32_dpp v1, v1 row_bcast:31 row_mask:0xf bank_mask:0xf bound_ctrl:1
	v_mbcnt_lo_u32_b32 v3, -1, 0
	v_add_co_u32_e32 v1, vcc, v4, v1
	v_mbcnt_hi_u32_b32 v3, -1, v3
	v_addc_co_u32_e32 v4, vcc, 0, v2, vcc
	v_cmp_eq_u32_e32 vcc, 0, v3
	s_nop 0
	v_add_u32_dpp v2, v2, v4 row_bcast:31 row_mask:0xf bank_mask:0xf bound_ctrl:1
	v_lshlrev_b32_e32 v4, 2, v3
	v_or_b32_e32 v5, 0xfc, v4
	ds_bpermute_b32 v1, v5, v1
	ds_bpermute_b32 v2, v5, v2
	s_and_saveexec_b64 s[0:1], vcc
	s_cbranch_execz .LBB864_7
; %bb.6:
	v_lshrrev_b32_e32 v5, 3, v0
	v_and_b32_e32 v5, 24, v5
	s_waitcnt lgkmcnt(0)
	ds_write_b64 v5, v[1:2]
.LBB864_7:
	s_or_b64 exec, exec, s[0:1]
	v_cmp_gt_u32_e32 vcc, 64, v0
	s_waitcnt lgkmcnt(0)
	s_barrier
	s_and_saveexec_b64 s[0:1], vcc
	s_cbranch_execz .LBB864_9
; %bb.8:
	v_and_b32_e32 v5, 3, v3
	v_lshlrev_b32_e32 v1, 3, v5
	ds_read_b64 v[1:2], v1
	v_cmp_ne_u32_e32 vcc, 3, v5
	v_addc_co_u32_e32 v3, vcc, 0, v3, vcc
	v_lshlrev_b32_e32 v3, 2, v3
	s_waitcnt lgkmcnt(0)
	ds_bpermute_b32 v5, v3, v1
	ds_bpermute_b32 v3, v3, v2
	v_or_b32_e32 v4, 8, v4
	s_waitcnt lgkmcnt(1)
	v_add_co_u32_e32 v1, vcc, v1, v5
	v_addc_co_u32_e32 v2, vcc, 0, v2, vcc
	ds_bpermute_b32 v5, v4, v1
	v_add_co_u32_e32 v1, vcc, 0, v1
	s_waitcnt lgkmcnt(1)
	v_addc_co_u32_e32 v2, vcc, v3, v2, vcc
	ds_bpermute_b32 v3, v4, v2
	s_waitcnt lgkmcnt(1)
	v_add_co_u32_e32 v1, vcc, v1, v5
	v_addc_co_u32_e32 v2, vcc, 0, v2, vcc
	v_add_co_u32_e32 v1, vcc, 0, v1
	s_waitcnt lgkmcnt(0)
	v_addc_co_u32_e32 v2, vcc, v2, v3, vcc
.LBB864_9:
	s_or_b64 exec, exec, s[0:1]
	s_mov_b64 s[0:1], 0
	s_branch .LBB864_22
.LBB864_10:
	s_mov_b64 s[0:1], 0
                                        ; implicit-def: $vgpr1_vgpr2
                                        ; implicit-def: $vgpr3_vgpr4
	s_cbranch_execnz .LBB864_145
	s_branch .LBB864_206
.LBB864_11:
	s_mov_b64 s[0:1], 0
                                        ; implicit-def: $vgpr1_vgpr2
                                        ; implicit-def: $vgpr3_vgpr4
	s_cbranch_execnz .LBB864_110
	s_branch .LBB864_144
.LBB864_12:
	s_mov_b64 s[2:3], -1
	s_mov_b64 s[0:1], 0
                                        ; implicit-def: $vgpr1_vgpr2
                                        ; implicit-def: $vgpr3_vgpr4
.LBB864_13:
	s_and_b64 vcc, exec, s[2:3]
	s_cbranch_vccz .LBB864_109
.LBB864_14:
	s_cmp_eq_u32 s30, 8
                                        ; implicit-def: $vgpr1_vgpr2
                                        ; implicit-def: $vgpr3_vgpr4
	s_cbranch_scc0 .LBB864_109
; %bb.15:
	s_mov_b32 s7, 0
	s_lshl_b32 s0, s6, 11
	s_mov_b32 s1, s7
	s_lshr_b64 s[2:3], s[20:21], 11
	s_lshl_b64 s[8:9], s[0:1], 2
	s_add_u32 s16, s24, s8
	s_addc_u32 s17, s25, s9
	s_add_u32 s18, s26, s8
	s_addc_u32 s19, s27, s9
	s_cmp_lg_u64 s[2:3], s[6:7]
	s_cbranch_scc0 .LBB864_73
; %bb.16:
	v_lshlrev_b32_e32 v1, 2, v0
	v_mov_b32_e32 v2, s17
	v_add_co_u32_e32 v3, vcc, s16, v1
	global_load_dword v6, v1, s[16:17]
	global_load_dword v7, v1, s[18:19]
	global_load_dword v8, v1, s[16:17] offset:1024
	global_load_dword v9, v1, s[18:19] offset:1024
	global_load_dword v10, v1, s[16:17] offset:2048
	global_load_dword v11, v1, s[18:19] offset:2048
	global_load_dword v12, v1, s[18:19] offset:3072
	global_load_dword v13, v1, s[16:17] offset:3072
	v_addc_co_u32_e32 v2, vcc, 0, v2, vcc
	v_mov_b32_e32 v4, s19
	v_add_co_u32_e32 v5, vcc, s18, v1
	v_addc_co_u32_e32 v4, vcc, 0, v4, vcc
	s_movk_i32 s1, 0x1000
	v_add_co_u32_e32 v1, vcc, s1, v3
	v_addc_co_u32_e32 v2, vcc, 0, v2, vcc
	v_add_co_u32_e32 v3, vcc, s1, v5
	v_addc_co_u32_e32 v4, vcc, 0, v4, vcc
	global_load_dword v5, v[3:4], off
	global_load_dword v14, v[1:2], off
	global_load_dword v15, v[1:2], off offset:1024
	global_load_dword v16, v[3:4], off offset:1024
	;; [unrolled: 1-line block ×6, first 2 shown]
	v_mbcnt_lo_u32_b32 v2, -1, 0
	v_mbcnt_hi_u32_b32 v3, -1, v2
	v_mov_b32_e32 v1, 0
	s_waitcnt vmcnt(8)
	v_cmp_ne_u32_e32 vcc, v13, v12
	v_cndmask_b32_e64 v2, 0, 1, vcc
	v_cmp_ne_u32_e32 vcc, v8, v9
	v_cndmask_b32_e64 v4, 0, 1, vcc
	;; [unrolled: 2-line block ×3, first 2 shown]
	v_cmp_ne_u32_e32 vcc, v10, v11
	v_addc_co_u32_e32 v4, vcc, v4, v6, vcc
	v_mov_b32_dpp v1, v1 quad_perm:[1,0,3,2] row_mask:0xf bank_mask:0xf bound_ctrl:1
	s_waitcnt vmcnt(6)
	v_cmp_ne_u32_e32 vcc, v14, v5
	v_cndmask_b32_e64 v5, 0, 1, vcc
	s_waitcnt vmcnt(4)
	v_cmp_ne_u32_e32 vcc, v15, v16
	v_cndmask_b32_e64 v6, 0, 1, vcc
	;; [unrolled: 3-line block ×4, first 2 shown]
	v_add_co_u32_e32 v2, vcc, v4, v2
	v_addc_co_u32_e64 v4, s[2:3], 0, 0, vcc
	v_add_co_u32_e32 v2, vcc, v2, v5
	v_addc_co_u32_e32 v4, vcc, 0, v4, vcc
	v_add_co_u32_e32 v2, vcc, v2, v6
	v_addc_co_u32_e32 v4, vcc, 0, v4, vcc
	;; [unrolled: 2-line block ×4, first 2 shown]
	s_nop 0
	v_mov_b32_dpp v5, v2 quad_perm:[1,0,3,2] row_mask:0xf bank_mask:0xf bound_ctrl:1
	v_add_co_u32_e32 v2, vcc, v2, v5
	v_addc_co_u32_e32 v4, vcc, 0, v4, vcc
	v_add_co_u32_e32 v5, vcc, 0, v2
	v_addc_co_u32_e32 v1, vcc, v1, v4, vcc
	v_mov_b32_dpp v2, v2 quad_perm:[2,3,0,1] row_mask:0xf bank_mask:0xf bound_ctrl:1
	v_add_co_u32_e32 v2, vcc, v5, v2
	v_mov_b32_dpp v4, v1 quad_perm:[2,3,0,1] row_mask:0xf bank_mask:0xf bound_ctrl:1
	v_addc_co_u32_e32 v1, vcc, 0, v1, vcc
	v_add_co_u32_e32 v5, vcc, 0, v2
	v_addc_co_u32_e32 v1, vcc, v1, v4, vcc
	v_mov_b32_dpp v2, v2 row_ror:4 row_mask:0xf bank_mask:0xf bound_ctrl:1
	v_add_co_u32_e32 v2, vcc, v5, v2
	v_mov_b32_dpp v4, v1 row_ror:4 row_mask:0xf bank_mask:0xf bound_ctrl:1
	v_addc_co_u32_e32 v1, vcc, 0, v1, vcc
	v_add_co_u32_e32 v5, vcc, 0, v2
	v_addc_co_u32_e32 v1, vcc, v1, v4, vcc
	v_mov_b32_dpp v2, v2 row_ror:8 row_mask:0xf bank_mask:0xf bound_ctrl:1
	v_add_co_u32_e32 v2, vcc, v5, v2
	v_mov_b32_dpp v4, v1 row_ror:8 row_mask:0xf bank_mask:0xf bound_ctrl:1
	v_addc_co_u32_e32 v1, vcc, 0, v1, vcc
	v_add_co_u32_e32 v5, vcc, 0, v2
	v_addc_co_u32_e32 v1, vcc, v1, v4, vcc
	v_mov_b32_dpp v2, v2 row_bcast:15 row_mask:0xf bank_mask:0xf bound_ctrl:1
	v_add_co_u32_e32 v2, vcc, v5, v2
	v_mov_b32_dpp v4, v1 row_bcast:15 row_mask:0xf bank_mask:0xf bound_ctrl:1
	v_addc_co_u32_e32 v1, vcc, 0, v1, vcc
	v_add_co_u32_e32 v5, vcc, 0, v2
	v_addc_co_u32_e32 v1, vcc, v1, v4, vcc
	v_mov_b32_dpp v2, v2 row_bcast:31 row_mask:0xf bank_mask:0xf bound_ctrl:1
	v_add_co_u32_e32 v2, vcc, v5, v2
	v_addc_co_u32_e32 v4, vcc, 0, v1, vcc
	v_cmp_eq_u32_e32 vcc, 0, v3
	s_nop 0
	v_add_u32_dpp v5, v1, v4 row_bcast:31 row_mask:0xf bank_mask:0xf bound_ctrl:1
	v_lshlrev_b32_e32 v4, 2, v3
	v_or_b32_e32 v6, 0xfc, v4
	ds_bpermute_b32 v1, v6, v2
	ds_bpermute_b32 v2, v6, v5
	s_and_saveexec_b64 s[2:3], vcc
	s_cbranch_execz .LBB864_18
; %bb.17:
	v_lshrrev_b32_e32 v5, 3, v0
	v_and_b32_e32 v5, 24, v5
	s_waitcnt lgkmcnt(0)
	ds_write_b64 v5, v[1:2] offset:128
.LBB864_18:
	s_or_b64 exec, exec, s[2:3]
	v_cmp_gt_u32_e32 vcc, 64, v0
	s_waitcnt lgkmcnt(0)
	s_barrier
	s_and_saveexec_b64 s[2:3], vcc
	s_cbranch_execz .LBB864_20
; %bb.19:
	v_and_b32_e32 v5, 3, v3
	v_lshlrev_b32_e32 v1, 3, v5
	ds_read_b64 v[1:2], v1 offset:128
	v_cmp_ne_u32_e32 vcc, 3, v5
	v_addc_co_u32_e32 v3, vcc, 0, v3, vcc
	v_lshlrev_b32_e32 v3, 2, v3
	s_waitcnt lgkmcnt(0)
	ds_bpermute_b32 v5, v3, v1
	ds_bpermute_b32 v3, v3, v2
	v_or_b32_e32 v4, 8, v4
	s_waitcnt lgkmcnt(1)
	v_add_co_u32_e32 v1, vcc, v1, v5
	v_addc_co_u32_e32 v2, vcc, 0, v2, vcc
	ds_bpermute_b32 v5, v4, v1
	v_add_co_u32_e32 v1, vcc, 0, v1
	s_waitcnt lgkmcnt(1)
	v_addc_co_u32_e32 v2, vcc, v3, v2, vcc
	ds_bpermute_b32 v3, v4, v2
	s_waitcnt lgkmcnt(1)
	v_add_co_u32_e32 v1, vcc, v1, v5
	v_addc_co_u32_e32 v2, vcc, 0, v2, vcc
	v_add_co_u32_e32 v1, vcc, 0, v1
	s_waitcnt lgkmcnt(0)
	v_addc_co_u32_e32 v2, vcc, v2, v3, vcc
.LBB864_20:
	s_or_b64 exec, exec, s[2:3]
	s_mov_b64 s[2:3], 0
	s_branch .LBB864_74
.LBB864_21:
	s_mov_b64 s[0:1], -1
                                        ; implicit-def: $vgpr1_vgpr2
.LBB864_22:
	s_and_b64 vcc, exec, s[0:1]
	s_cbranch_vccz .LBB864_72
; %bb.23:
	s_sub_i32 s12, s20, s12
	v_cmp_gt_u32_e32 vcc, s12, v0
                                        ; implicit-def: $vgpr1_vgpr2
	s_and_saveexec_b64 s[0:1], vcc
	s_cbranch_execz .LBB864_25
; %bb.24:
	v_lshlrev_b32_e32 v1, 2, v0
	global_load_dword v2, v1, s[8:9]
	global_load_dword v3, v1, s[10:11]
	s_mov_b32 s13, 0
	s_waitcnt vmcnt(0)
	v_cmp_ne_u32_e32 vcc, v2, v3
	v_cndmask_b32_e64 v1, 0, 1, vcc
	v_mov_b32_e32 v2, s13
.LBB864_25:
	s_or_b64 exec, exec, s[0:1]
	v_or_b32_e32 v7, 0x100, v0
	v_mov_b32_e32 v3, 0
	v_mov_b32_e32 v5, 0
	;; [unrolled: 1-line block ×4, first 2 shown]
	v_cmp_gt_u32_e32 vcc, s12, v7
	s_and_saveexec_b64 s[0:1], vcc
	s_cbranch_execz .LBB864_27
; %bb.26:
	v_lshlrev_b32_e32 v5, 2, v0
	global_load_dword v6, v5, s[8:9] offset:1024
	global_load_dword v7, v5, s[10:11] offset:1024
	s_mov_b32 s13, 0
	s_waitcnt vmcnt(0)
	v_cmp_ne_u32_e32 vcc, v6, v7
	v_cndmask_b32_e64 v5, 0, 1, vcc
	v_mov_b32_e32 v6, s13
.LBB864_27:
	s_or_b64 exec, exec, s[0:1]
	v_or_b32_e32 v7, 0x200, v0
	v_cmp_gt_u32_e32 vcc, s12, v7
	s_and_saveexec_b64 s[0:1], vcc
	s_cbranch_execz .LBB864_29
; %bb.28:
	v_lshlrev_b32_e32 v3, 2, v0
	global_load_dword v4, v3, s[8:9] offset:2048
	global_load_dword v7, v3, s[10:11] offset:2048
	s_mov_b32 s13, 0
	s_waitcnt vmcnt(0)
	v_cmp_ne_u32_e32 vcc, v4, v7
	v_cndmask_b32_e64 v3, 0, 1, vcc
	v_mov_b32_e32 v4, s13
.LBB864_29:
	s_or_b64 exec, exec, s[0:1]
	v_or_b32_e32 v11, 0x300, v0
	v_mov_b32_e32 v7, 0
	v_mov_b32_e32 v9, 0
	;; [unrolled: 1-line block ×4, first 2 shown]
	v_cmp_gt_u32_e32 vcc, s12, v11
	s_and_saveexec_b64 s[0:1], vcc
	s_cbranch_execz .LBB864_31
; %bb.30:
	v_lshlrev_b32_e32 v9, 2, v0
	global_load_dword v10, v9, s[8:9] offset:3072
	global_load_dword v11, v9, s[10:11] offset:3072
	s_mov_b32 s13, 0
	s_waitcnt vmcnt(0)
	v_cmp_ne_u32_e32 vcc, v10, v11
	v_cndmask_b32_e64 v9, 0, 1, vcc
	v_mov_b32_e32 v10, s13
.LBB864_31:
	s_or_b64 exec, exec, s[0:1]
	v_or_b32_e32 v11, 0x400, v0
	v_cmp_gt_u32_e32 vcc, s12, v11
	s_and_saveexec_b64 s[0:1], vcc
	s_cbranch_execz .LBB864_33
; %bb.32:
	v_lshlrev_b32_e32 v7, 2, v11
	global_load_dword v8, v7, s[8:9]
	global_load_dword v11, v7, s[10:11]
	s_mov_b32 s13, 0
	s_waitcnt vmcnt(0)
	v_cmp_ne_u32_e32 vcc, v8, v11
	v_cndmask_b32_e64 v7, 0, 1, vcc
	v_mov_b32_e32 v8, s13
.LBB864_33:
	s_or_b64 exec, exec, s[0:1]
	v_or_b32_e32 v15, 0x500, v0
	v_mov_b32_e32 v11, 0
	v_mov_b32_e32 v13, 0
	v_mov_b32_e32 v12, 0
	v_mov_b32_e32 v14, 0
	v_cmp_gt_u32_e32 vcc, s12, v15
	s_and_saveexec_b64 s[0:1], vcc
	s_cbranch_execz .LBB864_35
; %bb.34:
	v_lshlrev_b32_e32 v13, 2, v15
	global_load_dword v14, v13, s[8:9]
	global_load_dword v15, v13, s[10:11]
	s_mov_b32 s13, 0
	s_waitcnt vmcnt(0)
	v_cmp_ne_u32_e32 vcc, v14, v15
	v_cndmask_b32_e64 v13, 0, 1, vcc
	v_mov_b32_e32 v14, s13
.LBB864_35:
	s_or_b64 exec, exec, s[0:1]
	v_or_b32_e32 v15, 0x600, v0
	v_cmp_gt_u32_e32 vcc, s12, v15
	s_and_saveexec_b64 s[0:1], vcc
	s_cbranch_execz .LBB864_37
; %bb.36:
	v_lshlrev_b32_e32 v11, 2, v15
	global_load_dword v12, v11, s[8:9]
	global_load_dword v15, v11, s[10:11]
	s_mov_b32 s13, 0
	s_waitcnt vmcnt(0)
	v_cmp_ne_u32_e32 vcc, v12, v15
	v_cndmask_b32_e64 v11, 0, 1, vcc
	v_mov_b32_e32 v12, s13
.LBB864_37:
	s_or_b64 exec, exec, s[0:1]
	v_or_b32_e32 v19, 0x700, v0
	v_mov_b32_e32 v15, 0
	v_mov_b32_e32 v17, 0
	v_mov_b32_e32 v16, 0
	v_mov_b32_e32 v18, 0
	v_cmp_gt_u32_e32 vcc, s12, v19
	s_and_saveexec_b64 s[0:1], vcc
	s_cbranch_execz .LBB864_39
; %bb.38:
	v_lshlrev_b32_e32 v17, 2, v19
	global_load_dword v18, v17, s[8:9]
	global_load_dword v19, v17, s[10:11]
	s_mov_b32 s13, 0
	s_waitcnt vmcnt(0)
	v_cmp_ne_u32_e32 vcc, v18, v19
	v_cndmask_b32_e64 v17, 0, 1, vcc
	v_mov_b32_e32 v18, s13
.LBB864_39:
	;; [unrolled: 34-line block ×5, first 2 shown]
	s_or_b64 exec, exec, s[0:1]
	v_or_b32_e32 v31, 0xe00, v0
	v_cmp_gt_u32_e32 vcc, s12, v31
	s_and_saveexec_b64 s[0:1], vcc
	s_cbranch_execz .LBB864_53
; %bb.52:
	v_lshlrev_b32_e32 v27, 2, v31
	global_load_dword v28, v27, s[8:9]
	global_load_dword v31, v27, s[10:11]
	s_mov_b32 s13, 0
	s_waitcnt vmcnt(0)
	v_cmp_ne_u32_e32 vcc, v28, v31
	v_cndmask_b32_e64 v27, 0, 1, vcc
	v_mov_b32_e32 v28, s13
.LBB864_53:
	s_or_b64 exec, exec, s[0:1]
	v_or_b32_e32 v33, 0xf00, v0
	v_mov_b32_e32 v31, 0
	v_mov_b32_e32 v32, 0
	v_cmp_gt_u32_e32 vcc, s12, v33
	s_and_saveexec_b64 s[0:1], vcc
	s_cbranch_execz .LBB864_55
; %bb.54:
	v_lshlrev_b32_e32 v31, 2, v33
	global_load_dword v32, v31, s[8:9]
	global_load_dword v33, v31, s[10:11]
	s_mov_b32 s8, 0
	s_waitcnt vmcnt(0)
	v_cmp_ne_u32_e32 vcc, v32, v33
	v_cndmask_b32_e64 v31, 0, 1, vcc
	v_mov_b32_e32 v32, s8
.LBB864_55:
	s_or_b64 exec, exec, s[0:1]
	v_add_co_u32_e32 v1, vcc, v5, v1
	v_addc_co_u32_e32 v2, vcc, v6, v2, vcc
	v_add_co_u32_e32 v1, vcc, v1, v3
	v_addc_co_u32_e32 v2, vcc, v2, v4, vcc
	;; [unrolled: 2-line block ×14, first 2 shown]
	v_mbcnt_lo_u32_b32 v3, -1, 0
	v_add_co_u32_e32 v1, vcc, v1, v31
	v_mbcnt_hi_u32_b32 v3, -1, v3
	v_addc_co_u32_e32 v2, vcc, v2, v32, vcc
	v_and_b32_e32 v4, 63, v3
	v_cmp_ne_u32_e32 vcc, 63, v4
	v_addc_co_u32_e32 v6, vcc, 0, v3, vcc
	v_lshlrev_b32_e32 v6, 2, v6
	ds_bpermute_b32 v8, v6, v1
	ds_bpermute_b32 v7, v6, v2
	s_min_u32 s8, s12, 0x100
	v_and_b32_e32 v5, 0xc0, v0
	v_sub_u32_e64 v5, s8, v5 clamp
	v_add_u32_e32 v6, 1, v4
	v_cmp_lt_u32_e32 vcc, v6, v5
	v_mov_b32_e32 v6, v1
	s_and_saveexec_b64 s[0:1], vcc
	s_cbranch_execz .LBB864_57
; %bb.56:
	s_waitcnt lgkmcnt(1)
	v_add_co_u32_e32 v6, vcc, v1, v8
	v_addc_co_u32_e32 v2, vcc, 0, v2, vcc
	v_add_co_u32_e32 v1, vcc, 0, v6
	s_waitcnt lgkmcnt(0)
	v_addc_co_u32_e32 v2, vcc, v7, v2, vcc
.LBB864_57:
	s_or_b64 exec, exec, s[0:1]
	v_cmp_gt_u32_e32 vcc, 62, v4
	s_waitcnt lgkmcnt(0)
	v_cndmask_b32_e64 v7, 0, 2, vcc
	v_add_lshl_u32 v7, v7, v3, 2
	ds_bpermute_b32 v8, v7, v6
	ds_bpermute_b32 v7, v7, v2
	v_add_u32_e32 v9, 2, v4
	v_cmp_lt_u32_e32 vcc, v9, v5
	s_and_saveexec_b64 s[0:1], vcc
	s_cbranch_execz .LBB864_59
; %bb.58:
	s_waitcnt lgkmcnt(1)
	v_add_co_u32_e32 v6, vcc, v1, v8
	v_addc_co_u32_e32 v2, vcc, 0, v2, vcc
	v_add_co_u32_e32 v1, vcc, 0, v6
	s_waitcnt lgkmcnt(0)
	v_addc_co_u32_e32 v2, vcc, v7, v2, vcc
.LBB864_59:
	s_or_b64 exec, exec, s[0:1]
	v_cmp_gt_u32_e32 vcc, 60, v4
	s_waitcnt lgkmcnt(0)
	v_cndmask_b32_e64 v7, 0, 4, vcc
	v_add_lshl_u32 v7, v7, v3, 2
	ds_bpermute_b32 v8, v7, v6
	ds_bpermute_b32 v7, v7, v2
	v_add_u32_e32 v9, 4, v4
	v_cmp_lt_u32_e32 vcc, v9, v5
	;; [unrolled: 19-line block ×4, first 2 shown]
	s_and_saveexec_b64 s[0:1], vcc
	s_cbranch_execz .LBB864_65
; %bb.64:
	s_waitcnt lgkmcnt(1)
	v_add_co_u32_e32 v6, vcc, v1, v8
	v_addc_co_u32_e32 v2, vcc, 0, v2, vcc
	v_add_co_u32_e32 v1, vcc, 0, v6
	s_waitcnt lgkmcnt(0)
	v_addc_co_u32_e32 v2, vcc, v7, v2, vcc
.LBB864_65:
	s_or_b64 exec, exec, s[0:1]
	s_waitcnt lgkmcnt(0)
	v_lshlrev_b32_e32 v7, 2, v3
	v_or_b32_e32 v8, 0x80, v7
	ds_bpermute_b32 v6, v8, v6
	ds_bpermute_b32 v8, v8, v2
	v_add_u32_e32 v4, 32, v4
	s_waitcnt lgkmcnt(1)
	v_add_co_u32_e32 v6, vcc, v1, v6
	v_addc_co_u32_e32 v9, vcc, 0, v2, vcc
	v_add_co_u32_e32 v6, vcc, 0, v6
	s_waitcnt lgkmcnt(0)
	v_addc_co_u32_e32 v8, vcc, v9, v8, vcc
	v_cmp_lt_u32_e32 vcc, v4, v5
	v_cndmask_b32_e32 v2, v2, v8, vcc
	v_cndmask_b32_e32 v1, v1, v6, vcc
	v_cmp_eq_u32_e32 vcc, 0, v3
	s_and_saveexec_b64 s[0:1], vcc
; %bb.66:
	v_lshrrev_b32_e32 v4, 3, v0
	v_and_b32_e32 v4, 24, v4
	ds_write_b64 v4, v[1:2] offset:160
; %bb.67:
	s_or_b64 exec, exec, s[0:1]
	v_cmp_gt_u32_e32 vcc, 4, v0
	s_waitcnt lgkmcnt(0)
	s_barrier
	s_and_saveexec_b64 s[0:1], vcc
	s_cbranch_execz .LBB864_71
; %bb.68:
	v_lshlrev_b32_e32 v1, 3, v3
	ds_read_b64 v[1:2], v1 offset:160
	v_and_b32_e32 v4, 3, v3
	v_cmp_ne_u32_e32 vcc, 3, v4
	v_addc_co_u32_e32 v3, vcc, 0, v3, vcc
	v_lshlrev_b32_e32 v3, 2, v3
	s_waitcnt lgkmcnt(0)
	ds_bpermute_b32 v6, v3, v1
	ds_bpermute_b32 v5, v3, v2
	s_add_i32 s8, s8, 63
	s_lshr_b32 s10, s8, 6
	v_add_u32_e32 v3, 1, v4
	v_cmp_gt_u32_e32 vcc, s10, v3
	v_mov_b32_e32 v3, v1
	s_and_saveexec_b64 s[8:9], vcc
	s_cbranch_execz .LBB864_70
; %bb.69:
	s_waitcnt lgkmcnt(1)
	v_add_co_u32_e32 v3, vcc, v1, v6
	v_addc_co_u32_e32 v2, vcc, 0, v2, vcc
	v_add_co_u32_e32 v1, vcc, 0, v3
	s_waitcnt lgkmcnt(0)
	v_addc_co_u32_e32 v2, vcc, v5, v2, vcc
.LBB864_70:
	s_or_b64 exec, exec, s[8:9]
	s_waitcnt lgkmcnt(0)
	v_or_b32_e32 v5, 8, v7
	ds_bpermute_b32 v3, v5, v3
	ds_bpermute_b32 v5, v5, v2
	v_add_u32_e32 v4, 2, v4
	s_waitcnt lgkmcnt(1)
	v_add_co_u32_e32 v3, vcc, v1, v3
	v_addc_co_u32_e32 v6, vcc, 0, v2, vcc
	v_add_co_u32_e32 v3, vcc, 0, v3
	s_waitcnt lgkmcnt(0)
	v_addc_co_u32_e32 v5, vcc, v6, v5, vcc
	v_cmp_gt_u32_e32 vcc, s10, v4
	v_cndmask_b32_e32 v2, v2, v5, vcc
	v_cndmask_b32_e32 v1, v1, v3, vcc
.LBB864_71:
	s_or_b64 exec, exec, s[0:1]
.LBB864_72:
	v_mov_b32_e32 v3, s6
	v_cmp_eq_u32_e64 s[0:1], 0, v0
	v_mov_b32_e32 v4, s7
	s_and_b64 vcc, exec, s[2:3]
	s_cbranch_vccnz .LBB864_14
	s_branch .LBB864_109
.LBB864_73:
	s_mov_b64 s[2:3], -1
                                        ; implicit-def: $vgpr1_vgpr2
.LBB864_74:
	s_and_b64 vcc, exec, s[2:3]
	s_cbranch_vccz .LBB864_108
; %bb.75:
	s_sub_i32 s31, s20, s0
	v_mov_b32_e32 v1, 0
	v_cmp_gt_u32_e32 vcc, s31, v0
	v_mov_b32_e32 v2, v1
	v_mov_b32_e32 v3, v1
	;; [unrolled: 1-line block ×15, first 2 shown]
	s_and_saveexec_b64 s[0:1], vcc
	s_cbranch_execz .LBB864_77
; %bb.76:
	v_mov_b32_e32 v2, v1
	v_mov_b32_e32 v3, v1
	;; [unrolled: 1-line block ×15, first 2 shown]
	v_lshlrev_b32_e32 v1, 2, v0
	global_load_dword v17, v1, s[16:17]
	global_load_dword v18, v1, s[18:19]
	s_waitcnt vmcnt(0)
	v_cmp_ne_u32_e32 vcc, v17, v18
	v_cndmask_b32_e64 v1, 0, 1, vcc
	v_and_b32_e32 v1, 0xffff, v1
.LBB864_77:
	s_or_b64 exec, exec, s[0:1]
	v_or_b32_e32 v17, 0x100, v0
	v_cmp_gt_u32_e32 vcc, s31, v17
	s_and_saveexec_b64 s[2:3], vcc
	s_cbranch_execz .LBB864_79
; %bb.78:
	v_lshlrev_b32_e32 v3, 2, v0
	global_load_dword v4, v3, s[16:17] offset:1024
	global_load_dword v17, v3, s[18:19] offset:1024
	s_mov_b32 s8, 0
	s_waitcnt vmcnt(0)
	v_cmp_ne_u32_e64 s[0:1], v4, v17
	v_cndmask_b32_e64 v3, 0, 1, s[0:1]
	v_mov_b32_e32 v4, s8
.LBB864_79:
	s_or_b64 exec, exec, s[2:3]
	v_or_b32_e32 v17, 0x200, v0
	v_cmp_gt_u32_e64 s[0:1], s31, v17
	s_and_saveexec_b64 s[8:9], s[0:1]
	s_cbranch_execz .LBB864_81
; %bb.80:
	v_lshlrev_b32_e32 v5, 2, v0
	global_load_dword v6, v5, s[16:17] offset:2048
	global_load_dword v17, v5, s[18:19] offset:2048
	s_mov_b32 s10, 0
	s_waitcnt vmcnt(0)
	v_cmp_ne_u32_e64 s[2:3], v6, v17
	v_cndmask_b32_e64 v5, 0, 1, s[2:3]
	v_mov_b32_e32 v6, s10
.LBB864_81:
	s_or_b64 exec, exec, s[8:9]
	v_or_b32_e32 v17, 0x300, v0
	v_cmp_gt_u32_e64 s[2:3], s31, v17
	s_and_saveexec_b64 s[10:11], s[2:3]
	;; [unrolled: 15-line block ×3, first 2 shown]
	s_cbranch_execz .LBB864_85
; %bb.84:
	v_lshlrev_b32_e32 v9, 2, v17
	global_load_dword v10, v9, s[16:17]
	global_load_dword v17, v9, s[18:19]
	s_mov_b32 s14, 0
	s_waitcnt vmcnt(0)
	v_cmp_ne_u32_e64 s[10:11], v10, v17
	v_cndmask_b32_e64 v9, 0, 1, s[10:11]
	v_mov_b32_e32 v10, s14
.LBB864_85:
	s_or_b64 exec, exec, s[12:13]
	v_or_b32_e32 v17, 0x500, v0
	v_cmp_gt_u32_e64 s[10:11], s31, v17
	s_and_saveexec_b64 s[14:15], s[10:11]
	s_cbranch_execz .LBB864_87
; %bb.86:
	v_lshlrev_b32_e32 v11, 2, v17
	global_load_dword v12, v11, s[16:17]
	global_load_dword v17, v11, s[18:19]
	s_mov_b32 s28, 0
	s_waitcnt vmcnt(0)
	v_cmp_ne_u32_e64 s[12:13], v12, v17
	v_cndmask_b32_e64 v11, 0, 1, s[12:13]
	v_mov_b32_e32 v12, s28
.LBB864_87:
	s_or_b64 exec, exec, s[14:15]
	v_or_b32_e32 v17, 0x600, v0
	v_cmp_gt_u32_e64 s[12:13], s31, v17
	s_and_saveexec_b64 s[28:29], s[12:13]
	;; [unrolled: 15-line block ×3, first 2 shown]
	s_cbranch_execz .LBB864_91
; %bb.90:
	v_lshlrev_b32_e32 v15, 2, v17
	global_load_dword v16, v15, s[16:17]
	global_load_dword v17, v15, s[18:19]
	s_mov_b32 s18, 0
	s_waitcnt vmcnt(0)
	v_cmp_ne_u32_e64 s[16:17], v16, v17
	v_cndmask_b32_e64 v15, 0, 1, s[16:17]
	v_mov_b32_e32 v16, s18
.LBB864_91:
	s_or_b64 exec, exec, s[28:29]
	v_cndmask_b32_e32 v3, 0, v3, vcc
	v_cndmask_b32_e32 v4, 0, v4, vcc
	v_add_co_u32_e32 v1, vcc, v3, v1
	v_addc_co_u32_e32 v2, vcc, v4, v2, vcc
	v_cndmask_b32_e64 v4, 0, v5, s[0:1]
	v_cndmask_b32_e64 v3, 0, v6, s[0:1]
	v_add_co_u32_e32 v1, vcc, v1, v4
	v_addc_co_u32_e32 v2, vcc, v2, v3, vcc
	v_cndmask_b32_e64 v4, 0, v7, s[2:3]
	v_cndmask_b32_e64 v3, 0, v8, s[2:3]
	;; [unrolled: 4-line block ×6, first 2 shown]
	v_add_co_u32_e32 v1, vcc, v1, v4
	v_addc_co_u32_e32 v2, vcc, v2, v3, vcc
	v_mbcnt_lo_u32_b32 v3, -1, 0
	v_mbcnt_hi_u32_b32 v3, -1, v3
	v_and_b32_e32 v4, 63, v3
	v_cmp_ne_u32_e32 vcc, 63, v4
	v_addc_co_u32_e32 v6, vcc, 0, v3, vcc
	v_lshlrev_b32_e32 v6, 2, v6
	ds_bpermute_b32 v8, v6, v1
	ds_bpermute_b32 v7, v6, v2
	s_min_u32 s2, s31, 0x100
	v_and_b32_e32 v5, 0xc0, v0
	v_sub_u32_e64 v5, s2, v5 clamp
	v_add_u32_e32 v6, 1, v4
	v_cmp_lt_u32_e32 vcc, v6, v5
	v_mov_b32_e32 v6, v1
	s_and_saveexec_b64 s[0:1], vcc
	s_cbranch_execz .LBB864_93
; %bb.92:
	s_waitcnt lgkmcnt(1)
	v_add_co_u32_e32 v6, vcc, v1, v8
	v_addc_co_u32_e32 v2, vcc, 0, v2, vcc
	v_add_co_u32_e32 v1, vcc, 0, v6
	s_waitcnt lgkmcnt(0)
	v_addc_co_u32_e32 v2, vcc, v2, v7, vcc
.LBB864_93:
	s_or_b64 exec, exec, s[0:1]
	v_cmp_gt_u32_e32 vcc, 62, v4
	s_waitcnt lgkmcnt(0)
	v_cndmask_b32_e64 v7, 0, 2, vcc
	v_add_lshl_u32 v7, v7, v3, 2
	ds_bpermute_b32 v8, v7, v6
	ds_bpermute_b32 v7, v7, v2
	v_add_u32_e32 v9, 2, v4
	v_cmp_lt_u32_e32 vcc, v9, v5
	s_and_saveexec_b64 s[0:1], vcc
	s_cbranch_execz .LBB864_95
; %bb.94:
	s_waitcnt lgkmcnt(1)
	v_add_co_u32_e32 v6, vcc, v1, v8
	v_addc_co_u32_e32 v2, vcc, 0, v2, vcc
	v_add_co_u32_e32 v1, vcc, 0, v6
	s_waitcnt lgkmcnt(0)
	v_addc_co_u32_e32 v2, vcc, v7, v2, vcc
.LBB864_95:
	s_or_b64 exec, exec, s[0:1]
	v_cmp_gt_u32_e32 vcc, 60, v4
	s_waitcnt lgkmcnt(0)
	v_cndmask_b32_e64 v7, 0, 4, vcc
	v_add_lshl_u32 v7, v7, v3, 2
	ds_bpermute_b32 v8, v7, v6
	ds_bpermute_b32 v7, v7, v2
	v_add_u32_e32 v9, 4, v4
	v_cmp_lt_u32_e32 vcc, v9, v5
	;; [unrolled: 19-line block ×4, first 2 shown]
	s_and_saveexec_b64 s[0:1], vcc
	s_cbranch_execz .LBB864_101
; %bb.100:
	s_waitcnt lgkmcnt(1)
	v_add_co_u32_e32 v6, vcc, v1, v8
	v_addc_co_u32_e32 v2, vcc, 0, v2, vcc
	v_add_co_u32_e32 v1, vcc, 0, v6
	s_waitcnt lgkmcnt(0)
	v_addc_co_u32_e32 v2, vcc, v7, v2, vcc
.LBB864_101:
	s_or_b64 exec, exec, s[0:1]
	s_waitcnt lgkmcnt(0)
	v_lshlrev_b32_e32 v7, 2, v3
	v_or_b32_e32 v8, 0x80, v7
	ds_bpermute_b32 v6, v8, v6
	ds_bpermute_b32 v8, v8, v2
	v_add_u32_e32 v4, 32, v4
	s_waitcnt lgkmcnt(1)
	v_add_co_u32_e32 v6, vcc, v1, v6
	v_addc_co_u32_e32 v9, vcc, 0, v2, vcc
	v_add_co_u32_e32 v6, vcc, 0, v6
	s_waitcnt lgkmcnt(0)
	v_addc_co_u32_e32 v8, vcc, v9, v8, vcc
	v_cmp_lt_u32_e32 vcc, v4, v5
	v_cndmask_b32_e32 v2, v2, v8, vcc
	v_cndmask_b32_e32 v1, v1, v6, vcc
	v_cmp_eq_u32_e32 vcc, 0, v3
	s_and_saveexec_b64 s[0:1], vcc
; %bb.102:
	v_lshrrev_b32_e32 v4, 3, v0
	v_and_b32_e32 v4, 24, v4
	ds_write_b64 v4, v[1:2] offset:160
; %bb.103:
	s_or_b64 exec, exec, s[0:1]
	v_cmp_gt_u32_e32 vcc, 4, v0
	s_waitcnt lgkmcnt(0)
	s_barrier
	s_and_saveexec_b64 s[0:1], vcc
	s_cbranch_execz .LBB864_107
; %bb.104:
	v_lshlrev_b32_e32 v1, 3, v3
	ds_read_b64 v[1:2], v1 offset:160
	v_and_b32_e32 v4, 3, v3
	v_cmp_ne_u32_e32 vcc, 3, v4
	v_addc_co_u32_e32 v3, vcc, 0, v3, vcc
	v_lshlrev_b32_e32 v3, 2, v3
	s_waitcnt lgkmcnt(0)
	ds_bpermute_b32 v6, v3, v1
	ds_bpermute_b32 v5, v3, v2
	s_add_i32 s2, s2, 63
	s_lshr_b32 s8, s2, 6
	v_add_u32_e32 v3, 1, v4
	v_cmp_gt_u32_e32 vcc, s8, v3
	v_mov_b32_e32 v3, v1
	s_and_saveexec_b64 s[2:3], vcc
	s_cbranch_execz .LBB864_106
; %bb.105:
	s_waitcnt lgkmcnt(1)
	v_add_co_u32_e32 v3, vcc, v1, v6
	v_addc_co_u32_e32 v2, vcc, 0, v2, vcc
	v_add_co_u32_e32 v1, vcc, 0, v3
	s_waitcnt lgkmcnt(0)
	v_addc_co_u32_e32 v2, vcc, v5, v2, vcc
.LBB864_106:
	s_or_b64 exec, exec, s[2:3]
	s_waitcnt lgkmcnt(0)
	v_or_b32_e32 v5, 8, v7
	ds_bpermute_b32 v3, v5, v3
	ds_bpermute_b32 v5, v5, v2
	v_add_u32_e32 v4, 2, v4
	s_waitcnt lgkmcnt(1)
	v_add_co_u32_e32 v3, vcc, v1, v3
	v_addc_co_u32_e32 v6, vcc, 0, v2, vcc
	v_add_co_u32_e32 v3, vcc, 0, v3
	s_waitcnt lgkmcnt(0)
	v_addc_co_u32_e32 v5, vcc, v6, v5, vcc
	v_cmp_gt_u32_e32 vcc, s8, v4
	v_cndmask_b32_e32 v2, v2, v5, vcc
	v_cndmask_b32_e32 v1, v1, v3, vcc
.LBB864_107:
	s_or_b64 exec, exec, s[0:1]
.LBB864_108:
	v_mov_b32_e32 v3, s6
	v_cmp_eq_u32_e64 s[0:1], 0, v0
	v_mov_b32_e32 v4, s7
.LBB864_109:
	s_branch .LBB864_144
.LBB864_110:
	s_cmp_eq_u32 s30, 4
                                        ; implicit-def: $vgpr1_vgpr2
                                        ; implicit-def: $vgpr3_vgpr4
	s_cbranch_scc0 .LBB864_144
; %bb.111:
	s_mov_b32 s7, 0
	s_lshl_b32 s0, s6, 10
	s_mov_b32 s1, s7
	s_lshr_b64 s[2:3], s[20:21], 10
	s_lshl_b64 s[10:11], s[0:1], 2
	s_add_u32 s8, s24, s10
	s_addc_u32 s9, s25, s11
	s_add_u32 s10, s26, s10
	s_addc_u32 s11, s27, s11
	s_cmp_lg_u64 s[2:3], s[6:7]
	s_cbranch_scc0 .LBB864_117
; %bb.112:
	v_lshlrev_b32_e32 v1, 2, v0
	global_load_dword v2, v1, s[10:11] offset:1024
	global_load_dword v5, v1, s[10:11] offset:2048
	;; [unrolled: 1-line block ×5, first 2 shown]
	global_load_dword v9, v1, s[10:11]
	global_load_dword v10, v1, s[8:9]
	global_load_dword v11, v1, s[8:9] offset:2048
	v_mov_b32_e32 v1, 0
	v_mbcnt_lo_u32_b32 v3, -1, 0
	v_mbcnt_hi_u32_b32 v3, -1, v3
	v_mov_b32_dpp v1, v1 quad_perm:[1,0,3,2] row_mask:0xf bank_mask:0xf bound_ctrl:1
	v_lshlrev_b32_e32 v4, 2, v3
	v_or_b32_e32 v12, 0xfc, v4
	s_waitcnt vmcnt(4)
	v_cmp_ne_u32_e32 vcc, v7, v6
	v_cndmask_b32_e64 v6, 0, 1, vcc
	s_waitcnt vmcnt(3)
	v_cmp_ne_u32_e32 vcc, v8, v2
	v_cndmask_b32_e64 v2, 0, 1, vcc
	;; [unrolled: 3-line block ×3, first 2 shown]
	s_waitcnt vmcnt(0)
	v_cmp_ne_u32_e32 vcc, v11, v5
	v_addc_co_u32_e32 v2, vcc, v2, v7, vcc
	v_add_co_u32_e32 v2, vcc, v2, v6
	v_addc_co_u32_e64 v5, s[2:3], 0, 0, vcc
	s_nop 0
	v_mov_b32_dpp v6, v2 quad_perm:[1,0,3,2] row_mask:0xf bank_mask:0xf bound_ctrl:1
	v_add_co_u32_e32 v2, vcc, v2, v6
	v_addc_co_u32_e32 v5, vcc, 0, v5, vcc
	v_add_co_u32_e32 v6, vcc, 0, v2
	v_addc_co_u32_e32 v1, vcc, v1, v5, vcc
	v_mov_b32_dpp v2, v2 quad_perm:[2,3,0,1] row_mask:0xf bank_mask:0xf bound_ctrl:1
	v_add_co_u32_e32 v2, vcc, v6, v2
	v_mov_b32_dpp v5, v1 quad_perm:[2,3,0,1] row_mask:0xf bank_mask:0xf bound_ctrl:1
	v_addc_co_u32_e32 v1, vcc, 0, v1, vcc
	v_add_co_u32_e32 v6, vcc, 0, v2
	v_addc_co_u32_e32 v1, vcc, v1, v5, vcc
	v_mov_b32_dpp v2, v2 row_ror:4 row_mask:0xf bank_mask:0xf bound_ctrl:1
	v_add_co_u32_e32 v2, vcc, v6, v2
	v_mov_b32_dpp v5, v1 row_ror:4 row_mask:0xf bank_mask:0xf bound_ctrl:1
	v_addc_co_u32_e32 v1, vcc, 0, v1, vcc
	v_add_co_u32_e32 v6, vcc, 0, v2
	v_addc_co_u32_e32 v1, vcc, v1, v5, vcc
	v_mov_b32_dpp v2, v2 row_ror:8 row_mask:0xf bank_mask:0xf bound_ctrl:1
	v_add_co_u32_e32 v2, vcc, v6, v2
	v_mov_b32_dpp v5, v1 row_ror:8 row_mask:0xf bank_mask:0xf bound_ctrl:1
	v_addc_co_u32_e32 v1, vcc, 0, v1, vcc
	v_add_co_u32_e32 v6, vcc, 0, v2
	v_addc_co_u32_e32 v1, vcc, v1, v5, vcc
	v_mov_b32_dpp v2, v2 row_bcast:15 row_mask:0xf bank_mask:0xf bound_ctrl:1
	v_add_co_u32_e32 v2, vcc, v6, v2
	v_mov_b32_dpp v5, v1 row_bcast:15 row_mask:0xf bank_mask:0xf bound_ctrl:1
	v_addc_co_u32_e32 v1, vcc, 0, v1, vcc
	v_add_co_u32_e32 v6, vcc, 0, v2
	v_addc_co_u32_e32 v1, vcc, v1, v5, vcc
	v_mov_b32_dpp v2, v2 row_bcast:31 row_mask:0xf bank_mask:0xf bound_ctrl:1
	v_add_co_u32_e32 v2, vcc, v6, v2
	v_addc_co_u32_e32 v5, vcc, 0, v1, vcc
	v_cmp_eq_u32_e32 vcc, 0, v3
	s_nop 0
	v_add_u32_dpp v5, v1, v5 row_bcast:31 row_mask:0xf bank_mask:0xf bound_ctrl:1
	ds_bpermute_b32 v1, v12, v2
	ds_bpermute_b32 v2, v12, v5
	s_and_saveexec_b64 s[2:3], vcc
	s_cbranch_execz .LBB864_114
; %bb.113:
	v_lshrrev_b32_e32 v5, 3, v0
	v_and_b32_e32 v5, 24, v5
	s_waitcnt lgkmcnt(0)
	ds_write_b64 v5, v[1:2] offset:96
.LBB864_114:
	s_or_b64 exec, exec, s[2:3]
	v_cmp_gt_u32_e32 vcc, 64, v0
	s_waitcnt lgkmcnt(0)
	s_barrier
	s_and_saveexec_b64 s[2:3], vcc
	s_cbranch_execz .LBB864_116
; %bb.115:
	v_and_b32_e32 v5, 3, v3
	v_lshlrev_b32_e32 v1, 3, v5
	ds_read_b64 v[1:2], v1 offset:96
	v_cmp_ne_u32_e32 vcc, 3, v5
	v_addc_co_u32_e32 v3, vcc, 0, v3, vcc
	v_lshlrev_b32_e32 v3, 2, v3
	s_waitcnt lgkmcnt(0)
	ds_bpermute_b32 v5, v3, v1
	ds_bpermute_b32 v3, v3, v2
	v_or_b32_e32 v4, 8, v4
	s_waitcnt lgkmcnt(1)
	v_add_co_u32_e32 v1, vcc, v1, v5
	v_addc_co_u32_e32 v2, vcc, 0, v2, vcc
	ds_bpermute_b32 v5, v4, v1
	v_add_co_u32_e32 v1, vcc, 0, v1
	s_waitcnt lgkmcnt(1)
	v_addc_co_u32_e32 v2, vcc, v3, v2, vcc
	ds_bpermute_b32 v3, v4, v2
	s_waitcnt lgkmcnt(1)
	v_add_co_u32_e32 v1, vcc, v1, v5
	v_addc_co_u32_e32 v2, vcc, 0, v2, vcc
	v_add_co_u32_e32 v1, vcc, 0, v1
	s_waitcnt lgkmcnt(0)
	v_addc_co_u32_e32 v2, vcc, v2, v3, vcc
.LBB864_116:
	s_or_b64 exec, exec, s[2:3]
	s_branch .LBB864_143
.LBB864_117:
                                        ; implicit-def: $vgpr1_vgpr2
	s_cbranch_execz .LBB864_143
; %bb.118:
	s_sub_i32 s14, s20, s0
	v_mov_b32_e32 v1, 0
	v_cmp_gt_u32_e32 vcc, s14, v0
	v_mov_b32_e32 v2, v1
	v_mov_b32_e32 v3, v1
	v_mov_b32_e32 v4, v1
	v_mov_b32_e32 v5, v1
	v_mov_b32_e32 v6, v1
	v_mov_b32_e32 v7, v1
	v_mov_b32_e32 v8, v1
	s_and_saveexec_b64 s[0:1], vcc
	s_cbranch_execz .LBB864_120
; %bb.119:
	v_lshlrev_b32_e32 v2, 2, v0
	global_load_dword v9, v2, s[8:9]
	global_load_dword v10, v2, s[10:11]
	v_mov_b32_e32 v3, v1
	v_mov_b32_e32 v4, v1
	;; [unrolled: 1-line block ×6, first 2 shown]
	s_waitcnt vmcnt(0)
	v_cmp_ne_u32_e32 vcc, v9, v10
	v_cndmask_b32_e64 v2, 0, 1, vcc
	v_and_b32_e32 v2, 0xffff, v2
	v_mov_b32_e32 v9, v1
	v_mov_b32_e32 v1, v2
	;; [unrolled: 1-line block ×9, first 2 shown]
.LBB864_120:
	s_or_b64 exec, exec, s[0:1]
	v_or_b32_e32 v9, 0x100, v0
	v_cmp_gt_u32_e32 vcc, s14, v9
	s_and_saveexec_b64 s[2:3], vcc
	s_cbranch_execz .LBB864_122
; %bb.121:
	v_lshlrev_b32_e32 v3, 2, v0
	global_load_dword v4, v3, s[8:9] offset:1024
	global_load_dword v9, v3, s[10:11] offset:1024
	s_mov_b32 s12, 0
	s_waitcnt vmcnt(0)
	v_cmp_ne_u32_e64 s[0:1], v4, v9
	v_cndmask_b32_e64 v3, 0, 1, s[0:1]
	v_mov_b32_e32 v4, s12
.LBB864_122:
	s_or_b64 exec, exec, s[2:3]
	v_or_b32_e32 v9, 0x200, v0
	v_cmp_gt_u32_e64 s[0:1], s14, v9
	s_and_saveexec_b64 s[12:13], s[0:1]
	s_cbranch_execz .LBB864_124
; %bb.123:
	v_lshlrev_b32_e32 v5, 2, v0
	global_load_dword v6, v5, s[8:9] offset:2048
	global_load_dword v9, v5, s[10:11] offset:2048
	s_mov_b32 s15, 0
	s_waitcnt vmcnt(0)
	v_cmp_ne_u32_e64 s[2:3], v6, v9
	v_cndmask_b32_e64 v5, 0, 1, s[2:3]
	v_mov_b32_e32 v6, s15
.LBB864_124:
	s_or_b64 exec, exec, s[12:13]
	v_or_b32_e32 v9, 0x300, v0
	v_cmp_gt_u32_e64 s[2:3], s14, v9
	s_and_saveexec_b64 s[12:13], s[2:3]
	s_cbranch_execz .LBB864_126
; %bb.125:
	v_lshlrev_b32_e32 v7, 2, v0
	global_load_dword v8, v7, s[8:9] offset:3072
	global_load_dword v9, v7, s[10:11] offset:3072
	s_mov_b32 s10, 0
	s_waitcnt vmcnt(0)
	v_cmp_ne_u32_e64 s[8:9], v8, v9
	v_cndmask_b32_e64 v7, 0, 1, s[8:9]
	v_mov_b32_e32 v8, s10
.LBB864_126:
	s_or_b64 exec, exec, s[12:13]
	v_cndmask_b32_e32 v3, 0, v3, vcc
	v_cndmask_b32_e32 v4, 0, v4, vcc
	v_add_co_u32_e32 v1, vcc, v3, v1
	v_addc_co_u32_e32 v2, vcc, v4, v2, vcc
	v_cndmask_b32_e64 v4, 0, v5, s[0:1]
	v_cndmask_b32_e64 v3, 0, v6, s[0:1]
	v_add_co_u32_e32 v1, vcc, v1, v4
	v_addc_co_u32_e32 v2, vcc, v2, v3, vcc
	v_cndmask_b32_e64 v4, 0, v7, s[2:3]
	v_cndmask_b32_e64 v3, 0, v8, s[2:3]
	v_add_co_u32_e32 v1, vcc, v1, v4
	v_addc_co_u32_e32 v2, vcc, v2, v3, vcc
	v_mbcnt_lo_u32_b32 v3, -1, 0
	v_mbcnt_hi_u32_b32 v3, -1, v3
	v_and_b32_e32 v4, 63, v3
	v_cmp_ne_u32_e32 vcc, 63, v4
	v_addc_co_u32_e32 v6, vcc, 0, v3, vcc
	v_lshlrev_b32_e32 v6, 2, v6
	ds_bpermute_b32 v8, v6, v1
	ds_bpermute_b32 v7, v6, v2
	s_min_u32 s2, s14, 0x100
	v_and_b32_e32 v5, 0xc0, v0
	v_sub_u32_e64 v5, s2, v5 clamp
	v_add_u32_e32 v6, 1, v4
	v_cmp_lt_u32_e32 vcc, v6, v5
	v_mov_b32_e32 v6, v1
	s_and_saveexec_b64 s[0:1], vcc
	s_cbranch_execz .LBB864_128
; %bb.127:
	s_waitcnt lgkmcnt(1)
	v_add_co_u32_e32 v6, vcc, v1, v8
	v_addc_co_u32_e32 v2, vcc, 0, v2, vcc
	v_add_co_u32_e32 v1, vcc, 0, v6
	s_waitcnt lgkmcnt(0)
	v_addc_co_u32_e32 v2, vcc, v7, v2, vcc
.LBB864_128:
	s_or_b64 exec, exec, s[0:1]
	v_cmp_gt_u32_e32 vcc, 62, v4
	s_waitcnt lgkmcnt(0)
	v_cndmask_b32_e64 v7, 0, 2, vcc
	v_add_lshl_u32 v7, v7, v3, 2
	ds_bpermute_b32 v8, v7, v6
	ds_bpermute_b32 v7, v7, v2
	v_add_u32_e32 v9, 2, v4
	v_cmp_lt_u32_e32 vcc, v9, v5
	s_and_saveexec_b64 s[0:1], vcc
	s_cbranch_execz .LBB864_130
; %bb.129:
	s_waitcnt lgkmcnt(1)
	v_add_co_u32_e32 v6, vcc, v1, v8
	v_addc_co_u32_e32 v2, vcc, 0, v2, vcc
	v_add_co_u32_e32 v1, vcc, 0, v6
	s_waitcnt lgkmcnt(0)
	v_addc_co_u32_e32 v2, vcc, v7, v2, vcc
.LBB864_130:
	s_or_b64 exec, exec, s[0:1]
	v_cmp_gt_u32_e32 vcc, 60, v4
	s_waitcnt lgkmcnt(0)
	v_cndmask_b32_e64 v7, 0, 4, vcc
	v_add_lshl_u32 v7, v7, v3, 2
	ds_bpermute_b32 v8, v7, v6
	ds_bpermute_b32 v7, v7, v2
	v_add_u32_e32 v9, 4, v4
	v_cmp_lt_u32_e32 vcc, v9, v5
	;; [unrolled: 19-line block ×4, first 2 shown]
	s_and_saveexec_b64 s[0:1], vcc
	s_cbranch_execz .LBB864_136
; %bb.135:
	s_waitcnt lgkmcnt(1)
	v_add_co_u32_e32 v6, vcc, v1, v8
	v_addc_co_u32_e32 v2, vcc, 0, v2, vcc
	v_add_co_u32_e32 v1, vcc, 0, v6
	s_waitcnt lgkmcnt(0)
	v_addc_co_u32_e32 v2, vcc, v7, v2, vcc
.LBB864_136:
	s_or_b64 exec, exec, s[0:1]
	s_waitcnt lgkmcnt(0)
	v_lshlrev_b32_e32 v7, 2, v3
	v_or_b32_e32 v8, 0x80, v7
	ds_bpermute_b32 v6, v8, v6
	ds_bpermute_b32 v8, v8, v2
	v_add_u32_e32 v4, 32, v4
	s_waitcnt lgkmcnt(1)
	v_add_co_u32_e32 v6, vcc, v1, v6
	v_addc_co_u32_e32 v9, vcc, 0, v2, vcc
	v_add_co_u32_e32 v6, vcc, 0, v6
	s_waitcnt lgkmcnt(0)
	v_addc_co_u32_e32 v8, vcc, v9, v8, vcc
	v_cmp_lt_u32_e32 vcc, v4, v5
	v_cndmask_b32_e32 v2, v2, v8, vcc
	v_cndmask_b32_e32 v1, v1, v6, vcc
	v_cmp_eq_u32_e32 vcc, 0, v3
	s_and_saveexec_b64 s[0:1], vcc
; %bb.137:
	v_lshrrev_b32_e32 v4, 3, v0
	v_and_b32_e32 v4, 24, v4
	ds_write_b64 v4, v[1:2] offset:160
; %bb.138:
	s_or_b64 exec, exec, s[0:1]
	v_cmp_gt_u32_e32 vcc, 4, v0
	s_waitcnt lgkmcnt(0)
	s_barrier
	s_and_saveexec_b64 s[0:1], vcc
	s_cbranch_execz .LBB864_142
; %bb.139:
	v_lshlrev_b32_e32 v1, 3, v3
	ds_read_b64 v[1:2], v1 offset:160
	v_and_b32_e32 v4, 3, v3
	v_cmp_ne_u32_e32 vcc, 3, v4
	v_addc_co_u32_e32 v3, vcc, 0, v3, vcc
	v_lshlrev_b32_e32 v3, 2, v3
	s_waitcnt lgkmcnt(0)
	ds_bpermute_b32 v6, v3, v1
	ds_bpermute_b32 v5, v3, v2
	s_add_i32 s2, s2, 63
	s_lshr_b32 s8, s2, 6
	v_add_u32_e32 v3, 1, v4
	v_cmp_gt_u32_e32 vcc, s8, v3
	v_mov_b32_e32 v3, v1
	s_and_saveexec_b64 s[2:3], vcc
	s_cbranch_execz .LBB864_141
; %bb.140:
	s_waitcnt lgkmcnt(1)
	v_add_co_u32_e32 v3, vcc, v1, v6
	v_addc_co_u32_e32 v2, vcc, 0, v2, vcc
	v_add_co_u32_e32 v1, vcc, 0, v3
	s_waitcnt lgkmcnt(0)
	v_addc_co_u32_e32 v2, vcc, v5, v2, vcc
.LBB864_141:
	s_or_b64 exec, exec, s[2:3]
	s_waitcnt lgkmcnt(0)
	v_or_b32_e32 v5, 8, v7
	ds_bpermute_b32 v3, v5, v3
	ds_bpermute_b32 v5, v5, v2
	v_add_u32_e32 v4, 2, v4
	s_waitcnt lgkmcnt(1)
	v_add_co_u32_e32 v3, vcc, v1, v3
	v_addc_co_u32_e32 v6, vcc, 0, v2, vcc
	v_add_co_u32_e32 v3, vcc, 0, v3
	s_waitcnt lgkmcnt(0)
	v_addc_co_u32_e32 v5, vcc, v6, v5, vcc
	v_cmp_gt_u32_e32 vcc, s8, v4
	v_cndmask_b32_e32 v2, v2, v5, vcc
	v_cndmask_b32_e32 v1, v1, v3, vcc
.LBB864_142:
	s_or_b64 exec, exec, s[0:1]
.LBB864_143:
	v_mov_b32_e32 v3, s6
	v_cmp_eq_u32_e64 s[0:1], 0, v0
	v_mov_b32_e32 v4, s7
.LBB864_144:
	s_branch .LBB864_206
.LBB864_145:
	s_cmp_gt_i32 s30, 1
	s_cbranch_scc0 .LBB864_153
; %bb.146:
	s_cmp_eq_u32 s30, 2
                                        ; implicit-def: $vgpr1_vgpr2
                                        ; implicit-def: $vgpr3_vgpr4
	s_cbranch_scc0 .LBB864_154
; %bb.147:
	s_mov_b32 s7, 0
	s_lshl_b32 s8, s6, 9
	s_mov_b32 s9, s7
	s_lshr_b64 s[10:11], s[20:21], 9
	s_lshl_b64 s[2:3], s[8:9], 2
	s_add_u32 s0, s24, s2
	s_addc_u32 s1, s25, s3
	s_add_u32 s2, s26, s2
	s_addc_u32 s3, s27, s3
	s_cmp_lg_u64 s[10:11], s[6:7]
	s_cbranch_scc0 .LBB864_155
; %bb.148:
	v_lshlrev_b32_e32 v1, 2, v0
	global_load_dword v2, v1, s[0:1]
	global_load_dword v5, v1, s[2:3]
	global_load_dword v6, v1, s[2:3] offset:1024
	global_load_dword v7, v1, s[0:1] offset:1024
	v_mov_b32_e32 v1, 0
	v_mbcnt_lo_u32_b32 v3, -1, 0
	v_mbcnt_hi_u32_b32 v3, -1, v3
	v_mov_b32_dpp v1, v1 quad_perm:[1,0,3,2] row_mask:0xf bank_mask:0xf bound_ctrl:1
	v_lshlrev_b32_e32 v4, 2, v3
	v_or_b32_e32 v8, 0xfc, v4
	s_waitcnt vmcnt(2)
	v_cmp_ne_u32_e32 vcc, v2, v5
	v_cndmask_b32_e64 v2, 0, 1, vcc
	s_waitcnt vmcnt(0)
	v_cmp_ne_u32_e32 vcc, v7, v6
	v_addc_co_u32_e32 v2, vcc, 0, v2, vcc
	s_nop 1
	v_mov_b32_dpp v5, v2 quad_perm:[1,0,3,2] row_mask:0xf bank_mask:0xf bound_ctrl:1
	v_add_co_u32_e32 v2, vcc, v2, v5
	v_addc_co_u32_e64 v5, s[10:11], 0, 0, vcc
	v_add_co_u32_e32 v6, vcc, 0, v2
	v_addc_co_u32_e32 v1, vcc, v1, v5, vcc
	v_mov_b32_dpp v2, v2 quad_perm:[2,3,0,1] row_mask:0xf bank_mask:0xf bound_ctrl:1
	v_add_co_u32_e32 v2, vcc, v6, v2
	v_mov_b32_dpp v5, v1 quad_perm:[2,3,0,1] row_mask:0xf bank_mask:0xf bound_ctrl:1
	v_addc_co_u32_e32 v1, vcc, 0, v1, vcc
	v_add_co_u32_e32 v6, vcc, 0, v2
	v_addc_co_u32_e32 v1, vcc, v1, v5, vcc
	v_mov_b32_dpp v2, v2 row_ror:4 row_mask:0xf bank_mask:0xf bound_ctrl:1
	v_add_co_u32_e32 v2, vcc, v6, v2
	v_mov_b32_dpp v5, v1 row_ror:4 row_mask:0xf bank_mask:0xf bound_ctrl:1
	v_addc_co_u32_e32 v1, vcc, 0, v1, vcc
	v_add_co_u32_e32 v6, vcc, 0, v2
	v_addc_co_u32_e32 v1, vcc, v1, v5, vcc
	v_mov_b32_dpp v2, v2 row_ror:8 row_mask:0xf bank_mask:0xf bound_ctrl:1
	v_add_co_u32_e32 v2, vcc, v6, v2
	v_mov_b32_dpp v5, v1 row_ror:8 row_mask:0xf bank_mask:0xf bound_ctrl:1
	v_addc_co_u32_e32 v1, vcc, 0, v1, vcc
	v_add_co_u32_e32 v6, vcc, 0, v2
	v_addc_co_u32_e32 v1, vcc, v1, v5, vcc
	v_mov_b32_dpp v2, v2 row_bcast:15 row_mask:0xf bank_mask:0xf bound_ctrl:1
	v_add_co_u32_e32 v2, vcc, v6, v2
	v_mov_b32_dpp v5, v1 row_bcast:15 row_mask:0xf bank_mask:0xf bound_ctrl:1
	v_addc_co_u32_e32 v1, vcc, 0, v1, vcc
	v_add_co_u32_e32 v6, vcc, 0, v2
	v_addc_co_u32_e32 v1, vcc, v1, v5, vcc
	v_mov_b32_dpp v2, v2 row_bcast:31 row_mask:0xf bank_mask:0xf bound_ctrl:1
	v_add_co_u32_e32 v2, vcc, v6, v2
	v_addc_co_u32_e32 v5, vcc, 0, v1, vcc
	v_cmp_eq_u32_e32 vcc, 0, v3
	s_nop 0
	v_add_u32_dpp v5, v1, v5 row_bcast:31 row_mask:0xf bank_mask:0xf bound_ctrl:1
	ds_bpermute_b32 v1, v8, v2
	ds_bpermute_b32 v2, v8, v5
	s_and_saveexec_b64 s[10:11], vcc
	s_cbranch_execz .LBB864_150
; %bb.149:
	v_lshrrev_b32_e32 v5, 3, v0
	v_and_b32_e32 v5, 24, v5
	s_waitcnt lgkmcnt(0)
	ds_write_b64 v5, v[1:2] offset:64
.LBB864_150:
	s_or_b64 exec, exec, s[10:11]
	v_cmp_gt_u32_e32 vcc, 64, v0
	s_waitcnt lgkmcnt(0)
	s_barrier
	s_and_saveexec_b64 s[10:11], vcc
	s_cbranch_execz .LBB864_152
; %bb.151:
	v_and_b32_e32 v5, 3, v3
	v_lshlrev_b32_e32 v1, 3, v5
	ds_read_b64 v[1:2], v1 offset:64
	v_cmp_ne_u32_e32 vcc, 3, v5
	v_addc_co_u32_e32 v3, vcc, 0, v3, vcc
	v_lshlrev_b32_e32 v3, 2, v3
	s_waitcnt lgkmcnt(0)
	ds_bpermute_b32 v5, v3, v1
	ds_bpermute_b32 v3, v3, v2
	v_or_b32_e32 v4, 8, v4
	s_waitcnt lgkmcnt(1)
	v_add_co_u32_e32 v1, vcc, v1, v5
	v_addc_co_u32_e32 v2, vcc, 0, v2, vcc
	ds_bpermute_b32 v5, v4, v1
	v_add_co_u32_e32 v1, vcc, 0, v1
	s_waitcnt lgkmcnt(1)
	v_addc_co_u32_e32 v2, vcc, v3, v2, vcc
	ds_bpermute_b32 v3, v4, v2
	s_waitcnt lgkmcnt(1)
	v_add_co_u32_e32 v1, vcc, v1, v5
	v_addc_co_u32_e32 v2, vcc, 0, v2, vcc
	v_add_co_u32_e32 v1, vcc, 0, v1
	s_waitcnt lgkmcnt(0)
	v_addc_co_u32_e32 v2, vcc, v2, v3, vcc
.LBB864_152:
	s_or_b64 exec, exec, s[10:11]
	s_branch .LBB864_177
.LBB864_153:
                                        ; implicit-def: $vgpr1_vgpr2
                                        ; implicit-def: $vgpr3_vgpr4
	s_cbranch_execnz .LBB864_178
	s_branch .LBB864_206
.LBB864_154:
	s_branch .LBB864_206
.LBB864_155:
                                        ; implicit-def: $vgpr1_vgpr2
	s_cbranch_execz .LBB864_177
; %bb.156:
	s_sub_i32 s10, s20, s8
	v_mov_b32_e32 v1, 0
	v_cmp_gt_u32_e32 vcc, s10, v0
	v_mov_b32_e32 v2, v1
	v_mov_b32_e32 v3, v1
	;; [unrolled: 1-line block ×3, first 2 shown]
	s_and_saveexec_b64 s[8:9], vcc
	s_cbranch_execz .LBB864_158
; %bb.157:
	v_lshlrev_b32_e32 v2, 2, v0
	global_load_dword v5, v2, s[0:1]
	global_load_dword v6, v2, s[2:3]
	v_mov_b32_e32 v3, v1
	v_mov_b32_e32 v4, v1
	s_waitcnt vmcnt(0)
	v_cmp_ne_u32_e32 vcc, v5, v6
	v_cndmask_b32_e64 v2, 0, 1, vcc
	v_and_b32_e32 v2, 0xffff, v2
	v_mov_b32_e32 v5, v1
	v_mov_b32_e32 v1, v2
	;; [unrolled: 1-line block ×5, first 2 shown]
.LBB864_158:
	s_or_b64 exec, exec, s[8:9]
	v_or_b32_e32 v5, 0x100, v0
	v_cmp_gt_u32_e32 vcc, s10, v5
	s_and_saveexec_b64 s[8:9], vcc
	s_cbranch_execz .LBB864_160
; %bb.159:
	v_lshlrev_b32_e32 v3, 2, v0
	global_load_dword v4, v3, s[0:1] offset:1024
	global_load_dword v5, v3, s[2:3] offset:1024
	s_mov_b32 s2, 0
	s_waitcnt vmcnt(0)
	v_cmp_ne_u32_e64 s[0:1], v4, v5
	v_cndmask_b32_e64 v3, 0, 1, s[0:1]
	v_mov_b32_e32 v4, s2
.LBB864_160:
	s_or_b64 exec, exec, s[8:9]
	v_cndmask_b32_e32 v3, 0, v3, vcc
	v_cndmask_b32_e32 v4, 0, v4, vcc
	v_add_co_u32_e32 v1, vcc, v3, v1
	v_mbcnt_lo_u32_b32 v3, -1, 0
	v_mbcnt_hi_u32_b32 v3, -1, v3
	v_addc_co_u32_e32 v2, vcc, v4, v2, vcc
	v_and_b32_e32 v4, 63, v3
	v_cmp_ne_u32_e32 vcc, 63, v4
	v_addc_co_u32_e32 v6, vcc, 0, v3, vcc
	v_lshlrev_b32_e32 v6, 2, v6
	ds_bpermute_b32 v8, v6, v1
	ds_bpermute_b32 v7, v6, v2
	s_min_u32 s2, s10, 0x100
	v_and_b32_e32 v5, 0xc0, v0
	v_sub_u32_e64 v5, s2, v5 clamp
	v_add_u32_e32 v6, 1, v4
	v_cmp_lt_u32_e32 vcc, v6, v5
	v_mov_b32_e32 v6, v1
	s_and_saveexec_b64 s[0:1], vcc
	s_cbranch_execz .LBB864_162
; %bb.161:
	s_waitcnt lgkmcnt(1)
	v_add_co_u32_e32 v6, vcc, v1, v8
	v_addc_co_u32_e32 v2, vcc, 0, v2, vcc
	v_add_co_u32_e32 v1, vcc, 0, v6
	s_waitcnt lgkmcnt(0)
	v_addc_co_u32_e32 v2, vcc, v7, v2, vcc
.LBB864_162:
	s_or_b64 exec, exec, s[0:1]
	v_cmp_gt_u32_e32 vcc, 62, v4
	s_waitcnt lgkmcnt(0)
	v_cndmask_b32_e64 v7, 0, 2, vcc
	v_add_lshl_u32 v7, v7, v3, 2
	ds_bpermute_b32 v8, v7, v6
	ds_bpermute_b32 v7, v7, v2
	v_add_u32_e32 v9, 2, v4
	v_cmp_lt_u32_e32 vcc, v9, v5
	s_and_saveexec_b64 s[0:1], vcc
	s_cbranch_execz .LBB864_164
; %bb.163:
	s_waitcnt lgkmcnt(1)
	v_add_co_u32_e32 v6, vcc, v1, v8
	v_addc_co_u32_e32 v2, vcc, 0, v2, vcc
	v_add_co_u32_e32 v1, vcc, 0, v6
	s_waitcnt lgkmcnt(0)
	v_addc_co_u32_e32 v2, vcc, v7, v2, vcc
.LBB864_164:
	s_or_b64 exec, exec, s[0:1]
	v_cmp_gt_u32_e32 vcc, 60, v4
	s_waitcnt lgkmcnt(0)
	v_cndmask_b32_e64 v7, 0, 4, vcc
	v_add_lshl_u32 v7, v7, v3, 2
	ds_bpermute_b32 v8, v7, v6
	ds_bpermute_b32 v7, v7, v2
	v_add_u32_e32 v9, 4, v4
	v_cmp_lt_u32_e32 vcc, v9, v5
	;; [unrolled: 19-line block ×4, first 2 shown]
	s_and_saveexec_b64 s[0:1], vcc
	s_cbranch_execz .LBB864_170
; %bb.169:
	s_waitcnt lgkmcnt(1)
	v_add_co_u32_e32 v6, vcc, v1, v8
	v_addc_co_u32_e32 v2, vcc, 0, v2, vcc
	v_add_co_u32_e32 v1, vcc, 0, v6
	s_waitcnt lgkmcnt(0)
	v_addc_co_u32_e32 v2, vcc, v7, v2, vcc
.LBB864_170:
	s_or_b64 exec, exec, s[0:1]
	s_waitcnt lgkmcnt(0)
	v_lshlrev_b32_e32 v7, 2, v3
	v_or_b32_e32 v8, 0x80, v7
	ds_bpermute_b32 v6, v8, v6
	ds_bpermute_b32 v8, v8, v2
	v_add_u32_e32 v4, 32, v4
	s_waitcnt lgkmcnt(1)
	v_add_co_u32_e32 v6, vcc, v1, v6
	v_addc_co_u32_e32 v9, vcc, 0, v2, vcc
	v_add_co_u32_e32 v6, vcc, 0, v6
	s_waitcnt lgkmcnt(0)
	v_addc_co_u32_e32 v8, vcc, v9, v8, vcc
	v_cmp_lt_u32_e32 vcc, v4, v5
	v_cndmask_b32_e32 v2, v2, v8, vcc
	v_cndmask_b32_e32 v1, v1, v6, vcc
	v_cmp_eq_u32_e32 vcc, 0, v3
	s_and_saveexec_b64 s[0:1], vcc
; %bb.171:
	v_lshrrev_b32_e32 v4, 3, v0
	v_and_b32_e32 v4, 24, v4
	ds_write_b64 v4, v[1:2] offset:160
; %bb.172:
	s_or_b64 exec, exec, s[0:1]
	v_cmp_gt_u32_e32 vcc, 4, v0
	s_waitcnt lgkmcnt(0)
	s_barrier
	s_and_saveexec_b64 s[0:1], vcc
	s_cbranch_execz .LBB864_176
; %bb.173:
	v_lshlrev_b32_e32 v1, 3, v3
	ds_read_b64 v[1:2], v1 offset:160
	v_and_b32_e32 v4, 3, v3
	v_cmp_ne_u32_e32 vcc, 3, v4
	v_addc_co_u32_e32 v3, vcc, 0, v3, vcc
	v_lshlrev_b32_e32 v3, 2, v3
	s_waitcnt lgkmcnt(0)
	ds_bpermute_b32 v6, v3, v1
	ds_bpermute_b32 v5, v3, v2
	s_add_i32 s2, s2, 63
	s_lshr_b32 s8, s2, 6
	v_add_u32_e32 v3, 1, v4
	v_cmp_gt_u32_e32 vcc, s8, v3
	v_mov_b32_e32 v3, v1
	s_and_saveexec_b64 s[2:3], vcc
	s_cbranch_execz .LBB864_175
; %bb.174:
	s_waitcnt lgkmcnt(1)
	v_add_co_u32_e32 v3, vcc, v1, v6
	v_addc_co_u32_e32 v2, vcc, 0, v2, vcc
	v_add_co_u32_e32 v1, vcc, 0, v3
	s_waitcnt lgkmcnt(0)
	v_addc_co_u32_e32 v2, vcc, v5, v2, vcc
.LBB864_175:
	s_or_b64 exec, exec, s[2:3]
	s_waitcnt lgkmcnt(0)
	v_or_b32_e32 v5, 8, v7
	ds_bpermute_b32 v3, v5, v3
	ds_bpermute_b32 v5, v5, v2
	v_add_u32_e32 v4, 2, v4
	s_waitcnt lgkmcnt(1)
	v_add_co_u32_e32 v3, vcc, v1, v3
	v_addc_co_u32_e32 v6, vcc, 0, v2, vcc
	v_add_co_u32_e32 v3, vcc, 0, v3
	s_waitcnt lgkmcnt(0)
	v_addc_co_u32_e32 v5, vcc, v6, v5, vcc
	v_cmp_gt_u32_e32 vcc, s8, v4
	v_cndmask_b32_e32 v2, v2, v5, vcc
	v_cndmask_b32_e32 v1, v1, v3, vcc
.LBB864_176:
	s_or_b64 exec, exec, s[0:1]
.LBB864_177:
	v_mov_b32_e32 v3, s6
	v_cmp_eq_u32_e64 s[0:1], 0, v0
	v_mov_b32_e32 v4, s7
	s_branch .LBB864_206
.LBB864_178:
	s_cmp_eq_u32 s30, 1
                                        ; implicit-def: $vgpr1_vgpr2
                                        ; implicit-def: $vgpr3_vgpr4
	s_cbranch_scc0 .LBB864_206
; %bb.179:
	s_mov_b32 s1, 0
	s_lshl_b32 s0, s6, 8
	s_mov_b32 s7, s1
	s_lshr_b64 s[2:3], s[20:21], 8
	s_cmp_lg_u64 s[2:3], s[6:7]
	v_mbcnt_lo_u32_b32 v3, -1, 0
	s_cbranch_scc0 .LBB864_185
; %bb.180:
	s_lshl_b64 s[2:3], s[0:1], 2
	s_add_u32 s8, s24, s2
	s_addc_u32 s9, s25, s3
	s_add_u32 s2, s26, s2
	v_lshlrev_b32_e32 v1, 2, v0
	s_addc_u32 s3, s27, s3
	global_load_dword v2, v1, s[8:9]
	global_load_dword v6, v1, s[2:3]
	v_mov_b32_e32 v1, 0
	v_mbcnt_hi_u32_b32 v4, -1, v3
	v_lshlrev_b32_e32 v5, 2, v4
	v_mov_b32_dpp v1, v1 quad_perm:[1,0,3,2] row_mask:0xf bank_mask:0xf bound_ctrl:1
	v_or_b32_e32 v7, 0xfc, v5
	s_waitcnt vmcnt(0)
	v_cmp_ne_u32_e32 vcc, v2, v6
	v_cndmask_b32_e64 v2, 0, 1, vcc
	s_nop 1
	v_mov_b32_dpp v6, v2 quad_perm:[1,0,3,2] row_mask:0xf bank_mask:0xf bound_ctrl:1
	v_add_co_u32_e32 v2, vcc, v6, v2
	v_addc_co_u32_e64 v6, s[2:3], 0, 0, vcc
	v_add_co_u32_e32 v8, vcc, 0, v2
	v_addc_co_u32_e32 v1, vcc, v1, v6, vcc
	v_mov_b32_dpp v2, v2 quad_perm:[2,3,0,1] row_mask:0xf bank_mask:0xf bound_ctrl:1
	v_add_co_u32_e32 v2, vcc, v8, v2
	v_mov_b32_dpp v6, v1 quad_perm:[2,3,0,1] row_mask:0xf bank_mask:0xf bound_ctrl:1
	v_addc_co_u32_e32 v1, vcc, 0, v1, vcc
	v_add_co_u32_e32 v8, vcc, 0, v2
	v_addc_co_u32_e32 v1, vcc, v1, v6, vcc
	v_mov_b32_dpp v2, v2 row_ror:4 row_mask:0xf bank_mask:0xf bound_ctrl:1
	v_add_co_u32_e32 v2, vcc, v8, v2
	v_mov_b32_dpp v6, v1 row_ror:4 row_mask:0xf bank_mask:0xf bound_ctrl:1
	v_addc_co_u32_e32 v1, vcc, 0, v1, vcc
	v_add_co_u32_e32 v8, vcc, 0, v2
	v_addc_co_u32_e32 v1, vcc, v1, v6, vcc
	v_mov_b32_dpp v2, v2 row_ror:8 row_mask:0xf bank_mask:0xf bound_ctrl:1
	v_add_co_u32_e32 v2, vcc, v8, v2
	v_mov_b32_dpp v6, v1 row_ror:8 row_mask:0xf bank_mask:0xf bound_ctrl:1
	v_addc_co_u32_e32 v1, vcc, 0, v1, vcc
	v_add_co_u32_e32 v8, vcc, 0, v2
	v_addc_co_u32_e32 v1, vcc, v1, v6, vcc
	v_mov_b32_dpp v2, v2 row_bcast:15 row_mask:0xf bank_mask:0xf bound_ctrl:1
	v_add_co_u32_e32 v2, vcc, v8, v2
	v_mov_b32_dpp v6, v1 row_bcast:15 row_mask:0xf bank_mask:0xf bound_ctrl:1
	v_addc_co_u32_e32 v1, vcc, 0, v1, vcc
	v_add_co_u32_e32 v8, vcc, 0, v2
	v_addc_co_u32_e32 v1, vcc, v1, v6, vcc
	v_mov_b32_dpp v2, v2 row_bcast:31 row_mask:0xf bank_mask:0xf bound_ctrl:1
	v_add_co_u32_e32 v2, vcc, v8, v2
	v_addc_co_u32_e32 v6, vcc, 0, v1, vcc
	v_cmp_eq_u32_e32 vcc, 0, v4
	s_nop 0
	v_add_u32_dpp v6, v1, v6 row_bcast:31 row_mask:0xf bank_mask:0xf bound_ctrl:1
	ds_bpermute_b32 v1, v7, v2
	ds_bpermute_b32 v2, v7, v6
	s_and_saveexec_b64 s[2:3], vcc
	s_cbranch_execz .LBB864_182
; %bb.181:
	v_lshrrev_b32_e32 v6, 3, v0
	v_and_b32_e32 v6, 24, v6
	s_waitcnt lgkmcnt(0)
	ds_write_b64 v6, v[1:2] offset:32
.LBB864_182:
	s_or_b64 exec, exec, s[2:3]
	v_cmp_gt_u32_e32 vcc, 64, v0
	s_waitcnt lgkmcnt(0)
	s_barrier
	s_and_saveexec_b64 s[2:3], vcc
	s_cbranch_execz .LBB864_184
; %bb.183:
	v_and_b32_e32 v6, 3, v4
	v_lshlrev_b32_e32 v1, 3, v6
	ds_read_b64 v[1:2], v1 offset:32
	v_cmp_ne_u32_e32 vcc, 3, v6
	v_addc_co_u32_e32 v4, vcc, 0, v4, vcc
	v_lshlrev_b32_e32 v4, 2, v4
	s_waitcnt lgkmcnt(0)
	ds_bpermute_b32 v6, v4, v1
	ds_bpermute_b32 v4, v4, v2
	v_or_b32_e32 v5, 8, v5
	s_waitcnt lgkmcnt(1)
	v_add_co_u32_e32 v1, vcc, v1, v6
	v_addc_co_u32_e32 v2, vcc, 0, v2, vcc
	ds_bpermute_b32 v6, v5, v1
	v_add_co_u32_e32 v1, vcc, 0, v1
	s_waitcnt lgkmcnt(1)
	v_addc_co_u32_e32 v2, vcc, v4, v2, vcc
	ds_bpermute_b32 v4, v5, v2
	s_waitcnt lgkmcnt(1)
	v_add_co_u32_e32 v1, vcc, v1, v6
	v_addc_co_u32_e32 v2, vcc, 0, v2, vcc
	v_add_co_u32_e32 v1, vcc, 0, v1
	s_waitcnt lgkmcnt(0)
	v_addc_co_u32_e32 v2, vcc, v2, v4, vcc
.LBB864_184:
	s_or_b64 exec, exec, s[2:3]
	s_branch .LBB864_205
.LBB864_185:
                                        ; implicit-def: $vgpr1_vgpr2
	s_cbranch_execz .LBB864_205
; %bb.186:
	s_sub_i32 s8, s20, s0
	v_cmp_gt_u32_e32 vcc, s8, v0
                                        ; implicit-def: $vgpr1_vgpr2
	s_and_saveexec_b64 s[2:3], vcc
	s_cbranch_execz .LBB864_188
; %bb.187:
	s_lshl_b64 s[0:1], s[0:1], 2
	s_add_u32 s10, s26, s0
	s_addc_u32 s11, s27, s1
	s_add_u32 s0, s24, s0
	v_lshlrev_b32_e32 v1, 2, v0
	s_addc_u32 s1, s25, s1
	global_load_dword v2, v1, s[0:1]
	global_load_dword v4, v1, s[10:11]
	s_mov_b32 s0, 0
	s_waitcnt vmcnt(0)
	v_cmp_ne_u32_e32 vcc, v2, v4
	v_cndmask_b32_e64 v1, 0, 1, vcc
	v_mov_b32_e32 v2, s0
.LBB864_188:
	s_or_b64 exec, exec, s[2:3]
	v_mbcnt_hi_u32_b32 v3, -1, v3
	v_and_b32_e32 v4, 63, v3
	v_cmp_ne_u32_e32 vcc, 63, v4
	v_addc_co_u32_e32 v6, vcc, 0, v3, vcc
	v_lshlrev_b32_e32 v6, 2, v6
	ds_bpermute_b32 v8, v6, v1
	ds_bpermute_b32 v7, v6, v2
	s_min_u32 s2, s8, 0x100
	v_and_b32_e32 v5, 0xc0, v0
	v_sub_u32_e64 v5, s2, v5 clamp
	v_add_u32_e32 v6, 1, v4
	v_cmp_lt_u32_e32 vcc, v6, v5
	v_mov_b32_e32 v6, v1
	s_and_saveexec_b64 s[0:1], vcc
	s_cbranch_execz .LBB864_190
; %bb.189:
	s_waitcnt lgkmcnt(1)
	v_add_co_u32_e32 v6, vcc, v1, v8
	v_addc_co_u32_e32 v2, vcc, 0, v2, vcc
	v_add_co_u32_e32 v1, vcc, 0, v6
	s_waitcnt lgkmcnt(0)
	v_addc_co_u32_e32 v2, vcc, v7, v2, vcc
.LBB864_190:
	s_or_b64 exec, exec, s[0:1]
	v_cmp_gt_u32_e32 vcc, 62, v4
	s_waitcnt lgkmcnt(0)
	v_cndmask_b32_e64 v7, 0, 2, vcc
	v_add_lshl_u32 v7, v7, v3, 2
	ds_bpermute_b32 v8, v7, v6
	ds_bpermute_b32 v7, v7, v2
	v_add_u32_e32 v9, 2, v4
	v_cmp_lt_u32_e32 vcc, v9, v5
	s_and_saveexec_b64 s[0:1], vcc
	s_cbranch_execz .LBB864_192
; %bb.191:
	s_waitcnt lgkmcnt(1)
	v_add_co_u32_e32 v6, vcc, v1, v8
	v_addc_co_u32_e32 v2, vcc, 0, v2, vcc
	v_add_co_u32_e32 v1, vcc, 0, v6
	s_waitcnt lgkmcnt(0)
	v_addc_co_u32_e32 v2, vcc, v7, v2, vcc
.LBB864_192:
	s_or_b64 exec, exec, s[0:1]
	v_cmp_gt_u32_e32 vcc, 60, v4
	s_waitcnt lgkmcnt(0)
	v_cndmask_b32_e64 v7, 0, 4, vcc
	v_add_lshl_u32 v7, v7, v3, 2
	ds_bpermute_b32 v8, v7, v6
	ds_bpermute_b32 v7, v7, v2
	v_add_u32_e32 v9, 4, v4
	v_cmp_lt_u32_e32 vcc, v9, v5
	s_and_saveexec_b64 s[0:1], vcc
	s_cbranch_execz .LBB864_194
; %bb.193:
	s_waitcnt lgkmcnt(1)
	v_add_co_u32_e32 v6, vcc, v1, v8
	v_addc_co_u32_e32 v2, vcc, 0, v2, vcc
	v_add_co_u32_e32 v1, vcc, 0, v6
	s_waitcnt lgkmcnt(0)
	v_addc_co_u32_e32 v2, vcc, v7, v2, vcc
.LBB864_194:
	s_or_b64 exec, exec, s[0:1]
	v_cmp_gt_u32_e32 vcc, 56, v4
	s_waitcnt lgkmcnt(0)
	v_cndmask_b32_e64 v7, 0, 8, vcc
	v_add_lshl_u32 v7, v7, v3, 2
	ds_bpermute_b32 v8, v7, v6
	ds_bpermute_b32 v7, v7, v2
	v_add_u32_e32 v9, 8, v4
	v_cmp_lt_u32_e32 vcc, v9, v5
	s_and_saveexec_b64 s[0:1], vcc
	s_cbranch_execz .LBB864_196
; %bb.195:
	s_waitcnt lgkmcnt(1)
	v_add_co_u32_e32 v6, vcc, v1, v8
	v_addc_co_u32_e32 v2, vcc, 0, v2, vcc
	v_add_co_u32_e32 v1, vcc, 0, v6
	s_waitcnt lgkmcnt(0)
	v_addc_co_u32_e32 v2, vcc, v7, v2, vcc
.LBB864_196:
	s_or_b64 exec, exec, s[0:1]
	v_cmp_gt_u32_e32 vcc, 48, v4
	s_waitcnt lgkmcnt(0)
	v_cndmask_b32_e64 v7, 0, 16, vcc
	v_add_lshl_u32 v7, v7, v3, 2
	ds_bpermute_b32 v8, v7, v6
	ds_bpermute_b32 v7, v7, v2
	v_add_u32_e32 v9, 16, v4
	v_cmp_lt_u32_e32 vcc, v9, v5
	s_and_saveexec_b64 s[0:1], vcc
	s_cbranch_execz .LBB864_198
; %bb.197:
	s_waitcnt lgkmcnt(1)
	v_add_co_u32_e32 v6, vcc, v1, v8
	v_addc_co_u32_e32 v2, vcc, 0, v2, vcc
	v_add_co_u32_e32 v1, vcc, 0, v6
	s_waitcnt lgkmcnt(0)
	v_addc_co_u32_e32 v2, vcc, v7, v2, vcc
.LBB864_198:
	s_or_b64 exec, exec, s[0:1]
	s_waitcnt lgkmcnt(0)
	v_lshlrev_b32_e32 v7, 2, v3
	v_or_b32_e32 v8, 0x80, v7
	ds_bpermute_b32 v6, v8, v6
	ds_bpermute_b32 v8, v8, v2
	v_add_u32_e32 v4, 32, v4
	s_waitcnt lgkmcnt(1)
	v_add_co_u32_e32 v6, vcc, v1, v6
	v_addc_co_u32_e32 v9, vcc, 0, v2, vcc
	v_add_co_u32_e32 v6, vcc, 0, v6
	s_waitcnt lgkmcnt(0)
	v_addc_co_u32_e32 v8, vcc, v9, v8, vcc
	v_cmp_lt_u32_e32 vcc, v4, v5
	v_cndmask_b32_e32 v2, v2, v8, vcc
	v_cndmask_b32_e32 v1, v1, v6, vcc
	v_cmp_eq_u32_e32 vcc, 0, v3
	s_and_saveexec_b64 s[0:1], vcc
; %bb.199:
	v_lshrrev_b32_e32 v4, 3, v0
	v_and_b32_e32 v4, 24, v4
	ds_write_b64 v4, v[1:2] offset:160
; %bb.200:
	s_or_b64 exec, exec, s[0:1]
	v_cmp_gt_u32_e32 vcc, 4, v0
	s_waitcnt lgkmcnt(0)
	s_barrier
	s_and_saveexec_b64 s[0:1], vcc
	s_cbranch_execz .LBB864_204
; %bb.201:
	v_lshlrev_b32_e32 v1, 3, v3
	ds_read_b64 v[1:2], v1 offset:160
	v_and_b32_e32 v4, 3, v3
	v_cmp_ne_u32_e32 vcc, 3, v4
	v_addc_co_u32_e32 v3, vcc, 0, v3, vcc
	v_lshlrev_b32_e32 v3, 2, v3
	s_waitcnt lgkmcnt(0)
	ds_bpermute_b32 v6, v3, v1
	ds_bpermute_b32 v5, v3, v2
	s_add_i32 s2, s2, 63
	s_lshr_b32 s8, s2, 6
	v_add_u32_e32 v3, 1, v4
	v_cmp_gt_u32_e32 vcc, s8, v3
	v_mov_b32_e32 v3, v1
	s_and_saveexec_b64 s[2:3], vcc
	s_cbranch_execz .LBB864_203
; %bb.202:
	s_waitcnt lgkmcnt(1)
	v_add_co_u32_e32 v3, vcc, v1, v6
	v_addc_co_u32_e32 v2, vcc, 0, v2, vcc
	v_add_co_u32_e32 v1, vcc, 0, v3
	s_waitcnt lgkmcnt(0)
	v_addc_co_u32_e32 v2, vcc, v5, v2, vcc
.LBB864_203:
	s_or_b64 exec, exec, s[2:3]
	s_waitcnt lgkmcnt(0)
	v_or_b32_e32 v5, 8, v7
	ds_bpermute_b32 v3, v5, v3
	ds_bpermute_b32 v5, v5, v2
	v_add_u32_e32 v4, 2, v4
	s_waitcnt lgkmcnt(1)
	v_add_co_u32_e32 v3, vcc, v1, v3
	v_addc_co_u32_e32 v6, vcc, 0, v2, vcc
	v_add_co_u32_e32 v3, vcc, 0, v3
	s_waitcnt lgkmcnt(0)
	v_addc_co_u32_e32 v5, vcc, v6, v5, vcc
	v_cmp_gt_u32_e32 vcc, s8, v4
	v_cndmask_b32_e32 v2, v2, v5, vcc
	v_cndmask_b32_e32 v1, v1, v3, vcc
.LBB864_204:
	s_or_b64 exec, exec, s[0:1]
.LBB864_205:
	v_mov_b32_e32 v3, s6
	v_cmp_eq_u32_e64 s[0:1], 0, v0
	v_mov_b32_e32 v4, s7
.LBB864_206:
	s_and_saveexec_b64 s[2:3], s[0:1]
	s_cbranch_execz .LBB864_208
; %bb.207:
	v_lshlrev_b64 v[3:4], 3, v[3:4]
	s_load_dwordx2 s[0:1], s[4:5], 0x30
	v_mov_b32_e32 v0, s23
	v_add_co_u32_e32 v3, vcc, s22, v3
	v_addc_co_u32_e32 v4, vcc, v0, v4, vcc
	s_cmp_lg_u64 s[20:21], 0
	s_cselect_b64 vcc, -1, 0
	v_cndmask_b32_e32 v0, 0, v1, vcc
	v_cndmask_b32_e32 v2, 0, v2, vcc
	s_waitcnt lgkmcnt(0)
	v_mov_b32_e32 v1, s1
	v_add_co_u32_e32 v0, vcc, s0, v0
	v_addc_co_u32_e32 v1, vcc, v2, v1, vcc
	global_store_dwordx2 v[3:4], v[0:1], off
.LBB864_208:
	s_endpgm
	.section	.rodata,"a",@progbits
	.p2align	6, 0x0
	.amdhsa_kernel _ZN7rocprim17ROCPRIM_400000_NS6detail17trampoline_kernelINS0_14default_configENS1_22reduce_config_selectorIlEEZNS1_11reduce_implILb1ES3_N6thrust23THRUST_200600_302600_NS11hip_rocprim26transform_input_iterator_tIlNS8_12zip_iteratorINS8_5tupleINS8_6detail15normal_iteratorINS8_10device_ptrIjEEEESH_NS8_9null_typeESI_SI_SI_SI_SI_SI_SI_EEEENS9_21zip_adj_not_predicateINS8_8equal_toIjEEEEEEPllNS8_4plusIlEEEE10hipError_tPvRmT1_T2_T3_mT4_P12ihipStream_tbEUlT_E1_NS1_11comp_targetILNS1_3genE2ELNS1_11target_archE906ELNS1_3gpuE6ELNS1_3repE0EEENS1_30default_config_static_selectorELNS0_4arch9wavefront6targetE1EEEvSW_
		.amdhsa_group_segment_fixed_size 192
		.amdhsa_private_segment_fixed_size 0
		.amdhsa_kernarg_size 64
		.amdhsa_user_sgpr_count 6
		.amdhsa_user_sgpr_private_segment_buffer 1
		.amdhsa_user_sgpr_dispatch_ptr 0
		.amdhsa_user_sgpr_queue_ptr 0
		.amdhsa_user_sgpr_kernarg_segment_ptr 1
		.amdhsa_user_sgpr_dispatch_id 0
		.amdhsa_user_sgpr_flat_scratch_init 0
		.amdhsa_user_sgpr_private_segment_size 0
		.amdhsa_uses_dynamic_stack 0
		.amdhsa_system_sgpr_private_segment_wavefront_offset 0
		.amdhsa_system_sgpr_workgroup_id_x 1
		.amdhsa_system_sgpr_workgroup_id_y 0
		.amdhsa_system_sgpr_workgroup_id_z 0
		.amdhsa_system_sgpr_workgroup_info 0
		.amdhsa_system_vgpr_workitem_id 0
		.amdhsa_next_free_vgpr 34
		.amdhsa_next_free_sgpr 34
		.amdhsa_reserve_vcc 1
		.amdhsa_reserve_flat_scratch 0
		.amdhsa_float_round_mode_32 0
		.amdhsa_float_round_mode_16_64 0
		.amdhsa_float_denorm_mode_32 3
		.amdhsa_float_denorm_mode_16_64 3
		.amdhsa_dx10_clamp 1
		.amdhsa_ieee_mode 1
		.amdhsa_fp16_overflow 0
		.amdhsa_exception_fp_ieee_invalid_op 0
		.amdhsa_exception_fp_denorm_src 0
		.amdhsa_exception_fp_ieee_div_zero 0
		.amdhsa_exception_fp_ieee_overflow 0
		.amdhsa_exception_fp_ieee_underflow 0
		.amdhsa_exception_fp_ieee_inexact 0
		.amdhsa_exception_int_div_zero 0
	.end_amdhsa_kernel
	.section	.text._ZN7rocprim17ROCPRIM_400000_NS6detail17trampoline_kernelINS0_14default_configENS1_22reduce_config_selectorIlEEZNS1_11reduce_implILb1ES3_N6thrust23THRUST_200600_302600_NS11hip_rocprim26transform_input_iterator_tIlNS8_12zip_iteratorINS8_5tupleINS8_6detail15normal_iteratorINS8_10device_ptrIjEEEESH_NS8_9null_typeESI_SI_SI_SI_SI_SI_SI_EEEENS9_21zip_adj_not_predicateINS8_8equal_toIjEEEEEEPllNS8_4plusIlEEEE10hipError_tPvRmT1_T2_T3_mT4_P12ihipStream_tbEUlT_E1_NS1_11comp_targetILNS1_3genE2ELNS1_11target_archE906ELNS1_3gpuE6ELNS1_3repE0EEENS1_30default_config_static_selectorELNS0_4arch9wavefront6targetE1EEEvSW_,"axG",@progbits,_ZN7rocprim17ROCPRIM_400000_NS6detail17trampoline_kernelINS0_14default_configENS1_22reduce_config_selectorIlEEZNS1_11reduce_implILb1ES3_N6thrust23THRUST_200600_302600_NS11hip_rocprim26transform_input_iterator_tIlNS8_12zip_iteratorINS8_5tupleINS8_6detail15normal_iteratorINS8_10device_ptrIjEEEESH_NS8_9null_typeESI_SI_SI_SI_SI_SI_SI_EEEENS9_21zip_adj_not_predicateINS8_8equal_toIjEEEEEEPllNS8_4plusIlEEEE10hipError_tPvRmT1_T2_T3_mT4_P12ihipStream_tbEUlT_E1_NS1_11comp_targetILNS1_3genE2ELNS1_11target_archE906ELNS1_3gpuE6ELNS1_3repE0EEENS1_30default_config_static_selectorELNS0_4arch9wavefront6targetE1EEEvSW_,comdat
.Lfunc_end864:
	.size	_ZN7rocprim17ROCPRIM_400000_NS6detail17trampoline_kernelINS0_14default_configENS1_22reduce_config_selectorIlEEZNS1_11reduce_implILb1ES3_N6thrust23THRUST_200600_302600_NS11hip_rocprim26transform_input_iterator_tIlNS8_12zip_iteratorINS8_5tupleINS8_6detail15normal_iteratorINS8_10device_ptrIjEEEESH_NS8_9null_typeESI_SI_SI_SI_SI_SI_SI_EEEENS9_21zip_adj_not_predicateINS8_8equal_toIjEEEEEEPllNS8_4plusIlEEEE10hipError_tPvRmT1_T2_T3_mT4_P12ihipStream_tbEUlT_E1_NS1_11comp_targetILNS1_3genE2ELNS1_11target_archE906ELNS1_3gpuE6ELNS1_3repE0EEENS1_30default_config_static_selectorELNS0_4arch9wavefront6targetE1EEEvSW_, .Lfunc_end864-_ZN7rocprim17ROCPRIM_400000_NS6detail17trampoline_kernelINS0_14default_configENS1_22reduce_config_selectorIlEEZNS1_11reduce_implILb1ES3_N6thrust23THRUST_200600_302600_NS11hip_rocprim26transform_input_iterator_tIlNS8_12zip_iteratorINS8_5tupleINS8_6detail15normal_iteratorINS8_10device_ptrIjEEEESH_NS8_9null_typeESI_SI_SI_SI_SI_SI_SI_EEEENS9_21zip_adj_not_predicateINS8_8equal_toIjEEEEEEPllNS8_4plusIlEEEE10hipError_tPvRmT1_T2_T3_mT4_P12ihipStream_tbEUlT_E1_NS1_11comp_targetILNS1_3genE2ELNS1_11target_archE906ELNS1_3gpuE6ELNS1_3repE0EEENS1_30default_config_static_selectorELNS0_4arch9wavefront6targetE1EEEvSW_
                                        ; -- End function
	.set _ZN7rocprim17ROCPRIM_400000_NS6detail17trampoline_kernelINS0_14default_configENS1_22reduce_config_selectorIlEEZNS1_11reduce_implILb1ES3_N6thrust23THRUST_200600_302600_NS11hip_rocprim26transform_input_iterator_tIlNS8_12zip_iteratorINS8_5tupleINS8_6detail15normal_iteratorINS8_10device_ptrIjEEEESH_NS8_9null_typeESI_SI_SI_SI_SI_SI_SI_EEEENS9_21zip_adj_not_predicateINS8_8equal_toIjEEEEEEPllNS8_4plusIlEEEE10hipError_tPvRmT1_T2_T3_mT4_P12ihipStream_tbEUlT_E1_NS1_11comp_targetILNS1_3genE2ELNS1_11target_archE906ELNS1_3gpuE6ELNS1_3repE0EEENS1_30default_config_static_selectorELNS0_4arch9wavefront6targetE1EEEvSW_.num_vgpr, 34
	.set _ZN7rocprim17ROCPRIM_400000_NS6detail17trampoline_kernelINS0_14default_configENS1_22reduce_config_selectorIlEEZNS1_11reduce_implILb1ES3_N6thrust23THRUST_200600_302600_NS11hip_rocprim26transform_input_iterator_tIlNS8_12zip_iteratorINS8_5tupleINS8_6detail15normal_iteratorINS8_10device_ptrIjEEEESH_NS8_9null_typeESI_SI_SI_SI_SI_SI_SI_EEEENS9_21zip_adj_not_predicateINS8_8equal_toIjEEEEEEPllNS8_4plusIlEEEE10hipError_tPvRmT1_T2_T3_mT4_P12ihipStream_tbEUlT_E1_NS1_11comp_targetILNS1_3genE2ELNS1_11target_archE906ELNS1_3gpuE6ELNS1_3repE0EEENS1_30default_config_static_selectorELNS0_4arch9wavefront6targetE1EEEvSW_.num_agpr, 0
	.set _ZN7rocprim17ROCPRIM_400000_NS6detail17trampoline_kernelINS0_14default_configENS1_22reduce_config_selectorIlEEZNS1_11reduce_implILb1ES3_N6thrust23THRUST_200600_302600_NS11hip_rocprim26transform_input_iterator_tIlNS8_12zip_iteratorINS8_5tupleINS8_6detail15normal_iteratorINS8_10device_ptrIjEEEESH_NS8_9null_typeESI_SI_SI_SI_SI_SI_SI_EEEENS9_21zip_adj_not_predicateINS8_8equal_toIjEEEEEEPllNS8_4plusIlEEEE10hipError_tPvRmT1_T2_T3_mT4_P12ihipStream_tbEUlT_E1_NS1_11comp_targetILNS1_3genE2ELNS1_11target_archE906ELNS1_3gpuE6ELNS1_3repE0EEENS1_30default_config_static_selectorELNS0_4arch9wavefront6targetE1EEEvSW_.numbered_sgpr, 34
	.set _ZN7rocprim17ROCPRIM_400000_NS6detail17trampoline_kernelINS0_14default_configENS1_22reduce_config_selectorIlEEZNS1_11reduce_implILb1ES3_N6thrust23THRUST_200600_302600_NS11hip_rocprim26transform_input_iterator_tIlNS8_12zip_iteratorINS8_5tupleINS8_6detail15normal_iteratorINS8_10device_ptrIjEEEESH_NS8_9null_typeESI_SI_SI_SI_SI_SI_SI_EEEENS9_21zip_adj_not_predicateINS8_8equal_toIjEEEEEEPllNS8_4plusIlEEEE10hipError_tPvRmT1_T2_T3_mT4_P12ihipStream_tbEUlT_E1_NS1_11comp_targetILNS1_3genE2ELNS1_11target_archE906ELNS1_3gpuE6ELNS1_3repE0EEENS1_30default_config_static_selectorELNS0_4arch9wavefront6targetE1EEEvSW_.num_named_barrier, 0
	.set _ZN7rocprim17ROCPRIM_400000_NS6detail17trampoline_kernelINS0_14default_configENS1_22reduce_config_selectorIlEEZNS1_11reduce_implILb1ES3_N6thrust23THRUST_200600_302600_NS11hip_rocprim26transform_input_iterator_tIlNS8_12zip_iteratorINS8_5tupleINS8_6detail15normal_iteratorINS8_10device_ptrIjEEEESH_NS8_9null_typeESI_SI_SI_SI_SI_SI_SI_EEEENS9_21zip_adj_not_predicateINS8_8equal_toIjEEEEEEPllNS8_4plusIlEEEE10hipError_tPvRmT1_T2_T3_mT4_P12ihipStream_tbEUlT_E1_NS1_11comp_targetILNS1_3genE2ELNS1_11target_archE906ELNS1_3gpuE6ELNS1_3repE0EEENS1_30default_config_static_selectorELNS0_4arch9wavefront6targetE1EEEvSW_.private_seg_size, 0
	.set _ZN7rocprim17ROCPRIM_400000_NS6detail17trampoline_kernelINS0_14default_configENS1_22reduce_config_selectorIlEEZNS1_11reduce_implILb1ES3_N6thrust23THRUST_200600_302600_NS11hip_rocprim26transform_input_iterator_tIlNS8_12zip_iteratorINS8_5tupleINS8_6detail15normal_iteratorINS8_10device_ptrIjEEEESH_NS8_9null_typeESI_SI_SI_SI_SI_SI_SI_EEEENS9_21zip_adj_not_predicateINS8_8equal_toIjEEEEEEPllNS8_4plusIlEEEE10hipError_tPvRmT1_T2_T3_mT4_P12ihipStream_tbEUlT_E1_NS1_11comp_targetILNS1_3genE2ELNS1_11target_archE906ELNS1_3gpuE6ELNS1_3repE0EEENS1_30default_config_static_selectorELNS0_4arch9wavefront6targetE1EEEvSW_.uses_vcc, 1
	.set _ZN7rocprim17ROCPRIM_400000_NS6detail17trampoline_kernelINS0_14default_configENS1_22reduce_config_selectorIlEEZNS1_11reduce_implILb1ES3_N6thrust23THRUST_200600_302600_NS11hip_rocprim26transform_input_iterator_tIlNS8_12zip_iteratorINS8_5tupleINS8_6detail15normal_iteratorINS8_10device_ptrIjEEEESH_NS8_9null_typeESI_SI_SI_SI_SI_SI_SI_EEEENS9_21zip_adj_not_predicateINS8_8equal_toIjEEEEEEPllNS8_4plusIlEEEE10hipError_tPvRmT1_T2_T3_mT4_P12ihipStream_tbEUlT_E1_NS1_11comp_targetILNS1_3genE2ELNS1_11target_archE906ELNS1_3gpuE6ELNS1_3repE0EEENS1_30default_config_static_selectorELNS0_4arch9wavefront6targetE1EEEvSW_.uses_flat_scratch, 0
	.set _ZN7rocprim17ROCPRIM_400000_NS6detail17trampoline_kernelINS0_14default_configENS1_22reduce_config_selectorIlEEZNS1_11reduce_implILb1ES3_N6thrust23THRUST_200600_302600_NS11hip_rocprim26transform_input_iterator_tIlNS8_12zip_iteratorINS8_5tupleINS8_6detail15normal_iteratorINS8_10device_ptrIjEEEESH_NS8_9null_typeESI_SI_SI_SI_SI_SI_SI_EEEENS9_21zip_adj_not_predicateINS8_8equal_toIjEEEEEEPllNS8_4plusIlEEEE10hipError_tPvRmT1_T2_T3_mT4_P12ihipStream_tbEUlT_E1_NS1_11comp_targetILNS1_3genE2ELNS1_11target_archE906ELNS1_3gpuE6ELNS1_3repE0EEENS1_30default_config_static_selectorELNS0_4arch9wavefront6targetE1EEEvSW_.has_dyn_sized_stack, 0
	.set _ZN7rocprim17ROCPRIM_400000_NS6detail17trampoline_kernelINS0_14default_configENS1_22reduce_config_selectorIlEEZNS1_11reduce_implILb1ES3_N6thrust23THRUST_200600_302600_NS11hip_rocprim26transform_input_iterator_tIlNS8_12zip_iteratorINS8_5tupleINS8_6detail15normal_iteratorINS8_10device_ptrIjEEEESH_NS8_9null_typeESI_SI_SI_SI_SI_SI_SI_EEEENS9_21zip_adj_not_predicateINS8_8equal_toIjEEEEEEPllNS8_4plusIlEEEE10hipError_tPvRmT1_T2_T3_mT4_P12ihipStream_tbEUlT_E1_NS1_11comp_targetILNS1_3genE2ELNS1_11target_archE906ELNS1_3gpuE6ELNS1_3repE0EEENS1_30default_config_static_selectorELNS0_4arch9wavefront6targetE1EEEvSW_.has_recursion, 0
	.set _ZN7rocprim17ROCPRIM_400000_NS6detail17trampoline_kernelINS0_14default_configENS1_22reduce_config_selectorIlEEZNS1_11reduce_implILb1ES3_N6thrust23THRUST_200600_302600_NS11hip_rocprim26transform_input_iterator_tIlNS8_12zip_iteratorINS8_5tupleINS8_6detail15normal_iteratorINS8_10device_ptrIjEEEESH_NS8_9null_typeESI_SI_SI_SI_SI_SI_SI_EEEENS9_21zip_adj_not_predicateINS8_8equal_toIjEEEEEEPllNS8_4plusIlEEEE10hipError_tPvRmT1_T2_T3_mT4_P12ihipStream_tbEUlT_E1_NS1_11comp_targetILNS1_3genE2ELNS1_11target_archE906ELNS1_3gpuE6ELNS1_3repE0EEENS1_30default_config_static_selectorELNS0_4arch9wavefront6targetE1EEEvSW_.has_indirect_call, 0
	.section	.AMDGPU.csdata,"",@progbits
; Kernel info:
; codeLenInByte = 10652
; TotalNumSgprs: 38
; NumVgprs: 34
; ScratchSize: 0
; MemoryBound: 0
; FloatMode: 240
; IeeeMode: 1
; LDSByteSize: 192 bytes/workgroup (compile time only)
; SGPRBlocks: 4
; VGPRBlocks: 8
; NumSGPRsForWavesPerEU: 38
; NumVGPRsForWavesPerEU: 34
; Occupancy: 7
; WaveLimiterHint : 0
; COMPUTE_PGM_RSRC2:SCRATCH_EN: 0
; COMPUTE_PGM_RSRC2:USER_SGPR: 6
; COMPUTE_PGM_RSRC2:TRAP_HANDLER: 0
; COMPUTE_PGM_RSRC2:TGID_X_EN: 1
; COMPUTE_PGM_RSRC2:TGID_Y_EN: 0
; COMPUTE_PGM_RSRC2:TGID_Z_EN: 0
; COMPUTE_PGM_RSRC2:TIDIG_COMP_CNT: 0
	.section	.text._ZN7rocprim17ROCPRIM_400000_NS6detail17trampoline_kernelINS0_14default_configENS1_22reduce_config_selectorIlEEZNS1_11reduce_implILb1ES3_N6thrust23THRUST_200600_302600_NS11hip_rocprim26transform_input_iterator_tIlNS8_12zip_iteratorINS8_5tupleINS8_6detail15normal_iteratorINS8_10device_ptrIjEEEESH_NS8_9null_typeESI_SI_SI_SI_SI_SI_SI_EEEENS9_21zip_adj_not_predicateINS8_8equal_toIjEEEEEEPllNS8_4plusIlEEEE10hipError_tPvRmT1_T2_T3_mT4_P12ihipStream_tbEUlT_E1_NS1_11comp_targetILNS1_3genE10ELNS1_11target_archE1201ELNS1_3gpuE5ELNS1_3repE0EEENS1_30default_config_static_selectorELNS0_4arch9wavefront6targetE1EEEvSW_,"axG",@progbits,_ZN7rocprim17ROCPRIM_400000_NS6detail17trampoline_kernelINS0_14default_configENS1_22reduce_config_selectorIlEEZNS1_11reduce_implILb1ES3_N6thrust23THRUST_200600_302600_NS11hip_rocprim26transform_input_iterator_tIlNS8_12zip_iteratorINS8_5tupleINS8_6detail15normal_iteratorINS8_10device_ptrIjEEEESH_NS8_9null_typeESI_SI_SI_SI_SI_SI_SI_EEEENS9_21zip_adj_not_predicateINS8_8equal_toIjEEEEEEPllNS8_4plusIlEEEE10hipError_tPvRmT1_T2_T3_mT4_P12ihipStream_tbEUlT_E1_NS1_11comp_targetILNS1_3genE10ELNS1_11target_archE1201ELNS1_3gpuE5ELNS1_3repE0EEENS1_30default_config_static_selectorELNS0_4arch9wavefront6targetE1EEEvSW_,comdat
	.protected	_ZN7rocprim17ROCPRIM_400000_NS6detail17trampoline_kernelINS0_14default_configENS1_22reduce_config_selectorIlEEZNS1_11reduce_implILb1ES3_N6thrust23THRUST_200600_302600_NS11hip_rocprim26transform_input_iterator_tIlNS8_12zip_iteratorINS8_5tupleINS8_6detail15normal_iteratorINS8_10device_ptrIjEEEESH_NS8_9null_typeESI_SI_SI_SI_SI_SI_SI_EEEENS9_21zip_adj_not_predicateINS8_8equal_toIjEEEEEEPllNS8_4plusIlEEEE10hipError_tPvRmT1_T2_T3_mT4_P12ihipStream_tbEUlT_E1_NS1_11comp_targetILNS1_3genE10ELNS1_11target_archE1201ELNS1_3gpuE5ELNS1_3repE0EEENS1_30default_config_static_selectorELNS0_4arch9wavefront6targetE1EEEvSW_ ; -- Begin function _ZN7rocprim17ROCPRIM_400000_NS6detail17trampoline_kernelINS0_14default_configENS1_22reduce_config_selectorIlEEZNS1_11reduce_implILb1ES3_N6thrust23THRUST_200600_302600_NS11hip_rocprim26transform_input_iterator_tIlNS8_12zip_iteratorINS8_5tupleINS8_6detail15normal_iteratorINS8_10device_ptrIjEEEESH_NS8_9null_typeESI_SI_SI_SI_SI_SI_SI_EEEENS9_21zip_adj_not_predicateINS8_8equal_toIjEEEEEEPllNS8_4plusIlEEEE10hipError_tPvRmT1_T2_T3_mT4_P12ihipStream_tbEUlT_E1_NS1_11comp_targetILNS1_3genE10ELNS1_11target_archE1201ELNS1_3gpuE5ELNS1_3repE0EEENS1_30default_config_static_selectorELNS0_4arch9wavefront6targetE1EEEvSW_
	.globl	_ZN7rocprim17ROCPRIM_400000_NS6detail17trampoline_kernelINS0_14default_configENS1_22reduce_config_selectorIlEEZNS1_11reduce_implILb1ES3_N6thrust23THRUST_200600_302600_NS11hip_rocprim26transform_input_iterator_tIlNS8_12zip_iteratorINS8_5tupleINS8_6detail15normal_iteratorINS8_10device_ptrIjEEEESH_NS8_9null_typeESI_SI_SI_SI_SI_SI_SI_EEEENS9_21zip_adj_not_predicateINS8_8equal_toIjEEEEEEPllNS8_4plusIlEEEE10hipError_tPvRmT1_T2_T3_mT4_P12ihipStream_tbEUlT_E1_NS1_11comp_targetILNS1_3genE10ELNS1_11target_archE1201ELNS1_3gpuE5ELNS1_3repE0EEENS1_30default_config_static_selectorELNS0_4arch9wavefront6targetE1EEEvSW_
	.p2align	8
	.type	_ZN7rocprim17ROCPRIM_400000_NS6detail17trampoline_kernelINS0_14default_configENS1_22reduce_config_selectorIlEEZNS1_11reduce_implILb1ES3_N6thrust23THRUST_200600_302600_NS11hip_rocprim26transform_input_iterator_tIlNS8_12zip_iteratorINS8_5tupleINS8_6detail15normal_iteratorINS8_10device_ptrIjEEEESH_NS8_9null_typeESI_SI_SI_SI_SI_SI_SI_EEEENS9_21zip_adj_not_predicateINS8_8equal_toIjEEEEEEPllNS8_4plusIlEEEE10hipError_tPvRmT1_T2_T3_mT4_P12ihipStream_tbEUlT_E1_NS1_11comp_targetILNS1_3genE10ELNS1_11target_archE1201ELNS1_3gpuE5ELNS1_3repE0EEENS1_30default_config_static_selectorELNS0_4arch9wavefront6targetE1EEEvSW_,@function
_ZN7rocprim17ROCPRIM_400000_NS6detail17trampoline_kernelINS0_14default_configENS1_22reduce_config_selectorIlEEZNS1_11reduce_implILb1ES3_N6thrust23THRUST_200600_302600_NS11hip_rocprim26transform_input_iterator_tIlNS8_12zip_iteratorINS8_5tupleINS8_6detail15normal_iteratorINS8_10device_ptrIjEEEESH_NS8_9null_typeESI_SI_SI_SI_SI_SI_SI_EEEENS9_21zip_adj_not_predicateINS8_8equal_toIjEEEEEEPllNS8_4plusIlEEEE10hipError_tPvRmT1_T2_T3_mT4_P12ihipStream_tbEUlT_E1_NS1_11comp_targetILNS1_3genE10ELNS1_11target_archE1201ELNS1_3gpuE5ELNS1_3repE0EEENS1_30default_config_static_selectorELNS0_4arch9wavefront6targetE1EEEvSW_: ; @_ZN7rocprim17ROCPRIM_400000_NS6detail17trampoline_kernelINS0_14default_configENS1_22reduce_config_selectorIlEEZNS1_11reduce_implILb1ES3_N6thrust23THRUST_200600_302600_NS11hip_rocprim26transform_input_iterator_tIlNS8_12zip_iteratorINS8_5tupleINS8_6detail15normal_iteratorINS8_10device_ptrIjEEEESH_NS8_9null_typeESI_SI_SI_SI_SI_SI_SI_EEEENS9_21zip_adj_not_predicateINS8_8equal_toIjEEEEEEPllNS8_4plusIlEEEE10hipError_tPvRmT1_T2_T3_mT4_P12ihipStream_tbEUlT_E1_NS1_11comp_targetILNS1_3genE10ELNS1_11target_archE1201ELNS1_3gpuE5ELNS1_3repE0EEENS1_30default_config_static_selectorELNS0_4arch9wavefront6targetE1EEEvSW_
; %bb.0:
	.section	.rodata,"a",@progbits
	.p2align	6, 0x0
	.amdhsa_kernel _ZN7rocprim17ROCPRIM_400000_NS6detail17trampoline_kernelINS0_14default_configENS1_22reduce_config_selectorIlEEZNS1_11reduce_implILb1ES3_N6thrust23THRUST_200600_302600_NS11hip_rocprim26transform_input_iterator_tIlNS8_12zip_iteratorINS8_5tupleINS8_6detail15normal_iteratorINS8_10device_ptrIjEEEESH_NS8_9null_typeESI_SI_SI_SI_SI_SI_SI_EEEENS9_21zip_adj_not_predicateINS8_8equal_toIjEEEEEEPllNS8_4plusIlEEEE10hipError_tPvRmT1_T2_T3_mT4_P12ihipStream_tbEUlT_E1_NS1_11comp_targetILNS1_3genE10ELNS1_11target_archE1201ELNS1_3gpuE5ELNS1_3repE0EEENS1_30default_config_static_selectorELNS0_4arch9wavefront6targetE1EEEvSW_
		.amdhsa_group_segment_fixed_size 0
		.amdhsa_private_segment_fixed_size 0
		.amdhsa_kernarg_size 64
		.amdhsa_user_sgpr_count 6
		.amdhsa_user_sgpr_private_segment_buffer 1
		.amdhsa_user_sgpr_dispatch_ptr 0
		.amdhsa_user_sgpr_queue_ptr 0
		.amdhsa_user_sgpr_kernarg_segment_ptr 1
		.amdhsa_user_sgpr_dispatch_id 0
		.amdhsa_user_sgpr_flat_scratch_init 0
		.amdhsa_user_sgpr_private_segment_size 0
		.amdhsa_uses_dynamic_stack 0
		.amdhsa_system_sgpr_private_segment_wavefront_offset 0
		.amdhsa_system_sgpr_workgroup_id_x 1
		.amdhsa_system_sgpr_workgroup_id_y 0
		.amdhsa_system_sgpr_workgroup_id_z 0
		.amdhsa_system_sgpr_workgroup_info 0
		.amdhsa_system_vgpr_workitem_id 0
		.amdhsa_next_free_vgpr 1
		.amdhsa_next_free_sgpr 0
		.amdhsa_reserve_vcc 0
		.amdhsa_reserve_flat_scratch 0
		.amdhsa_float_round_mode_32 0
		.amdhsa_float_round_mode_16_64 0
		.amdhsa_float_denorm_mode_32 3
		.amdhsa_float_denorm_mode_16_64 3
		.amdhsa_dx10_clamp 1
		.amdhsa_ieee_mode 1
		.amdhsa_fp16_overflow 0
		.amdhsa_exception_fp_ieee_invalid_op 0
		.amdhsa_exception_fp_denorm_src 0
		.amdhsa_exception_fp_ieee_div_zero 0
		.amdhsa_exception_fp_ieee_overflow 0
		.amdhsa_exception_fp_ieee_underflow 0
		.amdhsa_exception_fp_ieee_inexact 0
		.amdhsa_exception_int_div_zero 0
	.end_amdhsa_kernel
	.section	.text._ZN7rocprim17ROCPRIM_400000_NS6detail17trampoline_kernelINS0_14default_configENS1_22reduce_config_selectorIlEEZNS1_11reduce_implILb1ES3_N6thrust23THRUST_200600_302600_NS11hip_rocprim26transform_input_iterator_tIlNS8_12zip_iteratorINS8_5tupleINS8_6detail15normal_iteratorINS8_10device_ptrIjEEEESH_NS8_9null_typeESI_SI_SI_SI_SI_SI_SI_EEEENS9_21zip_adj_not_predicateINS8_8equal_toIjEEEEEEPllNS8_4plusIlEEEE10hipError_tPvRmT1_T2_T3_mT4_P12ihipStream_tbEUlT_E1_NS1_11comp_targetILNS1_3genE10ELNS1_11target_archE1201ELNS1_3gpuE5ELNS1_3repE0EEENS1_30default_config_static_selectorELNS0_4arch9wavefront6targetE1EEEvSW_,"axG",@progbits,_ZN7rocprim17ROCPRIM_400000_NS6detail17trampoline_kernelINS0_14default_configENS1_22reduce_config_selectorIlEEZNS1_11reduce_implILb1ES3_N6thrust23THRUST_200600_302600_NS11hip_rocprim26transform_input_iterator_tIlNS8_12zip_iteratorINS8_5tupleINS8_6detail15normal_iteratorINS8_10device_ptrIjEEEESH_NS8_9null_typeESI_SI_SI_SI_SI_SI_SI_EEEENS9_21zip_adj_not_predicateINS8_8equal_toIjEEEEEEPllNS8_4plusIlEEEE10hipError_tPvRmT1_T2_T3_mT4_P12ihipStream_tbEUlT_E1_NS1_11comp_targetILNS1_3genE10ELNS1_11target_archE1201ELNS1_3gpuE5ELNS1_3repE0EEENS1_30default_config_static_selectorELNS0_4arch9wavefront6targetE1EEEvSW_,comdat
.Lfunc_end865:
	.size	_ZN7rocprim17ROCPRIM_400000_NS6detail17trampoline_kernelINS0_14default_configENS1_22reduce_config_selectorIlEEZNS1_11reduce_implILb1ES3_N6thrust23THRUST_200600_302600_NS11hip_rocprim26transform_input_iterator_tIlNS8_12zip_iteratorINS8_5tupleINS8_6detail15normal_iteratorINS8_10device_ptrIjEEEESH_NS8_9null_typeESI_SI_SI_SI_SI_SI_SI_EEEENS9_21zip_adj_not_predicateINS8_8equal_toIjEEEEEEPllNS8_4plusIlEEEE10hipError_tPvRmT1_T2_T3_mT4_P12ihipStream_tbEUlT_E1_NS1_11comp_targetILNS1_3genE10ELNS1_11target_archE1201ELNS1_3gpuE5ELNS1_3repE0EEENS1_30default_config_static_selectorELNS0_4arch9wavefront6targetE1EEEvSW_, .Lfunc_end865-_ZN7rocprim17ROCPRIM_400000_NS6detail17trampoline_kernelINS0_14default_configENS1_22reduce_config_selectorIlEEZNS1_11reduce_implILb1ES3_N6thrust23THRUST_200600_302600_NS11hip_rocprim26transform_input_iterator_tIlNS8_12zip_iteratorINS8_5tupleINS8_6detail15normal_iteratorINS8_10device_ptrIjEEEESH_NS8_9null_typeESI_SI_SI_SI_SI_SI_SI_EEEENS9_21zip_adj_not_predicateINS8_8equal_toIjEEEEEEPllNS8_4plusIlEEEE10hipError_tPvRmT1_T2_T3_mT4_P12ihipStream_tbEUlT_E1_NS1_11comp_targetILNS1_3genE10ELNS1_11target_archE1201ELNS1_3gpuE5ELNS1_3repE0EEENS1_30default_config_static_selectorELNS0_4arch9wavefront6targetE1EEEvSW_
                                        ; -- End function
	.set _ZN7rocprim17ROCPRIM_400000_NS6detail17trampoline_kernelINS0_14default_configENS1_22reduce_config_selectorIlEEZNS1_11reduce_implILb1ES3_N6thrust23THRUST_200600_302600_NS11hip_rocprim26transform_input_iterator_tIlNS8_12zip_iteratorINS8_5tupleINS8_6detail15normal_iteratorINS8_10device_ptrIjEEEESH_NS8_9null_typeESI_SI_SI_SI_SI_SI_SI_EEEENS9_21zip_adj_not_predicateINS8_8equal_toIjEEEEEEPllNS8_4plusIlEEEE10hipError_tPvRmT1_T2_T3_mT4_P12ihipStream_tbEUlT_E1_NS1_11comp_targetILNS1_3genE10ELNS1_11target_archE1201ELNS1_3gpuE5ELNS1_3repE0EEENS1_30default_config_static_selectorELNS0_4arch9wavefront6targetE1EEEvSW_.num_vgpr, 0
	.set _ZN7rocprim17ROCPRIM_400000_NS6detail17trampoline_kernelINS0_14default_configENS1_22reduce_config_selectorIlEEZNS1_11reduce_implILb1ES3_N6thrust23THRUST_200600_302600_NS11hip_rocprim26transform_input_iterator_tIlNS8_12zip_iteratorINS8_5tupleINS8_6detail15normal_iteratorINS8_10device_ptrIjEEEESH_NS8_9null_typeESI_SI_SI_SI_SI_SI_SI_EEEENS9_21zip_adj_not_predicateINS8_8equal_toIjEEEEEEPllNS8_4plusIlEEEE10hipError_tPvRmT1_T2_T3_mT4_P12ihipStream_tbEUlT_E1_NS1_11comp_targetILNS1_3genE10ELNS1_11target_archE1201ELNS1_3gpuE5ELNS1_3repE0EEENS1_30default_config_static_selectorELNS0_4arch9wavefront6targetE1EEEvSW_.num_agpr, 0
	.set _ZN7rocprim17ROCPRIM_400000_NS6detail17trampoline_kernelINS0_14default_configENS1_22reduce_config_selectorIlEEZNS1_11reduce_implILb1ES3_N6thrust23THRUST_200600_302600_NS11hip_rocprim26transform_input_iterator_tIlNS8_12zip_iteratorINS8_5tupleINS8_6detail15normal_iteratorINS8_10device_ptrIjEEEESH_NS8_9null_typeESI_SI_SI_SI_SI_SI_SI_EEEENS9_21zip_adj_not_predicateINS8_8equal_toIjEEEEEEPllNS8_4plusIlEEEE10hipError_tPvRmT1_T2_T3_mT4_P12ihipStream_tbEUlT_E1_NS1_11comp_targetILNS1_3genE10ELNS1_11target_archE1201ELNS1_3gpuE5ELNS1_3repE0EEENS1_30default_config_static_selectorELNS0_4arch9wavefront6targetE1EEEvSW_.numbered_sgpr, 0
	.set _ZN7rocprim17ROCPRIM_400000_NS6detail17trampoline_kernelINS0_14default_configENS1_22reduce_config_selectorIlEEZNS1_11reduce_implILb1ES3_N6thrust23THRUST_200600_302600_NS11hip_rocprim26transform_input_iterator_tIlNS8_12zip_iteratorINS8_5tupleINS8_6detail15normal_iteratorINS8_10device_ptrIjEEEESH_NS8_9null_typeESI_SI_SI_SI_SI_SI_SI_EEEENS9_21zip_adj_not_predicateINS8_8equal_toIjEEEEEEPllNS8_4plusIlEEEE10hipError_tPvRmT1_T2_T3_mT4_P12ihipStream_tbEUlT_E1_NS1_11comp_targetILNS1_3genE10ELNS1_11target_archE1201ELNS1_3gpuE5ELNS1_3repE0EEENS1_30default_config_static_selectorELNS0_4arch9wavefront6targetE1EEEvSW_.num_named_barrier, 0
	.set _ZN7rocprim17ROCPRIM_400000_NS6detail17trampoline_kernelINS0_14default_configENS1_22reduce_config_selectorIlEEZNS1_11reduce_implILb1ES3_N6thrust23THRUST_200600_302600_NS11hip_rocprim26transform_input_iterator_tIlNS8_12zip_iteratorINS8_5tupleINS8_6detail15normal_iteratorINS8_10device_ptrIjEEEESH_NS8_9null_typeESI_SI_SI_SI_SI_SI_SI_EEEENS9_21zip_adj_not_predicateINS8_8equal_toIjEEEEEEPllNS8_4plusIlEEEE10hipError_tPvRmT1_T2_T3_mT4_P12ihipStream_tbEUlT_E1_NS1_11comp_targetILNS1_3genE10ELNS1_11target_archE1201ELNS1_3gpuE5ELNS1_3repE0EEENS1_30default_config_static_selectorELNS0_4arch9wavefront6targetE1EEEvSW_.private_seg_size, 0
	.set _ZN7rocprim17ROCPRIM_400000_NS6detail17trampoline_kernelINS0_14default_configENS1_22reduce_config_selectorIlEEZNS1_11reduce_implILb1ES3_N6thrust23THRUST_200600_302600_NS11hip_rocprim26transform_input_iterator_tIlNS8_12zip_iteratorINS8_5tupleINS8_6detail15normal_iteratorINS8_10device_ptrIjEEEESH_NS8_9null_typeESI_SI_SI_SI_SI_SI_SI_EEEENS9_21zip_adj_not_predicateINS8_8equal_toIjEEEEEEPllNS8_4plusIlEEEE10hipError_tPvRmT1_T2_T3_mT4_P12ihipStream_tbEUlT_E1_NS1_11comp_targetILNS1_3genE10ELNS1_11target_archE1201ELNS1_3gpuE5ELNS1_3repE0EEENS1_30default_config_static_selectorELNS0_4arch9wavefront6targetE1EEEvSW_.uses_vcc, 0
	.set _ZN7rocprim17ROCPRIM_400000_NS6detail17trampoline_kernelINS0_14default_configENS1_22reduce_config_selectorIlEEZNS1_11reduce_implILb1ES3_N6thrust23THRUST_200600_302600_NS11hip_rocprim26transform_input_iterator_tIlNS8_12zip_iteratorINS8_5tupleINS8_6detail15normal_iteratorINS8_10device_ptrIjEEEESH_NS8_9null_typeESI_SI_SI_SI_SI_SI_SI_EEEENS9_21zip_adj_not_predicateINS8_8equal_toIjEEEEEEPllNS8_4plusIlEEEE10hipError_tPvRmT1_T2_T3_mT4_P12ihipStream_tbEUlT_E1_NS1_11comp_targetILNS1_3genE10ELNS1_11target_archE1201ELNS1_3gpuE5ELNS1_3repE0EEENS1_30default_config_static_selectorELNS0_4arch9wavefront6targetE1EEEvSW_.uses_flat_scratch, 0
	.set _ZN7rocprim17ROCPRIM_400000_NS6detail17trampoline_kernelINS0_14default_configENS1_22reduce_config_selectorIlEEZNS1_11reduce_implILb1ES3_N6thrust23THRUST_200600_302600_NS11hip_rocprim26transform_input_iterator_tIlNS8_12zip_iteratorINS8_5tupleINS8_6detail15normal_iteratorINS8_10device_ptrIjEEEESH_NS8_9null_typeESI_SI_SI_SI_SI_SI_SI_EEEENS9_21zip_adj_not_predicateINS8_8equal_toIjEEEEEEPllNS8_4plusIlEEEE10hipError_tPvRmT1_T2_T3_mT4_P12ihipStream_tbEUlT_E1_NS1_11comp_targetILNS1_3genE10ELNS1_11target_archE1201ELNS1_3gpuE5ELNS1_3repE0EEENS1_30default_config_static_selectorELNS0_4arch9wavefront6targetE1EEEvSW_.has_dyn_sized_stack, 0
	.set _ZN7rocprim17ROCPRIM_400000_NS6detail17trampoline_kernelINS0_14default_configENS1_22reduce_config_selectorIlEEZNS1_11reduce_implILb1ES3_N6thrust23THRUST_200600_302600_NS11hip_rocprim26transform_input_iterator_tIlNS8_12zip_iteratorINS8_5tupleINS8_6detail15normal_iteratorINS8_10device_ptrIjEEEESH_NS8_9null_typeESI_SI_SI_SI_SI_SI_SI_EEEENS9_21zip_adj_not_predicateINS8_8equal_toIjEEEEEEPllNS8_4plusIlEEEE10hipError_tPvRmT1_T2_T3_mT4_P12ihipStream_tbEUlT_E1_NS1_11comp_targetILNS1_3genE10ELNS1_11target_archE1201ELNS1_3gpuE5ELNS1_3repE0EEENS1_30default_config_static_selectorELNS0_4arch9wavefront6targetE1EEEvSW_.has_recursion, 0
	.set _ZN7rocprim17ROCPRIM_400000_NS6detail17trampoline_kernelINS0_14default_configENS1_22reduce_config_selectorIlEEZNS1_11reduce_implILb1ES3_N6thrust23THRUST_200600_302600_NS11hip_rocprim26transform_input_iterator_tIlNS8_12zip_iteratorINS8_5tupleINS8_6detail15normal_iteratorINS8_10device_ptrIjEEEESH_NS8_9null_typeESI_SI_SI_SI_SI_SI_SI_EEEENS9_21zip_adj_not_predicateINS8_8equal_toIjEEEEEEPllNS8_4plusIlEEEE10hipError_tPvRmT1_T2_T3_mT4_P12ihipStream_tbEUlT_E1_NS1_11comp_targetILNS1_3genE10ELNS1_11target_archE1201ELNS1_3gpuE5ELNS1_3repE0EEENS1_30default_config_static_selectorELNS0_4arch9wavefront6targetE1EEEvSW_.has_indirect_call, 0
	.section	.AMDGPU.csdata,"",@progbits
; Kernel info:
; codeLenInByte = 0
; TotalNumSgprs: 4
; NumVgprs: 0
; ScratchSize: 0
; MemoryBound: 0
; FloatMode: 240
; IeeeMode: 1
; LDSByteSize: 0 bytes/workgroup (compile time only)
; SGPRBlocks: 0
; VGPRBlocks: 0
; NumSGPRsForWavesPerEU: 4
; NumVGPRsForWavesPerEU: 1
; Occupancy: 10
; WaveLimiterHint : 0
; COMPUTE_PGM_RSRC2:SCRATCH_EN: 0
; COMPUTE_PGM_RSRC2:USER_SGPR: 6
; COMPUTE_PGM_RSRC2:TRAP_HANDLER: 0
; COMPUTE_PGM_RSRC2:TGID_X_EN: 1
; COMPUTE_PGM_RSRC2:TGID_Y_EN: 0
; COMPUTE_PGM_RSRC2:TGID_Z_EN: 0
; COMPUTE_PGM_RSRC2:TIDIG_COMP_CNT: 0
	.section	.text._ZN7rocprim17ROCPRIM_400000_NS6detail17trampoline_kernelINS0_14default_configENS1_22reduce_config_selectorIlEEZNS1_11reduce_implILb1ES3_N6thrust23THRUST_200600_302600_NS11hip_rocprim26transform_input_iterator_tIlNS8_12zip_iteratorINS8_5tupleINS8_6detail15normal_iteratorINS8_10device_ptrIjEEEESH_NS8_9null_typeESI_SI_SI_SI_SI_SI_SI_EEEENS9_21zip_adj_not_predicateINS8_8equal_toIjEEEEEEPllNS8_4plusIlEEEE10hipError_tPvRmT1_T2_T3_mT4_P12ihipStream_tbEUlT_E1_NS1_11comp_targetILNS1_3genE10ELNS1_11target_archE1200ELNS1_3gpuE4ELNS1_3repE0EEENS1_30default_config_static_selectorELNS0_4arch9wavefront6targetE1EEEvSW_,"axG",@progbits,_ZN7rocprim17ROCPRIM_400000_NS6detail17trampoline_kernelINS0_14default_configENS1_22reduce_config_selectorIlEEZNS1_11reduce_implILb1ES3_N6thrust23THRUST_200600_302600_NS11hip_rocprim26transform_input_iterator_tIlNS8_12zip_iteratorINS8_5tupleINS8_6detail15normal_iteratorINS8_10device_ptrIjEEEESH_NS8_9null_typeESI_SI_SI_SI_SI_SI_SI_EEEENS9_21zip_adj_not_predicateINS8_8equal_toIjEEEEEEPllNS8_4plusIlEEEE10hipError_tPvRmT1_T2_T3_mT4_P12ihipStream_tbEUlT_E1_NS1_11comp_targetILNS1_3genE10ELNS1_11target_archE1200ELNS1_3gpuE4ELNS1_3repE0EEENS1_30default_config_static_selectorELNS0_4arch9wavefront6targetE1EEEvSW_,comdat
	.protected	_ZN7rocprim17ROCPRIM_400000_NS6detail17trampoline_kernelINS0_14default_configENS1_22reduce_config_selectorIlEEZNS1_11reduce_implILb1ES3_N6thrust23THRUST_200600_302600_NS11hip_rocprim26transform_input_iterator_tIlNS8_12zip_iteratorINS8_5tupleINS8_6detail15normal_iteratorINS8_10device_ptrIjEEEESH_NS8_9null_typeESI_SI_SI_SI_SI_SI_SI_EEEENS9_21zip_adj_not_predicateINS8_8equal_toIjEEEEEEPllNS8_4plusIlEEEE10hipError_tPvRmT1_T2_T3_mT4_P12ihipStream_tbEUlT_E1_NS1_11comp_targetILNS1_3genE10ELNS1_11target_archE1200ELNS1_3gpuE4ELNS1_3repE0EEENS1_30default_config_static_selectorELNS0_4arch9wavefront6targetE1EEEvSW_ ; -- Begin function _ZN7rocprim17ROCPRIM_400000_NS6detail17trampoline_kernelINS0_14default_configENS1_22reduce_config_selectorIlEEZNS1_11reduce_implILb1ES3_N6thrust23THRUST_200600_302600_NS11hip_rocprim26transform_input_iterator_tIlNS8_12zip_iteratorINS8_5tupleINS8_6detail15normal_iteratorINS8_10device_ptrIjEEEESH_NS8_9null_typeESI_SI_SI_SI_SI_SI_SI_EEEENS9_21zip_adj_not_predicateINS8_8equal_toIjEEEEEEPllNS8_4plusIlEEEE10hipError_tPvRmT1_T2_T3_mT4_P12ihipStream_tbEUlT_E1_NS1_11comp_targetILNS1_3genE10ELNS1_11target_archE1200ELNS1_3gpuE4ELNS1_3repE0EEENS1_30default_config_static_selectorELNS0_4arch9wavefront6targetE1EEEvSW_
	.globl	_ZN7rocprim17ROCPRIM_400000_NS6detail17trampoline_kernelINS0_14default_configENS1_22reduce_config_selectorIlEEZNS1_11reduce_implILb1ES3_N6thrust23THRUST_200600_302600_NS11hip_rocprim26transform_input_iterator_tIlNS8_12zip_iteratorINS8_5tupleINS8_6detail15normal_iteratorINS8_10device_ptrIjEEEESH_NS8_9null_typeESI_SI_SI_SI_SI_SI_SI_EEEENS9_21zip_adj_not_predicateINS8_8equal_toIjEEEEEEPllNS8_4plusIlEEEE10hipError_tPvRmT1_T2_T3_mT4_P12ihipStream_tbEUlT_E1_NS1_11comp_targetILNS1_3genE10ELNS1_11target_archE1200ELNS1_3gpuE4ELNS1_3repE0EEENS1_30default_config_static_selectorELNS0_4arch9wavefront6targetE1EEEvSW_
	.p2align	8
	.type	_ZN7rocprim17ROCPRIM_400000_NS6detail17trampoline_kernelINS0_14default_configENS1_22reduce_config_selectorIlEEZNS1_11reduce_implILb1ES3_N6thrust23THRUST_200600_302600_NS11hip_rocprim26transform_input_iterator_tIlNS8_12zip_iteratorINS8_5tupleINS8_6detail15normal_iteratorINS8_10device_ptrIjEEEESH_NS8_9null_typeESI_SI_SI_SI_SI_SI_SI_EEEENS9_21zip_adj_not_predicateINS8_8equal_toIjEEEEEEPllNS8_4plusIlEEEE10hipError_tPvRmT1_T2_T3_mT4_P12ihipStream_tbEUlT_E1_NS1_11comp_targetILNS1_3genE10ELNS1_11target_archE1200ELNS1_3gpuE4ELNS1_3repE0EEENS1_30default_config_static_selectorELNS0_4arch9wavefront6targetE1EEEvSW_,@function
_ZN7rocprim17ROCPRIM_400000_NS6detail17trampoline_kernelINS0_14default_configENS1_22reduce_config_selectorIlEEZNS1_11reduce_implILb1ES3_N6thrust23THRUST_200600_302600_NS11hip_rocprim26transform_input_iterator_tIlNS8_12zip_iteratorINS8_5tupleINS8_6detail15normal_iteratorINS8_10device_ptrIjEEEESH_NS8_9null_typeESI_SI_SI_SI_SI_SI_SI_EEEENS9_21zip_adj_not_predicateINS8_8equal_toIjEEEEEEPllNS8_4plusIlEEEE10hipError_tPvRmT1_T2_T3_mT4_P12ihipStream_tbEUlT_E1_NS1_11comp_targetILNS1_3genE10ELNS1_11target_archE1200ELNS1_3gpuE4ELNS1_3repE0EEENS1_30default_config_static_selectorELNS0_4arch9wavefront6targetE1EEEvSW_: ; @_ZN7rocprim17ROCPRIM_400000_NS6detail17trampoline_kernelINS0_14default_configENS1_22reduce_config_selectorIlEEZNS1_11reduce_implILb1ES3_N6thrust23THRUST_200600_302600_NS11hip_rocprim26transform_input_iterator_tIlNS8_12zip_iteratorINS8_5tupleINS8_6detail15normal_iteratorINS8_10device_ptrIjEEEESH_NS8_9null_typeESI_SI_SI_SI_SI_SI_SI_EEEENS9_21zip_adj_not_predicateINS8_8equal_toIjEEEEEEPllNS8_4plusIlEEEE10hipError_tPvRmT1_T2_T3_mT4_P12ihipStream_tbEUlT_E1_NS1_11comp_targetILNS1_3genE10ELNS1_11target_archE1200ELNS1_3gpuE4ELNS1_3repE0EEENS1_30default_config_static_selectorELNS0_4arch9wavefront6targetE1EEEvSW_
; %bb.0:
	.section	.rodata,"a",@progbits
	.p2align	6, 0x0
	.amdhsa_kernel _ZN7rocprim17ROCPRIM_400000_NS6detail17trampoline_kernelINS0_14default_configENS1_22reduce_config_selectorIlEEZNS1_11reduce_implILb1ES3_N6thrust23THRUST_200600_302600_NS11hip_rocprim26transform_input_iterator_tIlNS8_12zip_iteratorINS8_5tupleINS8_6detail15normal_iteratorINS8_10device_ptrIjEEEESH_NS8_9null_typeESI_SI_SI_SI_SI_SI_SI_EEEENS9_21zip_adj_not_predicateINS8_8equal_toIjEEEEEEPllNS8_4plusIlEEEE10hipError_tPvRmT1_T2_T3_mT4_P12ihipStream_tbEUlT_E1_NS1_11comp_targetILNS1_3genE10ELNS1_11target_archE1200ELNS1_3gpuE4ELNS1_3repE0EEENS1_30default_config_static_selectorELNS0_4arch9wavefront6targetE1EEEvSW_
		.amdhsa_group_segment_fixed_size 0
		.amdhsa_private_segment_fixed_size 0
		.amdhsa_kernarg_size 64
		.amdhsa_user_sgpr_count 6
		.amdhsa_user_sgpr_private_segment_buffer 1
		.amdhsa_user_sgpr_dispatch_ptr 0
		.amdhsa_user_sgpr_queue_ptr 0
		.amdhsa_user_sgpr_kernarg_segment_ptr 1
		.amdhsa_user_sgpr_dispatch_id 0
		.amdhsa_user_sgpr_flat_scratch_init 0
		.amdhsa_user_sgpr_private_segment_size 0
		.amdhsa_uses_dynamic_stack 0
		.amdhsa_system_sgpr_private_segment_wavefront_offset 0
		.amdhsa_system_sgpr_workgroup_id_x 1
		.amdhsa_system_sgpr_workgroup_id_y 0
		.amdhsa_system_sgpr_workgroup_id_z 0
		.amdhsa_system_sgpr_workgroup_info 0
		.amdhsa_system_vgpr_workitem_id 0
		.amdhsa_next_free_vgpr 1
		.amdhsa_next_free_sgpr 0
		.amdhsa_reserve_vcc 0
		.amdhsa_reserve_flat_scratch 0
		.amdhsa_float_round_mode_32 0
		.amdhsa_float_round_mode_16_64 0
		.amdhsa_float_denorm_mode_32 3
		.amdhsa_float_denorm_mode_16_64 3
		.amdhsa_dx10_clamp 1
		.amdhsa_ieee_mode 1
		.amdhsa_fp16_overflow 0
		.amdhsa_exception_fp_ieee_invalid_op 0
		.amdhsa_exception_fp_denorm_src 0
		.amdhsa_exception_fp_ieee_div_zero 0
		.amdhsa_exception_fp_ieee_overflow 0
		.amdhsa_exception_fp_ieee_underflow 0
		.amdhsa_exception_fp_ieee_inexact 0
		.amdhsa_exception_int_div_zero 0
	.end_amdhsa_kernel
	.section	.text._ZN7rocprim17ROCPRIM_400000_NS6detail17trampoline_kernelINS0_14default_configENS1_22reduce_config_selectorIlEEZNS1_11reduce_implILb1ES3_N6thrust23THRUST_200600_302600_NS11hip_rocprim26transform_input_iterator_tIlNS8_12zip_iteratorINS8_5tupleINS8_6detail15normal_iteratorINS8_10device_ptrIjEEEESH_NS8_9null_typeESI_SI_SI_SI_SI_SI_SI_EEEENS9_21zip_adj_not_predicateINS8_8equal_toIjEEEEEEPllNS8_4plusIlEEEE10hipError_tPvRmT1_T2_T3_mT4_P12ihipStream_tbEUlT_E1_NS1_11comp_targetILNS1_3genE10ELNS1_11target_archE1200ELNS1_3gpuE4ELNS1_3repE0EEENS1_30default_config_static_selectorELNS0_4arch9wavefront6targetE1EEEvSW_,"axG",@progbits,_ZN7rocprim17ROCPRIM_400000_NS6detail17trampoline_kernelINS0_14default_configENS1_22reduce_config_selectorIlEEZNS1_11reduce_implILb1ES3_N6thrust23THRUST_200600_302600_NS11hip_rocprim26transform_input_iterator_tIlNS8_12zip_iteratorINS8_5tupleINS8_6detail15normal_iteratorINS8_10device_ptrIjEEEESH_NS8_9null_typeESI_SI_SI_SI_SI_SI_SI_EEEENS9_21zip_adj_not_predicateINS8_8equal_toIjEEEEEEPllNS8_4plusIlEEEE10hipError_tPvRmT1_T2_T3_mT4_P12ihipStream_tbEUlT_E1_NS1_11comp_targetILNS1_3genE10ELNS1_11target_archE1200ELNS1_3gpuE4ELNS1_3repE0EEENS1_30default_config_static_selectorELNS0_4arch9wavefront6targetE1EEEvSW_,comdat
.Lfunc_end866:
	.size	_ZN7rocprim17ROCPRIM_400000_NS6detail17trampoline_kernelINS0_14default_configENS1_22reduce_config_selectorIlEEZNS1_11reduce_implILb1ES3_N6thrust23THRUST_200600_302600_NS11hip_rocprim26transform_input_iterator_tIlNS8_12zip_iteratorINS8_5tupleINS8_6detail15normal_iteratorINS8_10device_ptrIjEEEESH_NS8_9null_typeESI_SI_SI_SI_SI_SI_SI_EEEENS9_21zip_adj_not_predicateINS8_8equal_toIjEEEEEEPllNS8_4plusIlEEEE10hipError_tPvRmT1_T2_T3_mT4_P12ihipStream_tbEUlT_E1_NS1_11comp_targetILNS1_3genE10ELNS1_11target_archE1200ELNS1_3gpuE4ELNS1_3repE0EEENS1_30default_config_static_selectorELNS0_4arch9wavefront6targetE1EEEvSW_, .Lfunc_end866-_ZN7rocprim17ROCPRIM_400000_NS6detail17trampoline_kernelINS0_14default_configENS1_22reduce_config_selectorIlEEZNS1_11reduce_implILb1ES3_N6thrust23THRUST_200600_302600_NS11hip_rocprim26transform_input_iterator_tIlNS8_12zip_iteratorINS8_5tupleINS8_6detail15normal_iteratorINS8_10device_ptrIjEEEESH_NS8_9null_typeESI_SI_SI_SI_SI_SI_SI_EEEENS9_21zip_adj_not_predicateINS8_8equal_toIjEEEEEEPllNS8_4plusIlEEEE10hipError_tPvRmT1_T2_T3_mT4_P12ihipStream_tbEUlT_E1_NS1_11comp_targetILNS1_3genE10ELNS1_11target_archE1200ELNS1_3gpuE4ELNS1_3repE0EEENS1_30default_config_static_selectorELNS0_4arch9wavefront6targetE1EEEvSW_
                                        ; -- End function
	.set _ZN7rocprim17ROCPRIM_400000_NS6detail17trampoline_kernelINS0_14default_configENS1_22reduce_config_selectorIlEEZNS1_11reduce_implILb1ES3_N6thrust23THRUST_200600_302600_NS11hip_rocprim26transform_input_iterator_tIlNS8_12zip_iteratorINS8_5tupleINS8_6detail15normal_iteratorINS8_10device_ptrIjEEEESH_NS8_9null_typeESI_SI_SI_SI_SI_SI_SI_EEEENS9_21zip_adj_not_predicateINS8_8equal_toIjEEEEEEPllNS8_4plusIlEEEE10hipError_tPvRmT1_T2_T3_mT4_P12ihipStream_tbEUlT_E1_NS1_11comp_targetILNS1_3genE10ELNS1_11target_archE1200ELNS1_3gpuE4ELNS1_3repE0EEENS1_30default_config_static_selectorELNS0_4arch9wavefront6targetE1EEEvSW_.num_vgpr, 0
	.set _ZN7rocprim17ROCPRIM_400000_NS6detail17trampoline_kernelINS0_14default_configENS1_22reduce_config_selectorIlEEZNS1_11reduce_implILb1ES3_N6thrust23THRUST_200600_302600_NS11hip_rocprim26transform_input_iterator_tIlNS8_12zip_iteratorINS8_5tupleINS8_6detail15normal_iteratorINS8_10device_ptrIjEEEESH_NS8_9null_typeESI_SI_SI_SI_SI_SI_SI_EEEENS9_21zip_adj_not_predicateINS8_8equal_toIjEEEEEEPllNS8_4plusIlEEEE10hipError_tPvRmT1_T2_T3_mT4_P12ihipStream_tbEUlT_E1_NS1_11comp_targetILNS1_3genE10ELNS1_11target_archE1200ELNS1_3gpuE4ELNS1_3repE0EEENS1_30default_config_static_selectorELNS0_4arch9wavefront6targetE1EEEvSW_.num_agpr, 0
	.set _ZN7rocprim17ROCPRIM_400000_NS6detail17trampoline_kernelINS0_14default_configENS1_22reduce_config_selectorIlEEZNS1_11reduce_implILb1ES3_N6thrust23THRUST_200600_302600_NS11hip_rocprim26transform_input_iterator_tIlNS8_12zip_iteratorINS8_5tupleINS8_6detail15normal_iteratorINS8_10device_ptrIjEEEESH_NS8_9null_typeESI_SI_SI_SI_SI_SI_SI_EEEENS9_21zip_adj_not_predicateINS8_8equal_toIjEEEEEEPllNS8_4plusIlEEEE10hipError_tPvRmT1_T2_T3_mT4_P12ihipStream_tbEUlT_E1_NS1_11comp_targetILNS1_3genE10ELNS1_11target_archE1200ELNS1_3gpuE4ELNS1_3repE0EEENS1_30default_config_static_selectorELNS0_4arch9wavefront6targetE1EEEvSW_.numbered_sgpr, 0
	.set _ZN7rocprim17ROCPRIM_400000_NS6detail17trampoline_kernelINS0_14default_configENS1_22reduce_config_selectorIlEEZNS1_11reduce_implILb1ES3_N6thrust23THRUST_200600_302600_NS11hip_rocprim26transform_input_iterator_tIlNS8_12zip_iteratorINS8_5tupleINS8_6detail15normal_iteratorINS8_10device_ptrIjEEEESH_NS8_9null_typeESI_SI_SI_SI_SI_SI_SI_EEEENS9_21zip_adj_not_predicateINS8_8equal_toIjEEEEEEPllNS8_4plusIlEEEE10hipError_tPvRmT1_T2_T3_mT4_P12ihipStream_tbEUlT_E1_NS1_11comp_targetILNS1_3genE10ELNS1_11target_archE1200ELNS1_3gpuE4ELNS1_3repE0EEENS1_30default_config_static_selectorELNS0_4arch9wavefront6targetE1EEEvSW_.num_named_barrier, 0
	.set _ZN7rocprim17ROCPRIM_400000_NS6detail17trampoline_kernelINS0_14default_configENS1_22reduce_config_selectorIlEEZNS1_11reduce_implILb1ES3_N6thrust23THRUST_200600_302600_NS11hip_rocprim26transform_input_iterator_tIlNS8_12zip_iteratorINS8_5tupleINS8_6detail15normal_iteratorINS8_10device_ptrIjEEEESH_NS8_9null_typeESI_SI_SI_SI_SI_SI_SI_EEEENS9_21zip_adj_not_predicateINS8_8equal_toIjEEEEEEPllNS8_4plusIlEEEE10hipError_tPvRmT1_T2_T3_mT4_P12ihipStream_tbEUlT_E1_NS1_11comp_targetILNS1_3genE10ELNS1_11target_archE1200ELNS1_3gpuE4ELNS1_3repE0EEENS1_30default_config_static_selectorELNS0_4arch9wavefront6targetE1EEEvSW_.private_seg_size, 0
	.set _ZN7rocprim17ROCPRIM_400000_NS6detail17trampoline_kernelINS0_14default_configENS1_22reduce_config_selectorIlEEZNS1_11reduce_implILb1ES3_N6thrust23THRUST_200600_302600_NS11hip_rocprim26transform_input_iterator_tIlNS8_12zip_iteratorINS8_5tupleINS8_6detail15normal_iteratorINS8_10device_ptrIjEEEESH_NS8_9null_typeESI_SI_SI_SI_SI_SI_SI_EEEENS9_21zip_adj_not_predicateINS8_8equal_toIjEEEEEEPllNS8_4plusIlEEEE10hipError_tPvRmT1_T2_T3_mT4_P12ihipStream_tbEUlT_E1_NS1_11comp_targetILNS1_3genE10ELNS1_11target_archE1200ELNS1_3gpuE4ELNS1_3repE0EEENS1_30default_config_static_selectorELNS0_4arch9wavefront6targetE1EEEvSW_.uses_vcc, 0
	.set _ZN7rocprim17ROCPRIM_400000_NS6detail17trampoline_kernelINS0_14default_configENS1_22reduce_config_selectorIlEEZNS1_11reduce_implILb1ES3_N6thrust23THRUST_200600_302600_NS11hip_rocprim26transform_input_iterator_tIlNS8_12zip_iteratorINS8_5tupleINS8_6detail15normal_iteratorINS8_10device_ptrIjEEEESH_NS8_9null_typeESI_SI_SI_SI_SI_SI_SI_EEEENS9_21zip_adj_not_predicateINS8_8equal_toIjEEEEEEPllNS8_4plusIlEEEE10hipError_tPvRmT1_T2_T3_mT4_P12ihipStream_tbEUlT_E1_NS1_11comp_targetILNS1_3genE10ELNS1_11target_archE1200ELNS1_3gpuE4ELNS1_3repE0EEENS1_30default_config_static_selectorELNS0_4arch9wavefront6targetE1EEEvSW_.uses_flat_scratch, 0
	.set _ZN7rocprim17ROCPRIM_400000_NS6detail17trampoline_kernelINS0_14default_configENS1_22reduce_config_selectorIlEEZNS1_11reduce_implILb1ES3_N6thrust23THRUST_200600_302600_NS11hip_rocprim26transform_input_iterator_tIlNS8_12zip_iteratorINS8_5tupleINS8_6detail15normal_iteratorINS8_10device_ptrIjEEEESH_NS8_9null_typeESI_SI_SI_SI_SI_SI_SI_EEEENS9_21zip_adj_not_predicateINS8_8equal_toIjEEEEEEPllNS8_4plusIlEEEE10hipError_tPvRmT1_T2_T3_mT4_P12ihipStream_tbEUlT_E1_NS1_11comp_targetILNS1_3genE10ELNS1_11target_archE1200ELNS1_3gpuE4ELNS1_3repE0EEENS1_30default_config_static_selectorELNS0_4arch9wavefront6targetE1EEEvSW_.has_dyn_sized_stack, 0
	.set _ZN7rocprim17ROCPRIM_400000_NS6detail17trampoline_kernelINS0_14default_configENS1_22reduce_config_selectorIlEEZNS1_11reduce_implILb1ES3_N6thrust23THRUST_200600_302600_NS11hip_rocprim26transform_input_iterator_tIlNS8_12zip_iteratorINS8_5tupleINS8_6detail15normal_iteratorINS8_10device_ptrIjEEEESH_NS8_9null_typeESI_SI_SI_SI_SI_SI_SI_EEEENS9_21zip_adj_not_predicateINS8_8equal_toIjEEEEEEPllNS8_4plusIlEEEE10hipError_tPvRmT1_T2_T3_mT4_P12ihipStream_tbEUlT_E1_NS1_11comp_targetILNS1_3genE10ELNS1_11target_archE1200ELNS1_3gpuE4ELNS1_3repE0EEENS1_30default_config_static_selectorELNS0_4arch9wavefront6targetE1EEEvSW_.has_recursion, 0
	.set _ZN7rocprim17ROCPRIM_400000_NS6detail17trampoline_kernelINS0_14default_configENS1_22reduce_config_selectorIlEEZNS1_11reduce_implILb1ES3_N6thrust23THRUST_200600_302600_NS11hip_rocprim26transform_input_iterator_tIlNS8_12zip_iteratorINS8_5tupleINS8_6detail15normal_iteratorINS8_10device_ptrIjEEEESH_NS8_9null_typeESI_SI_SI_SI_SI_SI_SI_EEEENS9_21zip_adj_not_predicateINS8_8equal_toIjEEEEEEPllNS8_4plusIlEEEE10hipError_tPvRmT1_T2_T3_mT4_P12ihipStream_tbEUlT_E1_NS1_11comp_targetILNS1_3genE10ELNS1_11target_archE1200ELNS1_3gpuE4ELNS1_3repE0EEENS1_30default_config_static_selectorELNS0_4arch9wavefront6targetE1EEEvSW_.has_indirect_call, 0
	.section	.AMDGPU.csdata,"",@progbits
; Kernel info:
; codeLenInByte = 0
; TotalNumSgprs: 4
; NumVgprs: 0
; ScratchSize: 0
; MemoryBound: 0
; FloatMode: 240
; IeeeMode: 1
; LDSByteSize: 0 bytes/workgroup (compile time only)
; SGPRBlocks: 0
; VGPRBlocks: 0
; NumSGPRsForWavesPerEU: 4
; NumVGPRsForWavesPerEU: 1
; Occupancy: 10
; WaveLimiterHint : 0
; COMPUTE_PGM_RSRC2:SCRATCH_EN: 0
; COMPUTE_PGM_RSRC2:USER_SGPR: 6
; COMPUTE_PGM_RSRC2:TRAP_HANDLER: 0
; COMPUTE_PGM_RSRC2:TGID_X_EN: 1
; COMPUTE_PGM_RSRC2:TGID_Y_EN: 0
; COMPUTE_PGM_RSRC2:TGID_Z_EN: 0
; COMPUTE_PGM_RSRC2:TIDIG_COMP_CNT: 0
	.section	.text._ZN7rocprim17ROCPRIM_400000_NS6detail17trampoline_kernelINS0_14default_configENS1_22reduce_config_selectorIlEEZNS1_11reduce_implILb1ES3_N6thrust23THRUST_200600_302600_NS11hip_rocprim26transform_input_iterator_tIlNS8_12zip_iteratorINS8_5tupleINS8_6detail15normal_iteratorINS8_10device_ptrIjEEEESH_NS8_9null_typeESI_SI_SI_SI_SI_SI_SI_EEEENS9_21zip_adj_not_predicateINS8_8equal_toIjEEEEEEPllNS8_4plusIlEEEE10hipError_tPvRmT1_T2_T3_mT4_P12ihipStream_tbEUlT_E1_NS1_11comp_targetILNS1_3genE9ELNS1_11target_archE1100ELNS1_3gpuE3ELNS1_3repE0EEENS1_30default_config_static_selectorELNS0_4arch9wavefront6targetE1EEEvSW_,"axG",@progbits,_ZN7rocprim17ROCPRIM_400000_NS6detail17trampoline_kernelINS0_14default_configENS1_22reduce_config_selectorIlEEZNS1_11reduce_implILb1ES3_N6thrust23THRUST_200600_302600_NS11hip_rocprim26transform_input_iterator_tIlNS8_12zip_iteratorINS8_5tupleINS8_6detail15normal_iteratorINS8_10device_ptrIjEEEESH_NS8_9null_typeESI_SI_SI_SI_SI_SI_SI_EEEENS9_21zip_adj_not_predicateINS8_8equal_toIjEEEEEEPllNS8_4plusIlEEEE10hipError_tPvRmT1_T2_T3_mT4_P12ihipStream_tbEUlT_E1_NS1_11comp_targetILNS1_3genE9ELNS1_11target_archE1100ELNS1_3gpuE3ELNS1_3repE0EEENS1_30default_config_static_selectorELNS0_4arch9wavefront6targetE1EEEvSW_,comdat
	.protected	_ZN7rocprim17ROCPRIM_400000_NS6detail17trampoline_kernelINS0_14default_configENS1_22reduce_config_selectorIlEEZNS1_11reduce_implILb1ES3_N6thrust23THRUST_200600_302600_NS11hip_rocprim26transform_input_iterator_tIlNS8_12zip_iteratorINS8_5tupleINS8_6detail15normal_iteratorINS8_10device_ptrIjEEEESH_NS8_9null_typeESI_SI_SI_SI_SI_SI_SI_EEEENS9_21zip_adj_not_predicateINS8_8equal_toIjEEEEEEPllNS8_4plusIlEEEE10hipError_tPvRmT1_T2_T3_mT4_P12ihipStream_tbEUlT_E1_NS1_11comp_targetILNS1_3genE9ELNS1_11target_archE1100ELNS1_3gpuE3ELNS1_3repE0EEENS1_30default_config_static_selectorELNS0_4arch9wavefront6targetE1EEEvSW_ ; -- Begin function _ZN7rocprim17ROCPRIM_400000_NS6detail17trampoline_kernelINS0_14default_configENS1_22reduce_config_selectorIlEEZNS1_11reduce_implILb1ES3_N6thrust23THRUST_200600_302600_NS11hip_rocprim26transform_input_iterator_tIlNS8_12zip_iteratorINS8_5tupleINS8_6detail15normal_iteratorINS8_10device_ptrIjEEEESH_NS8_9null_typeESI_SI_SI_SI_SI_SI_SI_EEEENS9_21zip_adj_not_predicateINS8_8equal_toIjEEEEEEPllNS8_4plusIlEEEE10hipError_tPvRmT1_T2_T3_mT4_P12ihipStream_tbEUlT_E1_NS1_11comp_targetILNS1_3genE9ELNS1_11target_archE1100ELNS1_3gpuE3ELNS1_3repE0EEENS1_30default_config_static_selectorELNS0_4arch9wavefront6targetE1EEEvSW_
	.globl	_ZN7rocprim17ROCPRIM_400000_NS6detail17trampoline_kernelINS0_14default_configENS1_22reduce_config_selectorIlEEZNS1_11reduce_implILb1ES3_N6thrust23THRUST_200600_302600_NS11hip_rocprim26transform_input_iterator_tIlNS8_12zip_iteratorINS8_5tupleINS8_6detail15normal_iteratorINS8_10device_ptrIjEEEESH_NS8_9null_typeESI_SI_SI_SI_SI_SI_SI_EEEENS9_21zip_adj_not_predicateINS8_8equal_toIjEEEEEEPllNS8_4plusIlEEEE10hipError_tPvRmT1_T2_T3_mT4_P12ihipStream_tbEUlT_E1_NS1_11comp_targetILNS1_3genE9ELNS1_11target_archE1100ELNS1_3gpuE3ELNS1_3repE0EEENS1_30default_config_static_selectorELNS0_4arch9wavefront6targetE1EEEvSW_
	.p2align	8
	.type	_ZN7rocprim17ROCPRIM_400000_NS6detail17trampoline_kernelINS0_14default_configENS1_22reduce_config_selectorIlEEZNS1_11reduce_implILb1ES3_N6thrust23THRUST_200600_302600_NS11hip_rocprim26transform_input_iterator_tIlNS8_12zip_iteratorINS8_5tupleINS8_6detail15normal_iteratorINS8_10device_ptrIjEEEESH_NS8_9null_typeESI_SI_SI_SI_SI_SI_SI_EEEENS9_21zip_adj_not_predicateINS8_8equal_toIjEEEEEEPllNS8_4plusIlEEEE10hipError_tPvRmT1_T2_T3_mT4_P12ihipStream_tbEUlT_E1_NS1_11comp_targetILNS1_3genE9ELNS1_11target_archE1100ELNS1_3gpuE3ELNS1_3repE0EEENS1_30default_config_static_selectorELNS0_4arch9wavefront6targetE1EEEvSW_,@function
_ZN7rocprim17ROCPRIM_400000_NS6detail17trampoline_kernelINS0_14default_configENS1_22reduce_config_selectorIlEEZNS1_11reduce_implILb1ES3_N6thrust23THRUST_200600_302600_NS11hip_rocprim26transform_input_iterator_tIlNS8_12zip_iteratorINS8_5tupleINS8_6detail15normal_iteratorINS8_10device_ptrIjEEEESH_NS8_9null_typeESI_SI_SI_SI_SI_SI_SI_EEEENS9_21zip_adj_not_predicateINS8_8equal_toIjEEEEEEPllNS8_4plusIlEEEE10hipError_tPvRmT1_T2_T3_mT4_P12ihipStream_tbEUlT_E1_NS1_11comp_targetILNS1_3genE9ELNS1_11target_archE1100ELNS1_3gpuE3ELNS1_3repE0EEENS1_30default_config_static_selectorELNS0_4arch9wavefront6targetE1EEEvSW_: ; @_ZN7rocprim17ROCPRIM_400000_NS6detail17trampoline_kernelINS0_14default_configENS1_22reduce_config_selectorIlEEZNS1_11reduce_implILb1ES3_N6thrust23THRUST_200600_302600_NS11hip_rocprim26transform_input_iterator_tIlNS8_12zip_iteratorINS8_5tupleINS8_6detail15normal_iteratorINS8_10device_ptrIjEEEESH_NS8_9null_typeESI_SI_SI_SI_SI_SI_SI_EEEENS9_21zip_adj_not_predicateINS8_8equal_toIjEEEEEEPllNS8_4plusIlEEEE10hipError_tPvRmT1_T2_T3_mT4_P12ihipStream_tbEUlT_E1_NS1_11comp_targetILNS1_3genE9ELNS1_11target_archE1100ELNS1_3gpuE3ELNS1_3repE0EEENS1_30default_config_static_selectorELNS0_4arch9wavefront6targetE1EEEvSW_
; %bb.0:
	.section	.rodata,"a",@progbits
	.p2align	6, 0x0
	.amdhsa_kernel _ZN7rocprim17ROCPRIM_400000_NS6detail17trampoline_kernelINS0_14default_configENS1_22reduce_config_selectorIlEEZNS1_11reduce_implILb1ES3_N6thrust23THRUST_200600_302600_NS11hip_rocprim26transform_input_iterator_tIlNS8_12zip_iteratorINS8_5tupleINS8_6detail15normal_iteratorINS8_10device_ptrIjEEEESH_NS8_9null_typeESI_SI_SI_SI_SI_SI_SI_EEEENS9_21zip_adj_not_predicateINS8_8equal_toIjEEEEEEPllNS8_4plusIlEEEE10hipError_tPvRmT1_T2_T3_mT4_P12ihipStream_tbEUlT_E1_NS1_11comp_targetILNS1_3genE9ELNS1_11target_archE1100ELNS1_3gpuE3ELNS1_3repE0EEENS1_30default_config_static_selectorELNS0_4arch9wavefront6targetE1EEEvSW_
		.amdhsa_group_segment_fixed_size 0
		.amdhsa_private_segment_fixed_size 0
		.amdhsa_kernarg_size 64
		.amdhsa_user_sgpr_count 6
		.amdhsa_user_sgpr_private_segment_buffer 1
		.amdhsa_user_sgpr_dispatch_ptr 0
		.amdhsa_user_sgpr_queue_ptr 0
		.amdhsa_user_sgpr_kernarg_segment_ptr 1
		.amdhsa_user_sgpr_dispatch_id 0
		.amdhsa_user_sgpr_flat_scratch_init 0
		.amdhsa_user_sgpr_private_segment_size 0
		.amdhsa_uses_dynamic_stack 0
		.amdhsa_system_sgpr_private_segment_wavefront_offset 0
		.amdhsa_system_sgpr_workgroup_id_x 1
		.amdhsa_system_sgpr_workgroup_id_y 0
		.amdhsa_system_sgpr_workgroup_id_z 0
		.amdhsa_system_sgpr_workgroup_info 0
		.amdhsa_system_vgpr_workitem_id 0
		.amdhsa_next_free_vgpr 1
		.amdhsa_next_free_sgpr 0
		.amdhsa_reserve_vcc 0
		.amdhsa_reserve_flat_scratch 0
		.amdhsa_float_round_mode_32 0
		.amdhsa_float_round_mode_16_64 0
		.amdhsa_float_denorm_mode_32 3
		.amdhsa_float_denorm_mode_16_64 3
		.amdhsa_dx10_clamp 1
		.amdhsa_ieee_mode 1
		.amdhsa_fp16_overflow 0
		.amdhsa_exception_fp_ieee_invalid_op 0
		.amdhsa_exception_fp_denorm_src 0
		.amdhsa_exception_fp_ieee_div_zero 0
		.amdhsa_exception_fp_ieee_overflow 0
		.amdhsa_exception_fp_ieee_underflow 0
		.amdhsa_exception_fp_ieee_inexact 0
		.amdhsa_exception_int_div_zero 0
	.end_amdhsa_kernel
	.section	.text._ZN7rocprim17ROCPRIM_400000_NS6detail17trampoline_kernelINS0_14default_configENS1_22reduce_config_selectorIlEEZNS1_11reduce_implILb1ES3_N6thrust23THRUST_200600_302600_NS11hip_rocprim26transform_input_iterator_tIlNS8_12zip_iteratorINS8_5tupleINS8_6detail15normal_iteratorINS8_10device_ptrIjEEEESH_NS8_9null_typeESI_SI_SI_SI_SI_SI_SI_EEEENS9_21zip_adj_not_predicateINS8_8equal_toIjEEEEEEPllNS8_4plusIlEEEE10hipError_tPvRmT1_T2_T3_mT4_P12ihipStream_tbEUlT_E1_NS1_11comp_targetILNS1_3genE9ELNS1_11target_archE1100ELNS1_3gpuE3ELNS1_3repE0EEENS1_30default_config_static_selectorELNS0_4arch9wavefront6targetE1EEEvSW_,"axG",@progbits,_ZN7rocprim17ROCPRIM_400000_NS6detail17trampoline_kernelINS0_14default_configENS1_22reduce_config_selectorIlEEZNS1_11reduce_implILb1ES3_N6thrust23THRUST_200600_302600_NS11hip_rocprim26transform_input_iterator_tIlNS8_12zip_iteratorINS8_5tupleINS8_6detail15normal_iteratorINS8_10device_ptrIjEEEESH_NS8_9null_typeESI_SI_SI_SI_SI_SI_SI_EEEENS9_21zip_adj_not_predicateINS8_8equal_toIjEEEEEEPllNS8_4plusIlEEEE10hipError_tPvRmT1_T2_T3_mT4_P12ihipStream_tbEUlT_E1_NS1_11comp_targetILNS1_3genE9ELNS1_11target_archE1100ELNS1_3gpuE3ELNS1_3repE0EEENS1_30default_config_static_selectorELNS0_4arch9wavefront6targetE1EEEvSW_,comdat
.Lfunc_end867:
	.size	_ZN7rocprim17ROCPRIM_400000_NS6detail17trampoline_kernelINS0_14default_configENS1_22reduce_config_selectorIlEEZNS1_11reduce_implILb1ES3_N6thrust23THRUST_200600_302600_NS11hip_rocprim26transform_input_iterator_tIlNS8_12zip_iteratorINS8_5tupleINS8_6detail15normal_iteratorINS8_10device_ptrIjEEEESH_NS8_9null_typeESI_SI_SI_SI_SI_SI_SI_EEEENS9_21zip_adj_not_predicateINS8_8equal_toIjEEEEEEPllNS8_4plusIlEEEE10hipError_tPvRmT1_T2_T3_mT4_P12ihipStream_tbEUlT_E1_NS1_11comp_targetILNS1_3genE9ELNS1_11target_archE1100ELNS1_3gpuE3ELNS1_3repE0EEENS1_30default_config_static_selectorELNS0_4arch9wavefront6targetE1EEEvSW_, .Lfunc_end867-_ZN7rocprim17ROCPRIM_400000_NS6detail17trampoline_kernelINS0_14default_configENS1_22reduce_config_selectorIlEEZNS1_11reduce_implILb1ES3_N6thrust23THRUST_200600_302600_NS11hip_rocprim26transform_input_iterator_tIlNS8_12zip_iteratorINS8_5tupleINS8_6detail15normal_iteratorINS8_10device_ptrIjEEEESH_NS8_9null_typeESI_SI_SI_SI_SI_SI_SI_EEEENS9_21zip_adj_not_predicateINS8_8equal_toIjEEEEEEPllNS8_4plusIlEEEE10hipError_tPvRmT1_T2_T3_mT4_P12ihipStream_tbEUlT_E1_NS1_11comp_targetILNS1_3genE9ELNS1_11target_archE1100ELNS1_3gpuE3ELNS1_3repE0EEENS1_30default_config_static_selectorELNS0_4arch9wavefront6targetE1EEEvSW_
                                        ; -- End function
	.set _ZN7rocprim17ROCPRIM_400000_NS6detail17trampoline_kernelINS0_14default_configENS1_22reduce_config_selectorIlEEZNS1_11reduce_implILb1ES3_N6thrust23THRUST_200600_302600_NS11hip_rocprim26transform_input_iterator_tIlNS8_12zip_iteratorINS8_5tupleINS8_6detail15normal_iteratorINS8_10device_ptrIjEEEESH_NS8_9null_typeESI_SI_SI_SI_SI_SI_SI_EEEENS9_21zip_adj_not_predicateINS8_8equal_toIjEEEEEEPllNS8_4plusIlEEEE10hipError_tPvRmT1_T2_T3_mT4_P12ihipStream_tbEUlT_E1_NS1_11comp_targetILNS1_3genE9ELNS1_11target_archE1100ELNS1_3gpuE3ELNS1_3repE0EEENS1_30default_config_static_selectorELNS0_4arch9wavefront6targetE1EEEvSW_.num_vgpr, 0
	.set _ZN7rocprim17ROCPRIM_400000_NS6detail17trampoline_kernelINS0_14default_configENS1_22reduce_config_selectorIlEEZNS1_11reduce_implILb1ES3_N6thrust23THRUST_200600_302600_NS11hip_rocprim26transform_input_iterator_tIlNS8_12zip_iteratorINS8_5tupleINS8_6detail15normal_iteratorINS8_10device_ptrIjEEEESH_NS8_9null_typeESI_SI_SI_SI_SI_SI_SI_EEEENS9_21zip_adj_not_predicateINS8_8equal_toIjEEEEEEPllNS8_4plusIlEEEE10hipError_tPvRmT1_T2_T3_mT4_P12ihipStream_tbEUlT_E1_NS1_11comp_targetILNS1_3genE9ELNS1_11target_archE1100ELNS1_3gpuE3ELNS1_3repE0EEENS1_30default_config_static_selectorELNS0_4arch9wavefront6targetE1EEEvSW_.num_agpr, 0
	.set _ZN7rocprim17ROCPRIM_400000_NS6detail17trampoline_kernelINS0_14default_configENS1_22reduce_config_selectorIlEEZNS1_11reduce_implILb1ES3_N6thrust23THRUST_200600_302600_NS11hip_rocprim26transform_input_iterator_tIlNS8_12zip_iteratorINS8_5tupleINS8_6detail15normal_iteratorINS8_10device_ptrIjEEEESH_NS8_9null_typeESI_SI_SI_SI_SI_SI_SI_EEEENS9_21zip_adj_not_predicateINS8_8equal_toIjEEEEEEPllNS8_4plusIlEEEE10hipError_tPvRmT1_T2_T3_mT4_P12ihipStream_tbEUlT_E1_NS1_11comp_targetILNS1_3genE9ELNS1_11target_archE1100ELNS1_3gpuE3ELNS1_3repE0EEENS1_30default_config_static_selectorELNS0_4arch9wavefront6targetE1EEEvSW_.numbered_sgpr, 0
	.set _ZN7rocprim17ROCPRIM_400000_NS6detail17trampoline_kernelINS0_14default_configENS1_22reduce_config_selectorIlEEZNS1_11reduce_implILb1ES3_N6thrust23THRUST_200600_302600_NS11hip_rocprim26transform_input_iterator_tIlNS8_12zip_iteratorINS8_5tupleINS8_6detail15normal_iteratorINS8_10device_ptrIjEEEESH_NS8_9null_typeESI_SI_SI_SI_SI_SI_SI_EEEENS9_21zip_adj_not_predicateINS8_8equal_toIjEEEEEEPllNS8_4plusIlEEEE10hipError_tPvRmT1_T2_T3_mT4_P12ihipStream_tbEUlT_E1_NS1_11comp_targetILNS1_3genE9ELNS1_11target_archE1100ELNS1_3gpuE3ELNS1_3repE0EEENS1_30default_config_static_selectorELNS0_4arch9wavefront6targetE1EEEvSW_.num_named_barrier, 0
	.set _ZN7rocprim17ROCPRIM_400000_NS6detail17trampoline_kernelINS0_14default_configENS1_22reduce_config_selectorIlEEZNS1_11reduce_implILb1ES3_N6thrust23THRUST_200600_302600_NS11hip_rocprim26transform_input_iterator_tIlNS8_12zip_iteratorINS8_5tupleINS8_6detail15normal_iteratorINS8_10device_ptrIjEEEESH_NS8_9null_typeESI_SI_SI_SI_SI_SI_SI_EEEENS9_21zip_adj_not_predicateINS8_8equal_toIjEEEEEEPllNS8_4plusIlEEEE10hipError_tPvRmT1_T2_T3_mT4_P12ihipStream_tbEUlT_E1_NS1_11comp_targetILNS1_3genE9ELNS1_11target_archE1100ELNS1_3gpuE3ELNS1_3repE0EEENS1_30default_config_static_selectorELNS0_4arch9wavefront6targetE1EEEvSW_.private_seg_size, 0
	.set _ZN7rocprim17ROCPRIM_400000_NS6detail17trampoline_kernelINS0_14default_configENS1_22reduce_config_selectorIlEEZNS1_11reduce_implILb1ES3_N6thrust23THRUST_200600_302600_NS11hip_rocprim26transform_input_iterator_tIlNS8_12zip_iteratorINS8_5tupleINS8_6detail15normal_iteratorINS8_10device_ptrIjEEEESH_NS8_9null_typeESI_SI_SI_SI_SI_SI_SI_EEEENS9_21zip_adj_not_predicateINS8_8equal_toIjEEEEEEPllNS8_4plusIlEEEE10hipError_tPvRmT1_T2_T3_mT4_P12ihipStream_tbEUlT_E1_NS1_11comp_targetILNS1_3genE9ELNS1_11target_archE1100ELNS1_3gpuE3ELNS1_3repE0EEENS1_30default_config_static_selectorELNS0_4arch9wavefront6targetE1EEEvSW_.uses_vcc, 0
	.set _ZN7rocprim17ROCPRIM_400000_NS6detail17trampoline_kernelINS0_14default_configENS1_22reduce_config_selectorIlEEZNS1_11reduce_implILb1ES3_N6thrust23THRUST_200600_302600_NS11hip_rocprim26transform_input_iterator_tIlNS8_12zip_iteratorINS8_5tupleINS8_6detail15normal_iteratorINS8_10device_ptrIjEEEESH_NS8_9null_typeESI_SI_SI_SI_SI_SI_SI_EEEENS9_21zip_adj_not_predicateINS8_8equal_toIjEEEEEEPllNS8_4plusIlEEEE10hipError_tPvRmT1_T2_T3_mT4_P12ihipStream_tbEUlT_E1_NS1_11comp_targetILNS1_3genE9ELNS1_11target_archE1100ELNS1_3gpuE3ELNS1_3repE0EEENS1_30default_config_static_selectorELNS0_4arch9wavefront6targetE1EEEvSW_.uses_flat_scratch, 0
	.set _ZN7rocprim17ROCPRIM_400000_NS6detail17trampoline_kernelINS0_14default_configENS1_22reduce_config_selectorIlEEZNS1_11reduce_implILb1ES3_N6thrust23THRUST_200600_302600_NS11hip_rocprim26transform_input_iterator_tIlNS8_12zip_iteratorINS8_5tupleINS8_6detail15normal_iteratorINS8_10device_ptrIjEEEESH_NS8_9null_typeESI_SI_SI_SI_SI_SI_SI_EEEENS9_21zip_adj_not_predicateINS8_8equal_toIjEEEEEEPllNS8_4plusIlEEEE10hipError_tPvRmT1_T2_T3_mT4_P12ihipStream_tbEUlT_E1_NS1_11comp_targetILNS1_3genE9ELNS1_11target_archE1100ELNS1_3gpuE3ELNS1_3repE0EEENS1_30default_config_static_selectorELNS0_4arch9wavefront6targetE1EEEvSW_.has_dyn_sized_stack, 0
	.set _ZN7rocprim17ROCPRIM_400000_NS6detail17trampoline_kernelINS0_14default_configENS1_22reduce_config_selectorIlEEZNS1_11reduce_implILb1ES3_N6thrust23THRUST_200600_302600_NS11hip_rocprim26transform_input_iterator_tIlNS8_12zip_iteratorINS8_5tupleINS8_6detail15normal_iteratorINS8_10device_ptrIjEEEESH_NS8_9null_typeESI_SI_SI_SI_SI_SI_SI_EEEENS9_21zip_adj_not_predicateINS8_8equal_toIjEEEEEEPllNS8_4plusIlEEEE10hipError_tPvRmT1_T2_T3_mT4_P12ihipStream_tbEUlT_E1_NS1_11comp_targetILNS1_3genE9ELNS1_11target_archE1100ELNS1_3gpuE3ELNS1_3repE0EEENS1_30default_config_static_selectorELNS0_4arch9wavefront6targetE1EEEvSW_.has_recursion, 0
	.set _ZN7rocprim17ROCPRIM_400000_NS6detail17trampoline_kernelINS0_14default_configENS1_22reduce_config_selectorIlEEZNS1_11reduce_implILb1ES3_N6thrust23THRUST_200600_302600_NS11hip_rocprim26transform_input_iterator_tIlNS8_12zip_iteratorINS8_5tupleINS8_6detail15normal_iteratorINS8_10device_ptrIjEEEESH_NS8_9null_typeESI_SI_SI_SI_SI_SI_SI_EEEENS9_21zip_adj_not_predicateINS8_8equal_toIjEEEEEEPllNS8_4plusIlEEEE10hipError_tPvRmT1_T2_T3_mT4_P12ihipStream_tbEUlT_E1_NS1_11comp_targetILNS1_3genE9ELNS1_11target_archE1100ELNS1_3gpuE3ELNS1_3repE0EEENS1_30default_config_static_selectorELNS0_4arch9wavefront6targetE1EEEvSW_.has_indirect_call, 0
	.section	.AMDGPU.csdata,"",@progbits
; Kernel info:
; codeLenInByte = 0
; TotalNumSgprs: 4
; NumVgprs: 0
; ScratchSize: 0
; MemoryBound: 0
; FloatMode: 240
; IeeeMode: 1
; LDSByteSize: 0 bytes/workgroup (compile time only)
; SGPRBlocks: 0
; VGPRBlocks: 0
; NumSGPRsForWavesPerEU: 4
; NumVGPRsForWavesPerEU: 1
; Occupancy: 10
; WaveLimiterHint : 0
; COMPUTE_PGM_RSRC2:SCRATCH_EN: 0
; COMPUTE_PGM_RSRC2:USER_SGPR: 6
; COMPUTE_PGM_RSRC2:TRAP_HANDLER: 0
; COMPUTE_PGM_RSRC2:TGID_X_EN: 1
; COMPUTE_PGM_RSRC2:TGID_Y_EN: 0
; COMPUTE_PGM_RSRC2:TGID_Z_EN: 0
; COMPUTE_PGM_RSRC2:TIDIG_COMP_CNT: 0
	.section	.text._ZN7rocprim17ROCPRIM_400000_NS6detail17trampoline_kernelINS0_14default_configENS1_22reduce_config_selectorIlEEZNS1_11reduce_implILb1ES3_N6thrust23THRUST_200600_302600_NS11hip_rocprim26transform_input_iterator_tIlNS8_12zip_iteratorINS8_5tupleINS8_6detail15normal_iteratorINS8_10device_ptrIjEEEESH_NS8_9null_typeESI_SI_SI_SI_SI_SI_SI_EEEENS9_21zip_adj_not_predicateINS8_8equal_toIjEEEEEEPllNS8_4plusIlEEEE10hipError_tPvRmT1_T2_T3_mT4_P12ihipStream_tbEUlT_E1_NS1_11comp_targetILNS1_3genE8ELNS1_11target_archE1030ELNS1_3gpuE2ELNS1_3repE0EEENS1_30default_config_static_selectorELNS0_4arch9wavefront6targetE1EEEvSW_,"axG",@progbits,_ZN7rocprim17ROCPRIM_400000_NS6detail17trampoline_kernelINS0_14default_configENS1_22reduce_config_selectorIlEEZNS1_11reduce_implILb1ES3_N6thrust23THRUST_200600_302600_NS11hip_rocprim26transform_input_iterator_tIlNS8_12zip_iteratorINS8_5tupleINS8_6detail15normal_iteratorINS8_10device_ptrIjEEEESH_NS8_9null_typeESI_SI_SI_SI_SI_SI_SI_EEEENS9_21zip_adj_not_predicateINS8_8equal_toIjEEEEEEPllNS8_4plusIlEEEE10hipError_tPvRmT1_T2_T3_mT4_P12ihipStream_tbEUlT_E1_NS1_11comp_targetILNS1_3genE8ELNS1_11target_archE1030ELNS1_3gpuE2ELNS1_3repE0EEENS1_30default_config_static_selectorELNS0_4arch9wavefront6targetE1EEEvSW_,comdat
	.protected	_ZN7rocprim17ROCPRIM_400000_NS6detail17trampoline_kernelINS0_14default_configENS1_22reduce_config_selectorIlEEZNS1_11reduce_implILb1ES3_N6thrust23THRUST_200600_302600_NS11hip_rocprim26transform_input_iterator_tIlNS8_12zip_iteratorINS8_5tupleINS8_6detail15normal_iteratorINS8_10device_ptrIjEEEESH_NS8_9null_typeESI_SI_SI_SI_SI_SI_SI_EEEENS9_21zip_adj_not_predicateINS8_8equal_toIjEEEEEEPllNS8_4plusIlEEEE10hipError_tPvRmT1_T2_T3_mT4_P12ihipStream_tbEUlT_E1_NS1_11comp_targetILNS1_3genE8ELNS1_11target_archE1030ELNS1_3gpuE2ELNS1_3repE0EEENS1_30default_config_static_selectorELNS0_4arch9wavefront6targetE1EEEvSW_ ; -- Begin function _ZN7rocprim17ROCPRIM_400000_NS6detail17trampoline_kernelINS0_14default_configENS1_22reduce_config_selectorIlEEZNS1_11reduce_implILb1ES3_N6thrust23THRUST_200600_302600_NS11hip_rocprim26transform_input_iterator_tIlNS8_12zip_iteratorINS8_5tupleINS8_6detail15normal_iteratorINS8_10device_ptrIjEEEESH_NS8_9null_typeESI_SI_SI_SI_SI_SI_SI_EEEENS9_21zip_adj_not_predicateINS8_8equal_toIjEEEEEEPllNS8_4plusIlEEEE10hipError_tPvRmT1_T2_T3_mT4_P12ihipStream_tbEUlT_E1_NS1_11comp_targetILNS1_3genE8ELNS1_11target_archE1030ELNS1_3gpuE2ELNS1_3repE0EEENS1_30default_config_static_selectorELNS0_4arch9wavefront6targetE1EEEvSW_
	.globl	_ZN7rocprim17ROCPRIM_400000_NS6detail17trampoline_kernelINS0_14default_configENS1_22reduce_config_selectorIlEEZNS1_11reduce_implILb1ES3_N6thrust23THRUST_200600_302600_NS11hip_rocprim26transform_input_iterator_tIlNS8_12zip_iteratorINS8_5tupleINS8_6detail15normal_iteratorINS8_10device_ptrIjEEEESH_NS8_9null_typeESI_SI_SI_SI_SI_SI_SI_EEEENS9_21zip_adj_not_predicateINS8_8equal_toIjEEEEEEPllNS8_4plusIlEEEE10hipError_tPvRmT1_T2_T3_mT4_P12ihipStream_tbEUlT_E1_NS1_11comp_targetILNS1_3genE8ELNS1_11target_archE1030ELNS1_3gpuE2ELNS1_3repE0EEENS1_30default_config_static_selectorELNS0_4arch9wavefront6targetE1EEEvSW_
	.p2align	8
	.type	_ZN7rocprim17ROCPRIM_400000_NS6detail17trampoline_kernelINS0_14default_configENS1_22reduce_config_selectorIlEEZNS1_11reduce_implILb1ES3_N6thrust23THRUST_200600_302600_NS11hip_rocprim26transform_input_iterator_tIlNS8_12zip_iteratorINS8_5tupleINS8_6detail15normal_iteratorINS8_10device_ptrIjEEEESH_NS8_9null_typeESI_SI_SI_SI_SI_SI_SI_EEEENS9_21zip_adj_not_predicateINS8_8equal_toIjEEEEEEPllNS8_4plusIlEEEE10hipError_tPvRmT1_T2_T3_mT4_P12ihipStream_tbEUlT_E1_NS1_11comp_targetILNS1_3genE8ELNS1_11target_archE1030ELNS1_3gpuE2ELNS1_3repE0EEENS1_30default_config_static_selectorELNS0_4arch9wavefront6targetE1EEEvSW_,@function
_ZN7rocprim17ROCPRIM_400000_NS6detail17trampoline_kernelINS0_14default_configENS1_22reduce_config_selectorIlEEZNS1_11reduce_implILb1ES3_N6thrust23THRUST_200600_302600_NS11hip_rocprim26transform_input_iterator_tIlNS8_12zip_iteratorINS8_5tupleINS8_6detail15normal_iteratorINS8_10device_ptrIjEEEESH_NS8_9null_typeESI_SI_SI_SI_SI_SI_SI_EEEENS9_21zip_adj_not_predicateINS8_8equal_toIjEEEEEEPllNS8_4plusIlEEEE10hipError_tPvRmT1_T2_T3_mT4_P12ihipStream_tbEUlT_E1_NS1_11comp_targetILNS1_3genE8ELNS1_11target_archE1030ELNS1_3gpuE2ELNS1_3repE0EEENS1_30default_config_static_selectorELNS0_4arch9wavefront6targetE1EEEvSW_: ; @_ZN7rocprim17ROCPRIM_400000_NS6detail17trampoline_kernelINS0_14default_configENS1_22reduce_config_selectorIlEEZNS1_11reduce_implILb1ES3_N6thrust23THRUST_200600_302600_NS11hip_rocprim26transform_input_iterator_tIlNS8_12zip_iteratorINS8_5tupleINS8_6detail15normal_iteratorINS8_10device_ptrIjEEEESH_NS8_9null_typeESI_SI_SI_SI_SI_SI_SI_EEEENS9_21zip_adj_not_predicateINS8_8equal_toIjEEEEEEPllNS8_4plusIlEEEE10hipError_tPvRmT1_T2_T3_mT4_P12ihipStream_tbEUlT_E1_NS1_11comp_targetILNS1_3genE8ELNS1_11target_archE1030ELNS1_3gpuE2ELNS1_3repE0EEENS1_30default_config_static_selectorELNS0_4arch9wavefront6targetE1EEEvSW_
; %bb.0:
	.section	.rodata,"a",@progbits
	.p2align	6, 0x0
	.amdhsa_kernel _ZN7rocprim17ROCPRIM_400000_NS6detail17trampoline_kernelINS0_14default_configENS1_22reduce_config_selectorIlEEZNS1_11reduce_implILb1ES3_N6thrust23THRUST_200600_302600_NS11hip_rocprim26transform_input_iterator_tIlNS8_12zip_iteratorINS8_5tupleINS8_6detail15normal_iteratorINS8_10device_ptrIjEEEESH_NS8_9null_typeESI_SI_SI_SI_SI_SI_SI_EEEENS9_21zip_adj_not_predicateINS8_8equal_toIjEEEEEEPllNS8_4plusIlEEEE10hipError_tPvRmT1_T2_T3_mT4_P12ihipStream_tbEUlT_E1_NS1_11comp_targetILNS1_3genE8ELNS1_11target_archE1030ELNS1_3gpuE2ELNS1_3repE0EEENS1_30default_config_static_selectorELNS0_4arch9wavefront6targetE1EEEvSW_
		.amdhsa_group_segment_fixed_size 0
		.amdhsa_private_segment_fixed_size 0
		.amdhsa_kernarg_size 64
		.amdhsa_user_sgpr_count 6
		.amdhsa_user_sgpr_private_segment_buffer 1
		.amdhsa_user_sgpr_dispatch_ptr 0
		.amdhsa_user_sgpr_queue_ptr 0
		.amdhsa_user_sgpr_kernarg_segment_ptr 1
		.amdhsa_user_sgpr_dispatch_id 0
		.amdhsa_user_sgpr_flat_scratch_init 0
		.amdhsa_user_sgpr_private_segment_size 0
		.amdhsa_uses_dynamic_stack 0
		.amdhsa_system_sgpr_private_segment_wavefront_offset 0
		.amdhsa_system_sgpr_workgroup_id_x 1
		.amdhsa_system_sgpr_workgroup_id_y 0
		.amdhsa_system_sgpr_workgroup_id_z 0
		.amdhsa_system_sgpr_workgroup_info 0
		.amdhsa_system_vgpr_workitem_id 0
		.amdhsa_next_free_vgpr 1
		.amdhsa_next_free_sgpr 0
		.amdhsa_reserve_vcc 0
		.amdhsa_reserve_flat_scratch 0
		.amdhsa_float_round_mode_32 0
		.amdhsa_float_round_mode_16_64 0
		.amdhsa_float_denorm_mode_32 3
		.amdhsa_float_denorm_mode_16_64 3
		.amdhsa_dx10_clamp 1
		.amdhsa_ieee_mode 1
		.amdhsa_fp16_overflow 0
		.amdhsa_exception_fp_ieee_invalid_op 0
		.amdhsa_exception_fp_denorm_src 0
		.amdhsa_exception_fp_ieee_div_zero 0
		.amdhsa_exception_fp_ieee_overflow 0
		.amdhsa_exception_fp_ieee_underflow 0
		.amdhsa_exception_fp_ieee_inexact 0
		.amdhsa_exception_int_div_zero 0
	.end_amdhsa_kernel
	.section	.text._ZN7rocprim17ROCPRIM_400000_NS6detail17trampoline_kernelINS0_14default_configENS1_22reduce_config_selectorIlEEZNS1_11reduce_implILb1ES3_N6thrust23THRUST_200600_302600_NS11hip_rocprim26transform_input_iterator_tIlNS8_12zip_iteratorINS8_5tupleINS8_6detail15normal_iteratorINS8_10device_ptrIjEEEESH_NS8_9null_typeESI_SI_SI_SI_SI_SI_SI_EEEENS9_21zip_adj_not_predicateINS8_8equal_toIjEEEEEEPllNS8_4plusIlEEEE10hipError_tPvRmT1_T2_T3_mT4_P12ihipStream_tbEUlT_E1_NS1_11comp_targetILNS1_3genE8ELNS1_11target_archE1030ELNS1_3gpuE2ELNS1_3repE0EEENS1_30default_config_static_selectorELNS0_4arch9wavefront6targetE1EEEvSW_,"axG",@progbits,_ZN7rocprim17ROCPRIM_400000_NS6detail17trampoline_kernelINS0_14default_configENS1_22reduce_config_selectorIlEEZNS1_11reduce_implILb1ES3_N6thrust23THRUST_200600_302600_NS11hip_rocprim26transform_input_iterator_tIlNS8_12zip_iteratorINS8_5tupleINS8_6detail15normal_iteratorINS8_10device_ptrIjEEEESH_NS8_9null_typeESI_SI_SI_SI_SI_SI_SI_EEEENS9_21zip_adj_not_predicateINS8_8equal_toIjEEEEEEPllNS8_4plusIlEEEE10hipError_tPvRmT1_T2_T3_mT4_P12ihipStream_tbEUlT_E1_NS1_11comp_targetILNS1_3genE8ELNS1_11target_archE1030ELNS1_3gpuE2ELNS1_3repE0EEENS1_30default_config_static_selectorELNS0_4arch9wavefront6targetE1EEEvSW_,comdat
.Lfunc_end868:
	.size	_ZN7rocprim17ROCPRIM_400000_NS6detail17trampoline_kernelINS0_14default_configENS1_22reduce_config_selectorIlEEZNS1_11reduce_implILb1ES3_N6thrust23THRUST_200600_302600_NS11hip_rocprim26transform_input_iterator_tIlNS8_12zip_iteratorINS8_5tupleINS8_6detail15normal_iteratorINS8_10device_ptrIjEEEESH_NS8_9null_typeESI_SI_SI_SI_SI_SI_SI_EEEENS9_21zip_adj_not_predicateINS8_8equal_toIjEEEEEEPllNS8_4plusIlEEEE10hipError_tPvRmT1_T2_T3_mT4_P12ihipStream_tbEUlT_E1_NS1_11comp_targetILNS1_3genE8ELNS1_11target_archE1030ELNS1_3gpuE2ELNS1_3repE0EEENS1_30default_config_static_selectorELNS0_4arch9wavefront6targetE1EEEvSW_, .Lfunc_end868-_ZN7rocprim17ROCPRIM_400000_NS6detail17trampoline_kernelINS0_14default_configENS1_22reduce_config_selectorIlEEZNS1_11reduce_implILb1ES3_N6thrust23THRUST_200600_302600_NS11hip_rocprim26transform_input_iterator_tIlNS8_12zip_iteratorINS8_5tupleINS8_6detail15normal_iteratorINS8_10device_ptrIjEEEESH_NS8_9null_typeESI_SI_SI_SI_SI_SI_SI_EEEENS9_21zip_adj_not_predicateINS8_8equal_toIjEEEEEEPllNS8_4plusIlEEEE10hipError_tPvRmT1_T2_T3_mT4_P12ihipStream_tbEUlT_E1_NS1_11comp_targetILNS1_3genE8ELNS1_11target_archE1030ELNS1_3gpuE2ELNS1_3repE0EEENS1_30default_config_static_selectorELNS0_4arch9wavefront6targetE1EEEvSW_
                                        ; -- End function
	.set _ZN7rocprim17ROCPRIM_400000_NS6detail17trampoline_kernelINS0_14default_configENS1_22reduce_config_selectorIlEEZNS1_11reduce_implILb1ES3_N6thrust23THRUST_200600_302600_NS11hip_rocprim26transform_input_iterator_tIlNS8_12zip_iteratorINS8_5tupleINS8_6detail15normal_iteratorINS8_10device_ptrIjEEEESH_NS8_9null_typeESI_SI_SI_SI_SI_SI_SI_EEEENS9_21zip_adj_not_predicateINS8_8equal_toIjEEEEEEPllNS8_4plusIlEEEE10hipError_tPvRmT1_T2_T3_mT4_P12ihipStream_tbEUlT_E1_NS1_11comp_targetILNS1_3genE8ELNS1_11target_archE1030ELNS1_3gpuE2ELNS1_3repE0EEENS1_30default_config_static_selectorELNS0_4arch9wavefront6targetE1EEEvSW_.num_vgpr, 0
	.set _ZN7rocprim17ROCPRIM_400000_NS6detail17trampoline_kernelINS0_14default_configENS1_22reduce_config_selectorIlEEZNS1_11reduce_implILb1ES3_N6thrust23THRUST_200600_302600_NS11hip_rocprim26transform_input_iterator_tIlNS8_12zip_iteratorINS8_5tupleINS8_6detail15normal_iteratorINS8_10device_ptrIjEEEESH_NS8_9null_typeESI_SI_SI_SI_SI_SI_SI_EEEENS9_21zip_adj_not_predicateINS8_8equal_toIjEEEEEEPllNS8_4plusIlEEEE10hipError_tPvRmT1_T2_T3_mT4_P12ihipStream_tbEUlT_E1_NS1_11comp_targetILNS1_3genE8ELNS1_11target_archE1030ELNS1_3gpuE2ELNS1_3repE0EEENS1_30default_config_static_selectorELNS0_4arch9wavefront6targetE1EEEvSW_.num_agpr, 0
	.set _ZN7rocprim17ROCPRIM_400000_NS6detail17trampoline_kernelINS0_14default_configENS1_22reduce_config_selectorIlEEZNS1_11reduce_implILb1ES3_N6thrust23THRUST_200600_302600_NS11hip_rocprim26transform_input_iterator_tIlNS8_12zip_iteratorINS8_5tupleINS8_6detail15normal_iteratorINS8_10device_ptrIjEEEESH_NS8_9null_typeESI_SI_SI_SI_SI_SI_SI_EEEENS9_21zip_adj_not_predicateINS8_8equal_toIjEEEEEEPllNS8_4plusIlEEEE10hipError_tPvRmT1_T2_T3_mT4_P12ihipStream_tbEUlT_E1_NS1_11comp_targetILNS1_3genE8ELNS1_11target_archE1030ELNS1_3gpuE2ELNS1_3repE0EEENS1_30default_config_static_selectorELNS0_4arch9wavefront6targetE1EEEvSW_.numbered_sgpr, 0
	.set _ZN7rocprim17ROCPRIM_400000_NS6detail17trampoline_kernelINS0_14default_configENS1_22reduce_config_selectorIlEEZNS1_11reduce_implILb1ES3_N6thrust23THRUST_200600_302600_NS11hip_rocprim26transform_input_iterator_tIlNS8_12zip_iteratorINS8_5tupleINS8_6detail15normal_iteratorINS8_10device_ptrIjEEEESH_NS8_9null_typeESI_SI_SI_SI_SI_SI_SI_EEEENS9_21zip_adj_not_predicateINS8_8equal_toIjEEEEEEPllNS8_4plusIlEEEE10hipError_tPvRmT1_T2_T3_mT4_P12ihipStream_tbEUlT_E1_NS1_11comp_targetILNS1_3genE8ELNS1_11target_archE1030ELNS1_3gpuE2ELNS1_3repE0EEENS1_30default_config_static_selectorELNS0_4arch9wavefront6targetE1EEEvSW_.num_named_barrier, 0
	.set _ZN7rocprim17ROCPRIM_400000_NS6detail17trampoline_kernelINS0_14default_configENS1_22reduce_config_selectorIlEEZNS1_11reduce_implILb1ES3_N6thrust23THRUST_200600_302600_NS11hip_rocprim26transform_input_iterator_tIlNS8_12zip_iteratorINS8_5tupleINS8_6detail15normal_iteratorINS8_10device_ptrIjEEEESH_NS8_9null_typeESI_SI_SI_SI_SI_SI_SI_EEEENS9_21zip_adj_not_predicateINS8_8equal_toIjEEEEEEPllNS8_4plusIlEEEE10hipError_tPvRmT1_T2_T3_mT4_P12ihipStream_tbEUlT_E1_NS1_11comp_targetILNS1_3genE8ELNS1_11target_archE1030ELNS1_3gpuE2ELNS1_3repE0EEENS1_30default_config_static_selectorELNS0_4arch9wavefront6targetE1EEEvSW_.private_seg_size, 0
	.set _ZN7rocprim17ROCPRIM_400000_NS6detail17trampoline_kernelINS0_14default_configENS1_22reduce_config_selectorIlEEZNS1_11reduce_implILb1ES3_N6thrust23THRUST_200600_302600_NS11hip_rocprim26transform_input_iterator_tIlNS8_12zip_iteratorINS8_5tupleINS8_6detail15normal_iteratorINS8_10device_ptrIjEEEESH_NS8_9null_typeESI_SI_SI_SI_SI_SI_SI_EEEENS9_21zip_adj_not_predicateINS8_8equal_toIjEEEEEEPllNS8_4plusIlEEEE10hipError_tPvRmT1_T2_T3_mT4_P12ihipStream_tbEUlT_E1_NS1_11comp_targetILNS1_3genE8ELNS1_11target_archE1030ELNS1_3gpuE2ELNS1_3repE0EEENS1_30default_config_static_selectorELNS0_4arch9wavefront6targetE1EEEvSW_.uses_vcc, 0
	.set _ZN7rocprim17ROCPRIM_400000_NS6detail17trampoline_kernelINS0_14default_configENS1_22reduce_config_selectorIlEEZNS1_11reduce_implILb1ES3_N6thrust23THRUST_200600_302600_NS11hip_rocprim26transform_input_iterator_tIlNS8_12zip_iteratorINS8_5tupleINS8_6detail15normal_iteratorINS8_10device_ptrIjEEEESH_NS8_9null_typeESI_SI_SI_SI_SI_SI_SI_EEEENS9_21zip_adj_not_predicateINS8_8equal_toIjEEEEEEPllNS8_4plusIlEEEE10hipError_tPvRmT1_T2_T3_mT4_P12ihipStream_tbEUlT_E1_NS1_11comp_targetILNS1_3genE8ELNS1_11target_archE1030ELNS1_3gpuE2ELNS1_3repE0EEENS1_30default_config_static_selectorELNS0_4arch9wavefront6targetE1EEEvSW_.uses_flat_scratch, 0
	.set _ZN7rocprim17ROCPRIM_400000_NS6detail17trampoline_kernelINS0_14default_configENS1_22reduce_config_selectorIlEEZNS1_11reduce_implILb1ES3_N6thrust23THRUST_200600_302600_NS11hip_rocprim26transform_input_iterator_tIlNS8_12zip_iteratorINS8_5tupleINS8_6detail15normal_iteratorINS8_10device_ptrIjEEEESH_NS8_9null_typeESI_SI_SI_SI_SI_SI_SI_EEEENS9_21zip_adj_not_predicateINS8_8equal_toIjEEEEEEPllNS8_4plusIlEEEE10hipError_tPvRmT1_T2_T3_mT4_P12ihipStream_tbEUlT_E1_NS1_11comp_targetILNS1_3genE8ELNS1_11target_archE1030ELNS1_3gpuE2ELNS1_3repE0EEENS1_30default_config_static_selectorELNS0_4arch9wavefront6targetE1EEEvSW_.has_dyn_sized_stack, 0
	.set _ZN7rocprim17ROCPRIM_400000_NS6detail17trampoline_kernelINS0_14default_configENS1_22reduce_config_selectorIlEEZNS1_11reduce_implILb1ES3_N6thrust23THRUST_200600_302600_NS11hip_rocprim26transform_input_iterator_tIlNS8_12zip_iteratorINS8_5tupleINS8_6detail15normal_iteratorINS8_10device_ptrIjEEEESH_NS8_9null_typeESI_SI_SI_SI_SI_SI_SI_EEEENS9_21zip_adj_not_predicateINS8_8equal_toIjEEEEEEPllNS8_4plusIlEEEE10hipError_tPvRmT1_T2_T3_mT4_P12ihipStream_tbEUlT_E1_NS1_11comp_targetILNS1_3genE8ELNS1_11target_archE1030ELNS1_3gpuE2ELNS1_3repE0EEENS1_30default_config_static_selectorELNS0_4arch9wavefront6targetE1EEEvSW_.has_recursion, 0
	.set _ZN7rocprim17ROCPRIM_400000_NS6detail17trampoline_kernelINS0_14default_configENS1_22reduce_config_selectorIlEEZNS1_11reduce_implILb1ES3_N6thrust23THRUST_200600_302600_NS11hip_rocprim26transform_input_iterator_tIlNS8_12zip_iteratorINS8_5tupleINS8_6detail15normal_iteratorINS8_10device_ptrIjEEEESH_NS8_9null_typeESI_SI_SI_SI_SI_SI_SI_EEEENS9_21zip_adj_not_predicateINS8_8equal_toIjEEEEEEPllNS8_4plusIlEEEE10hipError_tPvRmT1_T2_T3_mT4_P12ihipStream_tbEUlT_E1_NS1_11comp_targetILNS1_3genE8ELNS1_11target_archE1030ELNS1_3gpuE2ELNS1_3repE0EEENS1_30default_config_static_selectorELNS0_4arch9wavefront6targetE1EEEvSW_.has_indirect_call, 0
	.section	.AMDGPU.csdata,"",@progbits
; Kernel info:
; codeLenInByte = 0
; TotalNumSgprs: 4
; NumVgprs: 0
; ScratchSize: 0
; MemoryBound: 0
; FloatMode: 240
; IeeeMode: 1
; LDSByteSize: 0 bytes/workgroup (compile time only)
; SGPRBlocks: 0
; VGPRBlocks: 0
; NumSGPRsForWavesPerEU: 4
; NumVGPRsForWavesPerEU: 1
; Occupancy: 10
; WaveLimiterHint : 0
; COMPUTE_PGM_RSRC2:SCRATCH_EN: 0
; COMPUTE_PGM_RSRC2:USER_SGPR: 6
; COMPUTE_PGM_RSRC2:TRAP_HANDLER: 0
; COMPUTE_PGM_RSRC2:TGID_X_EN: 1
; COMPUTE_PGM_RSRC2:TGID_Y_EN: 0
; COMPUTE_PGM_RSRC2:TGID_Z_EN: 0
; COMPUTE_PGM_RSRC2:TIDIG_COMP_CNT: 0
	.section	.text._ZN7rocprim17ROCPRIM_400000_NS6detail17trampoline_kernelINS0_14default_configENS1_22reduce_config_selectorIlEEZNS1_11reduce_implILb1ES3_N6thrust23THRUST_200600_302600_NS11hip_rocprim26transform_input_iterator_tIlNS8_12zip_iteratorINS8_5tupleINS8_6detail15normal_iteratorINS8_10device_ptrIjEEEESH_NS8_9null_typeESI_SI_SI_SI_SI_SI_SI_EEEENS9_21zip_adj_not_predicateI22is_equal_div_10_uniqueIjEEEEEPllNS8_4plusIlEEEE10hipError_tPvRmT1_T2_T3_mT4_P12ihipStream_tbEUlT_E0_NS1_11comp_targetILNS1_3genE0ELNS1_11target_archE4294967295ELNS1_3gpuE0ELNS1_3repE0EEENS1_30default_config_static_selectorELNS0_4arch9wavefront6targetE1EEEvSW_,"axG",@progbits,_ZN7rocprim17ROCPRIM_400000_NS6detail17trampoline_kernelINS0_14default_configENS1_22reduce_config_selectorIlEEZNS1_11reduce_implILb1ES3_N6thrust23THRUST_200600_302600_NS11hip_rocprim26transform_input_iterator_tIlNS8_12zip_iteratorINS8_5tupleINS8_6detail15normal_iteratorINS8_10device_ptrIjEEEESH_NS8_9null_typeESI_SI_SI_SI_SI_SI_SI_EEEENS9_21zip_adj_not_predicateI22is_equal_div_10_uniqueIjEEEEEPllNS8_4plusIlEEEE10hipError_tPvRmT1_T2_T3_mT4_P12ihipStream_tbEUlT_E0_NS1_11comp_targetILNS1_3genE0ELNS1_11target_archE4294967295ELNS1_3gpuE0ELNS1_3repE0EEENS1_30default_config_static_selectorELNS0_4arch9wavefront6targetE1EEEvSW_,comdat
	.protected	_ZN7rocprim17ROCPRIM_400000_NS6detail17trampoline_kernelINS0_14default_configENS1_22reduce_config_selectorIlEEZNS1_11reduce_implILb1ES3_N6thrust23THRUST_200600_302600_NS11hip_rocprim26transform_input_iterator_tIlNS8_12zip_iteratorINS8_5tupleINS8_6detail15normal_iteratorINS8_10device_ptrIjEEEESH_NS8_9null_typeESI_SI_SI_SI_SI_SI_SI_EEEENS9_21zip_adj_not_predicateI22is_equal_div_10_uniqueIjEEEEEPllNS8_4plusIlEEEE10hipError_tPvRmT1_T2_T3_mT4_P12ihipStream_tbEUlT_E0_NS1_11comp_targetILNS1_3genE0ELNS1_11target_archE4294967295ELNS1_3gpuE0ELNS1_3repE0EEENS1_30default_config_static_selectorELNS0_4arch9wavefront6targetE1EEEvSW_ ; -- Begin function _ZN7rocprim17ROCPRIM_400000_NS6detail17trampoline_kernelINS0_14default_configENS1_22reduce_config_selectorIlEEZNS1_11reduce_implILb1ES3_N6thrust23THRUST_200600_302600_NS11hip_rocprim26transform_input_iterator_tIlNS8_12zip_iteratorINS8_5tupleINS8_6detail15normal_iteratorINS8_10device_ptrIjEEEESH_NS8_9null_typeESI_SI_SI_SI_SI_SI_SI_EEEENS9_21zip_adj_not_predicateI22is_equal_div_10_uniqueIjEEEEEPllNS8_4plusIlEEEE10hipError_tPvRmT1_T2_T3_mT4_P12ihipStream_tbEUlT_E0_NS1_11comp_targetILNS1_3genE0ELNS1_11target_archE4294967295ELNS1_3gpuE0ELNS1_3repE0EEENS1_30default_config_static_selectorELNS0_4arch9wavefront6targetE1EEEvSW_
	.globl	_ZN7rocprim17ROCPRIM_400000_NS6detail17trampoline_kernelINS0_14default_configENS1_22reduce_config_selectorIlEEZNS1_11reduce_implILb1ES3_N6thrust23THRUST_200600_302600_NS11hip_rocprim26transform_input_iterator_tIlNS8_12zip_iteratorINS8_5tupleINS8_6detail15normal_iteratorINS8_10device_ptrIjEEEESH_NS8_9null_typeESI_SI_SI_SI_SI_SI_SI_EEEENS9_21zip_adj_not_predicateI22is_equal_div_10_uniqueIjEEEEEPllNS8_4plusIlEEEE10hipError_tPvRmT1_T2_T3_mT4_P12ihipStream_tbEUlT_E0_NS1_11comp_targetILNS1_3genE0ELNS1_11target_archE4294967295ELNS1_3gpuE0ELNS1_3repE0EEENS1_30default_config_static_selectorELNS0_4arch9wavefront6targetE1EEEvSW_
	.p2align	8
	.type	_ZN7rocprim17ROCPRIM_400000_NS6detail17trampoline_kernelINS0_14default_configENS1_22reduce_config_selectorIlEEZNS1_11reduce_implILb1ES3_N6thrust23THRUST_200600_302600_NS11hip_rocprim26transform_input_iterator_tIlNS8_12zip_iteratorINS8_5tupleINS8_6detail15normal_iteratorINS8_10device_ptrIjEEEESH_NS8_9null_typeESI_SI_SI_SI_SI_SI_SI_EEEENS9_21zip_adj_not_predicateI22is_equal_div_10_uniqueIjEEEEEPllNS8_4plusIlEEEE10hipError_tPvRmT1_T2_T3_mT4_P12ihipStream_tbEUlT_E0_NS1_11comp_targetILNS1_3genE0ELNS1_11target_archE4294967295ELNS1_3gpuE0ELNS1_3repE0EEENS1_30default_config_static_selectorELNS0_4arch9wavefront6targetE1EEEvSW_,@function
_ZN7rocprim17ROCPRIM_400000_NS6detail17trampoline_kernelINS0_14default_configENS1_22reduce_config_selectorIlEEZNS1_11reduce_implILb1ES3_N6thrust23THRUST_200600_302600_NS11hip_rocprim26transform_input_iterator_tIlNS8_12zip_iteratorINS8_5tupleINS8_6detail15normal_iteratorINS8_10device_ptrIjEEEESH_NS8_9null_typeESI_SI_SI_SI_SI_SI_SI_EEEENS9_21zip_adj_not_predicateI22is_equal_div_10_uniqueIjEEEEEPllNS8_4plusIlEEEE10hipError_tPvRmT1_T2_T3_mT4_P12ihipStream_tbEUlT_E0_NS1_11comp_targetILNS1_3genE0ELNS1_11target_archE4294967295ELNS1_3gpuE0ELNS1_3repE0EEENS1_30default_config_static_selectorELNS0_4arch9wavefront6targetE1EEEvSW_: ; @_ZN7rocprim17ROCPRIM_400000_NS6detail17trampoline_kernelINS0_14default_configENS1_22reduce_config_selectorIlEEZNS1_11reduce_implILb1ES3_N6thrust23THRUST_200600_302600_NS11hip_rocprim26transform_input_iterator_tIlNS8_12zip_iteratorINS8_5tupleINS8_6detail15normal_iteratorINS8_10device_ptrIjEEEESH_NS8_9null_typeESI_SI_SI_SI_SI_SI_SI_EEEENS9_21zip_adj_not_predicateI22is_equal_div_10_uniqueIjEEEEEPllNS8_4plusIlEEEE10hipError_tPvRmT1_T2_T3_mT4_P12ihipStream_tbEUlT_E0_NS1_11comp_targetILNS1_3genE0ELNS1_11target_archE4294967295ELNS1_3gpuE0ELNS1_3repE0EEENS1_30default_config_static_selectorELNS0_4arch9wavefront6targetE1EEEvSW_
; %bb.0:
	.section	.rodata,"a",@progbits
	.p2align	6, 0x0
	.amdhsa_kernel _ZN7rocprim17ROCPRIM_400000_NS6detail17trampoline_kernelINS0_14default_configENS1_22reduce_config_selectorIlEEZNS1_11reduce_implILb1ES3_N6thrust23THRUST_200600_302600_NS11hip_rocprim26transform_input_iterator_tIlNS8_12zip_iteratorINS8_5tupleINS8_6detail15normal_iteratorINS8_10device_ptrIjEEEESH_NS8_9null_typeESI_SI_SI_SI_SI_SI_SI_EEEENS9_21zip_adj_not_predicateI22is_equal_div_10_uniqueIjEEEEEPllNS8_4plusIlEEEE10hipError_tPvRmT1_T2_T3_mT4_P12ihipStream_tbEUlT_E0_NS1_11comp_targetILNS1_3genE0ELNS1_11target_archE4294967295ELNS1_3gpuE0ELNS1_3repE0EEENS1_30default_config_static_selectorELNS0_4arch9wavefront6targetE1EEEvSW_
		.amdhsa_group_segment_fixed_size 0
		.amdhsa_private_segment_fixed_size 0
		.amdhsa_kernarg_size 80
		.amdhsa_user_sgpr_count 6
		.amdhsa_user_sgpr_private_segment_buffer 1
		.amdhsa_user_sgpr_dispatch_ptr 0
		.amdhsa_user_sgpr_queue_ptr 0
		.amdhsa_user_sgpr_kernarg_segment_ptr 1
		.amdhsa_user_sgpr_dispatch_id 0
		.amdhsa_user_sgpr_flat_scratch_init 0
		.amdhsa_user_sgpr_private_segment_size 0
		.amdhsa_uses_dynamic_stack 0
		.amdhsa_system_sgpr_private_segment_wavefront_offset 0
		.amdhsa_system_sgpr_workgroup_id_x 1
		.amdhsa_system_sgpr_workgroup_id_y 0
		.amdhsa_system_sgpr_workgroup_id_z 0
		.amdhsa_system_sgpr_workgroup_info 0
		.amdhsa_system_vgpr_workitem_id 0
		.amdhsa_next_free_vgpr 1
		.amdhsa_next_free_sgpr 0
		.amdhsa_reserve_vcc 0
		.amdhsa_reserve_flat_scratch 0
		.amdhsa_float_round_mode_32 0
		.amdhsa_float_round_mode_16_64 0
		.amdhsa_float_denorm_mode_32 3
		.amdhsa_float_denorm_mode_16_64 3
		.amdhsa_dx10_clamp 1
		.amdhsa_ieee_mode 1
		.amdhsa_fp16_overflow 0
		.amdhsa_exception_fp_ieee_invalid_op 0
		.amdhsa_exception_fp_denorm_src 0
		.amdhsa_exception_fp_ieee_div_zero 0
		.amdhsa_exception_fp_ieee_overflow 0
		.amdhsa_exception_fp_ieee_underflow 0
		.amdhsa_exception_fp_ieee_inexact 0
		.amdhsa_exception_int_div_zero 0
	.end_amdhsa_kernel
	.section	.text._ZN7rocprim17ROCPRIM_400000_NS6detail17trampoline_kernelINS0_14default_configENS1_22reduce_config_selectorIlEEZNS1_11reduce_implILb1ES3_N6thrust23THRUST_200600_302600_NS11hip_rocprim26transform_input_iterator_tIlNS8_12zip_iteratorINS8_5tupleINS8_6detail15normal_iteratorINS8_10device_ptrIjEEEESH_NS8_9null_typeESI_SI_SI_SI_SI_SI_SI_EEEENS9_21zip_adj_not_predicateI22is_equal_div_10_uniqueIjEEEEEPllNS8_4plusIlEEEE10hipError_tPvRmT1_T2_T3_mT4_P12ihipStream_tbEUlT_E0_NS1_11comp_targetILNS1_3genE0ELNS1_11target_archE4294967295ELNS1_3gpuE0ELNS1_3repE0EEENS1_30default_config_static_selectorELNS0_4arch9wavefront6targetE1EEEvSW_,"axG",@progbits,_ZN7rocprim17ROCPRIM_400000_NS6detail17trampoline_kernelINS0_14default_configENS1_22reduce_config_selectorIlEEZNS1_11reduce_implILb1ES3_N6thrust23THRUST_200600_302600_NS11hip_rocprim26transform_input_iterator_tIlNS8_12zip_iteratorINS8_5tupleINS8_6detail15normal_iteratorINS8_10device_ptrIjEEEESH_NS8_9null_typeESI_SI_SI_SI_SI_SI_SI_EEEENS9_21zip_adj_not_predicateI22is_equal_div_10_uniqueIjEEEEEPllNS8_4plusIlEEEE10hipError_tPvRmT1_T2_T3_mT4_P12ihipStream_tbEUlT_E0_NS1_11comp_targetILNS1_3genE0ELNS1_11target_archE4294967295ELNS1_3gpuE0ELNS1_3repE0EEENS1_30default_config_static_selectorELNS0_4arch9wavefront6targetE1EEEvSW_,comdat
.Lfunc_end869:
	.size	_ZN7rocprim17ROCPRIM_400000_NS6detail17trampoline_kernelINS0_14default_configENS1_22reduce_config_selectorIlEEZNS1_11reduce_implILb1ES3_N6thrust23THRUST_200600_302600_NS11hip_rocprim26transform_input_iterator_tIlNS8_12zip_iteratorINS8_5tupleINS8_6detail15normal_iteratorINS8_10device_ptrIjEEEESH_NS8_9null_typeESI_SI_SI_SI_SI_SI_SI_EEEENS9_21zip_adj_not_predicateI22is_equal_div_10_uniqueIjEEEEEPllNS8_4plusIlEEEE10hipError_tPvRmT1_T2_T3_mT4_P12ihipStream_tbEUlT_E0_NS1_11comp_targetILNS1_3genE0ELNS1_11target_archE4294967295ELNS1_3gpuE0ELNS1_3repE0EEENS1_30default_config_static_selectorELNS0_4arch9wavefront6targetE1EEEvSW_, .Lfunc_end869-_ZN7rocprim17ROCPRIM_400000_NS6detail17trampoline_kernelINS0_14default_configENS1_22reduce_config_selectorIlEEZNS1_11reduce_implILb1ES3_N6thrust23THRUST_200600_302600_NS11hip_rocprim26transform_input_iterator_tIlNS8_12zip_iteratorINS8_5tupleINS8_6detail15normal_iteratorINS8_10device_ptrIjEEEESH_NS8_9null_typeESI_SI_SI_SI_SI_SI_SI_EEEENS9_21zip_adj_not_predicateI22is_equal_div_10_uniqueIjEEEEEPllNS8_4plusIlEEEE10hipError_tPvRmT1_T2_T3_mT4_P12ihipStream_tbEUlT_E0_NS1_11comp_targetILNS1_3genE0ELNS1_11target_archE4294967295ELNS1_3gpuE0ELNS1_3repE0EEENS1_30default_config_static_selectorELNS0_4arch9wavefront6targetE1EEEvSW_
                                        ; -- End function
	.set _ZN7rocprim17ROCPRIM_400000_NS6detail17trampoline_kernelINS0_14default_configENS1_22reduce_config_selectorIlEEZNS1_11reduce_implILb1ES3_N6thrust23THRUST_200600_302600_NS11hip_rocprim26transform_input_iterator_tIlNS8_12zip_iteratorINS8_5tupleINS8_6detail15normal_iteratorINS8_10device_ptrIjEEEESH_NS8_9null_typeESI_SI_SI_SI_SI_SI_SI_EEEENS9_21zip_adj_not_predicateI22is_equal_div_10_uniqueIjEEEEEPllNS8_4plusIlEEEE10hipError_tPvRmT1_T2_T3_mT4_P12ihipStream_tbEUlT_E0_NS1_11comp_targetILNS1_3genE0ELNS1_11target_archE4294967295ELNS1_3gpuE0ELNS1_3repE0EEENS1_30default_config_static_selectorELNS0_4arch9wavefront6targetE1EEEvSW_.num_vgpr, 0
	.set _ZN7rocprim17ROCPRIM_400000_NS6detail17trampoline_kernelINS0_14default_configENS1_22reduce_config_selectorIlEEZNS1_11reduce_implILb1ES3_N6thrust23THRUST_200600_302600_NS11hip_rocprim26transform_input_iterator_tIlNS8_12zip_iteratorINS8_5tupleINS8_6detail15normal_iteratorINS8_10device_ptrIjEEEESH_NS8_9null_typeESI_SI_SI_SI_SI_SI_SI_EEEENS9_21zip_adj_not_predicateI22is_equal_div_10_uniqueIjEEEEEPllNS8_4plusIlEEEE10hipError_tPvRmT1_T2_T3_mT4_P12ihipStream_tbEUlT_E0_NS1_11comp_targetILNS1_3genE0ELNS1_11target_archE4294967295ELNS1_3gpuE0ELNS1_3repE0EEENS1_30default_config_static_selectorELNS0_4arch9wavefront6targetE1EEEvSW_.num_agpr, 0
	.set _ZN7rocprim17ROCPRIM_400000_NS6detail17trampoline_kernelINS0_14default_configENS1_22reduce_config_selectorIlEEZNS1_11reduce_implILb1ES3_N6thrust23THRUST_200600_302600_NS11hip_rocprim26transform_input_iterator_tIlNS8_12zip_iteratorINS8_5tupleINS8_6detail15normal_iteratorINS8_10device_ptrIjEEEESH_NS8_9null_typeESI_SI_SI_SI_SI_SI_SI_EEEENS9_21zip_adj_not_predicateI22is_equal_div_10_uniqueIjEEEEEPllNS8_4plusIlEEEE10hipError_tPvRmT1_T2_T3_mT4_P12ihipStream_tbEUlT_E0_NS1_11comp_targetILNS1_3genE0ELNS1_11target_archE4294967295ELNS1_3gpuE0ELNS1_3repE0EEENS1_30default_config_static_selectorELNS0_4arch9wavefront6targetE1EEEvSW_.numbered_sgpr, 0
	.set _ZN7rocprim17ROCPRIM_400000_NS6detail17trampoline_kernelINS0_14default_configENS1_22reduce_config_selectorIlEEZNS1_11reduce_implILb1ES3_N6thrust23THRUST_200600_302600_NS11hip_rocprim26transform_input_iterator_tIlNS8_12zip_iteratorINS8_5tupleINS8_6detail15normal_iteratorINS8_10device_ptrIjEEEESH_NS8_9null_typeESI_SI_SI_SI_SI_SI_SI_EEEENS9_21zip_adj_not_predicateI22is_equal_div_10_uniqueIjEEEEEPllNS8_4plusIlEEEE10hipError_tPvRmT1_T2_T3_mT4_P12ihipStream_tbEUlT_E0_NS1_11comp_targetILNS1_3genE0ELNS1_11target_archE4294967295ELNS1_3gpuE0ELNS1_3repE0EEENS1_30default_config_static_selectorELNS0_4arch9wavefront6targetE1EEEvSW_.num_named_barrier, 0
	.set _ZN7rocprim17ROCPRIM_400000_NS6detail17trampoline_kernelINS0_14default_configENS1_22reduce_config_selectorIlEEZNS1_11reduce_implILb1ES3_N6thrust23THRUST_200600_302600_NS11hip_rocprim26transform_input_iterator_tIlNS8_12zip_iteratorINS8_5tupleINS8_6detail15normal_iteratorINS8_10device_ptrIjEEEESH_NS8_9null_typeESI_SI_SI_SI_SI_SI_SI_EEEENS9_21zip_adj_not_predicateI22is_equal_div_10_uniqueIjEEEEEPllNS8_4plusIlEEEE10hipError_tPvRmT1_T2_T3_mT4_P12ihipStream_tbEUlT_E0_NS1_11comp_targetILNS1_3genE0ELNS1_11target_archE4294967295ELNS1_3gpuE0ELNS1_3repE0EEENS1_30default_config_static_selectorELNS0_4arch9wavefront6targetE1EEEvSW_.private_seg_size, 0
	.set _ZN7rocprim17ROCPRIM_400000_NS6detail17trampoline_kernelINS0_14default_configENS1_22reduce_config_selectorIlEEZNS1_11reduce_implILb1ES3_N6thrust23THRUST_200600_302600_NS11hip_rocprim26transform_input_iterator_tIlNS8_12zip_iteratorINS8_5tupleINS8_6detail15normal_iteratorINS8_10device_ptrIjEEEESH_NS8_9null_typeESI_SI_SI_SI_SI_SI_SI_EEEENS9_21zip_adj_not_predicateI22is_equal_div_10_uniqueIjEEEEEPllNS8_4plusIlEEEE10hipError_tPvRmT1_T2_T3_mT4_P12ihipStream_tbEUlT_E0_NS1_11comp_targetILNS1_3genE0ELNS1_11target_archE4294967295ELNS1_3gpuE0ELNS1_3repE0EEENS1_30default_config_static_selectorELNS0_4arch9wavefront6targetE1EEEvSW_.uses_vcc, 0
	.set _ZN7rocprim17ROCPRIM_400000_NS6detail17trampoline_kernelINS0_14default_configENS1_22reduce_config_selectorIlEEZNS1_11reduce_implILb1ES3_N6thrust23THRUST_200600_302600_NS11hip_rocprim26transform_input_iterator_tIlNS8_12zip_iteratorINS8_5tupleINS8_6detail15normal_iteratorINS8_10device_ptrIjEEEESH_NS8_9null_typeESI_SI_SI_SI_SI_SI_SI_EEEENS9_21zip_adj_not_predicateI22is_equal_div_10_uniqueIjEEEEEPllNS8_4plusIlEEEE10hipError_tPvRmT1_T2_T3_mT4_P12ihipStream_tbEUlT_E0_NS1_11comp_targetILNS1_3genE0ELNS1_11target_archE4294967295ELNS1_3gpuE0ELNS1_3repE0EEENS1_30default_config_static_selectorELNS0_4arch9wavefront6targetE1EEEvSW_.uses_flat_scratch, 0
	.set _ZN7rocprim17ROCPRIM_400000_NS6detail17trampoline_kernelINS0_14default_configENS1_22reduce_config_selectorIlEEZNS1_11reduce_implILb1ES3_N6thrust23THRUST_200600_302600_NS11hip_rocprim26transform_input_iterator_tIlNS8_12zip_iteratorINS8_5tupleINS8_6detail15normal_iteratorINS8_10device_ptrIjEEEESH_NS8_9null_typeESI_SI_SI_SI_SI_SI_SI_EEEENS9_21zip_adj_not_predicateI22is_equal_div_10_uniqueIjEEEEEPllNS8_4plusIlEEEE10hipError_tPvRmT1_T2_T3_mT4_P12ihipStream_tbEUlT_E0_NS1_11comp_targetILNS1_3genE0ELNS1_11target_archE4294967295ELNS1_3gpuE0ELNS1_3repE0EEENS1_30default_config_static_selectorELNS0_4arch9wavefront6targetE1EEEvSW_.has_dyn_sized_stack, 0
	.set _ZN7rocprim17ROCPRIM_400000_NS6detail17trampoline_kernelINS0_14default_configENS1_22reduce_config_selectorIlEEZNS1_11reduce_implILb1ES3_N6thrust23THRUST_200600_302600_NS11hip_rocprim26transform_input_iterator_tIlNS8_12zip_iteratorINS8_5tupleINS8_6detail15normal_iteratorINS8_10device_ptrIjEEEESH_NS8_9null_typeESI_SI_SI_SI_SI_SI_SI_EEEENS9_21zip_adj_not_predicateI22is_equal_div_10_uniqueIjEEEEEPllNS8_4plusIlEEEE10hipError_tPvRmT1_T2_T3_mT4_P12ihipStream_tbEUlT_E0_NS1_11comp_targetILNS1_3genE0ELNS1_11target_archE4294967295ELNS1_3gpuE0ELNS1_3repE0EEENS1_30default_config_static_selectorELNS0_4arch9wavefront6targetE1EEEvSW_.has_recursion, 0
	.set _ZN7rocprim17ROCPRIM_400000_NS6detail17trampoline_kernelINS0_14default_configENS1_22reduce_config_selectorIlEEZNS1_11reduce_implILb1ES3_N6thrust23THRUST_200600_302600_NS11hip_rocprim26transform_input_iterator_tIlNS8_12zip_iteratorINS8_5tupleINS8_6detail15normal_iteratorINS8_10device_ptrIjEEEESH_NS8_9null_typeESI_SI_SI_SI_SI_SI_SI_EEEENS9_21zip_adj_not_predicateI22is_equal_div_10_uniqueIjEEEEEPllNS8_4plusIlEEEE10hipError_tPvRmT1_T2_T3_mT4_P12ihipStream_tbEUlT_E0_NS1_11comp_targetILNS1_3genE0ELNS1_11target_archE4294967295ELNS1_3gpuE0ELNS1_3repE0EEENS1_30default_config_static_selectorELNS0_4arch9wavefront6targetE1EEEvSW_.has_indirect_call, 0
	.section	.AMDGPU.csdata,"",@progbits
; Kernel info:
; codeLenInByte = 0
; TotalNumSgprs: 4
; NumVgprs: 0
; ScratchSize: 0
; MemoryBound: 0
; FloatMode: 240
; IeeeMode: 1
; LDSByteSize: 0 bytes/workgroup (compile time only)
; SGPRBlocks: 0
; VGPRBlocks: 0
; NumSGPRsForWavesPerEU: 4
; NumVGPRsForWavesPerEU: 1
; Occupancy: 10
; WaveLimiterHint : 0
; COMPUTE_PGM_RSRC2:SCRATCH_EN: 0
; COMPUTE_PGM_RSRC2:USER_SGPR: 6
; COMPUTE_PGM_RSRC2:TRAP_HANDLER: 0
; COMPUTE_PGM_RSRC2:TGID_X_EN: 1
; COMPUTE_PGM_RSRC2:TGID_Y_EN: 0
; COMPUTE_PGM_RSRC2:TGID_Z_EN: 0
; COMPUTE_PGM_RSRC2:TIDIG_COMP_CNT: 0
	.section	.text._ZN7rocprim17ROCPRIM_400000_NS6detail17trampoline_kernelINS0_14default_configENS1_22reduce_config_selectorIlEEZNS1_11reduce_implILb1ES3_N6thrust23THRUST_200600_302600_NS11hip_rocprim26transform_input_iterator_tIlNS8_12zip_iteratorINS8_5tupleINS8_6detail15normal_iteratorINS8_10device_ptrIjEEEESH_NS8_9null_typeESI_SI_SI_SI_SI_SI_SI_EEEENS9_21zip_adj_not_predicateI22is_equal_div_10_uniqueIjEEEEEPllNS8_4plusIlEEEE10hipError_tPvRmT1_T2_T3_mT4_P12ihipStream_tbEUlT_E0_NS1_11comp_targetILNS1_3genE5ELNS1_11target_archE942ELNS1_3gpuE9ELNS1_3repE0EEENS1_30default_config_static_selectorELNS0_4arch9wavefront6targetE1EEEvSW_,"axG",@progbits,_ZN7rocprim17ROCPRIM_400000_NS6detail17trampoline_kernelINS0_14default_configENS1_22reduce_config_selectorIlEEZNS1_11reduce_implILb1ES3_N6thrust23THRUST_200600_302600_NS11hip_rocprim26transform_input_iterator_tIlNS8_12zip_iteratorINS8_5tupleINS8_6detail15normal_iteratorINS8_10device_ptrIjEEEESH_NS8_9null_typeESI_SI_SI_SI_SI_SI_SI_EEEENS9_21zip_adj_not_predicateI22is_equal_div_10_uniqueIjEEEEEPllNS8_4plusIlEEEE10hipError_tPvRmT1_T2_T3_mT4_P12ihipStream_tbEUlT_E0_NS1_11comp_targetILNS1_3genE5ELNS1_11target_archE942ELNS1_3gpuE9ELNS1_3repE0EEENS1_30default_config_static_selectorELNS0_4arch9wavefront6targetE1EEEvSW_,comdat
	.protected	_ZN7rocprim17ROCPRIM_400000_NS6detail17trampoline_kernelINS0_14default_configENS1_22reduce_config_selectorIlEEZNS1_11reduce_implILb1ES3_N6thrust23THRUST_200600_302600_NS11hip_rocprim26transform_input_iterator_tIlNS8_12zip_iteratorINS8_5tupleINS8_6detail15normal_iteratorINS8_10device_ptrIjEEEESH_NS8_9null_typeESI_SI_SI_SI_SI_SI_SI_EEEENS9_21zip_adj_not_predicateI22is_equal_div_10_uniqueIjEEEEEPllNS8_4plusIlEEEE10hipError_tPvRmT1_T2_T3_mT4_P12ihipStream_tbEUlT_E0_NS1_11comp_targetILNS1_3genE5ELNS1_11target_archE942ELNS1_3gpuE9ELNS1_3repE0EEENS1_30default_config_static_selectorELNS0_4arch9wavefront6targetE1EEEvSW_ ; -- Begin function _ZN7rocprim17ROCPRIM_400000_NS6detail17trampoline_kernelINS0_14default_configENS1_22reduce_config_selectorIlEEZNS1_11reduce_implILb1ES3_N6thrust23THRUST_200600_302600_NS11hip_rocprim26transform_input_iterator_tIlNS8_12zip_iteratorINS8_5tupleINS8_6detail15normal_iteratorINS8_10device_ptrIjEEEESH_NS8_9null_typeESI_SI_SI_SI_SI_SI_SI_EEEENS9_21zip_adj_not_predicateI22is_equal_div_10_uniqueIjEEEEEPllNS8_4plusIlEEEE10hipError_tPvRmT1_T2_T3_mT4_P12ihipStream_tbEUlT_E0_NS1_11comp_targetILNS1_3genE5ELNS1_11target_archE942ELNS1_3gpuE9ELNS1_3repE0EEENS1_30default_config_static_selectorELNS0_4arch9wavefront6targetE1EEEvSW_
	.globl	_ZN7rocprim17ROCPRIM_400000_NS6detail17trampoline_kernelINS0_14default_configENS1_22reduce_config_selectorIlEEZNS1_11reduce_implILb1ES3_N6thrust23THRUST_200600_302600_NS11hip_rocprim26transform_input_iterator_tIlNS8_12zip_iteratorINS8_5tupleINS8_6detail15normal_iteratorINS8_10device_ptrIjEEEESH_NS8_9null_typeESI_SI_SI_SI_SI_SI_SI_EEEENS9_21zip_adj_not_predicateI22is_equal_div_10_uniqueIjEEEEEPllNS8_4plusIlEEEE10hipError_tPvRmT1_T2_T3_mT4_P12ihipStream_tbEUlT_E0_NS1_11comp_targetILNS1_3genE5ELNS1_11target_archE942ELNS1_3gpuE9ELNS1_3repE0EEENS1_30default_config_static_selectorELNS0_4arch9wavefront6targetE1EEEvSW_
	.p2align	8
	.type	_ZN7rocprim17ROCPRIM_400000_NS6detail17trampoline_kernelINS0_14default_configENS1_22reduce_config_selectorIlEEZNS1_11reduce_implILb1ES3_N6thrust23THRUST_200600_302600_NS11hip_rocprim26transform_input_iterator_tIlNS8_12zip_iteratorINS8_5tupleINS8_6detail15normal_iteratorINS8_10device_ptrIjEEEESH_NS8_9null_typeESI_SI_SI_SI_SI_SI_SI_EEEENS9_21zip_adj_not_predicateI22is_equal_div_10_uniqueIjEEEEEPllNS8_4plusIlEEEE10hipError_tPvRmT1_T2_T3_mT4_P12ihipStream_tbEUlT_E0_NS1_11comp_targetILNS1_3genE5ELNS1_11target_archE942ELNS1_3gpuE9ELNS1_3repE0EEENS1_30default_config_static_selectorELNS0_4arch9wavefront6targetE1EEEvSW_,@function
_ZN7rocprim17ROCPRIM_400000_NS6detail17trampoline_kernelINS0_14default_configENS1_22reduce_config_selectorIlEEZNS1_11reduce_implILb1ES3_N6thrust23THRUST_200600_302600_NS11hip_rocprim26transform_input_iterator_tIlNS8_12zip_iteratorINS8_5tupleINS8_6detail15normal_iteratorINS8_10device_ptrIjEEEESH_NS8_9null_typeESI_SI_SI_SI_SI_SI_SI_EEEENS9_21zip_adj_not_predicateI22is_equal_div_10_uniqueIjEEEEEPllNS8_4plusIlEEEE10hipError_tPvRmT1_T2_T3_mT4_P12ihipStream_tbEUlT_E0_NS1_11comp_targetILNS1_3genE5ELNS1_11target_archE942ELNS1_3gpuE9ELNS1_3repE0EEENS1_30default_config_static_selectorELNS0_4arch9wavefront6targetE1EEEvSW_: ; @_ZN7rocprim17ROCPRIM_400000_NS6detail17trampoline_kernelINS0_14default_configENS1_22reduce_config_selectorIlEEZNS1_11reduce_implILb1ES3_N6thrust23THRUST_200600_302600_NS11hip_rocprim26transform_input_iterator_tIlNS8_12zip_iteratorINS8_5tupleINS8_6detail15normal_iteratorINS8_10device_ptrIjEEEESH_NS8_9null_typeESI_SI_SI_SI_SI_SI_SI_EEEENS9_21zip_adj_not_predicateI22is_equal_div_10_uniqueIjEEEEEPllNS8_4plusIlEEEE10hipError_tPvRmT1_T2_T3_mT4_P12ihipStream_tbEUlT_E0_NS1_11comp_targetILNS1_3genE5ELNS1_11target_archE942ELNS1_3gpuE9ELNS1_3repE0EEENS1_30default_config_static_selectorELNS0_4arch9wavefront6targetE1EEEvSW_
; %bb.0:
	.section	.rodata,"a",@progbits
	.p2align	6, 0x0
	.amdhsa_kernel _ZN7rocprim17ROCPRIM_400000_NS6detail17trampoline_kernelINS0_14default_configENS1_22reduce_config_selectorIlEEZNS1_11reduce_implILb1ES3_N6thrust23THRUST_200600_302600_NS11hip_rocprim26transform_input_iterator_tIlNS8_12zip_iteratorINS8_5tupleINS8_6detail15normal_iteratorINS8_10device_ptrIjEEEESH_NS8_9null_typeESI_SI_SI_SI_SI_SI_SI_EEEENS9_21zip_adj_not_predicateI22is_equal_div_10_uniqueIjEEEEEPllNS8_4plusIlEEEE10hipError_tPvRmT1_T2_T3_mT4_P12ihipStream_tbEUlT_E0_NS1_11comp_targetILNS1_3genE5ELNS1_11target_archE942ELNS1_3gpuE9ELNS1_3repE0EEENS1_30default_config_static_selectorELNS0_4arch9wavefront6targetE1EEEvSW_
		.amdhsa_group_segment_fixed_size 0
		.amdhsa_private_segment_fixed_size 0
		.amdhsa_kernarg_size 80
		.amdhsa_user_sgpr_count 6
		.amdhsa_user_sgpr_private_segment_buffer 1
		.amdhsa_user_sgpr_dispatch_ptr 0
		.amdhsa_user_sgpr_queue_ptr 0
		.amdhsa_user_sgpr_kernarg_segment_ptr 1
		.amdhsa_user_sgpr_dispatch_id 0
		.amdhsa_user_sgpr_flat_scratch_init 0
		.amdhsa_user_sgpr_private_segment_size 0
		.amdhsa_uses_dynamic_stack 0
		.amdhsa_system_sgpr_private_segment_wavefront_offset 0
		.amdhsa_system_sgpr_workgroup_id_x 1
		.amdhsa_system_sgpr_workgroup_id_y 0
		.amdhsa_system_sgpr_workgroup_id_z 0
		.amdhsa_system_sgpr_workgroup_info 0
		.amdhsa_system_vgpr_workitem_id 0
		.amdhsa_next_free_vgpr 1
		.amdhsa_next_free_sgpr 0
		.amdhsa_reserve_vcc 0
		.amdhsa_reserve_flat_scratch 0
		.amdhsa_float_round_mode_32 0
		.amdhsa_float_round_mode_16_64 0
		.amdhsa_float_denorm_mode_32 3
		.amdhsa_float_denorm_mode_16_64 3
		.amdhsa_dx10_clamp 1
		.amdhsa_ieee_mode 1
		.amdhsa_fp16_overflow 0
		.amdhsa_exception_fp_ieee_invalid_op 0
		.amdhsa_exception_fp_denorm_src 0
		.amdhsa_exception_fp_ieee_div_zero 0
		.amdhsa_exception_fp_ieee_overflow 0
		.amdhsa_exception_fp_ieee_underflow 0
		.amdhsa_exception_fp_ieee_inexact 0
		.amdhsa_exception_int_div_zero 0
	.end_amdhsa_kernel
	.section	.text._ZN7rocprim17ROCPRIM_400000_NS6detail17trampoline_kernelINS0_14default_configENS1_22reduce_config_selectorIlEEZNS1_11reduce_implILb1ES3_N6thrust23THRUST_200600_302600_NS11hip_rocprim26transform_input_iterator_tIlNS8_12zip_iteratorINS8_5tupleINS8_6detail15normal_iteratorINS8_10device_ptrIjEEEESH_NS8_9null_typeESI_SI_SI_SI_SI_SI_SI_EEEENS9_21zip_adj_not_predicateI22is_equal_div_10_uniqueIjEEEEEPllNS8_4plusIlEEEE10hipError_tPvRmT1_T2_T3_mT4_P12ihipStream_tbEUlT_E0_NS1_11comp_targetILNS1_3genE5ELNS1_11target_archE942ELNS1_3gpuE9ELNS1_3repE0EEENS1_30default_config_static_selectorELNS0_4arch9wavefront6targetE1EEEvSW_,"axG",@progbits,_ZN7rocprim17ROCPRIM_400000_NS6detail17trampoline_kernelINS0_14default_configENS1_22reduce_config_selectorIlEEZNS1_11reduce_implILb1ES3_N6thrust23THRUST_200600_302600_NS11hip_rocprim26transform_input_iterator_tIlNS8_12zip_iteratorINS8_5tupleINS8_6detail15normal_iteratorINS8_10device_ptrIjEEEESH_NS8_9null_typeESI_SI_SI_SI_SI_SI_SI_EEEENS9_21zip_adj_not_predicateI22is_equal_div_10_uniqueIjEEEEEPllNS8_4plusIlEEEE10hipError_tPvRmT1_T2_T3_mT4_P12ihipStream_tbEUlT_E0_NS1_11comp_targetILNS1_3genE5ELNS1_11target_archE942ELNS1_3gpuE9ELNS1_3repE0EEENS1_30default_config_static_selectorELNS0_4arch9wavefront6targetE1EEEvSW_,comdat
.Lfunc_end870:
	.size	_ZN7rocprim17ROCPRIM_400000_NS6detail17trampoline_kernelINS0_14default_configENS1_22reduce_config_selectorIlEEZNS1_11reduce_implILb1ES3_N6thrust23THRUST_200600_302600_NS11hip_rocprim26transform_input_iterator_tIlNS8_12zip_iteratorINS8_5tupleINS8_6detail15normal_iteratorINS8_10device_ptrIjEEEESH_NS8_9null_typeESI_SI_SI_SI_SI_SI_SI_EEEENS9_21zip_adj_not_predicateI22is_equal_div_10_uniqueIjEEEEEPllNS8_4plusIlEEEE10hipError_tPvRmT1_T2_T3_mT4_P12ihipStream_tbEUlT_E0_NS1_11comp_targetILNS1_3genE5ELNS1_11target_archE942ELNS1_3gpuE9ELNS1_3repE0EEENS1_30default_config_static_selectorELNS0_4arch9wavefront6targetE1EEEvSW_, .Lfunc_end870-_ZN7rocprim17ROCPRIM_400000_NS6detail17trampoline_kernelINS0_14default_configENS1_22reduce_config_selectorIlEEZNS1_11reduce_implILb1ES3_N6thrust23THRUST_200600_302600_NS11hip_rocprim26transform_input_iterator_tIlNS8_12zip_iteratorINS8_5tupleINS8_6detail15normal_iteratorINS8_10device_ptrIjEEEESH_NS8_9null_typeESI_SI_SI_SI_SI_SI_SI_EEEENS9_21zip_adj_not_predicateI22is_equal_div_10_uniqueIjEEEEEPllNS8_4plusIlEEEE10hipError_tPvRmT1_T2_T3_mT4_P12ihipStream_tbEUlT_E0_NS1_11comp_targetILNS1_3genE5ELNS1_11target_archE942ELNS1_3gpuE9ELNS1_3repE0EEENS1_30default_config_static_selectorELNS0_4arch9wavefront6targetE1EEEvSW_
                                        ; -- End function
	.set _ZN7rocprim17ROCPRIM_400000_NS6detail17trampoline_kernelINS0_14default_configENS1_22reduce_config_selectorIlEEZNS1_11reduce_implILb1ES3_N6thrust23THRUST_200600_302600_NS11hip_rocprim26transform_input_iterator_tIlNS8_12zip_iteratorINS8_5tupleINS8_6detail15normal_iteratorINS8_10device_ptrIjEEEESH_NS8_9null_typeESI_SI_SI_SI_SI_SI_SI_EEEENS9_21zip_adj_not_predicateI22is_equal_div_10_uniqueIjEEEEEPllNS8_4plusIlEEEE10hipError_tPvRmT1_T2_T3_mT4_P12ihipStream_tbEUlT_E0_NS1_11comp_targetILNS1_3genE5ELNS1_11target_archE942ELNS1_3gpuE9ELNS1_3repE0EEENS1_30default_config_static_selectorELNS0_4arch9wavefront6targetE1EEEvSW_.num_vgpr, 0
	.set _ZN7rocprim17ROCPRIM_400000_NS6detail17trampoline_kernelINS0_14default_configENS1_22reduce_config_selectorIlEEZNS1_11reduce_implILb1ES3_N6thrust23THRUST_200600_302600_NS11hip_rocprim26transform_input_iterator_tIlNS8_12zip_iteratorINS8_5tupleINS8_6detail15normal_iteratorINS8_10device_ptrIjEEEESH_NS8_9null_typeESI_SI_SI_SI_SI_SI_SI_EEEENS9_21zip_adj_not_predicateI22is_equal_div_10_uniqueIjEEEEEPllNS8_4plusIlEEEE10hipError_tPvRmT1_T2_T3_mT4_P12ihipStream_tbEUlT_E0_NS1_11comp_targetILNS1_3genE5ELNS1_11target_archE942ELNS1_3gpuE9ELNS1_3repE0EEENS1_30default_config_static_selectorELNS0_4arch9wavefront6targetE1EEEvSW_.num_agpr, 0
	.set _ZN7rocprim17ROCPRIM_400000_NS6detail17trampoline_kernelINS0_14default_configENS1_22reduce_config_selectorIlEEZNS1_11reduce_implILb1ES3_N6thrust23THRUST_200600_302600_NS11hip_rocprim26transform_input_iterator_tIlNS8_12zip_iteratorINS8_5tupleINS8_6detail15normal_iteratorINS8_10device_ptrIjEEEESH_NS8_9null_typeESI_SI_SI_SI_SI_SI_SI_EEEENS9_21zip_adj_not_predicateI22is_equal_div_10_uniqueIjEEEEEPllNS8_4plusIlEEEE10hipError_tPvRmT1_T2_T3_mT4_P12ihipStream_tbEUlT_E0_NS1_11comp_targetILNS1_3genE5ELNS1_11target_archE942ELNS1_3gpuE9ELNS1_3repE0EEENS1_30default_config_static_selectorELNS0_4arch9wavefront6targetE1EEEvSW_.numbered_sgpr, 0
	.set _ZN7rocprim17ROCPRIM_400000_NS6detail17trampoline_kernelINS0_14default_configENS1_22reduce_config_selectorIlEEZNS1_11reduce_implILb1ES3_N6thrust23THRUST_200600_302600_NS11hip_rocprim26transform_input_iterator_tIlNS8_12zip_iteratorINS8_5tupleINS8_6detail15normal_iteratorINS8_10device_ptrIjEEEESH_NS8_9null_typeESI_SI_SI_SI_SI_SI_SI_EEEENS9_21zip_adj_not_predicateI22is_equal_div_10_uniqueIjEEEEEPllNS8_4plusIlEEEE10hipError_tPvRmT1_T2_T3_mT4_P12ihipStream_tbEUlT_E0_NS1_11comp_targetILNS1_3genE5ELNS1_11target_archE942ELNS1_3gpuE9ELNS1_3repE0EEENS1_30default_config_static_selectorELNS0_4arch9wavefront6targetE1EEEvSW_.num_named_barrier, 0
	.set _ZN7rocprim17ROCPRIM_400000_NS6detail17trampoline_kernelINS0_14default_configENS1_22reduce_config_selectorIlEEZNS1_11reduce_implILb1ES3_N6thrust23THRUST_200600_302600_NS11hip_rocprim26transform_input_iterator_tIlNS8_12zip_iteratorINS8_5tupleINS8_6detail15normal_iteratorINS8_10device_ptrIjEEEESH_NS8_9null_typeESI_SI_SI_SI_SI_SI_SI_EEEENS9_21zip_adj_not_predicateI22is_equal_div_10_uniqueIjEEEEEPllNS8_4plusIlEEEE10hipError_tPvRmT1_T2_T3_mT4_P12ihipStream_tbEUlT_E0_NS1_11comp_targetILNS1_3genE5ELNS1_11target_archE942ELNS1_3gpuE9ELNS1_3repE0EEENS1_30default_config_static_selectorELNS0_4arch9wavefront6targetE1EEEvSW_.private_seg_size, 0
	.set _ZN7rocprim17ROCPRIM_400000_NS6detail17trampoline_kernelINS0_14default_configENS1_22reduce_config_selectorIlEEZNS1_11reduce_implILb1ES3_N6thrust23THRUST_200600_302600_NS11hip_rocprim26transform_input_iterator_tIlNS8_12zip_iteratorINS8_5tupleINS8_6detail15normal_iteratorINS8_10device_ptrIjEEEESH_NS8_9null_typeESI_SI_SI_SI_SI_SI_SI_EEEENS9_21zip_adj_not_predicateI22is_equal_div_10_uniqueIjEEEEEPllNS8_4plusIlEEEE10hipError_tPvRmT1_T2_T3_mT4_P12ihipStream_tbEUlT_E0_NS1_11comp_targetILNS1_3genE5ELNS1_11target_archE942ELNS1_3gpuE9ELNS1_3repE0EEENS1_30default_config_static_selectorELNS0_4arch9wavefront6targetE1EEEvSW_.uses_vcc, 0
	.set _ZN7rocprim17ROCPRIM_400000_NS6detail17trampoline_kernelINS0_14default_configENS1_22reduce_config_selectorIlEEZNS1_11reduce_implILb1ES3_N6thrust23THRUST_200600_302600_NS11hip_rocprim26transform_input_iterator_tIlNS8_12zip_iteratorINS8_5tupleINS8_6detail15normal_iteratorINS8_10device_ptrIjEEEESH_NS8_9null_typeESI_SI_SI_SI_SI_SI_SI_EEEENS9_21zip_adj_not_predicateI22is_equal_div_10_uniqueIjEEEEEPllNS8_4plusIlEEEE10hipError_tPvRmT1_T2_T3_mT4_P12ihipStream_tbEUlT_E0_NS1_11comp_targetILNS1_3genE5ELNS1_11target_archE942ELNS1_3gpuE9ELNS1_3repE0EEENS1_30default_config_static_selectorELNS0_4arch9wavefront6targetE1EEEvSW_.uses_flat_scratch, 0
	.set _ZN7rocprim17ROCPRIM_400000_NS6detail17trampoline_kernelINS0_14default_configENS1_22reduce_config_selectorIlEEZNS1_11reduce_implILb1ES3_N6thrust23THRUST_200600_302600_NS11hip_rocprim26transform_input_iterator_tIlNS8_12zip_iteratorINS8_5tupleINS8_6detail15normal_iteratorINS8_10device_ptrIjEEEESH_NS8_9null_typeESI_SI_SI_SI_SI_SI_SI_EEEENS9_21zip_adj_not_predicateI22is_equal_div_10_uniqueIjEEEEEPllNS8_4plusIlEEEE10hipError_tPvRmT1_T2_T3_mT4_P12ihipStream_tbEUlT_E0_NS1_11comp_targetILNS1_3genE5ELNS1_11target_archE942ELNS1_3gpuE9ELNS1_3repE0EEENS1_30default_config_static_selectorELNS0_4arch9wavefront6targetE1EEEvSW_.has_dyn_sized_stack, 0
	.set _ZN7rocprim17ROCPRIM_400000_NS6detail17trampoline_kernelINS0_14default_configENS1_22reduce_config_selectorIlEEZNS1_11reduce_implILb1ES3_N6thrust23THRUST_200600_302600_NS11hip_rocprim26transform_input_iterator_tIlNS8_12zip_iteratorINS8_5tupleINS8_6detail15normal_iteratorINS8_10device_ptrIjEEEESH_NS8_9null_typeESI_SI_SI_SI_SI_SI_SI_EEEENS9_21zip_adj_not_predicateI22is_equal_div_10_uniqueIjEEEEEPllNS8_4plusIlEEEE10hipError_tPvRmT1_T2_T3_mT4_P12ihipStream_tbEUlT_E0_NS1_11comp_targetILNS1_3genE5ELNS1_11target_archE942ELNS1_3gpuE9ELNS1_3repE0EEENS1_30default_config_static_selectorELNS0_4arch9wavefront6targetE1EEEvSW_.has_recursion, 0
	.set _ZN7rocprim17ROCPRIM_400000_NS6detail17trampoline_kernelINS0_14default_configENS1_22reduce_config_selectorIlEEZNS1_11reduce_implILb1ES3_N6thrust23THRUST_200600_302600_NS11hip_rocprim26transform_input_iterator_tIlNS8_12zip_iteratorINS8_5tupleINS8_6detail15normal_iteratorINS8_10device_ptrIjEEEESH_NS8_9null_typeESI_SI_SI_SI_SI_SI_SI_EEEENS9_21zip_adj_not_predicateI22is_equal_div_10_uniqueIjEEEEEPllNS8_4plusIlEEEE10hipError_tPvRmT1_T2_T3_mT4_P12ihipStream_tbEUlT_E0_NS1_11comp_targetILNS1_3genE5ELNS1_11target_archE942ELNS1_3gpuE9ELNS1_3repE0EEENS1_30default_config_static_selectorELNS0_4arch9wavefront6targetE1EEEvSW_.has_indirect_call, 0
	.section	.AMDGPU.csdata,"",@progbits
; Kernel info:
; codeLenInByte = 0
; TotalNumSgprs: 4
; NumVgprs: 0
; ScratchSize: 0
; MemoryBound: 0
; FloatMode: 240
; IeeeMode: 1
; LDSByteSize: 0 bytes/workgroup (compile time only)
; SGPRBlocks: 0
; VGPRBlocks: 0
; NumSGPRsForWavesPerEU: 4
; NumVGPRsForWavesPerEU: 1
; Occupancy: 10
; WaveLimiterHint : 0
; COMPUTE_PGM_RSRC2:SCRATCH_EN: 0
; COMPUTE_PGM_RSRC2:USER_SGPR: 6
; COMPUTE_PGM_RSRC2:TRAP_HANDLER: 0
; COMPUTE_PGM_RSRC2:TGID_X_EN: 1
; COMPUTE_PGM_RSRC2:TGID_Y_EN: 0
; COMPUTE_PGM_RSRC2:TGID_Z_EN: 0
; COMPUTE_PGM_RSRC2:TIDIG_COMP_CNT: 0
	.section	.text._ZN7rocprim17ROCPRIM_400000_NS6detail17trampoline_kernelINS0_14default_configENS1_22reduce_config_selectorIlEEZNS1_11reduce_implILb1ES3_N6thrust23THRUST_200600_302600_NS11hip_rocprim26transform_input_iterator_tIlNS8_12zip_iteratorINS8_5tupleINS8_6detail15normal_iteratorINS8_10device_ptrIjEEEESH_NS8_9null_typeESI_SI_SI_SI_SI_SI_SI_EEEENS9_21zip_adj_not_predicateI22is_equal_div_10_uniqueIjEEEEEPllNS8_4plusIlEEEE10hipError_tPvRmT1_T2_T3_mT4_P12ihipStream_tbEUlT_E0_NS1_11comp_targetILNS1_3genE4ELNS1_11target_archE910ELNS1_3gpuE8ELNS1_3repE0EEENS1_30default_config_static_selectorELNS0_4arch9wavefront6targetE1EEEvSW_,"axG",@progbits,_ZN7rocprim17ROCPRIM_400000_NS6detail17trampoline_kernelINS0_14default_configENS1_22reduce_config_selectorIlEEZNS1_11reduce_implILb1ES3_N6thrust23THRUST_200600_302600_NS11hip_rocprim26transform_input_iterator_tIlNS8_12zip_iteratorINS8_5tupleINS8_6detail15normal_iteratorINS8_10device_ptrIjEEEESH_NS8_9null_typeESI_SI_SI_SI_SI_SI_SI_EEEENS9_21zip_adj_not_predicateI22is_equal_div_10_uniqueIjEEEEEPllNS8_4plusIlEEEE10hipError_tPvRmT1_T2_T3_mT4_P12ihipStream_tbEUlT_E0_NS1_11comp_targetILNS1_3genE4ELNS1_11target_archE910ELNS1_3gpuE8ELNS1_3repE0EEENS1_30default_config_static_selectorELNS0_4arch9wavefront6targetE1EEEvSW_,comdat
	.protected	_ZN7rocprim17ROCPRIM_400000_NS6detail17trampoline_kernelINS0_14default_configENS1_22reduce_config_selectorIlEEZNS1_11reduce_implILb1ES3_N6thrust23THRUST_200600_302600_NS11hip_rocprim26transform_input_iterator_tIlNS8_12zip_iteratorINS8_5tupleINS8_6detail15normal_iteratorINS8_10device_ptrIjEEEESH_NS8_9null_typeESI_SI_SI_SI_SI_SI_SI_EEEENS9_21zip_adj_not_predicateI22is_equal_div_10_uniqueIjEEEEEPllNS8_4plusIlEEEE10hipError_tPvRmT1_T2_T3_mT4_P12ihipStream_tbEUlT_E0_NS1_11comp_targetILNS1_3genE4ELNS1_11target_archE910ELNS1_3gpuE8ELNS1_3repE0EEENS1_30default_config_static_selectorELNS0_4arch9wavefront6targetE1EEEvSW_ ; -- Begin function _ZN7rocprim17ROCPRIM_400000_NS6detail17trampoline_kernelINS0_14default_configENS1_22reduce_config_selectorIlEEZNS1_11reduce_implILb1ES3_N6thrust23THRUST_200600_302600_NS11hip_rocprim26transform_input_iterator_tIlNS8_12zip_iteratorINS8_5tupleINS8_6detail15normal_iteratorINS8_10device_ptrIjEEEESH_NS8_9null_typeESI_SI_SI_SI_SI_SI_SI_EEEENS9_21zip_adj_not_predicateI22is_equal_div_10_uniqueIjEEEEEPllNS8_4plusIlEEEE10hipError_tPvRmT1_T2_T3_mT4_P12ihipStream_tbEUlT_E0_NS1_11comp_targetILNS1_3genE4ELNS1_11target_archE910ELNS1_3gpuE8ELNS1_3repE0EEENS1_30default_config_static_selectorELNS0_4arch9wavefront6targetE1EEEvSW_
	.globl	_ZN7rocprim17ROCPRIM_400000_NS6detail17trampoline_kernelINS0_14default_configENS1_22reduce_config_selectorIlEEZNS1_11reduce_implILb1ES3_N6thrust23THRUST_200600_302600_NS11hip_rocprim26transform_input_iterator_tIlNS8_12zip_iteratorINS8_5tupleINS8_6detail15normal_iteratorINS8_10device_ptrIjEEEESH_NS8_9null_typeESI_SI_SI_SI_SI_SI_SI_EEEENS9_21zip_adj_not_predicateI22is_equal_div_10_uniqueIjEEEEEPllNS8_4plusIlEEEE10hipError_tPvRmT1_T2_T3_mT4_P12ihipStream_tbEUlT_E0_NS1_11comp_targetILNS1_3genE4ELNS1_11target_archE910ELNS1_3gpuE8ELNS1_3repE0EEENS1_30default_config_static_selectorELNS0_4arch9wavefront6targetE1EEEvSW_
	.p2align	8
	.type	_ZN7rocprim17ROCPRIM_400000_NS6detail17trampoline_kernelINS0_14default_configENS1_22reduce_config_selectorIlEEZNS1_11reduce_implILb1ES3_N6thrust23THRUST_200600_302600_NS11hip_rocprim26transform_input_iterator_tIlNS8_12zip_iteratorINS8_5tupleINS8_6detail15normal_iteratorINS8_10device_ptrIjEEEESH_NS8_9null_typeESI_SI_SI_SI_SI_SI_SI_EEEENS9_21zip_adj_not_predicateI22is_equal_div_10_uniqueIjEEEEEPllNS8_4plusIlEEEE10hipError_tPvRmT1_T2_T3_mT4_P12ihipStream_tbEUlT_E0_NS1_11comp_targetILNS1_3genE4ELNS1_11target_archE910ELNS1_3gpuE8ELNS1_3repE0EEENS1_30default_config_static_selectorELNS0_4arch9wavefront6targetE1EEEvSW_,@function
_ZN7rocprim17ROCPRIM_400000_NS6detail17trampoline_kernelINS0_14default_configENS1_22reduce_config_selectorIlEEZNS1_11reduce_implILb1ES3_N6thrust23THRUST_200600_302600_NS11hip_rocprim26transform_input_iterator_tIlNS8_12zip_iteratorINS8_5tupleINS8_6detail15normal_iteratorINS8_10device_ptrIjEEEESH_NS8_9null_typeESI_SI_SI_SI_SI_SI_SI_EEEENS9_21zip_adj_not_predicateI22is_equal_div_10_uniqueIjEEEEEPllNS8_4plusIlEEEE10hipError_tPvRmT1_T2_T3_mT4_P12ihipStream_tbEUlT_E0_NS1_11comp_targetILNS1_3genE4ELNS1_11target_archE910ELNS1_3gpuE8ELNS1_3repE0EEENS1_30default_config_static_selectorELNS0_4arch9wavefront6targetE1EEEvSW_: ; @_ZN7rocprim17ROCPRIM_400000_NS6detail17trampoline_kernelINS0_14default_configENS1_22reduce_config_selectorIlEEZNS1_11reduce_implILb1ES3_N6thrust23THRUST_200600_302600_NS11hip_rocprim26transform_input_iterator_tIlNS8_12zip_iteratorINS8_5tupleINS8_6detail15normal_iteratorINS8_10device_ptrIjEEEESH_NS8_9null_typeESI_SI_SI_SI_SI_SI_SI_EEEENS9_21zip_adj_not_predicateI22is_equal_div_10_uniqueIjEEEEEPllNS8_4plusIlEEEE10hipError_tPvRmT1_T2_T3_mT4_P12ihipStream_tbEUlT_E0_NS1_11comp_targetILNS1_3genE4ELNS1_11target_archE910ELNS1_3gpuE8ELNS1_3repE0EEENS1_30default_config_static_selectorELNS0_4arch9wavefront6targetE1EEEvSW_
; %bb.0:
	.section	.rodata,"a",@progbits
	.p2align	6, 0x0
	.amdhsa_kernel _ZN7rocprim17ROCPRIM_400000_NS6detail17trampoline_kernelINS0_14default_configENS1_22reduce_config_selectorIlEEZNS1_11reduce_implILb1ES3_N6thrust23THRUST_200600_302600_NS11hip_rocprim26transform_input_iterator_tIlNS8_12zip_iteratorINS8_5tupleINS8_6detail15normal_iteratorINS8_10device_ptrIjEEEESH_NS8_9null_typeESI_SI_SI_SI_SI_SI_SI_EEEENS9_21zip_adj_not_predicateI22is_equal_div_10_uniqueIjEEEEEPllNS8_4plusIlEEEE10hipError_tPvRmT1_T2_T3_mT4_P12ihipStream_tbEUlT_E0_NS1_11comp_targetILNS1_3genE4ELNS1_11target_archE910ELNS1_3gpuE8ELNS1_3repE0EEENS1_30default_config_static_selectorELNS0_4arch9wavefront6targetE1EEEvSW_
		.amdhsa_group_segment_fixed_size 0
		.amdhsa_private_segment_fixed_size 0
		.amdhsa_kernarg_size 80
		.amdhsa_user_sgpr_count 6
		.amdhsa_user_sgpr_private_segment_buffer 1
		.amdhsa_user_sgpr_dispatch_ptr 0
		.amdhsa_user_sgpr_queue_ptr 0
		.amdhsa_user_sgpr_kernarg_segment_ptr 1
		.amdhsa_user_sgpr_dispatch_id 0
		.amdhsa_user_sgpr_flat_scratch_init 0
		.amdhsa_user_sgpr_private_segment_size 0
		.amdhsa_uses_dynamic_stack 0
		.amdhsa_system_sgpr_private_segment_wavefront_offset 0
		.amdhsa_system_sgpr_workgroup_id_x 1
		.amdhsa_system_sgpr_workgroup_id_y 0
		.amdhsa_system_sgpr_workgroup_id_z 0
		.amdhsa_system_sgpr_workgroup_info 0
		.amdhsa_system_vgpr_workitem_id 0
		.amdhsa_next_free_vgpr 1
		.amdhsa_next_free_sgpr 0
		.amdhsa_reserve_vcc 0
		.amdhsa_reserve_flat_scratch 0
		.amdhsa_float_round_mode_32 0
		.amdhsa_float_round_mode_16_64 0
		.amdhsa_float_denorm_mode_32 3
		.amdhsa_float_denorm_mode_16_64 3
		.amdhsa_dx10_clamp 1
		.amdhsa_ieee_mode 1
		.amdhsa_fp16_overflow 0
		.amdhsa_exception_fp_ieee_invalid_op 0
		.amdhsa_exception_fp_denorm_src 0
		.amdhsa_exception_fp_ieee_div_zero 0
		.amdhsa_exception_fp_ieee_overflow 0
		.amdhsa_exception_fp_ieee_underflow 0
		.amdhsa_exception_fp_ieee_inexact 0
		.amdhsa_exception_int_div_zero 0
	.end_amdhsa_kernel
	.section	.text._ZN7rocprim17ROCPRIM_400000_NS6detail17trampoline_kernelINS0_14default_configENS1_22reduce_config_selectorIlEEZNS1_11reduce_implILb1ES3_N6thrust23THRUST_200600_302600_NS11hip_rocprim26transform_input_iterator_tIlNS8_12zip_iteratorINS8_5tupleINS8_6detail15normal_iteratorINS8_10device_ptrIjEEEESH_NS8_9null_typeESI_SI_SI_SI_SI_SI_SI_EEEENS9_21zip_adj_not_predicateI22is_equal_div_10_uniqueIjEEEEEPllNS8_4plusIlEEEE10hipError_tPvRmT1_T2_T3_mT4_P12ihipStream_tbEUlT_E0_NS1_11comp_targetILNS1_3genE4ELNS1_11target_archE910ELNS1_3gpuE8ELNS1_3repE0EEENS1_30default_config_static_selectorELNS0_4arch9wavefront6targetE1EEEvSW_,"axG",@progbits,_ZN7rocprim17ROCPRIM_400000_NS6detail17trampoline_kernelINS0_14default_configENS1_22reduce_config_selectorIlEEZNS1_11reduce_implILb1ES3_N6thrust23THRUST_200600_302600_NS11hip_rocprim26transform_input_iterator_tIlNS8_12zip_iteratorINS8_5tupleINS8_6detail15normal_iteratorINS8_10device_ptrIjEEEESH_NS8_9null_typeESI_SI_SI_SI_SI_SI_SI_EEEENS9_21zip_adj_not_predicateI22is_equal_div_10_uniqueIjEEEEEPllNS8_4plusIlEEEE10hipError_tPvRmT1_T2_T3_mT4_P12ihipStream_tbEUlT_E0_NS1_11comp_targetILNS1_3genE4ELNS1_11target_archE910ELNS1_3gpuE8ELNS1_3repE0EEENS1_30default_config_static_selectorELNS0_4arch9wavefront6targetE1EEEvSW_,comdat
.Lfunc_end871:
	.size	_ZN7rocprim17ROCPRIM_400000_NS6detail17trampoline_kernelINS0_14default_configENS1_22reduce_config_selectorIlEEZNS1_11reduce_implILb1ES3_N6thrust23THRUST_200600_302600_NS11hip_rocprim26transform_input_iterator_tIlNS8_12zip_iteratorINS8_5tupleINS8_6detail15normal_iteratorINS8_10device_ptrIjEEEESH_NS8_9null_typeESI_SI_SI_SI_SI_SI_SI_EEEENS9_21zip_adj_not_predicateI22is_equal_div_10_uniqueIjEEEEEPllNS8_4plusIlEEEE10hipError_tPvRmT1_T2_T3_mT4_P12ihipStream_tbEUlT_E0_NS1_11comp_targetILNS1_3genE4ELNS1_11target_archE910ELNS1_3gpuE8ELNS1_3repE0EEENS1_30default_config_static_selectorELNS0_4arch9wavefront6targetE1EEEvSW_, .Lfunc_end871-_ZN7rocprim17ROCPRIM_400000_NS6detail17trampoline_kernelINS0_14default_configENS1_22reduce_config_selectorIlEEZNS1_11reduce_implILb1ES3_N6thrust23THRUST_200600_302600_NS11hip_rocprim26transform_input_iterator_tIlNS8_12zip_iteratorINS8_5tupleINS8_6detail15normal_iteratorINS8_10device_ptrIjEEEESH_NS8_9null_typeESI_SI_SI_SI_SI_SI_SI_EEEENS9_21zip_adj_not_predicateI22is_equal_div_10_uniqueIjEEEEEPllNS8_4plusIlEEEE10hipError_tPvRmT1_T2_T3_mT4_P12ihipStream_tbEUlT_E0_NS1_11comp_targetILNS1_3genE4ELNS1_11target_archE910ELNS1_3gpuE8ELNS1_3repE0EEENS1_30default_config_static_selectorELNS0_4arch9wavefront6targetE1EEEvSW_
                                        ; -- End function
	.set _ZN7rocprim17ROCPRIM_400000_NS6detail17trampoline_kernelINS0_14default_configENS1_22reduce_config_selectorIlEEZNS1_11reduce_implILb1ES3_N6thrust23THRUST_200600_302600_NS11hip_rocprim26transform_input_iterator_tIlNS8_12zip_iteratorINS8_5tupleINS8_6detail15normal_iteratorINS8_10device_ptrIjEEEESH_NS8_9null_typeESI_SI_SI_SI_SI_SI_SI_EEEENS9_21zip_adj_not_predicateI22is_equal_div_10_uniqueIjEEEEEPllNS8_4plusIlEEEE10hipError_tPvRmT1_T2_T3_mT4_P12ihipStream_tbEUlT_E0_NS1_11comp_targetILNS1_3genE4ELNS1_11target_archE910ELNS1_3gpuE8ELNS1_3repE0EEENS1_30default_config_static_selectorELNS0_4arch9wavefront6targetE1EEEvSW_.num_vgpr, 0
	.set _ZN7rocprim17ROCPRIM_400000_NS6detail17trampoline_kernelINS0_14default_configENS1_22reduce_config_selectorIlEEZNS1_11reduce_implILb1ES3_N6thrust23THRUST_200600_302600_NS11hip_rocprim26transform_input_iterator_tIlNS8_12zip_iteratorINS8_5tupleINS8_6detail15normal_iteratorINS8_10device_ptrIjEEEESH_NS8_9null_typeESI_SI_SI_SI_SI_SI_SI_EEEENS9_21zip_adj_not_predicateI22is_equal_div_10_uniqueIjEEEEEPllNS8_4plusIlEEEE10hipError_tPvRmT1_T2_T3_mT4_P12ihipStream_tbEUlT_E0_NS1_11comp_targetILNS1_3genE4ELNS1_11target_archE910ELNS1_3gpuE8ELNS1_3repE0EEENS1_30default_config_static_selectorELNS0_4arch9wavefront6targetE1EEEvSW_.num_agpr, 0
	.set _ZN7rocprim17ROCPRIM_400000_NS6detail17trampoline_kernelINS0_14default_configENS1_22reduce_config_selectorIlEEZNS1_11reduce_implILb1ES3_N6thrust23THRUST_200600_302600_NS11hip_rocprim26transform_input_iterator_tIlNS8_12zip_iteratorINS8_5tupleINS8_6detail15normal_iteratorINS8_10device_ptrIjEEEESH_NS8_9null_typeESI_SI_SI_SI_SI_SI_SI_EEEENS9_21zip_adj_not_predicateI22is_equal_div_10_uniqueIjEEEEEPllNS8_4plusIlEEEE10hipError_tPvRmT1_T2_T3_mT4_P12ihipStream_tbEUlT_E0_NS1_11comp_targetILNS1_3genE4ELNS1_11target_archE910ELNS1_3gpuE8ELNS1_3repE0EEENS1_30default_config_static_selectorELNS0_4arch9wavefront6targetE1EEEvSW_.numbered_sgpr, 0
	.set _ZN7rocprim17ROCPRIM_400000_NS6detail17trampoline_kernelINS0_14default_configENS1_22reduce_config_selectorIlEEZNS1_11reduce_implILb1ES3_N6thrust23THRUST_200600_302600_NS11hip_rocprim26transform_input_iterator_tIlNS8_12zip_iteratorINS8_5tupleINS8_6detail15normal_iteratorINS8_10device_ptrIjEEEESH_NS8_9null_typeESI_SI_SI_SI_SI_SI_SI_EEEENS9_21zip_adj_not_predicateI22is_equal_div_10_uniqueIjEEEEEPllNS8_4plusIlEEEE10hipError_tPvRmT1_T2_T3_mT4_P12ihipStream_tbEUlT_E0_NS1_11comp_targetILNS1_3genE4ELNS1_11target_archE910ELNS1_3gpuE8ELNS1_3repE0EEENS1_30default_config_static_selectorELNS0_4arch9wavefront6targetE1EEEvSW_.num_named_barrier, 0
	.set _ZN7rocprim17ROCPRIM_400000_NS6detail17trampoline_kernelINS0_14default_configENS1_22reduce_config_selectorIlEEZNS1_11reduce_implILb1ES3_N6thrust23THRUST_200600_302600_NS11hip_rocprim26transform_input_iterator_tIlNS8_12zip_iteratorINS8_5tupleINS8_6detail15normal_iteratorINS8_10device_ptrIjEEEESH_NS8_9null_typeESI_SI_SI_SI_SI_SI_SI_EEEENS9_21zip_adj_not_predicateI22is_equal_div_10_uniqueIjEEEEEPllNS8_4plusIlEEEE10hipError_tPvRmT1_T2_T3_mT4_P12ihipStream_tbEUlT_E0_NS1_11comp_targetILNS1_3genE4ELNS1_11target_archE910ELNS1_3gpuE8ELNS1_3repE0EEENS1_30default_config_static_selectorELNS0_4arch9wavefront6targetE1EEEvSW_.private_seg_size, 0
	.set _ZN7rocprim17ROCPRIM_400000_NS6detail17trampoline_kernelINS0_14default_configENS1_22reduce_config_selectorIlEEZNS1_11reduce_implILb1ES3_N6thrust23THRUST_200600_302600_NS11hip_rocprim26transform_input_iterator_tIlNS8_12zip_iteratorINS8_5tupleINS8_6detail15normal_iteratorINS8_10device_ptrIjEEEESH_NS8_9null_typeESI_SI_SI_SI_SI_SI_SI_EEEENS9_21zip_adj_not_predicateI22is_equal_div_10_uniqueIjEEEEEPllNS8_4plusIlEEEE10hipError_tPvRmT1_T2_T3_mT4_P12ihipStream_tbEUlT_E0_NS1_11comp_targetILNS1_3genE4ELNS1_11target_archE910ELNS1_3gpuE8ELNS1_3repE0EEENS1_30default_config_static_selectorELNS0_4arch9wavefront6targetE1EEEvSW_.uses_vcc, 0
	.set _ZN7rocprim17ROCPRIM_400000_NS6detail17trampoline_kernelINS0_14default_configENS1_22reduce_config_selectorIlEEZNS1_11reduce_implILb1ES3_N6thrust23THRUST_200600_302600_NS11hip_rocprim26transform_input_iterator_tIlNS8_12zip_iteratorINS8_5tupleINS8_6detail15normal_iteratorINS8_10device_ptrIjEEEESH_NS8_9null_typeESI_SI_SI_SI_SI_SI_SI_EEEENS9_21zip_adj_not_predicateI22is_equal_div_10_uniqueIjEEEEEPllNS8_4plusIlEEEE10hipError_tPvRmT1_T2_T3_mT4_P12ihipStream_tbEUlT_E0_NS1_11comp_targetILNS1_3genE4ELNS1_11target_archE910ELNS1_3gpuE8ELNS1_3repE0EEENS1_30default_config_static_selectorELNS0_4arch9wavefront6targetE1EEEvSW_.uses_flat_scratch, 0
	.set _ZN7rocprim17ROCPRIM_400000_NS6detail17trampoline_kernelINS0_14default_configENS1_22reduce_config_selectorIlEEZNS1_11reduce_implILb1ES3_N6thrust23THRUST_200600_302600_NS11hip_rocprim26transform_input_iterator_tIlNS8_12zip_iteratorINS8_5tupleINS8_6detail15normal_iteratorINS8_10device_ptrIjEEEESH_NS8_9null_typeESI_SI_SI_SI_SI_SI_SI_EEEENS9_21zip_adj_not_predicateI22is_equal_div_10_uniqueIjEEEEEPllNS8_4plusIlEEEE10hipError_tPvRmT1_T2_T3_mT4_P12ihipStream_tbEUlT_E0_NS1_11comp_targetILNS1_3genE4ELNS1_11target_archE910ELNS1_3gpuE8ELNS1_3repE0EEENS1_30default_config_static_selectorELNS0_4arch9wavefront6targetE1EEEvSW_.has_dyn_sized_stack, 0
	.set _ZN7rocprim17ROCPRIM_400000_NS6detail17trampoline_kernelINS0_14default_configENS1_22reduce_config_selectorIlEEZNS1_11reduce_implILb1ES3_N6thrust23THRUST_200600_302600_NS11hip_rocprim26transform_input_iterator_tIlNS8_12zip_iteratorINS8_5tupleINS8_6detail15normal_iteratorINS8_10device_ptrIjEEEESH_NS8_9null_typeESI_SI_SI_SI_SI_SI_SI_EEEENS9_21zip_adj_not_predicateI22is_equal_div_10_uniqueIjEEEEEPllNS8_4plusIlEEEE10hipError_tPvRmT1_T2_T3_mT4_P12ihipStream_tbEUlT_E0_NS1_11comp_targetILNS1_3genE4ELNS1_11target_archE910ELNS1_3gpuE8ELNS1_3repE0EEENS1_30default_config_static_selectorELNS0_4arch9wavefront6targetE1EEEvSW_.has_recursion, 0
	.set _ZN7rocprim17ROCPRIM_400000_NS6detail17trampoline_kernelINS0_14default_configENS1_22reduce_config_selectorIlEEZNS1_11reduce_implILb1ES3_N6thrust23THRUST_200600_302600_NS11hip_rocprim26transform_input_iterator_tIlNS8_12zip_iteratorINS8_5tupleINS8_6detail15normal_iteratorINS8_10device_ptrIjEEEESH_NS8_9null_typeESI_SI_SI_SI_SI_SI_SI_EEEENS9_21zip_adj_not_predicateI22is_equal_div_10_uniqueIjEEEEEPllNS8_4plusIlEEEE10hipError_tPvRmT1_T2_T3_mT4_P12ihipStream_tbEUlT_E0_NS1_11comp_targetILNS1_3genE4ELNS1_11target_archE910ELNS1_3gpuE8ELNS1_3repE0EEENS1_30default_config_static_selectorELNS0_4arch9wavefront6targetE1EEEvSW_.has_indirect_call, 0
	.section	.AMDGPU.csdata,"",@progbits
; Kernel info:
; codeLenInByte = 0
; TotalNumSgprs: 4
; NumVgprs: 0
; ScratchSize: 0
; MemoryBound: 0
; FloatMode: 240
; IeeeMode: 1
; LDSByteSize: 0 bytes/workgroup (compile time only)
; SGPRBlocks: 0
; VGPRBlocks: 0
; NumSGPRsForWavesPerEU: 4
; NumVGPRsForWavesPerEU: 1
; Occupancy: 10
; WaveLimiterHint : 0
; COMPUTE_PGM_RSRC2:SCRATCH_EN: 0
; COMPUTE_PGM_RSRC2:USER_SGPR: 6
; COMPUTE_PGM_RSRC2:TRAP_HANDLER: 0
; COMPUTE_PGM_RSRC2:TGID_X_EN: 1
; COMPUTE_PGM_RSRC2:TGID_Y_EN: 0
; COMPUTE_PGM_RSRC2:TGID_Z_EN: 0
; COMPUTE_PGM_RSRC2:TIDIG_COMP_CNT: 0
	.section	.text._ZN7rocprim17ROCPRIM_400000_NS6detail17trampoline_kernelINS0_14default_configENS1_22reduce_config_selectorIlEEZNS1_11reduce_implILb1ES3_N6thrust23THRUST_200600_302600_NS11hip_rocprim26transform_input_iterator_tIlNS8_12zip_iteratorINS8_5tupleINS8_6detail15normal_iteratorINS8_10device_ptrIjEEEESH_NS8_9null_typeESI_SI_SI_SI_SI_SI_SI_EEEENS9_21zip_adj_not_predicateI22is_equal_div_10_uniqueIjEEEEEPllNS8_4plusIlEEEE10hipError_tPvRmT1_T2_T3_mT4_P12ihipStream_tbEUlT_E0_NS1_11comp_targetILNS1_3genE3ELNS1_11target_archE908ELNS1_3gpuE7ELNS1_3repE0EEENS1_30default_config_static_selectorELNS0_4arch9wavefront6targetE1EEEvSW_,"axG",@progbits,_ZN7rocprim17ROCPRIM_400000_NS6detail17trampoline_kernelINS0_14default_configENS1_22reduce_config_selectorIlEEZNS1_11reduce_implILb1ES3_N6thrust23THRUST_200600_302600_NS11hip_rocprim26transform_input_iterator_tIlNS8_12zip_iteratorINS8_5tupleINS8_6detail15normal_iteratorINS8_10device_ptrIjEEEESH_NS8_9null_typeESI_SI_SI_SI_SI_SI_SI_EEEENS9_21zip_adj_not_predicateI22is_equal_div_10_uniqueIjEEEEEPllNS8_4plusIlEEEE10hipError_tPvRmT1_T2_T3_mT4_P12ihipStream_tbEUlT_E0_NS1_11comp_targetILNS1_3genE3ELNS1_11target_archE908ELNS1_3gpuE7ELNS1_3repE0EEENS1_30default_config_static_selectorELNS0_4arch9wavefront6targetE1EEEvSW_,comdat
	.protected	_ZN7rocprim17ROCPRIM_400000_NS6detail17trampoline_kernelINS0_14default_configENS1_22reduce_config_selectorIlEEZNS1_11reduce_implILb1ES3_N6thrust23THRUST_200600_302600_NS11hip_rocprim26transform_input_iterator_tIlNS8_12zip_iteratorINS8_5tupleINS8_6detail15normal_iteratorINS8_10device_ptrIjEEEESH_NS8_9null_typeESI_SI_SI_SI_SI_SI_SI_EEEENS9_21zip_adj_not_predicateI22is_equal_div_10_uniqueIjEEEEEPllNS8_4plusIlEEEE10hipError_tPvRmT1_T2_T3_mT4_P12ihipStream_tbEUlT_E0_NS1_11comp_targetILNS1_3genE3ELNS1_11target_archE908ELNS1_3gpuE7ELNS1_3repE0EEENS1_30default_config_static_selectorELNS0_4arch9wavefront6targetE1EEEvSW_ ; -- Begin function _ZN7rocprim17ROCPRIM_400000_NS6detail17trampoline_kernelINS0_14default_configENS1_22reduce_config_selectorIlEEZNS1_11reduce_implILb1ES3_N6thrust23THRUST_200600_302600_NS11hip_rocprim26transform_input_iterator_tIlNS8_12zip_iteratorINS8_5tupleINS8_6detail15normal_iteratorINS8_10device_ptrIjEEEESH_NS8_9null_typeESI_SI_SI_SI_SI_SI_SI_EEEENS9_21zip_adj_not_predicateI22is_equal_div_10_uniqueIjEEEEEPllNS8_4plusIlEEEE10hipError_tPvRmT1_T2_T3_mT4_P12ihipStream_tbEUlT_E0_NS1_11comp_targetILNS1_3genE3ELNS1_11target_archE908ELNS1_3gpuE7ELNS1_3repE0EEENS1_30default_config_static_selectorELNS0_4arch9wavefront6targetE1EEEvSW_
	.globl	_ZN7rocprim17ROCPRIM_400000_NS6detail17trampoline_kernelINS0_14default_configENS1_22reduce_config_selectorIlEEZNS1_11reduce_implILb1ES3_N6thrust23THRUST_200600_302600_NS11hip_rocprim26transform_input_iterator_tIlNS8_12zip_iteratorINS8_5tupleINS8_6detail15normal_iteratorINS8_10device_ptrIjEEEESH_NS8_9null_typeESI_SI_SI_SI_SI_SI_SI_EEEENS9_21zip_adj_not_predicateI22is_equal_div_10_uniqueIjEEEEEPllNS8_4plusIlEEEE10hipError_tPvRmT1_T2_T3_mT4_P12ihipStream_tbEUlT_E0_NS1_11comp_targetILNS1_3genE3ELNS1_11target_archE908ELNS1_3gpuE7ELNS1_3repE0EEENS1_30default_config_static_selectorELNS0_4arch9wavefront6targetE1EEEvSW_
	.p2align	8
	.type	_ZN7rocprim17ROCPRIM_400000_NS6detail17trampoline_kernelINS0_14default_configENS1_22reduce_config_selectorIlEEZNS1_11reduce_implILb1ES3_N6thrust23THRUST_200600_302600_NS11hip_rocprim26transform_input_iterator_tIlNS8_12zip_iteratorINS8_5tupleINS8_6detail15normal_iteratorINS8_10device_ptrIjEEEESH_NS8_9null_typeESI_SI_SI_SI_SI_SI_SI_EEEENS9_21zip_adj_not_predicateI22is_equal_div_10_uniqueIjEEEEEPllNS8_4plusIlEEEE10hipError_tPvRmT1_T2_T3_mT4_P12ihipStream_tbEUlT_E0_NS1_11comp_targetILNS1_3genE3ELNS1_11target_archE908ELNS1_3gpuE7ELNS1_3repE0EEENS1_30default_config_static_selectorELNS0_4arch9wavefront6targetE1EEEvSW_,@function
_ZN7rocprim17ROCPRIM_400000_NS6detail17trampoline_kernelINS0_14default_configENS1_22reduce_config_selectorIlEEZNS1_11reduce_implILb1ES3_N6thrust23THRUST_200600_302600_NS11hip_rocprim26transform_input_iterator_tIlNS8_12zip_iteratorINS8_5tupleINS8_6detail15normal_iteratorINS8_10device_ptrIjEEEESH_NS8_9null_typeESI_SI_SI_SI_SI_SI_SI_EEEENS9_21zip_adj_not_predicateI22is_equal_div_10_uniqueIjEEEEEPllNS8_4plusIlEEEE10hipError_tPvRmT1_T2_T3_mT4_P12ihipStream_tbEUlT_E0_NS1_11comp_targetILNS1_3genE3ELNS1_11target_archE908ELNS1_3gpuE7ELNS1_3repE0EEENS1_30default_config_static_selectorELNS0_4arch9wavefront6targetE1EEEvSW_: ; @_ZN7rocprim17ROCPRIM_400000_NS6detail17trampoline_kernelINS0_14default_configENS1_22reduce_config_selectorIlEEZNS1_11reduce_implILb1ES3_N6thrust23THRUST_200600_302600_NS11hip_rocprim26transform_input_iterator_tIlNS8_12zip_iteratorINS8_5tupleINS8_6detail15normal_iteratorINS8_10device_ptrIjEEEESH_NS8_9null_typeESI_SI_SI_SI_SI_SI_SI_EEEENS9_21zip_adj_not_predicateI22is_equal_div_10_uniqueIjEEEEEPllNS8_4plusIlEEEE10hipError_tPvRmT1_T2_T3_mT4_P12ihipStream_tbEUlT_E0_NS1_11comp_targetILNS1_3genE3ELNS1_11target_archE908ELNS1_3gpuE7ELNS1_3repE0EEENS1_30default_config_static_selectorELNS0_4arch9wavefront6targetE1EEEvSW_
; %bb.0:
	.section	.rodata,"a",@progbits
	.p2align	6, 0x0
	.amdhsa_kernel _ZN7rocprim17ROCPRIM_400000_NS6detail17trampoline_kernelINS0_14default_configENS1_22reduce_config_selectorIlEEZNS1_11reduce_implILb1ES3_N6thrust23THRUST_200600_302600_NS11hip_rocprim26transform_input_iterator_tIlNS8_12zip_iteratorINS8_5tupleINS8_6detail15normal_iteratorINS8_10device_ptrIjEEEESH_NS8_9null_typeESI_SI_SI_SI_SI_SI_SI_EEEENS9_21zip_adj_not_predicateI22is_equal_div_10_uniqueIjEEEEEPllNS8_4plusIlEEEE10hipError_tPvRmT1_T2_T3_mT4_P12ihipStream_tbEUlT_E0_NS1_11comp_targetILNS1_3genE3ELNS1_11target_archE908ELNS1_3gpuE7ELNS1_3repE0EEENS1_30default_config_static_selectorELNS0_4arch9wavefront6targetE1EEEvSW_
		.amdhsa_group_segment_fixed_size 0
		.amdhsa_private_segment_fixed_size 0
		.amdhsa_kernarg_size 80
		.amdhsa_user_sgpr_count 6
		.amdhsa_user_sgpr_private_segment_buffer 1
		.amdhsa_user_sgpr_dispatch_ptr 0
		.amdhsa_user_sgpr_queue_ptr 0
		.amdhsa_user_sgpr_kernarg_segment_ptr 1
		.amdhsa_user_sgpr_dispatch_id 0
		.amdhsa_user_sgpr_flat_scratch_init 0
		.amdhsa_user_sgpr_private_segment_size 0
		.amdhsa_uses_dynamic_stack 0
		.amdhsa_system_sgpr_private_segment_wavefront_offset 0
		.amdhsa_system_sgpr_workgroup_id_x 1
		.amdhsa_system_sgpr_workgroup_id_y 0
		.amdhsa_system_sgpr_workgroup_id_z 0
		.amdhsa_system_sgpr_workgroup_info 0
		.amdhsa_system_vgpr_workitem_id 0
		.amdhsa_next_free_vgpr 1
		.amdhsa_next_free_sgpr 0
		.amdhsa_reserve_vcc 0
		.amdhsa_reserve_flat_scratch 0
		.amdhsa_float_round_mode_32 0
		.amdhsa_float_round_mode_16_64 0
		.amdhsa_float_denorm_mode_32 3
		.amdhsa_float_denorm_mode_16_64 3
		.amdhsa_dx10_clamp 1
		.amdhsa_ieee_mode 1
		.amdhsa_fp16_overflow 0
		.amdhsa_exception_fp_ieee_invalid_op 0
		.amdhsa_exception_fp_denorm_src 0
		.amdhsa_exception_fp_ieee_div_zero 0
		.amdhsa_exception_fp_ieee_overflow 0
		.amdhsa_exception_fp_ieee_underflow 0
		.amdhsa_exception_fp_ieee_inexact 0
		.amdhsa_exception_int_div_zero 0
	.end_amdhsa_kernel
	.section	.text._ZN7rocprim17ROCPRIM_400000_NS6detail17trampoline_kernelINS0_14default_configENS1_22reduce_config_selectorIlEEZNS1_11reduce_implILb1ES3_N6thrust23THRUST_200600_302600_NS11hip_rocprim26transform_input_iterator_tIlNS8_12zip_iteratorINS8_5tupleINS8_6detail15normal_iteratorINS8_10device_ptrIjEEEESH_NS8_9null_typeESI_SI_SI_SI_SI_SI_SI_EEEENS9_21zip_adj_not_predicateI22is_equal_div_10_uniqueIjEEEEEPllNS8_4plusIlEEEE10hipError_tPvRmT1_T2_T3_mT4_P12ihipStream_tbEUlT_E0_NS1_11comp_targetILNS1_3genE3ELNS1_11target_archE908ELNS1_3gpuE7ELNS1_3repE0EEENS1_30default_config_static_selectorELNS0_4arch9wavefront6targetE1EEEvSW_,"axG",@progbits,_ZN7rocprim17ROCPRIM_400000_NS6detail17trampoline_kernelINS0_14default_configENS1_22reduce_config_selectorIlEEZNS1_11reduce_implILb1ES3_N6thrust23THRUST_200600_302600_NS11hip_rocprim26transform_input_iterator_tIlNS8_12zip_iteratorINS8_5tupleINS8_6detail15normal_iteratorINS8_10device_ptrIjEEEESH_NS8_9null_typeESI_SI_SI_SI_SI_SI_SI_EEEENS9_21zip_adj_not_predicateI22is_equal_div_10_uniqueIjEEEEEPllNS8_4plusIlEEEE10hipError_tPvRmT1_T2_T3_mT4_P12ihipStream_tbEUlT_E0_NS1_11comp_targetILNS1_3genE3ELNS1_11target_archE908ELNS1_3gpuE7ELNS1_3repE0EEENS1_30default_config_static_selectorELNS0_4arch9wavefront6targetE1EEEvSW_,comdat
.Lfunc_end872:
	.size	_ZN7rocprim17ROCPRIM_400000_NS6detail17trampoline_kernelINS0_14default_configENS1_22reduce_config_selectorIlEEZNS1_11reduce_implILb1ES3_N6thrust23THRUST_200600_302600_NS11hip_rocprim26transform_input_iterator_tIlNS8_12zip_iteratorINS8_5tupleINS8_6detail15normal_iteratorINS8_10device_ptrIjEEEESH_NS8_9null_typeESI_SI_SI_SI_SI_SI_SI_EEEENS9_21zip_adj_not_predicateI22is_equal_div_10_uniqueIjEEEEEPllNS8_4plusIlEEEE10hipError_tPvRmT1_T2_T3_mT4_P12ihipStream_tbEUlT_E0_NS1_11comp_targetILNS1_3genE3ELNS1_11target_archE908ELNS1_3gpuE7ELNS1_3repE0EEENS1_30default_config_static_selectorELNS0_4arch9wavefront6targetE1EEEvSW_, .Lfunc_end872-_ZN7rocprim17ROCPRIM_400000_NS6detail17trampoline_kernelINS0_14default_configENS1_22reduce_config_selectorIlEEZNS1_11reduce_implILb1ES3_N6thrust23THRUST_200600_302600_NS11hip_rocprim26transform_input_iterator_tIlNS8_12zip_iteratorINS8_5tupleINS8_6detail15normal_iteratorINS8_10device_ptrIjEEEESH_NS8_9null_typeESI_SI_SI_SI_SI_SI_SI_EEEENS9_21zip_adj_not_predicateI22is_equal_div_10_uniqueIjEEEEEPllNS8_4plusIlEEEE10hipError_tPvRmT1_T2_T3_mT4_P12ihipStream_tbEUlT_E0_NS1_11comp_targetILNS1_3genE3ELNS1_11target_archE908ELNS1_3gpuE7ELNS1_3repE0EEENS1_30default_config_static_selectorELNS0_4arch9wavefront6targetE1EEEvSW_
                                        ; -- End function
	.set _ZN7rocprim17ROCPRIM_400000_NS6detail17trampoline_kernelINS0_14default_configENS1_22reduce_config_selectorIlEEZNS1_11reduce_implILb1ES3_N6thrust23THRUST_200600_302600_NS11hip_rocprim26transform_input_iterator_tIlNS8_12zip_iteratorINS8_5tupleINS8_6detail15normal_iteratorINS8_10device_ptrIjEEEESH_NS8_9null_typeESI_SI_SI_SI_SI_SI_SI_EEEENS9_21zip_adj_not_predicateI22is_equal_div_10_uniqueIjEEEEEPllNS8_4plusIlEEEE10hipError_tPvRmT1_T2_T3_mT4_P12ihipStream_tbEUlT_E0_NS1_11comp_targetILNS1_3genE3ELNS1_11target_archE908ELNS1_3gpuE7ELNS1_3repE0EEENS1_30default_config_static_selectorELNS0_4arch9wavefront6targetE1EEEvSW_.num_vgpr, 0
	.set _ZN7rocprim17ROCPRIM_400000_NS6detail17trampoline_kernelINS0_14default_configENS1_22reduce_config_selectorIlEEZNS1_11reduce_implILb1ES3_N6thrust23THRUST_200600_302600_NS11hip_rocprim26transform_input_iterator_tIlNS8_12zip_iteratorINS8_5tupleINS8_6detail15normal_iteratorINS8_10device_ptrIjEEEESH_NS8_9null_typeESI_SI_SI_SI_SI_SI_SI_EEEENS9_21zip_adj_not_predicateI22is_equal_div_10_uniqueIjEEEEEPllNS8_4plusIlEEEE10hipError_tPvRmT1_T2_T3_mT4_P12ihipStream_tbEUlT_E0_NS1_11comp_targetILNS1_3genE3ELNS1_11target_archE908ELNS1_3gpuE7ELNS1_3repE0EEENS1_30default_config_static_selectorELNS0_4arch9wavefront6targetE1EEEvSW_.num_agpr, 0
	.set _ZN7rocprim17ROCPRIM_400000_NS6detail17trampoline_kernelINS0_14default_configENS1_22reduce_config_selectorIlEEZNS1_11reduce_implILb1ES3_N6thrust23THRUST_200600_302600_NS11hip_rocprim26transform_input_iterator_tIlNS8_12zip_iteratorINS8_5tupleINS8_6detail15normal_iteratorINS8_10device_ptrIjEEEESH_NS8_9null_typeESI_SI_SI_SI_SI_SI_SI_EEEENS9_21zip_adj_not_predicateI22is_equal_div_10_uniqueIjEEEEEPllNS8_4plusIlEEEE10hipError_tPvRmT1_T2_T3_mT4_P12ihipStream_tbEUlT_E0_NS1_11comp_targetILNS1_3genE3ELNS1_11target_archE908ELNS1_3gpuE7ELNS1_3repE0EEENS1_30default_config_static_selectorELNS0_4arch9wavefront6targetE1EEEvSW_.numbered_sgpr, 0
	.set _ZN7rocprim17ROCPRIM_400000_NS6detail17trampoline_kernelINS0_14default_configENS1_22reduce_config_selectorIlEEZNS1_11reduce_implILb1ES3_N6thrust23THRUST_200600_302600_NS11hip_rocprim26transform_input_iterator_tIlNS8_12zip_iteratorINS8_5tupleINS8_6detail15normal_iteratorINS8_10device_ptrIjEEEESH_NS8_9null_typeESI_SI_SI_SI_SI_SI_SI_EEEENS9_21zip_adj_not_predicateI22is_equal_div_10_uniqueIjEEEEEPllNS8_4plusIlEEEE10hipError_tPvRmT1_T2_T3_mT4_P12ihipStream_tbEUlT_E0_NS1_11comp_targetILNS1_3genE3ELNS1_11target_archE908ELNS1_3gpuE7ELNS1_3repE0EEENS1_30default_config_static_selectorELNS0_4arch9wavefront6targetE1EEEvSW_.num_named_barrier, 0
	.set _ZN7rocprim17ROCPRIM_400000_NS6detail17trampoline_kernelINS0_14default_configENS1_22reduce_config_selectorIlEEZNS1_11reduce_implILb1ES3_N6thrust23THRUST_200600_302600_NS11hip_rocprim26transform_input_iterator_tIlNS8_12zip_iteratorINS8_5tupleINS8_6detail15normal_iteratorINS8_10device_ptrIjEEEESH_NS8_9null_typeESI_SI_SI_SI_SI_SI_SI_EEEENS9_21zip_adj_not_predicateI22is_equal_div_10_uniqueIjEEEEEPllNS8_4plusIlEEEE10hipError_tPvRmT1_T2_T3_mT4_P12ihipStream_tbEUlT_E0_NS1_11comp_targetILNS1_3genE3ELNS1_11target_archE908ELNS1_3gpuE7ELNS1_3repE0EEENS1_30default_config_static_selectorELNS0_4arch9wavefront6targetE1EEEvSW_.private_seg_size, 0
	.set _ZN7rocprim17ROCPRIM_400000_NS6detail17trampoline_kernelINS0_14default_configENS1_22reduce_config_selectorIlEEZNS1_11reduce_implILb1ES3_N6thrust23THRUST_200600_302600_NS11hip_rocprim26transform_input_iterator_tIlNS8_12zip_iteratorINS8_5tupleINS8_6detail15normal_iteratorINS8_10device_ptrIjEEEESH_NS8_9null_typeESI_SI_SI_SI_SI_SI_SI_EEEENS9_21zip_adj_not_predicateI22is_equal_div_10_uniqueIjEEEEEPllNS8_4plusIlEEEE10hipError_tPvRmT1_T2_T3_mT4_P12ihipStream_tbEUlT_E0_NS1_11comp_targetILNS1_3genE3ELNS1_11target_archE908ELNS1_3gpuE7ELNS1_3repE0EEENS1_30default_config_static_selectorELNS0_4arch9wavefront6targetE1EEEvSW_.uses_vcc, 0
	.set _ZN7rocprim17ROCPRIM_400000_NS6detail17trampoline_kernelINS0_14default_configENS1_22reduce_config_selectorIlEEZNS1_11reduce_implILb1ES3_N6thrust23THRUST_200600_302600_NS11hip_rocprim26transform_input_iterator_tIlNS8_12zip_iteratorINS8_5tupleINS8_6detail15normal_iteratorINS8_10device_ptrIjEEEESH_NS8_9null_typeESI_SI_SI_SI_SI_SI_SI_EEEENS9_21zip_adj_not_predicateI22is_equal_div_10_uniqueIjEEEEEPllNS8_4plusIlEEEE10hipError_tPvRmT1_T2_T3_mT4_P12ihipStream_tbEUlT_E0_NS1_11comp_targetILNS1_3genE3ELNS1_11target_archE908ELNS1_3gpuE7ELNS1_3repE0EEENS1_30default_config_static_selectorELNS0_4arch9wavefront6targetE1EEEvSW_.uses_flat_scratch, 0
	.set _ZN7rocprim17ROCPRIM_400000_NS6detail17trampoline_kernelINS0_14default_configENS1_22reduce_config_selectorIlEEZNS1_11reduce_implILb1ES3_N6thrust23THRUST_200600_302600_NS11hip_rocprim26transform_input_iterator_tIlNS8_12zip_iteratorINS8_5tupleINS8_6detail15normal_iteratorINS8_10device_ptrIjEEEESH_NS8_9null_typeESI_SI_SI_SI_SI_SI_SI_EEEENS9_21zip_adj_not_predicateI22is_equal_div_10_uniqueIjEEEEEPllNS8_4plusIlEEEE10hipError_tPvRmT1_T2_T3_mT4_P12ihipStream_tbEUlT_E0_NS1_11comp_targetILNS1_3genE3ELNS1_11target_archE908ELNS1_3gpuE7ELNS1_3repE0EEENS1_30default_config_static_selectorELNS0_4arch9wavefront6targetE1EEEvSW_.has_dyn_sized_stack, 0
	.set _ZN7rocprim17ROCPRIM_400000_NS6detail17trampoline_kernelINS0_14default_configENS1_22reduce_config_selectorIlEEZNS1_11reduce_implILb1ES3_N6thrust23THRUST_200600_302600_NS11hip_rocprim26transform_input_iterator_tIlNS8_12zip_iteratorINS8_5tupleINS8_6detail15normal_iteratorINS8_10device_ptrIjEEEESH_NS8_9null_typeESI_SI_SI_SI_SI_SI_SI_EEEENS9_21zip_adj_not_predicateI22is_equal_div_10_uniqueIjEEEEEPllNS8_4plusIlEEEE10hipError_tPvRmT1_T2_T3_mT4_P12ihipStream_tbEUlT_E0_NS1_11comp_targetILNS1_3genE3ELNS1_11target_archE908ELNS1_3gpuE7ELNS1_3repE0EEENS1_30default_config_static_selectorELNS0_4arch9wavefront6targetE1EEEvSW_.has_recursion, 0
	.set _ZN7rocprim17ROCPRIM_400000_NS6detail17trampoline_kernelINS0_14default_configENS1_22reduce_config_selectorIlEEZNS1_11reduce_implILb1ES3_N6thrust23THRUST_200600_302600_NS11hip_rocprim26transform_input_iterator_tIlNS8_12zip_iteratorINS8_5tupleINS8_6detail15normal_iteratorINS8_10device_ptrIjEEEESH_NS8_9null_typeESI_SI_SI_SI_SI_SI_SI_EEEENS9_21zip_adj_not_predicateI22is_equal_div_10_uniqueIjEEEEEPllNS8_4plusIlEEEE10hipError_tPvRmT1_T2_T3_mT4_P12ihipStream_tbEUlT_E0_NS1_11comp_targetILNS1_3genE3ELNS1_11target_archE908ELNS1_3gpuE7ELNS1_3repE0EEENS1_30default_config_static_selectorELNS0_4arch9wavefront6targetE1EEEvSW_.has_indirect_call, 0
	.section	.AMDGPU.csdata,"",@progbits
; Kernel info:
; codeLenInByte = 0
; TotalNumSgprs: 4
; NumVgprs: 0
; ScratchSize: 0
; MemoryBound: 0
; FloatMode: 240
; IeeeMode: 1
; LDSByteSize: 0 bytes/workgroup (compile time only)
; SGPRBlocks: 0
; VGPRBlocks: 0
; NumSGPRsForWavesPerEU: 4
; NumVGPRsForWavesPerEU: 1
; Occupancy: 10
; WaveLimiterHint : 0
; COMPUTE_PGM_RSRC2:SCRATCH_EN: 0
; COMPUTE_PGM_RSRC2:USER_SGPR: 6
; COMPUTE_PGM_RSRC2:TRAP_HANDLER: 0
; COMPUTE_PGM_RSRC2:TGID_X_EN: 1
; COMPUTE_PGM_RSRC2:TGID_Y_EN: 0
; COMPUTE_PGM_RSRC2:TGID_Z_EN: 0
; COMPUTE_PGM_RSRC2:TIDIG_COMP_CNT: 0
	.section	.text._ZN7rocprim17ROCPRIM_400000_NS6detail17trampoline_kernelINS0_14default_configENS1_22reduce_config_selectorIlEEZNS1_11reduce_implILb1ES3_N6thrust23THRUST_200600_302600_NS11hip_rocprim26transform_input_iterator_tIlNS8_12zip_iteratorINS8_5tupleINS8_6detail15normal_iteratorINS8_10device_ptrIjEEEESH_NS8_9null_typeESI_SI_SI_SI_SI_SI_SI_EEEENS9_21zip_adj_not_predicateI22is_equal_div_10_uniqueIjEEEEEPllNS8_4plusIlEEEE10hipError_tPvRmT1_T2_T3_mT4_P12ihipStream_tbEUlT_E0_NS1_11comp_targetILNS1_3genE2ELNS1_11target_archE906ELNS1_3gpuE6ELNS1_3repE0EEENS1_30default_config_static_selectorELNS0_4arch9wavefront6targetE1EEEvSW_,"axG",@progbits,_ZN7rocprim17ROCPRIM_400000_NS6detail17trampoline_kernelINS0_14default_configENS1_22reduce_config_selectorIlEEZNS1_11reduce_implILb1ES3_N6thrust23THRUST_200600_302600_NS11hip_rocprim26transform_input_iterator_tIlNS8_12zip_iteratorINS8_5tupleINS8_6detail15normal_iteratorINS8_10device_ptrIjEEEESH_NS8_9null_typeESI_SI_SI_SI_SI_SI_SI_EEEENS9_21zip_adj_not_predicateI22is_equal_div_10_uniqueIjEEEEEPllNS8_4plusIlEEEE10hipError_tPvRmT1_T2_T3_mT4_P12ihipStream_tbEUlT_E0_NS1_11comp_targetILNS1_3genE2ELNS1_11target_archE906ELNS1_3gpuE6ELNS1_3repE0EEENS1_30default_config_static_selectorELNS0_4arch9wavefront6targetE1EEEvSW_,comdat
	.protected	_ZN7rocprim17ROCPRIM_400000_NS6detail17trampoline_kernelINS0_14default_configENS1_22reduce_config_selectorIlEEZNS1_11reduce_implILb1ES3_N6thrust23THRUST_200600_302600_NS11hip_rocprim26transform_input_iterator_tIlNS8_12zip_iteratorINS8_5tupleINS8_6detail15normal_iteratorINS8_10device_ptrIjEEEESH_NS8_9null_typeESI_SI_SI_SI_SI_SI_SI_EEEENS9_21zip_adj_not_predicateI22is_equal_div_10_uniqueIjEEEEEPllNS8_4plusIlEEEE10hipError_tPvRmT1_T2_T3_mT4_P12ihipStream_tbEUlT_E0_NS1_11comp_targetILNS1_3genE2ELNS1_11target_archE906ELNS1_3gpuE6ELNS1_3repE0EEENS1_30default_config_static_selectorELNS0_4arch9wavefront6targetE1EEEvSW_ ; -- Begin function _ZN7rocprim17ROCPRIM_400000_NS6detail17trampoline_kernelINS0_14default_configENS1_22reduce_config_selectorIlEEZNS1_11reduce_implILb1ES3_N6thrust23THRUST_200600_302600_NS11hip_rocprim26transform_input_iterator_tIlNS8_12zip_iteratorINS8_5tupleINS8_6detail15normal_iteratorINS8_10device_ptrIjEEEESH_NS8_9null_typeESI_SI_SI_SI_SI_SI_SI_EEEENS9_21zip_adj_not_predicateI22is_equal_div_10_uniqueIjEEEEEPllNS8_4plusIlEEEE10hipError_tPvRmT1_T2_T3_mT4_P12ihipStream_tbEUlT_E0_NS1_11comp_targetILNS1_3genE2ELNS1_11target_archE906ELNS1_3gpuE6ELNS1_3repE0EEENS1_30default_config_static_selectorELNS0_4arch9wavefront6targetE1EEEvSW_
	.globl	_ZN7rocprim17ROCPRIM_400000_NS6detail17trampoline_kernelINS0_14default_configENS1_22reduce_config_selectorIlEEZNS1_11reduce_implILb1ES3_N6thrust23THRUST_200600_302600_NS11hip_rocprim26transform_input_iterator_tIlNS8_12zip_iteratorINS8_5tupleINS8_6detail15normal_iteratorINS8_10device_ptrIjEEEESH_NS8_9null_typeESI_SI_SI_SI_SI_SI_SI_EEEENS9_21zip_adj_not_predicateI22is_equal_div_10_uniqueIjEEEEEPllNS8_4plusIlEEEE10hipError_tPvRmT1_T2_T3_mT4_P12ihipStream_tbEUlT_E0_NS1_11comp_targetILNS1_3genE2ELNS1_11target_archE906ELNS1_3gpuE6ELNS1_3repE0EEENS1_30default_config_static_selectorELNS0_4arch9wavefront6targetE1EEEvSW_
	.p2align	8
	.type	_ZN7rocprim17ROCPRIM_400000_NS6detail17trampoline_kernelINS0_14default_configENS1_22reduce_config_selectorIlEEZNS1_11reduce_implILb1ES3_N6thrust23THRUST_200600_302600_NS11hip_rocprim26transform_input_iterator_tIlNS8_12zip_iteratorINS8_5tupleINS8_6detail15normal_iteratorINS8_10device_ptrIjEEEESH_NS8_9null_typeESI_SI_SI_SI_SI_SI_SI_EEEENS9_21zip_adj_not_predicateI22is_equal_div_10_uniqueIjEEEEEPllNS8_4plusIlEEEE10hipError_tPvRmT1_T2_T3_mT4_P12ihipStream_tbEUlT_E0_NS1_11comp_targetILNS1_3genE2ELNS1_11target_archE906ELNS1_3gpuE6ELNS1_3repE0EEENS1_30default_config_static_selectorELNS0_4arch9wavefront6targetE1EEEvSW_,@function
_ZN7rocprim17ROCPRIM_400000_NS6detail17trampoline_kernelINS0_14default_configENS1_22reduce_config_selectorIlEEZNS1_11reduce_implILb1ES3_N6thrust23THRUST_200600_302600_NS11hip_rocprim26transform_input_iterator_tIlNS8_12zip_iteratorINS8_5tupleINS8_6detail15normal_iteratorINS8_10device_ptrIjEEEESH_NS8_9null_typeESI_SI_SI_SI_SI_SI_SI_EEEENS9_21zip_adj_not_predicateI22is_equal_div_10_uniqueIjEEEEEPllNS8_4plusIlEEEE10hipError_tPvRmT1_T2_T3_mT4_P12ihipStream_tbEUlT_E0_NS1_11comp_targetILNS1_3genE2ELNS1_11target_archE906ELNS1_3gpuE6ELNS1_3repE0EEENS1_30default_config_static_selectorELNS0_4arch9wavefront6targetE1EEEvSW_: ; @_ZN7rocprim17ROCPRIM_400000_NS6detail17trampoline_kernelINS0_14default_configENS1_22reduce_config_selectorIlEEZNS1_11reduce_implILb1ES3_N6thrust23THRUST_200600_302600_NS11hip_rocprim26transform_input_iterator_tIlNS8_12zip_iteratorINS8_5tupleINS8_6detail15normal_iteratorINS8_10device_ptrIjEEEESH_NS8_9null_typeESI_SI_SI_SI_SI_SI_SI_EEEENS9_21zip_adj_not_predicateI22is_equal_div_10_uniqueIjEEEEEPllNS8_4plusIlEEEE10hipError_tPvRmT1_T2_T3_mT4_P12ihipStream_tbEUlT_E0_NS1_11comp_targetILNS1_3genE2ELNS1_11target_archE906ELNS1_3gpuE6ELNS1_3repE0EEENS1_30default_config_static_selectorELNS0_4arch9wavefront6targetE1EEEvSW_
; %bb.0:
	s_load_dwordx8 s[8:15], s[4:5], 0x18
	s_load_dwordx4 s[0:3], s[4:5], 0x0
	s_load_dwordx4 s[16:19], s[4:5], 0x38
	v_lshlrev_b32_e32 v6, 2, v0
	v_mbcnt_lo_u32_b32 v5, -1, 0
	s_waitcnt lgkmcnt(0)
	s_lshl_b64 s[4:5], s[8:9], 2
	s_add_u32 s0, s0, s4
	s_addc_u32 s1, s1, s5
	s_add_u32 s20, s2, s4
	s_addc_u32 s21, s3, s5
	s_lshl_b32 s4, s6, 9
	s_mov_b32 s5, 0
	s_lshr_b64 s[8:9], s[10:11], 9
	s_lshl_b64 s[2:3], s[4:5], 2
	s_add_u32 s0, s0, s2
	s_addc_u32 s1, s1, s3
	s_add_u32 s2, s20, s2
	s_mov_b32 s7, s5
	s_addc_u32 s3, s21, s3
	s_cmp_lg_u64 s[8:9], s[6:7]
	s_cbranch_scc0 .LBB873_6
; %bb.1:
	global_load_dword v1, v6, s[0:1]
	global_load_dword v2, v6, s[2:3]
	global_load_dword v7, v6, s[2:3] offset:1024
	global_load_dword v8, v6, s[0:1] offset:1024
	s_mov_b32 s5, 0x66666667
	v_mov_b32_e32 v4, 0
	v_mbcnt_hi_u32_b32 v3, -1, v5
	s_waitcnt vmcnt(3)
	v_mul_hi_i32 v1, v1, s5
	s_waitcnt vmcnt(2)
	v_mul_hi_i32 v2, v2, s5
	;; [unrolled: 2-line block ×4, first 2 shown]
	v_lshrrev_b32_e32 v11, 31, v1
	v_ashrrev_i32_e32 v1, 2, v1
	v_lshrrev_b32_e32 v12, 31, v2
	v_ashrrev_i32_e32 v2, 2, v2
	;; [unrolled: 2-line block ×4, first 2 shown]
	v_add_u32_e32 v1, v1, v11
	v_add_u32_e32 v2, v2, v12
	;; [unrolled: 1-line block ×4, first 2 shown]
	v_cmp_ne_u32_e32 vcc, v1, v2
	v_cndmask_b32_e64 v1, 0, 1, vcc
	v_cmp_ne_u32_e32 vcc, v8, v7
	v_addc_co_u32_e32 v1, vcc, 0, v1, vcc
	v_mov_b32_dpp v9, v4 quad_perm:[1,0,3,2] row_mask:0xf bank_mask:0xf bound_ctrl:1
	s_nop 0
	v_mov_b32_dpp v2, v1 quad_perm:[1,0,3,2] row_mask:0xf bank_mask:0xf bound_ctrl:1
	v_add_co_u32_e32 v1, vcc, v1, v2
	v_addc_co_u32_e64 v2, s[8:9], 0, 0, vcc
	v_add_co_u32_e32 v7, vcc, 0, v1
	v_addc_co_u32_e32 v2, vcc, v9, v2, vcc
	v_mov_b32_dpp v1, v1 quad_perm:[2,3,0,1] row_mask:0xf bank_mask:0xf bound_ctrl:1
	v_add_co_u32_e32 v1, vcc, v7, v1
	v_mov_b32_dpp v8, v2 quad_perm:[2,3,0,1] row_mask:0xf bank_mask:0xf bound_ctrl:1
	v_addc_co_u32_e32 v2, vcc, 0, v2, vcc
	v_add_co_u32_e32 v7, vcc, 0, v1
	v_addc_co_u32_e32 v2, vcc, v2, v8, vcc
	v_mov_b32_dpp v1, v1 row_ror:4 row_mask:0xf bank_mask:0xf bound_ctrl:1
	v_add_co_u32_e32 v1, vcc, v7, v1
	v_mov_b32_dpp v8, v2 row_ror:4 row_mask:0xf bank_mask:0xf bound_ctrl:1
	v_addc_co_u32_e32 v2, vcc, 0, v2, vcc
	v_add_co_u32_e32 v7, vcc, 0, v1
	v_addc_co_u32_e32 v2, vcc, v2, v8, vcc
	v_mov_b32_dpp v1, v1 row_ror:8 row_mask:0xf bank_mask:0xf bound_ctrl:1
	v_add_co_u32_e32 v1, vcc, v7, v1
	v_mov_b32_dpp v8, v2 row_ror:8 row_mask:0xf bank_mask:0xf bound_ctrl:1
	v_addc_co_u32_e32 v2, vcc, 0, v2, vcc
	v_add_co_u32_e32 v7, vcc, 0, v1
	v_addc_co_u32_e32 v2, vcc, v2, v8, vcc
	v_mov_b32_dpp v1, v1 row_bcast:15 row_mask:0xf bank_mask:0xf bound_ctrl:1
	v_add_co_u32_e32 v1, vcc, v7, v1
	v_mov_b32_dpp v8, v2 row_bcast:15 row_mask:0xf bank_mask:0xf bound_ctrl:1
	v_addc_co_u32_e32 v2, vcc, 0, v2, vcc
	v_add_co_u32_e32 v7, vcc, 0, v1
	v_addc_co_u32_e32 v2, vcc, v2, v8, vcc
	v_mov_b32_dpp v1, v1 row_bcast:31 row_mask:0xf bank_mask:0xf bound_ctrl:1
	v_add_co_u32_e32 v1, vcc, v7, v1
	v_lshlrev_b32_e32 v4, 2, v3
	v_addc_co_u32_e32 v7, vcc, 0, v2, vcc
	v_or_b32_e32 v10, 0xfc, v4
	s_nop 0
	v_add_u32_dpp v2, v2, v7 row_bcast:31 row_mask:0xf bank_mask:0xf bound_ctrl:1
	ds_bpermute_b32 v1, v10, v1
	ds_bpermute_b32 v2, v10, v2
	v_cmp_eq_u32_e32 vcc, 0, v3
	s_and_saveexec_b64 s[8:9], vcc
	s_cbranch_execz .LBB873_3
; %bb.2:
	v_lshrrev_b32_e32 v7, 3, v0
	v_and_b32_e32 v7, 24, v7
	s_waitcnt lgkmcnt(0)
	ds_write_b64 v7, v[1:2]
.LBB873_3:
	s_or_b64 exec, exec, s[8:9]
	v_cmp_gt_u32_e32 vcc, 64, v0
	s_waitcnt lgkmcnt(0)
	s_barrier
	s_and_saveexec_b64 s[8:9], vcc
	s_cbranch_execz .LBB873_5
; %bb.4:
	v_and_b32_e32 v7, 3, v3
	v_lshlrev_b32_e32 v1, 3, v7
	ds_read_b64 v[1:2], v1
	v_cmp_ne_u32_e32 vcc, 3, v7
	v_addc_co_u32_e32 v3, vcc, 0, v3, vcc
	v_lshlrev_b32_e32 v3, 2, v3
	s_waitcnt lgkmcnt(0)
	ds_bpermute_b32 v7, v3, v1
	ds_bpermute_b32 v3, v3, v2
	v_or_b32_e32 v4, 8, v4
	s_waitcnt lgkmcnt(1)
	v_add_co_u32_e32 v1, vcc, v1, v7
	v_addc_co_u32_e32 v2, vcc, 0, v2, vcc
	ds_bpermute_b32 v7, v4, v1
	v_add_co_u32_e32 v1, vcc, 0, v1
	s_waitcnt lgkmcnt(1)
	v_addc_co_u32_e32 v2, vcc, v3, v2, vcc
	ds_bpermute_b32 v3, v4, v2
	s_waitcnt lgkmcnt(1)
	v_add_co_u32_e32 v1, vcc, v1, v7
	v_addc_co_u32_e32 v2, vcc, 0, v2, vcc
	v_add_co_u32_e32 v1, vcc, 0, v1
	s_waitcnt lgkmcnt(0)
	v_addc_co_u32_e32 v2, vcc, v2, v3, vcc
.LBB873_5:
	s_or_b64 exec, exec, s[8:9]
	s_branch .LBB873_28
.LBB873_6:
                                        ; implicit-def: $vgpr1_vgpr2
	s_cbranch_execz .LBB873_28
; %bb.7:
	s_sub_i32 s8, s10, s4
	v_mov_b32_e32 v1, 0
	v_cmp_gt_u32_e32 vcc, s8, v0
	v_mov_b32_e32 v2, v1
	v_mov_b32_e32 v3, v1
	v_mov_b32_e32 v4, v1
	s_and_saveexec_b64 s[4:5], vcc
	s_cbranch_execz .LBB873_9
; %bb.8:
	global_load_dword v2, v6, s[0:1]
	global_load_dword v3, v6, s[2:3]
	s_mov_b32 s9, 0x66666667
	v_mov_b32_e32 v8, v1
	v_mov_b32_e32 v9, v1
	;; [unrolled: 1-line block ×3, first 2 shown]
	s_waitcnt vmcnt(1)
	v_mul_hi_i32 v2, v2, s9
	s_waitcnt vmcnt(0)
	v_mul_hi_i32 v3, v3, s9
	v_lshrrev_b32_e32 v4, 31, v2
	v_ashrrev_i32_e32 v2, 2, v2
	v_lshrrev_b32_e32 v7, 31, v3
	v_ashrrev_i32_e32 v3, 2, v3
	v_add_u32_e32 v2, v2, v4
	v_add_u32_e32 v3, v3, v7
	v_cmp_ne_u32_e32 vcc, v2, v3
	v_cndmask_b32_e64 v2, 0, 1, vcc
	v_and_b32_e32 v7, 0xffff, v2
	v_mov_b32_e32 v1, v7
	v_mov_b32_e32 v2, v8
	;; [unrolled: 1-line block ×4, first 2 shown]
.LBB873_9:
	s_or_b64 exec, exec, s[4:5]
	v_or_b32_e32 v7, 0x100, v0
	v_cmp_gt_u32_e32 vcc, s8, v7
	s_and_saveexec_b64 s[4:5], vcc
	s_cbranch_execz .LBB873_11
; %bb.10:
	global_load_dword v3, v6, s[0:1] offset:1024
	global_load_dword v4, v6, s[2:3] offset:1024
	s_mov_b32 s0, 0x66666667
	s_mov_b32 s2, 0
	s_waitcnt vmcnt(1)
	v_mul_hi_i32 v3, v3, s0
	s_waitcnt vmcnt(0)
	v_mul_hi_i32 v4, v4, s0
	v_lshrrev_b32_e32 v6, 31, v3
	v_ashrrev_i32_e32 v3, 2, v3
	v_lshrrev_b32_e32 v7, 31, v4
	v_ashrrev_i32_e32 v4, 2, v4
	v_add_u32_e32 v3, v3, v6
	v_add_u32_e32 v4, v4, v7
	v_cmp_ne_u32_e64 s[0:1], v3, v4
	v_cndmask_b32_e64 v3, 0, 1, s[0:1]
	v_mov_b32_e32 v4, s2
.LBB873_11:
	s_or_b64 exec, exec, s[4:5]
	v_cndmask_b32_e32 v3, 0, v3, vcc
	v_cndmask_b32_e32 v4, 0, v4, vcc
	v_add_co_u32_e32 v1, vcc, v3, v1
	v_mbcnt_hi_u32_b32 v3, -1, v5
	v_addc_co_u32_e32 v2, vcc, v4, v2, vcc
	v_and_b32_e32 v4, 63, v3
	v_cmp_ne_u32_e32 vcc, 63, v4
	v_addc_co_u32_e32 v6, vcc, 0, v3, vcc
	v_lshlrev_b32_e32 v6, 2, v6
	ds_bpermute_b32 v8, v6, v1
	ds_bpermute_b32 v7, v6, v2
	s_min_u32 s2, s8, 0x100
	v_and_b32_e32 v5, 0xc0, v0
	v_sub_u32_e64 v5, s2, v5 clamp
	v_add_u32_e32 v6, 1, v4
	v_cmp_lt_u32_e32 vcc, v6, v5
	v_mov_b32_e32 v6, v1
	s_and_saveexec_b64 s[0:1], vcc
	s_cbranch_execz .LBB873_13
; %bb.12:
	s_waitcnt lgkmcnt(1)
	v_add_co_u32_e32 v6, vcc, v1, v8
	v_addc_co_u32_e32 v2, vcc, 0, v2, vcc
	v_add_co_u32_e32 v1, vcc, 0, v6
	s_waitcnt lgkmcnt(0)
	v_addc_co_u32_e32 v2, vcc, v7, v2, vcc
.LBB873_13:
	s_or_b64 exec, exec, s[0:1]
	v_cmp_gt_u32_e32 vcc, 62, v4
	s_waitcnt lgkmcnt(0)
	v_cndmask_b32_e64 v7, 0, 2, vcc
	v_add_lshl_u32 v7, v7, v3, 2
	ds_bpermute_b32 v8, v7, v6
	ds_bpermute_b32 v7, v7, v2
	v_add_u32_e32 v9, 2, v4
	v_cmp_lt_u32_e32 vcc, v9, v5
	s_and_saveexec_b64 s[0:1], vcc
	s_cbranch_execz .LBB873_15
; %bb.14:
	s_waitcnt lgkmcnt(1)
	v_add_co_u32_e32 v6, vcc, v1, v8
	v_addc_co_u32_e32 v2, vcc, 0, v2, vcc
	v_add_co_u32_e32 v1, vcc, 0, v6
	s_waitcnt lgkmcnt(0)
	v_addc_co_u32_e32 v2, vcc, v7, v2, vcc
.LBB873_15:
	s_or_b64 exec, exec, s[0:1]
	v_cmp_gt_u32_e32 vcc, 60, v4
	s_waitcnt lgkmcnt(0)
	v_cndmask_b32_e64 v7, 0, 4, vcc
	v_add_lshl_u32 v7, v7, v3, 2
	ds_bpermute_b32 v8, v7, v6
	ds_bpermute_b32 v7, v7, v2
	v_add_u32_e32 v9, 4, v4
	v_cmp_lt_u32_e32 vcc, v9, v5
	;; [unrolled: 19-line block ×4, first 2 shown]
	s_and_saveexec_b64 s[0:1], vcc
	s_cbranch_execz .LBB873_21
; %bb.20:
	s_waitcnt lgkmcnt(1)
	v_add_co_u32_e32 v6, vcc, v1, v8
	v_addc_co_u32_e32 v2, vcc, 0, v2, vcc
	v_add_co_u32_e32 v1, vcc, 0, v6
	s_waitcnt lgkmcnt(0)
	v_addc_co_u32_e32 v2, vcc, v7, v2, vcc
.LBB873_21:
	s_or_b64 exec, exec, s[0:1]
	s_waitcnt lgkmcnt(0)
	v_lshlrev_b32_e32 v7, 2, v3
	v_or_b32_e32 v8, 0x80, v7
	ds_bpermute_b32 v6, v8, v6
	ds_bpermute_b32 v8, v8, v2
	v_add_u32_e32 v4, 32, v4
	s_waitcnt lgkmcnt(1)
	v_add_co_u32_e32 v6, vcc, v1, v6
	v_addc_co_u32_e32 v9, vcc, 0, v2, vcc
	v_add_co_u32_e32 v6, vcc, 0, v6
	s_waitcnt lgkmcnt(0)
	v_addc_co_u32_e32 v8, vcc, v9, v8, vcc
	v_cmp_lt_u32_e32 vcc, v4, v5
	v_cndmask_b32_e32 v2, v2, v8, vcc
	v_cndmask_b32_e32 v1, v1, v6, vcc
	v_cmp_eq_u32_e32 vcc, 0, v3
	s_and_saveexec_b64 s[0:1], vcc
; %bb.22:
	v_lshrrev_b32_e32 v4, 3, v0
	v_and_b32_e32 v4, 24, v4
	ds_write_b64 v4, v[1:2] offset:32
; %bb.23:
	s_or_b64 exec, exec, s[0:1]
	v_cmp_gt_u32_e32 vcc, 4, v0
	s_waitcnt lgkmcnt(0)
	s_barrier
	s_and_saveexec_b64 s[0:1], vcc
	s_cbranch_execz .LBB873_27
; %bb.24:
	v_lshlrev_b32_e32 v1, 3, v3
	ds_read_b64 v[1:2], v1 offset:32
	v_and_b32_e32 v4, 3, v3
	v_cmp_ne_u32_e32 vcc, 3, v4
	v_addc_co_u32_e32 v3, vcc, 0, v3, vcc
	v_lshlrev_b32_e32 v3, 2, v3
	s_waitcnt lgkmcnt(0)
	ds_bpermute_b32 v6, v3, v1
	ds_bpermute_b32 v5, v3, v2
	s_add_i32 s2, s2, 63
	s_lshr_b32 s4, s2, 6
	v_add_u32_e32 v3, 1, v4
	v_cmp_gt_u32_e32 vcc, s4, v3
	v_mov_b32_e32 v3, v1
	s_and_saveexec_b64 s[2:3], vcc
	s_cbranch_execz .LBB873_26
; %bb.25:
	s_waitcnt lgkmcnt(1)
	v_add_co_u32_e32 v3, vcc, v1, v6
	v_addc_co_u32_e32 v2, vcc, 0, v2, vcc
	v_add_co_u32_e32 v1, vcc, 0, v3
	s_waitcnt lgkmcnt(0)
	v_addc_co_u32_e32 v2, vcc, v5, v2, vcc
.LBB873_26:
	s_or_b64 exec, exec, s[2:3]
	s_waitcnt lgkmcnt(0)
	v_or_b32_e32 v5, 8, v7
	ds_bpermute_b32 v3, v5, v3
	ds_bpermute_b32 v5, v5, v2
	v_add_u32_e32 v4, 2, v4
	s_waitcnt lgkmcnt(1)
	v_add_co_u32_e32 v3, vcc, v1, v3
	v_addc_co_u32_e32 v6, vcc, 0, v2, vcc
	v_add_co_u32_e32 v3, vcc, 0, v3
	s_waitcnt lgkmcnt(0)
	v_addc_co_u32_e32 v5, vcc, v6, v5, vcc
	v_cmp_gt_u32_e32 vcc, s4, v4
	v_cndmask_b32_e32 v2, v2, v5, vcc
	v_cndmask_b32_e32 v1, v1, v3, vcc
.LBB873_27:
	s_or_b64 exec, exec, s[0:1]
.LBB873_28:
	v_cmp_eq_u32_e32 vcc, 0, v0
	s_and_saveexec_b64 s[0:1], vcc
	s_cbranch_execnz .LBB873_30
; %bb.29:
	s_endpgm
.LBB873_30:
	s_mul_i32 s0, s16, s15
	s_mul_hi_u32 s1, s16, s14
	s_add_i32 s0, s1, s0
	s_mul_i32 s1, s17, s14
	s_add_i32 s1, s0, s1
	s_mul_i32 s0, s16, s14
	s_lshl_b64 s[0:1], s[0:1], 3
	s_add_u32 s2, s12, s0
	s_addc_u32 s3, s13, s1
	s_cmp_eq_u64 s[10:11], 0
	v_mov_b32_e32 v0, s19
	s_cselect_b64 vcc, -1, 0
	s_lshl_b64 s[0:1], s[6:7], 3
	v_cndmask_b32_e32 v2, v2, v0, vcc
	v_mov_b32_e32 v0, s18
	s_add_u32 s0, s2, s0
	v_cndmask_b32_e32 v1, v1, v0, vcc
	s_addc_u32 s1, s3, s1
	v_mov_b32_e32 v0, 0
	global_store_dwordx2 v0, v[1:2], s[0:1]
	s_endpgm
	.section	.rodata,"a",@progbits
	.p2align	6, 0x0
	.amdhsa_kernel _ZN7rocprim17ROCPRIM_400000_NS6detail17trampoline_kernelINS0_14default_configENS1_22reduce_config_selectorIlEEZNS1_11reduce_implILb1ES3_N6thrust23THRUST_200600_302600_NS11hip_rocprim26transform_input_iterator_tIlNS8_12zip_iteratorINS8_5tupleINS8_6detail15normal_iteratorINS8_10device_ptrIjEEEESH_NS8_9null_typeESI_SI_SI_SI_SI_SI_SI_EEEENS9_21zip_adj_not_predicateI22is_equal_div_10_uniqueIjEEEEEPllNS8_4plusIlEEEE10hipError_tPvRmT1_T2_T3_mT4_P12ihipStream_tbEUlT_E0_NS1_11comp_targetILNS1_3genE2ELNS1_11target_archE906ELNS1_3gpuE6ELNS1_3repE0EEENS1_30default_config_static_selectorELNS0_4arch9wavefront6targetE1EEEvSW_
		.amdhsa_group_segment_fixed_size 64
		.amdhsa_private_segment_fixed_size 0
		.amdhsa_kernarg_size 80
		.amdhsa_user_sgpr_count 6
		.amdhsa_user_sgpr_private_segment_buffer 1
		.amdhsa_user_sgpr_dispatch_ptr 0
		.amdhsa_user_sgpr_queue_ptr 0
		.amdhsa_user_sgpr_kernarg_segment_ptr 1
		.amdhsa_user_sgpr_dispatch_id 0
		.amdhsa_user_sgpr_flat_scratch_init 0
		.amdhsa_user_sgpr_private_segment_size 0
		.amdhsa_uses_dynamic_stack 0
		.amdhsa_system_sgpr_private_segment_wavefront_offset 0
		.amdhsa_system_sgpr_workgroup_id_x 1
		.amdhsa_system_sgpr_workgroup_id_y 0
		.amdhsa_system_sgpr_workgroup_id_z 0
		.amdhsa_system_sgpr_workgroup_info 0
		.amdhsa_system_vgpr_workitem_id 0
		.amdhsa_next_free_vgpr 15
		.amdhsa_next_free_sgpr 22
		.amdhsa_reserve_vcc 1
		.amdhsa_reserve_flat_scratch 0
		.amdhsa_float_round_mode_32 0
		.amdhsa_float_round_mode_16_64 0
		.amdhsa_float_denorm_mode_32 3
		.amdhsa_float_denorm_mode_16_64 3
		.amdhsa_dx10_clamp 1
		.amdhsa_ieee_mode 1
		.amdhsa_fp16_overflow 0
		.amdhsa_exception_fp_ieee_invalid_op 0
		.amdhsa_exception_fp_denorm_src 0
		.amdhsa_exception_fp_ieee_div_zero 0
		.amdhsa_exception_fp_ieee_overflow 0
		.amdhsa_exception_fp_ieee_underflow 0
		.amdhsa_exception_fp_ieee_inexact 0
		.amdhsa_exception_int_div_zero 0
	.end_amdhsa_kernel
	.section	.text._ZN7rocprim17ROCPRIM_400000_NS6detail17trampoline_kernelINS0_14default_configENS1_22reduce_config_selectorIlEEZNS1_11reduce_implILb1ES3_N6thrust23THRUST_200600_302600_NS11hip_rocprim26transform_input_iterator_tIlNS8_12zip_iteratorINS8_5tupleINS8_6detail15normal_iteratorINS8_10device_ptrIjEEEESH_NS8_9null_typeESI_SI_SI_SI_SI_SI_SI_EEEENS9_21zip_adj_not_predicateI22is_equal_div_10_uniqueIjEEEEEPllNS8_4plusIlEEEE10hipError_tPvRmT1_T2_T3_mT4_P12ihipStream_tbEUlT_E0_NS1_11comp_targetILNS1_3genE2ELNS1_11target_archE906ELNS1_3gpuE6ELNS1_3repE0EEENS1_30default_config_static_selectorELNS0_4arch9wavefront6targetE1EEEvSW_,"axG",@progbits,_ZN7rocprim17ROCPRIM_400000_NS6detail17trampoline_kernelINS0_14default_configENS1_22reduce_config_selectorIlEEZNS1_11reduce_implILb1ES3_N6thrust23THRUST_200600_302600_NS11hip_rocprim26transform_input_iterator_tIlNS8_12zip_iteratorINS8_5tupleINS8_6detail15normal_iteratorINS8_10device_ptrIjEEEESH_NS8_9null_typeESI_SI_SI_SI_SI_SI_SI_EEEENS9_21zip_adj_not_predicateI22is_equal_div_10_uniqueIjEEEEEPllNS8_4plusIlEEEE10hipError_tPvRmT1_T2_T3_mT4_P12ihipStream_tbEUlT_E0_NS1_11comp_targetILNS1_3genE2ELNS1_11target_archE906ELNS1_3gpuE6ELNS1_3repE0EEENS1_30default_config_static_selectorELNS0_4arch9wavefront6targetE1EEEvSW_,comdat
.Lfunc_end873:
	.size	_ZN7rocprim17ROCPRIM_400000_NS6detail17trampoline_kernelINS0_14default_configENS1_22reduce_config_selectorIlEEZNS1_11reduce_implILb1ES3_N6thrust23THRUST_200600_302600_NS11hip_rocprim26transform_input_iterator_tIlNS8_12zip_iteratorINS8_5tupleINS8_6detail15normal_iteratorINS8_10device_ptrIjEEEESH_NS8_9null_typeESI_SI_SI_SI_SI_SI_SI_EEEENS9_21zip_adj_not_predicateI22is_equal_div_10_uniqueIjEEEEEPllNS8_4plusIlEEEE10hipError_tPvRmT1_T2_T3_mT4_P12ihipStream_tbEUlT_E0_NS1_11comp_targetILNS1_3genE2ELNS1_11target_archE906ELNS1_3gpuE6ELNS1_3repE0EEENS1_30default_config_static_selectorELNS0_4arch9wavefront6targetE1EEEvSW_, .Lfunc_end873-_ZN7rocprim17ROCPRIM_400000_NS6detail17trampoline_kernelINS0_14default_configENS1_22reduce_config_selectorIlEEZNS1_11reduce_implILb1ES3_N6thrust23THRUST_200600_302600_NS11hip_rocprim26transform_input_iterator_tIlNS8_12zip_iteratorINS8_5tupleINS8_6detail15normal_iteratorINS8_10device_ptrIjEEEESH_NS8_9null_typeESI_SI_SI_SI_SI_SI_SI_EEEENS9_21zip_adj_not_predicateI22is_equal_div_10_uniqueIjEEEEEPllNS8_4plusIlEEEE10hipError_tPvRmT1_T2_T3_mT4_P12ihipStream_tbEUlT_E0_NS1_11comp_targetILNS1_3genE2ELNS1_11target_archE906ELNS1_3gpuE6ELNS1_3repE0EEENS1_30default_config_static_selectorELNS0_4arch9wavefront6targetE1EEEvSW_
                                        ; -- End function
	.set _ZN7rocprim17ROCPRIM_400000_NS6detail17trampoline_kernelINS0_14default_configENS1_22reduce_config_selectorIlEEZNS1_11reduce_implILb1ES3_N6thrust23THRUST_200600_302600_NS11hip_rocprim26transform_input_iterator_tIlNS8_12zip_iteratorINS8_5tupleINS8_6detail15normal_iteratorINS8_10device_ptrIjEEEESH_NS8_9null_typeESI_SI_SI_SI_SI_SI_SI_EEEENS9_21zip_adj_not_predicateI22is_equal_div_10_uniqueIjEEEEEPllNS8_4plusIlEEEE10hipError_tPvRmT1_T2_T3_mT4_P12ihipStream_tbEUlT_E0_NS1_11comp_targetILNS1_3genE2ELNS1_11target_archE906ELNS1_3gpuE6ELNS1_3repE0EEENS1_30default_config_static_selectorELNS0_4arch9wavefront6targetE1EEEvSW_.num_vgpr, 15
	.set _ZN7rocprim17ROCPRIM_400000_NS6detail17trampoline_kernelINS0_14default_configENS1_22reduce_config_selectorIlEEZNS1_11reduce_implILb1ES3_N6thrust23THRUST_200600_302600_NS11hip_rocprim26transform_input_iterator_tIlNS8_12zip_iteratorINS8_5tupleINS8_6detail15normal_iteratorINS8_10device_ptrIjEEEESH_NS8_9null_typeESI_SI_SI_SI_SI_SI_SI_EEEENS9_21zip_adj_not_predicateI22is_equal_div_10_uniqueIjEEEEEPllNS8_4plusIlEEEE10hipError_tPvRmT1_T2_T3_mT4_P12ihipStream_tbEUlT_E0_NS1_11comp_targetILNS1_3genE2ELNS1_11target_archE906ELNS1_3gpuE6ELNS1_3repE0EEENS1_30default_config_static_selectorELNS0_4arch9wavefront6targetE1EEEvSW_.num_agpr, 0
	.set _ZN7rocprim17ROCPRIM_400000_NS6detail17trampoline_kernelINS0_14default_configENS1_22reduce_config_selectorIlEEZNS1_11reduce_implILb1ES3_N6thrust23THRUST_200600_302600_NS11hip_rocprim26transform_input_iterator_tIlNS8_12zip_iteratorINS8_5tupleINS8_6detail15normal_iteratorINS8_10device_ptrIjEEEESH_NS8_9null_typeESI_SI_SI_SI_SI_SI_SI_EEEENS9_21zip_adj_not_predicateI22is_equal_div_10_uniqueIjEEEEEPllNS8_4plusIlEEEE10hipError_tPvRmT1_T2_T3_mT4_P12ihipStream_tbEUlT_E0_NS1_11comp_targetILNS1_3genE2ELNS1_11target_archE906ELNS1_3gpuE6ELNS1_3repE0EEENS1_30default_config_static_selectorELNS0_4arch9wavefront6targetE1EEEvSW_.numbered_sgpr, 22
	.set _ZN7rocprim17ROCPRIM_400000_NS6detail17trampoline_kernelINS0_14default_configENS1_22reduce_config_selectorIlEEZNS1_11reduce_implILb1ES3_N6thrust23THRUST_200600_302600_NS11hip_rocprim26transform_input_iterator_tIlNS8_12zip_iteratorINS8_5tupleINS8_6detail15normal_iteratorINS8_10device_ptrIjEEEESH_NS8_9null_typeESI_SI_SI_SI_SI_SI_SI_EEEENS9_21zip_adj_not_predicateI22is_equal_div_10_uniqueIjEEEEEPllNS8_4plusIlEEEE10hipError_tPvRmT1_T2_T3_mT4_P12ihipStream_tbEUlT_E0_NS1_11comp_targetILNS1_3genE2ELNS1_11target_archE906ELNS1_3gpuE6ELNS1_3repE0EEENS1_30default_config_static_selectorELNS0_4arch9wavefront6targetE1EEEvSW_.num_named_barrier, 0
	.set _ZN7rocprim17ROCPRIM_400000_NS6detail17trampoline_kernelINS0_14default_configENS1_22reduce_config_selectorIlEEZNS1_11reduce_implILb1ES3_N6thrust23THRUST_200600_302600_NS11hip_rocprim26transform_input_iterator_tIlNS8_12zip_iteratorINS8_5tupleINS8_6detail15normal_iteratorINS8_10device_ptrIjEEEESH_NS8_9null_typeESI_SI_SI_SI_SI_SI_SI_EEEENS9_21zip_adj_not_predicateI22is_equal_div_10_uniqueIjEEEEEPllNS8_4plusIlEEEE10hipError_tPvRmT1_T2_T3_mT4_P12ihipStream_tbEUlT_E0_NS1_11comp_targetILNS1_3genE2ELNS1_11target_archE906ELNS1_3gpuE6ELNS1_3repE0EEENS1_30default_config_static_selectorELNS0_4arch9wavefront6targetE1EEEvSW_.private_seg_size, 0
	.set _ZN7rocprim17ROCPRIM_400000_NS6detail17trampoline_kernelINS0_14default_configENS1_22reduce_config_selectorIlEEZNS1_11reduce_implILb1ES3_N6thrust23THRUST_200600_302600_NS11hip_rocprim26transform_input_iterator_tIlNS8_12zip_iteratorINS8_5tupleINS8_6detail15normal_iteratorINS8_10device_ptrIjEEEESH_NS8_9null_typeESI_SI_SI_SI_SI_SI_SI_EEEENS9_21zip_adj_not_predicateI22is_equal_div_10_uniqueIjEEEEEPllNS8_4plusIlEEEE10hipError_tPvRmT1_T2_T3_mT4_P12ihipStream_tbEUlT_E0_NS1_11comp_targetILNS1_3genE2ELNS1_11target_archE906ELNS1_3gpuE6ELNS1_3repE0EEENS1_30default_config_static_selectorELNS0_4arch9wavefront6targetE1EEEvSW_.uses_vcc, 1
	.set _ZN7rocprim17ROCPRIM_400000_NS6detail17trampoline_kernelINS0_14default_configENS1_22reduce_config_selectorIlEEZNS1_11reduce_implILb1ES3_N6thrust23THRUST_200600_302600_NS11hip_rocprim26transform_input_iterator_tIlNS8_12zip_iteratorINS8_5tupleINS8_6detail15normal_iteratorINS8_10device_ptrIjEEEESH_NS8_9null_typeESI_SI_SI_SI_SI_SI_SI_EEEENS9_21zip_adj_not_predicateI22is_equal_div_10_uniqueIjEEEEEPllNS8_4plusIlEEEE10hipError_tPvRmT1_T2_T3_mT4_P12ihipStream_tbEUlT_E0_NS1_11comp_targetILNS1_3genE2ELNS1_11target_archE906ELNS1_3gpuE6ELNS1_3repE0EEENS1_30default_config_static_selectorELNS0_4arch9wavefront6targetE1EEEvSW_.uses_flat_scratch, 0
	.set _ZN7rocprim17ROCPRIM_400000_NS6detail17trampoline_kernelINS0_14default_configENS1_22reduce_config_selectorIlEEZNS1_11reduce_implILb1ES3_N6thrust23THRUST_200600_302600_NS11hip_rocprim26transform_input_iterator_tIlNS8_12zip_iteratorINS8_5tupleINS8_6detail15normal_iteratorINS8_10device_ptrIjEEEESH_NS8_9null_typeESI_SI_SI_SI_SI_SI_SI_EEEENS9_21zip_adj_not_predicateI22is_equal_div_10_uniqueIjEEEEEPllNS8_4plusIlEEEE10hipError_tPvRmT1_T2_T3_mT4_P12ihipStream_tbEUlT_E0_NS1_11comp_targetILNS1_3genE2ELNS1_11target_archE906ELNS1_3gpuE6ELNS1_3repE0EEENS1_30default_config_static_selectorELNS0_4arch9wavefront6targetE1EEEvSW_.has_dyn_sized_stack, 0
	.set _ZN7rocprim17ROCPRIM_400000_NS6detail17trampoline_kernelINS0_14default_configENS1_22reduce_config_selectorIlEEZNS1_11reduce_implILb1ES3_N6thrust23THRUST_200600_302600_NS11hip_rocprim26transform_input_iterator_tIlNS8_12zip_iteratorINS8_5tupleINS8_6detail15normal_iteratorINS8_10device_ptrIjEEEESH_NS8_9null_typeESI_SI_SI_SI_SI_SI_SI_EEEENS9_21zip_adj_not_predicateI22is_equal_div_10_uniqueIjEEEEEPllNS8_4plusIlEEEE10hipError_tPvRmT1_T2_T3_mT4_P12ihipStream_tbEUlT_E0_NS1_11comp_targetILNS1_3genE2ELNS1_11target_archE906ELNS1_3gpuE6ELNS1_3repE0EEENS1_30default_config_static_selectorELNS0_4arch9wavefront6targetE1EEEvSW_.has_recursion, 0
	.set _ZN7rocprim17ROCPRIM_400000_NS6detail17trampoline_kernelINS0_14default_configENS1_22reduce_config_selectorIlEEZNS1_11reduce_implILb1ES3_N6thrust23THRUST_200600_302600_NS11hip_rocprim26transform_input_iterator_tIlNS8_12zip_iteratorINS8_5tupleINS8_6detail15normal_iteratorINS8_10device_ptrIjEEEESH_NS8_9null_typeESI_SI_SI_SI_SI_SI_SI_EEEENS9_21zip_adj_not_predicateI22is_equal_div_10_uniqueIjEEEEEPllNS8_4plusIlEEEE10hipError_tPvRmT1_T2_T3_mT4_P12ihipStream_tbEUlT_E0_NS1_11comp_targetILNS1_3genE2ELNS1_11target_archE906ELNS1_3gpuE6ELNS1_3repE0EEENS1_30default_config_static_selectorELNS0_4arch9wavefront6targetE1EEEvSW_.has_indirect_call, 0
	.section	.AMDGPU.csdata,"",@progbits
; Kernel info:
; codeLenInByte = 1816
; TotalNumSgprs: 26
; NumVgprs: 15
; ScratchSize: 0
; MemoryBound: 0
; FloatMode: 240
; IeeeMode: 1
; LDSByteSize: 64 bytes/workgroup (compile time only)
; SGPRBlocks: 3
; VGPRBlocks: 3
; NumSGPRsForWavesPerEU: 26
; NumVGPRsForWavesPerEU: 15
; Occupancy: 10
; WaveLimiterHint : 0
; COMPUTE_PGM_RSRC2:SCRATCH_EN: 0
; COMPUTE_PGM_RSRC2:USER_SGPR: 6
; COMPUTE_PGM_RSRC2:TRAP_HANDLER: 0
; COMPUTE_PGM_RSRC2:TGID_X_EN: 1
; COMPUTE_PGM_RSRC2:TGID_Y_EN: 0
; COMPUTE_PGM_RSRC2:TGID_Z_EN: 0
; COMPUTE_PGM_RSRC2:TIDIG_COMP_CNT: 0
	.section	.text._ZN7rocprim17ROCPRIM_400000_NS6detail17trampoline_kernelINS0_14default_configENS1_22reduce_config_selectorIlEEZNS1_11reduce_implILb1ES3_N6thrust23THRUST_200600_302600_NS11hip_rocprim26transform_input_iterator_tIlNS8_12zip_iteratorINS8_5tupleINS8_6detail15normal_iteratorINS8_10device_ptrIjEEEESH_NS8_9null_typeESI_SI_SI_SI_SI_SI_SI_EEEENS9_21zip_adj_not_predicateI22is_equal_div_10_uniqueIjEEEEEPllNS8_4plusIlEEEE10hipError_tPvRmT1_T2_T3_mT4_P12ihipStream_tbEUlT_E0_NS1_11comp_targetILNS1_3genE10ELNS1_11target_archE1201ELNS1_3gpuE5ELNS1_3repE0EEENS1_30default_config_static_selectorELNS0_4arch9wavefront6targetE1EEEvSW_,"axG",@progbits,_ZN7rocprim17ROCPRIM_400000_NS6detail17trampoline_kernelINS0_14default_configENS1_22reduce_config_selectorIlEEZNS1_11reduce_implILb1ES3_N6thrust23THRUST_200600_302600_NS11hip_rocprim26transform_input_iterator_tIlNS8_12zip_iteratorINS8_5tupleINS8_6detail15normal_iteratorINS8_10device_ptrIjEEEESH_NS8_9null_typeESI_SI_SI_SI_SI_SI_SI_EEEENS9_21zip_adj_not_predicateI22is_equal_div_10_uniqueIjEEEEEPllNS8_4plusIlEEEE10hipError_tPvRmT1_T2_T3_mT4_P12ihipStream_tbEUlT_E0_NS1_11comp_targetILNS1_3genE10ELNS1_11target_archE1201ELNS1_3gpuE5ELNS1_3repE0EEENS1_30default_config_static_selectorELNS0_4arch9wavefront6targetE1EEEvSW_,comdat
	.protected	_ZN7rocprim17ROCPRIM_400000_NS6detail17trampoline_kernelINS0_14default_configENS1_22reduce_config_selectorIlEEZNS1_11reduce_implILb1ES3_N6thrust23THRUST_200600_302600_NS11hip_rocprim26transform_input_iterator_tIlNS8_12zip_iteratorINS8_5tupleINS8_6detail15normal_iteratorINS8_10device_ptrIjEEEESH_NS8_9null_typeESI_SI_SI_SI_SI_SI_SI_EEEENS9_21zip_adj_not_predicateI22is_equal_div_10_uniqueIjEEEEEPllNS8_4plusIlEEEE10hipError_tPvRmT1_T2_T3_mT4_P12ihipStream_tbEUlT_E0_NS1_11comp_targetILNS1_3genE10ELNS1_11target_archE1201ELNS1_3gpuE5ELNS1_3repE0EEENS1_30default_config_static_selectorELNS0_4arch9wavefront6targetE1EEEvSW_ ; -- Begin function _ZN7rocprim17ROCPRIM_400000_NS6detail17trampoline_kernelINS0_14default_configENS1_22reduce_config_selectorIlEEZNS1_11reduce_implILb1ES3_N6thrust23THRUST_200600_302600_NS11hip_rocprim26transform_input_iterator_tIlNS8_12zip_iteratorINS8_5tupleINS8_6detail15normal_iteratorINS8_10device_ptrIjEEEESH_NS8_9null_typeESI_SI_SI_SI_SI_SI_SI_EEEENS9_21zip_adj_not_predicateI22is_equal_div_10_uniqueIjEEEEEPllNS8_4plusIlEEEE10hipError_tPvRmT1_T2_T3_mT4_P12ihipStream_tbEUlT_E0_NS1_11comp_targetILNS1_3genE10ELNS1_11target_archE1201ELNS1_3gpuE5ELNS1_3repE0EEENS1_30default_config_static_selectorELNS0_4arch9wavefront6targetE1EEEvSW_
	.globl	_ZN7rocprim17ROCPRIM_400000_NS6detail17trampoline_kernelINS0_14default_configENS1_22reduce_config_selectorIlEEZNS1_11reduce_implILb1ES3_N6thrust23THRUST_200600_302600_NS11hip_rocprim26transform_input_iterator_tIlNS8_12zip_iteratorINS8_5tupleINS8_6detail15normal_iteratorINS8_10device_ptrIjEEEESH_NS8_9null_typeESI_SI_SI_SI_SI_SI_SI_EEEENS9_21zip_adj_not_predicateI22is_equal_div_10_uniqueIjEEEEEPllNS8_4plusIlEEEE10hipError_tPvRmT1_T2_T3_mT4_P12ihipStream_tbEUlT_E0_NS1_11comp_targetILNS1_3genE10ELNS1_11target_archE1201ELNS1_3gpuE5ELNS1_3repE0EEENS1_30default_config_static_selectorELNS0_4arch9wavefront6targetE1EEEvSW_
	.p2align	8
	.type	_ZN7rocprim17ROCPRIM_400000_NS6detail17trampoline_kernelINS0_14default_configENS1_22reduce_config_selectorIlEEZNS1_11reduce_implILb1ES3_N6thrust23THRUST_200600_302600_NS11hip_rocprim26transform_input_iterator_tIlNS8_12zip_iteratorINS8_5tupleINS8_6detail15normal_iteratorINS8_10device_ptrIjEEEESH_NS8_9null_typeESI_SI_SI_SI_SI_SI_SI_EEEENS9_21zip_adj_not_predicateI22is_equal_div_10_uniqueIjEEEEEPllNS8_4plusIlEEEE10hipError_tPvRmT1_T2_T3_mT4_P12ihipStream_tbEUlT_E0_NS1_11comp_targetILNS1_3genE10ELNS1_11target_archE1201ELNS1_3gpuE5ELNS1_3repE0EEENS1_30default_config_static_selectorELNS0_4arch9wavefront6targetE1EEEvSW_,@function
_ZN7rocprim17ROCPRIM_400000_NS6detail17trampoline_kernelINS0_14default_configENS1_22reduce_config_selectorIlEEZNS1_11reduce_implILb1ES3_N6thrust23THRUST_200600_302600_NS11hip_rocprim26transform_input_iterator_tIlNS8_12zip_iteratorINS8_5tupleINS8_6detail15normal_iteratorINS8_10device_ptrIjEEEESH_NS8_9null_typeESI_SI_SI_SI_SI_SI_SI_EEEENS9_21zip_adj_not_predicateI22is_equal_div_10_uniqueIjEEEEEPllNS8_4plusIlEEEE10hipError_tPvRmT1_T2_T3_mT4_P12ihipStream_tbEUlT_E0_NS1_11comp_targetILNS1_3genE10ELNS1_11target_archE1201ELNS1_3gpuE5ELNS1_3repE0EEENS1_30default_config_static_selectorELNS0_4arch9wavefront6targetE1EEEvSW_: ; @_ZN7rocprim17ROCPRIM_400000_NS6detail17trampoline_kernelINS0_14default_configENS1_22reduce_config_selectorIlEEZNS1_11reduce_implILb1ES3_N6thrust23THRUST_200600_302600_NS11hip_rocprim26transform_input_iterator_tIlNS8_12zip_iteratorINS8_5tupleINS8_6detail15normal_iteratorINS8_10device_ptrIjEEEESH_NS8_9null_typeESI_SI_SI_SI_SI_SI_SI_EEEENS9_21zip_adj_not_predicateI22is_equal_div_10_uniqueIjEEEEEPllNS8_4plusIlEEEE10hipError_tPvRmT1_T2_T3_mT4_P12ihipStream_tbEUlT_E0_NS1_11comp_targetILNS1_3genE10ELNS1_11target_archE1201ELNS1_3gpuE5ELNS1_3repE0EEENS1_30default_config_static_selectorELNS0_4arch9wavefront6targetE1EEEvSW_
; %bb.0:
	.section	.rodata,"a",@progbits
	.p2align	6, 0x0
	.amdhsa_kernel _ZN7rocprim17ROCPRIM_400000_NS6detail17trampoline_kernelINS0_14default_configENS1_22reduce_config_selectorIlEEZNS1_11reduce_implILb1ES3_N6thrust23THRUST_200600_302600_NS11hip_rocprim26transform_input_iterator_tIlNS8_12zip_iteratorINS8_5tupleINS8_6detail15normal_iteratorINS8_10device_ptrIjEEEESH_NS8_9null_typeESI_SI_SI_SI_SI_SI_SI_EEEENS9_21zip_adj_not_predicateI22is_equal_div_10_uniqueIjEEEEEPllNS8_4plusIlEEEE10hipError_tPvRmT1_T2_T3_mT4_P12ihipStream_tbEUlT_E0_NS1_11comp_targetILNS1_3genE10ELNS1_11target_archE1201ELNS1_3gpuE5ELNS1_3repE0EEENS1_30default_config_static_selectorELNS0_4arch9wavefront6targetE1EEEvSW_
		.amdhsa_group_segment_fixed_size 0
		.amdhsa_private_segment_fixed_size 0
		.amdhsa_kernarg_size 80
		.amdhsa_user_sgpr_count 6
		.amdhsa_user_sgpr_private_segment_buffer 1
		.amdhsa_user_sgpr_dispatch_ptr 0
		.amdhsa_user_sgpr_queue_ptr 0
		.amdhsa_user_sgpr_kernarg_segment_ptr 1
		.amdhsa_user_sgpr_dispatch_id 0
		.amdhsa_user_sgpr_flat_scratch_init 0
		.amdhsa_user_sgpr_private_segment_size 0
		.amdhsa_uses_dynamic_stack 0
		.amdhsa_system_sgpr_private_segment_wavefront_offset 0
		.amdhsa_system_sgpr_workgroup_id_x 1
		.amdhsa_system_sgpr_workgroup_id_y 0
		.amdhsa_system_sgpr_workgroup_id_z 0
		.amdhsa_system_sgpr_workgroup_info 0
		.amdhsa_system_vgpr_workitem_id 0
		.amdhsa_next_free_vgpr 1
		.amdhsa_next_free_sgpr 0
		.amdhsa_reserve_vcc 0
		.amdhsa_reserve_flat_scratch 0
		.amdhsa_float_round_mode_32 0
		.amdhsa_float_round_mode_16_64 0
		.amdhsa_float_denorm_mode_32 3
		.amdhsa_float_denorm_mode_16_64 3
		.amdhsa_dx10_clamp 1
		.amdhsa_ieee_mode 1
		.amdhsa_fp16_overflow 0
		.amdhsa_exception_fp_ieee_invalid_op 0
		.amdhsa_exception_fp_denorm_src 0
		.amdhsa_exception_fp_ieee_div_zero 0
		.amdhsa_exception_fp_ieee_overflow 0
		.amdhsa_exception_fp_ieee_underflow 0
		.amdhsa_exception_fp_ieee_inexact 0
		.amdhsa_exception_int_div_zero 0
	.end_amdhsa_kernel
	.section	.text._ZN7rocprim17ROCPRIM_400000_NS6detail17trampoline_kernelINS0_14default_configENS1_22reduce_config_selectorIlEEZNS1_11reduce_implILb1ES3_N6thrust23THRUST_200600_302600_NS11hip_rocprim26transform_input_iterator_tIlNS8_12zip_iteratorINS8_5tupleINS8_6detail15normal_iteratorINS8_10device_ptrIjEEEESH_NS8_9null_typeESI_SI_SI_SI_SI_SI_SI_EEEENS9_21zip_adj_not_predicateI22is_equal_div_10_uniqueIjEEEEEPllNS8_4plusIlEEEE10hipError_tPvRmT1_T2_T3_mT4_P12ihipStream_tbEUlT_E0_NS1_11comp_targetILNS1_3genE10ELNS1_11target_archE1201ELNS1_3gpuE5ELNS1_3repE0EEENS1_30default_config_static_selectorELNS0_4arch9wavefront6targetE1EEEvSW_,"axG",@progbits,_ZN7rocprim17ROCPRIM_400000_NS6detail17trampoline_kernelINS0_14default_configENS1_22reduce_config_selectorIlEEZNS1_11reduce_implILb1ES3_N6thrust23THRUST_200600_302600_NS11hip_rocprim26transform_input_iterator_tIlNS8_12zip_iteratorINS8_5tupleINS8_6detail15normal_iteratorINS8_10device_ptrIjEEEESH_NS8_9null_typeESI_SI_SI_SI_SI_SI_SI_EEEENS9_21zip_adj_not_predicateI22is_equal_div_10_uniqueIjEEEEEPllNS8_4plusIlEEEE10hipError_tPvRmT1_T2_T3_mT4_P12ihipStream_tbEUlT_E0_NS1_11comp_targetILNS1_3genE10ELNS1_11target_archE1201ELNS1_3gpuE5ELNS1_3repE0EEENS1_30default_config_static_selectorELNS0_4arch9wavefront6targetE1EEEvSW_,comdat
.Lfunc_end874:
	.size	_ZN7rocprim17ROCPRIM_400000_NS6detail17trampoline_kernelINS0_14default_configENS1_22reduce_config_selectorIlEEZNS1_11reduce_implILb1ES3_N6thrust23THRUST_200600_302600_NS11hip_rocprim26transform_input_iterator_tIlNS8_12zip_iteratorINS8_5tupleINS8_6detail15normal_iteratorINS8_10device_ptrIjEEEESH_NS8_9null_typeESI_SI_SI_SI_SI_SI_SI_EEEENS9_21zip_adj_not_predicateI22is_equal_div_10_uniqueIjEEEEEPllNS8_4plusIlEEEE10hipError_tPvRmT1_T2_T3_mT4_P12ihipStream_tbEUlT_E0_NS1_11comp_targetILNS1_3genE10ELNS1_11target_archE1201ELNS1_3gpuE5ELNS1_3repE0EEENS1_30default_config_static_selectorELNS0_4arch9wavefront6targetE1EEEvSW_, .Lfunc_end874-_ZN7rocprim17ROCPRIM_400000_NS6detail17trampoline_kernelINS0_14default_configENS1_22reduce_config_selectorIlEEZNS1_11reduce_implILb1ES3_N6thrust23THRUST_200600_302600_NS11hip_rocprim26transform_input_iterator_tIlNS8_12zip_iteratorINS8_5tupleINS8_6detail15normal_iteratorINS8_10device_ptrIjEEEESH_NS8_9null_typeESI_SI_SI_SI_SI_SI_SI_EEEENS9_21zip_adj_not_predicateI22is_equal_div_10_uniqueIjEEEEEPllNS8_4plusIlEEEE10hipError_tPvRmT1_T2_T3_mT4_P12ihipStream_tbEUlT_E0_NS1_11comp_targetILNS1_3genE10ELNS1_11target_archE1201ELNS1_3gpuE5ELNS1_3repE0EEENS1_30default_config_static_selectorELNS0_4arch9wavefront6targetE1EEEvSW_
                                        ; -- End function
	.set _ZN7rocprim17ROCPRIM_400000_NS6detail17trampoline_kernelINS0_14default_configENS1_22reduce_config_selectorIlEEZNS1_11reduce_implILb1ES3_N6thrust23THRUST_200600_302600_NS11hip_rocprim26transform_input_iterator_tIlNS8_12zip_iteratorINS8_5tupleINS8_6detail15normal_iteratorINS8_10device_ptrIjEEEESH_NS8_9null_typeESI_SI_SI_SI_SI_SI_SI_EEEENS9_21zip_adj_not_predicateI22is_equal_div_10_uniqueIjEEEEEPllNS8_4plusIlEEEE10hipError_tPvRmT1_T2_T3_mT4_P12ihipStream_tbEUlT_E0_NS1_11comp_targetILNS1_3genE10ELNS1_11target_archE1201ELNS1_3gpuE5ELNS1_3repE0EEENS1_30default_config_static_selectorELNS0_4arch9wavefront6targetE1EEEvSW_.num_vgpr, 0
	.set _ZN7rocprim17ROCPRIM_400000_NS6detail17trampoline_kernelINS0_14default_configENS1_22reduce_config_selectorIlEEZNS1_11reduce_implILb1ES3_N6thrust23THRUST_200600_302600_NS11hip_rocprim26transform_input_iterator_tIlNS8_12zip_iteratorINS8_5tupleINS8_6detail15normal_iteratorINS8_10device_ptrIjEEEESH_NS8_9null_typeESI_SI_SI_SI_SI_SI_SI_EEEENS9_21zip_adj_not_predicateI22is_equal_div_10_uniqueIjEEEEEPllNS8_4plusIlEEEE10hipError_tPvRmT1_T2_T3_mT4_P12ihipStream_tbEUlT_E0_NS1_11comp_targetILNS1_3genE10ELNS1_11target_archE1201ELNS1_3gpuE5ELNS1_3repE0EEENS1_30default_config_static_selectorELNS0_4arch9wavefront6targetE1EEEvSW_.num_agpr, 0
	.set _ZN7rocprim17ROCPRIM_400000_NS6detail17trampoline_kernelINS0_14default_configENS1_22reduce_config_selectorIlEEZNS1_11reduce_implILb1ES3_N6thrust23THRUST_200600_302600_NS11hip_rocprim26transform_input_iterator_tIlNS8_12zip_iteratorINS8_5tupleINS8_6detail15normal_iteratorINS8_10device_ptrIjEEEESH_NS8_9null_typeESI_SI_SI_SI_SI_SI_SI_EEEENS9_21zip_adj_not_predicateI22is_equal_div_10_uniqueIjEEEEEPllNS8_4plusIlEEEE10hipError_tPvRmT1_T2_T3_mT4_P12ihipStream_tbEUlT_E0_NS1_11comp_targetILNS1_3genE10ELNS1_11target_archE1201ELNS1_3gpuE5ELNS1_3repE0EEENS1_30default_config_static_selectorELNS0_4arch9wavefront6targetE1EEEvSW_.numbered_sgpr, 0
	.set _ZN7rocprim17ROCPRIM_400000_NS6detail17trampoline_kernelINS0_14default_configENS1_22reduce_config_selectorIlEEZNS1_11reduce_implILb1ES3_N6thrust23THRUST_200600_302600_NS11hip_rocprim26transform_input_iterator_tIlNS8_12zip_iteratorINS8_5tupleINS8_6detail15normal_iteratorINS8_10device_ptrIjEEEESH_NS8_9null_typeESI_SI_SI_SI_SI_SI_SI_EEEENS9_21zip_adj_not_predicateI22is_equal_div_10_uniqueIjEEEEEPllNS8_4plusIlEEEE10hipError_tPvRmT1_T2_T3_mT4_P12ihipStream_tbEUlT_E0_NS1_11comp_targetILNS1_3genE10ELNS1_11target_archE1201ELNS1_3gpuE5ELNS1_3repE0EEENS1_30default_config_static_selectorELNS0_4arch9wavefront6targetE1EEEvSW_.num_named_barrier, 0
	.set _ZN7rocprim17ROCPRIM_400000_NS6detail17trampoline_kernelINS0_14default_configENS1_22reduce_config_selectorIlEEZNS1_11reduce_implILb1ES3_N6thrust23THRUST_200600_302600_NS11hip_rocprim26transform_input_iterator_tIlNS8_12zip_iteratorINS8_5tupleINS8_6detail15normal_iteratorINS8_10device_ptrIjEEEESH_NS8_9null_typeESI_SI_SI_SI_SI_SI_SI_EEEENS9_21zip_adj_not_predicateI22is_equal_div_10_uniqueIjEEEEEPllNS8_4plusIlEEEE10hipError_tPvRmT1_T2_T3_mT4_P12ihipStream_tbEUlT_E0_NS1_11comp_targetILNS1_3genE10ELNS1_11target_archE1201ELNS1_3gpuE5ELNS1_3repE0EEENS1_30default_config_static_selectorELNS0_4arch9wavefront6targetE1EEEvSW_.private_seg_size, 0
	.set _ZN7rocprim17ROCPRIM_400000_NS6detail17trampoline_kernelINS0_14default_configENS1_22reduce_config_selectorIlEEZNS1_11reduce_implILb1ES3_N6thrust23THRUST_200600_302600_NS11hip_rocprim26transform_input_iterator_tIlNS8_12zip_iteratorINS8_5tupleINS8_6detail15normal_iteratorINS8_10device_ptrIjEEEESH_NS8_9null_typeESI_SI_SI_SI_SI_SI_SI_EEEENS9_21zip_adj_not_predicateI22is_equal_div_10_uniqueIjEEEEEPllNS8_4plusIlEEEE10hipError_tPvRmT1_T2_T3_mT4_P12ihipStream_tbEUlT_E0_NS1_11comp_targetILNS1_3genE10ELNS1_11target_archE1201ELNS1_3gpuE5ELNS1_3repE0EEENS1_30default_config_static_selectorELNS0_4arch9wavefront6targetE1EEEvSW_.uses_vcc, 0
	.set _ZN7rocprim17ROCPRIM_400000_NS6detail17trampoline_kernelINS0_14default_configENS1_22reduce_config_selectorIlEEZNS1_11reduce_implILb1ES3_N6thrust23THRUST_200600_302600_NS11hip_rocprim26transform_input_iterator_tIlNS8_12zip_iteratorINS8_5tupleINS8_6detail15normal_iteratorINS8_10device_ptrIjEEEESH_NS8_9null_typeESI_SI_SI_SI_SI_SI_SI_EEEENS9_21zip_adj_not_predicateI22is_equal_div_10_uniqueIjEEEEEPllNS8_4plusIlEEEE10hipError_tPvRmT1_T2_T3_mT4_P12ihipStream_tbEUlT_E0_NS1_11comp_targetILNS1_3genE10ELNS1_11target_archE1201ELNS1_3gpuE5ELNS1_3repE0EEENS1_30default_config_static_selectorELNS0_4arch9wavefront6targetE1EEEvSW_.uses_flat_scratch, 0
	.set _ZN7rocprim17ROCPRIM_400000_NS6detail17trampoline_kernelINS0_14default_configENS1_22reduce_config_selectorIlEEZNS1_11reduce_implILb1ES3_N6thrust23THRUST_200600_302600_NS11hip_rocprim26transform_input_iterator_tIlNS8_12zip_iteratorINS8_5tupleINS8_6detail15normal_iteratorINS8_10device_ptrIjEEEESH_NS8_9null_typeESI_SI_SI_SI_SI_SI_SI_EEEENS9_21zip_adj_not_predicateI22is_equal_div_10_uniqueIjEEEEEPllNS8_4plusIlEEEE10hipError_tPvRmT1_T2_T3_mT4_P12ihipStream_tbEUlT_E0_NS1_11comp_targetILNS1_3genE10ELNS1_11target_archE1201ELNS1_3gpuE5ELNS1_3repE0EEENS1_30default_config_static_selectorELNS0_4arch9wavefront6targetE1EEEvSW_.has_dyn_sized_stack, 0
	.set _ZN7rocprim17ROCPRIM_400000_NS6detail17trampoline_kernelINS0_14default_configENS1_22reduce_config_selectorIlEEZNS1_11reduce_implILb1ES3_N6thrust23THRUST_200600_302600_NS11hip_rocprim26transform_input_iterator_tIlNS8_12zip_iteratorINS8_5tupleINS8_6detail15normal_iteratorINS8_10device_ptrIjEEEESH_NS8_9null_typeESI_SI_SI_SI_SI_SI_SI_EEEENS9_21zip_adj_not_predicateI22is_equal_div_10_uniqueIjEEEEEPllNS8_4plusIlEEEE10hipError_tPvRmT1_T2_T3_mT4_P12ihipStream_tbEUlT_E0_NS1_11comp_targetILNS1_3genE10ELNS1_11target_archE1201ELNS1_3gpuE5ELNS1_3repE0EEENS1_30default_config_static_selectorELNS0_4arch9wavefront6targetE1EEEvSW_.has_recursion, 0
	.set _ZN7rocprim17ROCPRIM_400000_NS6detail17trampoline_kernelINS0_14default_configENS1_22reduce_config_selectorIlEEZNS1_11reduce_implILb1ES3_N6thrust23THRUST_200600_302600_NS11hip_rocprim26transform_input_iterator_tIlNS8_12zip_iteratorINS8_5tupleINS8_6detail15normal_iteratorINS8_10device_ptrIjEEEESH_NS8_9null_typeESI_SI_SI_SI_SI_SI_SI_EEEENS9_21zip_adj_not_predicateI22is_equal_div_10_uniqueIjEEEEEPllNS8_4plusIlEEEE10hipError_tPvRmT1_T2_T3_mT4_P12ihipStream_tbEUlT_E0_NS1_11comp_targetILNS1_3genE10ELNS1_11target_archE1201ELNS1_3gpuE5ELNS1_3repE0EEENS1_30default_config_static_selectorELNS0_4arch9wavefront6targetE1EEEvSW_.has_indirect_call, 0
	.section	.AMDGPU.csdata,"",@progbits
; Kernel info:
; codeLenInByte = 0
; TotalNumSgprs: 4
; NumVgprs: 0
; ScratchSize: 0
; MemoryBound: 0
; FloatMode: 240
; IeeeMode: 1
; LDSByteSize: 0 bytes/workgroup (compile time only)
; SGPRBlocks: 0
; VGPRBlocks: 0
; NumSGPRsForWavesPerEU: 4
; NumVGPRsForWavesPerEU: 1
; Occupancy: 10
; WaveLimiterHint : 0
; COMPUTE_PGM_RSRC2:SCRATCH_EN: 0
; COMPUTE_PGM_RSRC2:USER_SGPR: 6
; COMPUTE_PGM_RSRC2:TRAP_HANDLER: 0
; COMPUTE_PGM_RSRC2:TGID_X_EN: 1
; COMPUTE_PGM_RSRC2:TGID_Y_EN: 0
; COMPUTE_PGM_RSRC2:TGID_Z_EN: 0
; COMPUTE_PGM_RSRC2:TIDIG_COMP_CNT: 0
	.section	.text._ZN7rocprim17ROCPRIM_400000_NS6detail17trampoline_kernelINS0_14default_configENS1_22reduce_config_selectorIlEEZNS1_11reduce_implILb1ES3_N6thrust23THRUST_200600_302600_NS11hip_rocprim26transform_input_iterator_tIlNS8_12zip_iteratorINS8_5tupleINS8_6detail15normal_iteratorINS8_10device_ptrIjEEEESH_NS8_9null_typeESI_SI_SI_SI_SI_SI_SI_EEEENS9_21zip_adj_not_predicateI22is_equal_div_10_uniqueIjEEEEEPllNS8_4plusIlEEEE10hipError_tPvRmT1_T2_T3_mT4_P12ihipStream_tbEUlT_E0_NS1_11comp_targetILNS1_3genE10ELNS1_11target_archE1200ELNS1_3gpuE4ELNS1_3repE0EEENS1_30default_config_static_selectorELNS0_4arch9wavefront6targetE1EEEvSW_,"axG",@progbits,_ZN7rocprim17ROCPRIM_400000_NS6detail17trampoline_kernelINS0_14default_configENS1_22reduce_config_selectorIlEEZNS1_11reduce_implILb1ES3_N6thrust23THRUST_200600_302600_NS11hip_rocprim26transform_input_iterator_tIlNS8_12zip_iteratorINS8_5tupleINS8_6detail15normal_iteratorINS8_10device_ptrIjEEEESH_NS8_9null_typeESI_SI_SI_SI_SI_SI_SI_EEEENS9_21zip_adj_not_predicateI22is_equal_div_10_uniqueIjEEEEEPllNS8_4plusIlEEEE10hipError_tPvRmT1_T2_T3_mT4_P12ihipStream_tbEUlT_E0_NS1_11comp_targetILNS1_3genE10ELNS1_11target_archE1200ELNS1_3gpuE4ELNS1_3repE0EEENS1_30default_config_static_selectorELNS0_4arch9wavefront6targetE1EEEvSW_,comdat
	.protected	_ZN7rocprim17ROCPRIM_400000_NS6detail17trampoline_kernelINS0_14default_configENS1_22reduce_config_selectorIlEEZNS1_11reduce_implILb1ES3_N6thrust23THRUST_200600_302600_NS11hip_rocprim26transform_input_iterator_tIlNS8_12zip_iteratorINS8_5tupleINS8_6detail15normal_iteratorINS8_10device_ptrIjEEEESH_NS8_9null_typeESI_SI_SI_SI_SI_SI_SI_EEEENS9_21zip_adj_not_predicateI22is_equal_div_10_uniqueIjEEEEEPllNS8_4plusIlEEEE10hipError_tPvRmT1_T2_T3_mT4_P12ihipStream_tbEUlT_E0_NS1_11comp_targetILNS1_3genE10ELNS1_11target_archE1200ELNS1_3gpuE4ELNS1_3repE0EEENS1_30default_config_static_selectorELNS0_4arch9wavefront6targetE1EEEvSW_ ; -- Begin function _ZN7rocprim17ROCPRIM_400000_NS6detail17trampoline_kernelINS0_14default_configENS1_22reduce_config_selectorIlEEZNS1_11reduce_implILb1ES3_N6thrust23THRUST_200600_302600_NS11hip_rocprim26transform_input_iterator_tIlNS8_12zip_iteratorINS8_5tupleINS8_6detail15normal_iteratorINS8_10device_ptrIjEEEESH_NS8_9null_typeESI_SI_SI_SI_SI_SI_SI_EEEENS9_21zip_adj_not_predicateI22is_equal_div_10_uniqueIjEEEEEPllNS8_4plusIlEEEE10hipError_tPvRmT1_T2_T3_mT4_P12ihipStream_tbEUlT_E0_NS1_11comp_targetILNS1_3genE10ELNS1_11target_archE1200ELNS1_3gpuE4ELNS1_3repE0EEENS1_30default_config_static_selectorELNS0_4arch9wavefront6targetE1EEEvSW_
	.globl	_ZN7rocprim17ROCPRIM_400000_NS6detail17trampoline_kernelINS0_14default_configENS1_22reduce_config_selectorIlEEZNS1_11reduce_implILb1ES3_N6thrust23THRUST_200600_302600_NS11hip_rocprim26transform_input_iterator_tIlNS8_12zip_iteratorINS8_5tupleINS8_6detail15normal_iteratorINS8_10device_ptrIjEEEESH_NS8_9null_typeESI_SI_SI_SI_SI_SI_SI_EEEENS9_21zip_adj_not_predicateI22is_equal_div_10_uniqueIjEEEEEPllNS8_4plusIlEEEE10hipError_tPvRmT1_T2_T3_mT4_P12ihipStream_tbEUlT_E0_NS1_11comp_targetILNS1_3genE10ELNS1_11target_archE1200ELNS1_3gpuE4ELNS1_3repE0EEENS1_30default_config_static_selectorELNS0_4arch9wavefront6targetE1EEEvSW_
	.p2align	8
	.type	_ZN7rocprim17ROCPRIM_400000_NS6detail17trampoline_kernelINS0_14default_configENS1_22reduce_config_selectorIlEEZNS1_11reduce_implILb1ES3_N6thrust23THRUST_200600_302600_NS11hip_rocprim26transform_input_iterator_tIlNS8_12zip_iteratorINS8_5tupleINS8_6detail15normal_iteratorINS8_10device_ptrIjEEEESH_NS8_9null_typeESI_SI_SI_SI_SI_SI_SI_EEEENS9_21zip_adj_not_predicateI22is_equal_div_10_uniqueIjEEEEEPllNS8_4plusIlEEEE10hipError_tPvRmT1_T2_T3_mT4_P12ihipStream_tbEUlT_E0_NS1_11comp_targetILNS1_3genE10ELNS1_11target_archE1200ELNS1_3gpuE4ELNS1_3repE0EEENS1_30default_config_static_selectorELNS0_4arch9wavefront6targetE1EEEvSW_,@function
_ZN7rocprim17ROCPRIM_400000_NS6detail17trampoline_kernelINS0_14default_configENS1_22reduce_config_selectorIlEEZNS1_11reduce_implILb1ES3_N6thrust23THRUST_200600_302600_NS11hip_rocprim26transform_input_iterator_tIlNS8_12zip_iteratorINS8_5tupleINS8_6detail15normal_iteratorINS8_10device_ptrIjEEEESH_NS8_9null_typeESI_SI_SI_SI_SI_SI_SI_EEEENS9_21zip_adj_not_predicateI22is_equal_div_10_uniqueIjEEEEEPllNS8_4plusIlEEEE10hipError_tPvRmT1_T2_T3_mT4_P12ihipStream_tbEUlT_E0_NS1_11comp_targetILNS1_3genE10ELNS1_11target_archE1200ELNS1_3gpuE4ELNS1_3repE0EEENS1_30default_config_static_selectorELNS0_4arch9wavefront6targetE1EEEvSW_: ; @_ZN7rocprim17ROCPRIM_400000_NS6detail17trampoline_kernelINS0_14default_configENS1_22reduce_config_selectorIlEEZNS1_11reduce_implILb1ES3_N6thrust23THRUST_200600_302600_NS11hip_rocprim26transform_input_iterator_tIlNS8_12zip_iteratorINS8_5tupleINS8_6detail15normal_iteratorINS8_10device_ptrIjEEEESH_NS8_9null_typeESI_SI_SI_SI_SI_SI_SI_EEEENS9_21zip_adj_not_predicateI22is_equal_div_10_uniqueIjEEEEEPllNS8_4plusIlEEEE10hipError_tPvRmT1_T2_T3_mT4_P12ihipStream_tbEUlT_E0_NS1_11comp_targetILNS1_3genE10ELNS1_11target_archE1200ELNS1_3gpuE4ELNS1_3repE0EEENS1_30default_config_static_selectorELNS0_4arch9wavefront6targetE1EEEvSW_
; %bb.0:
	.section	.rodata,"a",@progbits
	.p2align	6, 0x0
	.amdhsa_kernel _ZN7rocprim17ROCPRIM_400000_NS6detail17trampoline_kernelINS0_14default_configENS1_22reduce_config_selectorIlEEZNS1_11reduce_implILb1ES3_N6thrust23THRUST_200600_302600_NS11hip_rocprim26transform_input_iterator_tIlNS8_12zip_iteratorINS8_5tupleINS8_6detail15normal_iteratorINS8_10device_ptrIjEEEESH_NS8_9null_typeESI_SI_SI_SI_SI_SI_SI_EEEENS9_21zip_adj_not_predicateI22is_equal_div_10_uniqueIjEEEEEPllNS8_4plusIlEEEE10hipError_tPvRmT1_T2_T3_mT4_P12ihipStream_tbEUlT_E0_NS1_11comp_targetILNS1_3genE10ELNS1_11target_archE1200ELNS1_3gpuE4ELNS1_3repE0EEENS1_30default_config_static_selectorELNS0_4arch9wavefront6targetE1EEEvSW_
		.amdhsa_group_segment_fixed_size 0
		.amdhsa_private_segment_fixed_size 0
		.amdhsa_kernarg_size 80
		.amdhsa_user_sgpr_count 6
		.amdhsa_user_sgpr_private_segment_buffer 1
		.amdhsa_user_sgpr_dispatch_ptr 0
		.amdhsa_user_sgpr_queue_ptr 0
		.amdhsa_user_sgpr_kernarg_segment_ptr 1
		.amdhsa_user_sgpr_dispatch_id 0
		.amdhsa_user_sgpr_flat_scratch_init 0
		.amdhsa_user_sgpr_private_segment_size 0
		.amdhsa_uses_dynamic_stack 0
		.amdhsa_system_sgpr_private_segment_wavefront_offset 0
		.amdhsa_system_sgpr_workgroup_id_x 1
		.amdhsa_system_sgpr_workgroup_id_y 0
		.amdhsa_system_sgpr_workgroup_id_z 0
		.amdhsa_system_sgpr_workgroup_info 0
		.amdhsa_system_vgpr_workitem_id 0
		.amdhsa_next_free_vgpr 1
		.amdhsa_next_free_sgpr 0
		.amdhsa_reserve_vcc 0
		.amdhsa_reserve_flat_scratch 0
		.amdhsa_float_round_mode_32 0
		.amdhsa_float_round_mode_16_64 0
		.amdhsa_float_denorm_mode_32 3
		.amdhsa_float_denorm_mode_16_64 3
		.amdhsa_dx10_clamp 1
		.amdhsa_ieee_mode 1
		.amdhsa_fp16_overflow 0
		.amdhsa_exception_fp_ieee_invalid_op 0
		.amdhsa_exception_fp_denorm_src 0
		.amdhsa_exception_fp_ieee_div_zero 0
		.amdhsa_exception_fp_ieee_overflow 0
		.amdhsa_exception_fp_ieee_underflow 0
		.amdhsa_exception_fp_ieee_inexact 0
		.amdhsa_exception_int_div_zero 0
	.end_amdhsa_kernel
	.section	.text._ZN7rocprim17ROCPRIM_400000_NS6detail17trampoline_kernelINS0_14default_configENS1_22reduce_config_selectorIlEEZNS1_11reduce_implILb1ES3_N6thrust23THRUST_200600_302600_NS11hip_rocprim26transform_input_iterator_tIlNS8_12zip_iteratorINS8_5tupleINS8_6detail15normal_iteratorINS8_10device_ptrIjEEEESH_NS8_9null_typeESI_SI_SI_SI_SI_SI_SI_EEEENS9_21zip_adj_not_predicateI22is_equal_div_10_uniqueIjEEEEEPllNS8_4plusIlEEEE10hipError_tPvRmT1_T2_T3_mT4_P12ihipStream_tbEUlT_E0_NS1_11comp_targetILNS1_3genE10ELNS1_11target_archE1200ELNS1_3gpuE4ELNS1_3repE0EEENS1_30default_config_static_selectorELNS0_4arch9wavefront6targetE1EEEvSW_,"axG",@progbits,_ZN7rocprim17ROCPRIM_400000_NS6detail17trampoline_kernelINS0_14default_configENS1_22reduce_config_selectorIlEEZNS1_11reduce_implILb1ES3_N6thrust23THRUST_200600_302600_NS11hip_rocprim26transform_input_iterator_tIlNS8_12zip_iteratorINS8_5tupleINS8_6detail15normal_iteratorINS8_10device_ptrIjEEEESH_NS8_9null_typeESI_SI_SI_SI_SI_SI_SI_EEEENS9_21zip_adj_not_predicateI22is_equal_div_10_uniqueIjEEEEEPllNS8_4plusIlEEEE10hipError_tPvRmT1_T2_T3_mT4_P12ihipStream_tbEUlT_E0_NS1_11comp_targetILNS1_3genE10ELNS1_11target_archE1200ELNS1_3gpuE4ELNS1_3repE0EEENS1_30default_config_static_selectorELNS0_4arch9wavefront6targetE1EEEvSW_,comdat
.Lfunc_end875:
	.size	_ZN7rocprim17ROCPRIM_400000_NS6detail17trampoline_kernelINS0_14default_configENS1_22reduce_config_selectorIlEEZNS1_11reduce_implILb1ES3_N6thrust23THRUST_200600_302600_NS11hip_rocprim26transform_input_iterator_tIlNS8_12zip_iteratorINS8_5tupleINS8_6detail15normal_iteratorINS8_10device_ptrIjEEEESH_NS8_9null_typeESI_SI_SI_SI_SI_SI_SI_EEEENS9_21zip_adj_not_predicateI22is_equal_div_10_uniqueIjEEEEEPllNS8_4plusIlEEEE10hipError_tPvRmT1_T2_T3_mT4_P12ihipStream_tbEUlT_E0_NS1_11comp_targetILNS1_3genE10ELNS1_11target_archE1200ELNS1_3gpuE4ELNS1_3repE0EEENS1_30default_config_static_selectorELNS0_4arch9wavefront6targetE1EEEvSW_, .Lfunc_end875-_ZN7rocprim17ROCPRIM_400000_NS6detail17trampoline_kernelINS0_14default_configENS1_22reduce_config_selectorIlEEZNS1_11reduce_implILb1ES3_N6thrust23THRUST_200600_302600_NS11hip_rocprim26transform_input_iterator_tIlNS8_12zip_iteratorINS8_5tupleINS8_6detail15normal_iteratorINS8_10device_ptrIjEEEESH_NS8_9null_typeESI_SI_SI_SI_SI_SI_SI_EEEENS9_21zip_adj_not_predicateI22is_equal_div_10_uniqueIjEEEEEPllNS8_4plusIlEEEE10hipError_tPvRmT1_T2_T3_mT4_P12ihipStream_tbEUlT_E0_NS1_11comp_targetILNS1_3genE10ELNS1_11target_archE1200ELNS1_3gpuE4ELNS1_3repE0EEENS1_30default_config_static_selectorELNS0_4arch9wavefront6targetE1EEEvSW_
                                        ; -- End function
	.set _ZN7rocprim17ROCPRIM_400000_NS6detail17trampoline_kernelINS0_14default_configENS1_22reduce_config_selectorIlEEZNS1_11reduce_implILb1ES3_N6thrust23THRUST_200600_302600_NS11hip_rocprim26transform_input_iterator_tIlNS8_12zip_iteratorINS8_5tupleINS8_6detail15normal_iteratorINS8_10device_ptrIjEEEESH_NS8_9null_typeESI_SI_SI_SI_SI_SI_SI_EEEENS9_21zip_adj_not_predicateI22is_equal_div_10_uniqueIjEEEEEPllNS8_4plusIlEEEE10hipError_tPvRmT1_T2_T3_mT4_P12ihipStream_tbEUlT_E0_NS1_11comp_targetILNS1_3genE10ELNS1_11target_archE1200ELNS1_3gpuE4ELNS1_3repE0EEENS1_30default_config_static_selectorELNS0_4arch9wavefront6targetE1EEEvSW_.num_vgpr, 0
	.set _ZN7rocprim17ROCPRIM_400000_NS6detail17trampoline_kernelINS0_14default_configENS1_22reduce_config_selectorIlEEZNS1_11reduce_implILb1ES3_N6thrust23THRUST_200600_302600_NS11hip_rocprim26transform_input_iterator_tIlNS8_12zip_iteratorINS8_5tupleINS8_6detail15normal_iteratorINS8_10device_ptrIjEEEESH_NS8_9null_typeESI_SI_SI_SI_SI_SI_SI_EEEENS9_21zip_adj_not_predicateI22is_equal_div_10_uniqueIjEEEEEPllNS8_4plusIlEEEE10hipError_tPvRmT1_T2_T3_mT4_P12ihipStream_tbEUlT_E0_NS1_11comp_targetILNS1_3genE10ELNS1_11target_archE1200ELNS1_3gpuE4ELNS1_3repE0EEENS1_30default_config_static_selectorELNS0_4arch9wavefront6targetE1EEEvSW_.num_agpr, 0
	.set _ZN7rocprim17ROCPRIM_400000_NS6detail17trampoline_kernelINS0_14default_configENS1_22reduce_config_selectorIlEEZNS1_11reduce_implILb1ES3_N6thrust23THRUST_200600_302600_NS11hip_rocprim26transform_input_iterator_tIlNS8_12zip_iteratorINS8_5tupleINS8_6detail15normal_iteratorINS8_10device_ptrIjEEEESH_NS8_9null_typeESI_SI_SI_SI_SI_SI_SI_EEEENS9_21zip_adj_not_predicateI22is_equal_div_10_uniqueIjEEEEEPllNS8_4plusIlEEEE10hipError_tPvRmT1_T2_T3_mT4_P12ihipStream_tbEUlT_E0_NS1_11comp_targetILNS1_3genE10ELNS1_11target_archE1200ELNS1_3gpuE4ELNS1_3repE0EEENS1_30default_config_static_selectorELNS0_4arch9wavefront6targetE1EEEvSW_.numbered_sgpr, 0
	.set _ZN7rocprim17ROCPRIM_400000_NS6detail17trampoline_kernelINS0_14default_configENS1_22reduce_config_selectorIlEEZNS1_11reduce_implILb1ES3_N6thrust23THRUST_200600_302600_NS11hip_rocprim26transform_input_iterator_tIlNS8_12zip_iteratorINS8_5tupleINS8_6detail15normal_iteratorINS8_10device_ptrIjEEEESH_NS8_9null_typeESI_SI_SI_SI_SI_SI_SI_EEEENS9_21zip_adj_not_predicateI22is_equal_div_10_uniqueIjEEEEEPllNS8_4plusIlEEEE10hipError_tPvRmT1_T2_T3_mT4_P12ihipStream_tbEUlT_E0_NS1_11comp_targetILNS1_3genE10ELNS1_11target_archE1200ELNS1_3gpuE4ELNS1_3repE0EEENS1_30default_config_static_selectorELNS0_4arch9wavefront6targetE1EEEvSW_.num_named_barrier, 0
	.set _ZN7rocprim17ROCPRIM_400000_NS6detail17trampoline_kernelINS0_14default_configENS1_22reduce_config_selectorIlEEZNS1_11reduce_implILb1ES3_N6thrust23THRUST_200600_302600_NS11hip_rocprim26transform_input_iterator_tIlNS8_12zip_iteratorINS8_5tupleINS8_6detail15normal_iteratorINS8_10device_ptrIjEEEESH_NS8_9null_typeESI_SI_SI_SI_SI_SI_SI_EEEENS9_21zip_adj_not_predicateI22is_equal_div_10_uniqueIjEEEEEPllNS8_4plusIlEEEE10hipError_tPvRmT1_T2_T3_mT4_P12ihipStream_tbEUlT_E0_NS1_11comp_targetILNS1_3genE10ELNS1_11target_archE1200ELNS1_3gpuE4ELNS1_3repE0EEENS1_30default_config_static_selectorELNS0_4arch9wavefront6targetE1EEEvSW_.private_seg_size, 0
	.set _ZN7rocprim17ROCPRIM_400000_NS6detail17trampoline_kernelINS0_14default_configENS1_22reduce_config_selectorIlEEZNS1_11reduce_implILb1ES3_N6thrust23THRUST_200600_302600_NS11hip_rocprim26transform_input_iterator_tIlNS8_12zip_iteratorINS8_5tupleINS8_6detail15normal_iteratorINS8_10device_ptrIjEEEESH_NS8_9null_typeESI_SI_SI_SI_SI_SI_SI_EEEENS9_21zip_adj_not_predicateI22is_equal_div_10_uniqueIjEEEEEPllNS8_4plusIlEEEE10hipError_tPvRmT1_T2_T3_mT4_P12ihipStream_tbEUlT_E0_NS1_11comp_targetILNS1_3genE10ELNS1_11target_archE1200ELNS1_3gpuE4ELNS1_3repE0EEENS1_30default_config_static_selectorELNS0_4arch9wavefront6targetE1EEEvSW_.uses_vcc, 0
	.set _ZN7rocprim17ROCPRIM_400000_NS6detail17trampoline_kernelINS0_14default_configENS1_22reduce_config_selectorIlEEZNS1_11reduce_implILb1ES3_N6thrust23THRUST_200600_302600_NS11hip_rocprim26transform_input_iterator_tIlNS8_12zip_iteratorINS8_5tupleINS8_6detail15normal_iteratorINS8_10device_ptrIjEEEESH_NS8_9null_typeESI_SI_SI_SI_SI_SI_SI_EEEENS9_21zip_adj_not_predicateI22is_equal_div_10_uniqueIjEEEEEPllNS8_4plusIlEEEE10hipError_tPvRmT1_T2_T3_mT4_P12ihipStream_tbEUlT_E0_NS1_11comp_targetILNS1_3genE10ELNS1_11target_archE1200ELNS1_3gpuE4ELNS1_3repE0EEENS1_30default_config_static_selectorELNS0_4arch9wavefront6targetE1EEEvSW_.uses_flat_scratch, 0
	.set _ZN7rocprim17ROCPRIM_400000_NS6detail17trampoline_kernelINS0_14default_configENS1_22reduce_config_selectorIlEEZNS1_11reduce_implILb1ES3_N6thrust23THRUST_200600_302600_NS11hip_rocprim26transform_input_iterator_tIlNS8_12zip_iteratorINS8_5tupleINS8_6detail15normal_iteratorINS8_10device_ptrIjEEEESH_NS8_9null_typeESI_SI_SI_SI_SI_SI_SI_EEEENS9_21zip_adj_not_predicateI22is_equal_div_10_uniqueIjEEEEEPllNS8_4plusIlEEEE10hipError_tPvRmT1_T2_T3_mT4_P12ihipStream_tbEUlT_E0_NS1_11comp_targetILNS1_3genE10ELNS1_11target_archE1200ELNS1_3gpuE4ELNS1_3repE0EEENS1_30default_config_static_selectorELNS0_4arch9wavefront6targetE1EEEvSW_.has_dyn_sized_stack, 0
	.set _ZN7rocprim17ROCPRIM_400000_NS6detail17trampoline_kernelINS0_14default_configENS1_22reduce_config_selectorIlEEZNS1_11reduce_implILb1ES3_N6thrust23THRUST_200600_302600_NS11hip_rocprim26transform_input_iterator_tIlNS8_12zip_iteratorINS8_5tupleINS8_6detail15normal_iteratorINS8_10device_ptrIjEEEESH_NS8_9null_typeESI_SI_SI_SI_SI_SI_SI_EEEENS9_21zip_adj_not_predicateI22is_equal_div_10_uniqueIjEEEEEPllNS8_4plusIlEEEE10hipError_tPvRmT1_T2_T3_mT4_P12ihipStream_tbEUlT_E0_NS1_11comp_targetILNS1_3genE10ELNS1_11target_archE1200ELNS1_3gpuE4ELNS1_3repE0EEENS1_30default_config_static_selectorELNS0_4arch9wavefront6targetE1EEEvSW_.has_recursion, 0
	.set _ZN7rocprim17ROCPRIM_400000_NS6detail17trampoline_kernelINS0_14default_configENS1_22reduce_config_selectorIlEEZNS1_11reduce_implILb1ES3_N6thrust23THRUST_200600_302600_NS11hip_rocprim26transform_input_iterator_tIlNS8_12zip_iteratorINS8_5tupleINS8_6detail15normal_iteratorINS8_10device_ptrIjEEEESH_NS8_9null_typeESI_SI_SI_SI_SI_SI_SI_EEEENS9_21zip_adj_not_predicateI22is_equal_div_10_uniqueIjEEEEEPllNS8_4plusIlEEEE10hipError_tPvRmT1_T2_T3_mT4_P12ihipStream_tbEUlT_E0_NS1_11comp_targetILNS1_3genE10ELNS1_11target_archE1200ELNS1_3gpuE4ELNS1_3repE0EEENS1_30default_config_static_selectorELNS0_4arch9wavefront6targetE1EEEvSW_.has_indirect_call, 0
	.section	.AMDGPU.csdata,"",@progbits
; Kernel info:
; codeLenInByte = 0
; TotalNumSgprs: 4
; NumVgprs: 0
; ScratchSize: 0
; MemoryBound: 0
; FloatMode: 240
; IeeeMode: 1
; LDSByteSize: 0 bytes/workgroup (compile time only)
; SGPRBlocks: 0
; VGPRBlocks: 0
; NumSGPRsForWavesPerEU: 4
; NumVGPRsForWavesPerEU: 1
; Occupancy: 10
; WaveLimiterHint : 0
; COMPUTE_PGM_RSRC2:SCRATCH_EN: 0
; COMPUTE_PGM_RSRC2:USER_SGPR: 6
; COMPUTE_PGM_RSRC2:TRAP_HANDLER: 0
; COMPUTE_PGM_RSRC2:TGID_X_EN: 1
; COMPUTE_PGM_RSRC2:TGID_Y_EN: 0
; COMPUTE_PGM_RSRC2:TGID_Z_EN: 0
; COMPUTE_PGM_RSRC2:TIDIG_COMP_CNT: 0
	.section	.text._ZN7rocprim17ROCPRIM_400000_NS6detail17trampoline_kernelINS0_14default_configENS1_22reduce_config_selectorIlEEZNS1_11reduce_implILb1ES3_N6thrust23THRUST_200600_302600_NS11hip_rocprim26transform_input_iterator_tIlNS8_12zip_iteratorINS8_5tupleINS8_6detail15normal_iteratorINS8_10device_ptrIjEEEESH_NS8_9null_typeESI_SI_SI_SI_SI_SI_SI_EEEENS9_21zip_adj_not_predicateI22is_equal_div_10_uniqueIjEEEEEPllNS8_4plusIlEEEE10hipError_tPvRmT1_T2_T3_mT4_P12ihipStream_tbEUlT_E0_NS1_11comp_targetILNS1_3genE9ELNS1_11target_archE1100ELNS1_3gpuE3ELNS1_3repE0EEENS1_30default_config_static_selectorELNS0_4arch9wavefront6targetE1EEEvSW_,"axG",@progbits,_ZN7rocprim17ROCPRIM_400000_NS6detail17trampoline_kernelINS0_14default_configENS1_22reduce_config_selectorIlEEZNS1_11reduce_implILb1ES3_N6thrust23THRUST_200600_302600_NS11hip_rocprim26transform_input_iterator_tIlNS8_12zip_iteratorINS8_5tupleINS8_6detail15normal_iteratorINS8_10device_ptrIjEEEESH_NS8_9null_typeESI_SI_SI_SI_SI_SI_SI_EEEENS9_21zip_adj_not_predicateI22is_equal_div_10_uniqueIjEEEEEPllNS8_4plusIlEEEE10hipError_tPvRmT1_T2_T3_mT4_P12ihipStream_tbEUlT_E0_NS1_11comp_targetILNS1_3genE9ELNS1_11target_archE1100ELNS1_3gpuE3ELNS1_3repE0EEENS1_30default_config_static_selectorELNS0_4arch9wavefront6targetE1EEEvSW_,comdat
	.protected	_ZN7rocprim17ROCPRIM_400000_NS6detail17trampoline_kernelINS0_14default_configENS1_22reduce_config_selectorIlEEZNS1_11reduce_implILb1ES3_N6thrust23THRUST_200600_302600_NS11hip_rocprim26transform_input_iterator_tIlNS8_12zip_iteratorINS8_5tupleINS8_6detail15normal_iteratorINS8_10device_ptrIjEEEESH_NS8_9null_typeESI_SI_SI_SI_SI_SI_SI_EEEENS9_21zip_adj_not_predicateI22is_equal_div_10_uniqueIjEEEEEPllNS8_4plusIlEEEE10hipError_tPvRmT1_T2_T3_mT4_P12ihipStream_tbEUlT_E0_NS1_11comp_targetILNS1_3genE9ELNS1_11target_archE1100ELNS1_3gpuE3ELNS1_3repE0EEENS1_30default_config_static_selectorELNS0_4arch9wavefront6targetE1EEEvSW_ ; -- Begin function _ZN7rocprim17ROCPRIM_400000_NS6detail17trampoline_kernelINS0_14default_configENS1_22reduce_config_selectorIlEEZNS1_11reduce_implILb1ES3_N6thrust23THRUST_200600_302600_NS11hip_rocprim26transform_input_iterator_tIlNS8_12zip_iteratorINS8_5tupleINS8_6detail15normal_iteratorINS8_10device_ptrIjEEEESH_NS8_9null_typeESI_SI_SI_SI_SI_SI_SI_EEEENS9_21zip_adj_not_predicateI22is_equal_div_10_uniqueIjEEEEEPllNS8_4plusIlEEEE10hipError_tPvRmT1_T2_T3_mT4_P12ihipStream_tbEUlT_E0_NS1_11comp_targetILNS1_3genE9ELNS1_11target_archE1100ELNS1_3gpuE3ELNS1_3repE0EEENS1_30default_config_static_selectorELNS0_4arch9wavefront6targetE1EEEvSW_
	.globl	_ZN7rocprim17ROCPRIM_400000_NS6detail17trampoline_kernelINS0_14default_configENS1_22reduce_config_selectorIlEEZNS1_11reduce_implILb1ES3_N6thrust23THRUST_200600_302600_NS11hip_rocprim26transform_input_iterator_tIlNS8_12zip_iteratorINS8_5tupleINS8_6detail15normal_iteratorINS8_10device_ptrIjEEEESH_NS8_9null_typeESI_SI_SI_SI_SI_SI_SI_EEEENS9_21zip_adj_not_predicateI22is_equal_div_10_uniqueIjEEEEEPllNS8_4plusIlEEEE10hipError_tPvRmT1_T2_T3_mT4_P12ihipStream_tbEUlT_E0_NS1_11comp_targetILNS1_3genE9ELNS1_11target_archE1100ELNS1_3gpuE3ELNS1_3repE0EEENS1_30default_config_static_selectorELNS0_4arch9wavefront6targetE1EEEvSW_
	.p2align	8
	.type	_ZN7rocprim17ROCPRIM_400000_NS6detail17trampoline_kernelINS0_14default_configENS1_22reduce_config_selectorIlEEZNS1_11reduce_implILb1ES3_N6thrust23THRUST_200600_302600_NS11hip_rocprim26transform_input_iterator_tIlNS8_12zip_iteratorINS8_5tupleINS8_6detail15normal_iteratorINS8_10device_ptrIjEEEESH_NS8_9null_typeESI_SI_SI_SI_SI_SI_SI_EEEENS9_21zip_adj_not_predicateI22is_equal_div_10_uniqueIjEEEEEPllNS8_4plusIlEEEE10hipError_tPvRmT1_T2_T3_mT4_P12ihipStream_tbEUlT_E0_NS1_11comp_targetILNS1_3genE9ELNS1_11target_archE1100ELNS1_3gpuE3ELNS1_3repE0EEENS1_30default_config_static_selectorELNS0_4arch9wavefront6targetE1EEEvSW_,@function
_ZN7rocprim17ROCPRIM_400000_NS6detail17trampoline_kernelINS0_14default_configENS1_22reduce_config_selectorIlEEZNS1_11reduce_implILb1ES3_N6thrust23THRUST_200600_302600_NS11hip_rocprim26transform_input_iterator_tIlNS8_12zip_iteratorINS8_5tupleINS8_6detail15normal_iteratorINS8_10device_ptrIjEEEESH_NS8_9null_typeESI_SI_SI_SI_SI_SI_SI_EEEENS9_21zip_adj_not_predicateI22is_equal_div_10_uniqueIjEEEEEPllNS8_4plusIlEEEE10hipError_tPvRmT1_T2_T3_mT4_P12ihipStream_tbEUlT_E0_NS1_11comp_targetILNS1_3genE9ELNS1_11target_archE1100ELNS1_3gpuE3ELNS1_3repE0EEENS1_30default_config_static_selectorELNS0_4arch9wavefront6targetE1EEEvSW_: ; @_ZN7rocprim17ROCPRIM_400000_NS6detail17trampoline_kernelINS0_14default_configENS1_22reduce_config_selectorIlEEZNS1_11reduce_implILb1ES3_N6thrust23THRUST_200600_302600_NS11hip_rocprim26transform_input_iterator_tIlNS8_12zip_iteratorINS8_5tupleINS8_6detail15normal_iteratorINS8_10device_ptrIjEEEESH_NS8_9null_typeESI_SI_SI_SI_SI_SI_SI_EEEENS9_21zip_adj_not_predicateI22is_equal_div_10_uniqueIjEEEEEPllNS8_4plusIlEEEE10hipError_tPvRmT1_T2_T3_mT4_P12ihipStream_tbEUlT_E0_NS1_11comp_targetILNS1_3genE9ELNS1_11target_archE1100ELNS1_3gpuE3ELNS1_3repE0EEENS1_30default_config_static_selectorELNS0_4arch9wavefront6targetE1EEEvSW_
; %bb.0:
	.section	.rodata,"a",@progbits
	.p2align	6, 0x0
	.amdhsa_kernel _ZN7rocprim17ROCPRIM_400000_NS6detail17trampoline_kernelINS0_14default_configENS1_22reduce_config_selectorIlEEZNS1_11reduce_implILb1ES3_N6thrust23THRUST_200600_302600_NS11hip_rocprim26transform_input_iterator_tIlNS8_12zip_iteratorINS8_5tupleINS8_6detail15normal_iteratorINS8_10device_ptrIjEEEESH_NS8_9null_typeESI_SI_SI_SI_SI_SI_SI_EEEENS9_21zip_adj_not_predicateI22is_equal_div_10_uniqueIjEEEEEPllNS8_4plusIlEEEE10hipError_tPvRmT1_T2_T3_mT4_P12ihipStream_tbEUlT_E0_NS1_11comp_targetILNS1_3genE9ELNS1_11target_archE1100ELNS1_3gpuE3ELNS1_3repE0EEENS1_30default_config_static_selectorELNS0_4arch9wavefront6targetE1EEEvSW_
		.amdhsa_group_segment_fixed_size 0
		.amdhsa_private_segment_fixed_size 0
		.amdhsa_kernarg_size 80
		.amdhsa_user_sgpr_count 6
		.amdhsa_user_sgpr_private_segment_buffer 1
		.amdhsa_user_sgpr_dispatch_ptr 0
		.amdhsa_user_sgpr_queue_ptr 0
		.amdhsa_user_sgpr_kernarg_segment_ptr 1
		.amdhsa_user_sgpr_dispatch_id 0
		.amdhsa_user_sgpr_flat_scratch_init 0
		.amdhsa_user_sgpr_private_segment_size 0
		.amdhsa_uses_dynamic_stack 0
		.amdhsa_system_sgpr_private_segment_wavefront_offset 0
		.amdhsa_system_sgpr_workgroup_id_x 1
		.amdhsa_system_sgpr_workgroup_id_y 0
		.amdhsa_system_sgpr_workgroup_id_z 0
		.amdhsa_system_sgpr_workgroup_info 0
		.amdhsa_system_vgpr_workitem_id 0
		.amdhsa_next_free_vgpr 1
		.amdhsa_next_free_sgpr 0
		.amdhsa_reserve_vcc 0
		.amdhsa_reserve_flat_scratch 0
		.amdhsa_float_round_mode_32 0
		.amdhsa_float_round_mode_16_64 0
		.amdhsa_float_denorm_mode_32 3
		.amdhsa_float_denorm_mode_16_64 3
		.amdhsa_dx10_clamp 1
		.amdhsa_ieee_mode 1
		.amdhsa_fp16_overflow 0
		.amdhsa_exception_fp_ieee_invalid_op 0
		.amdhsa_exception_fp_denorm_src 0
		.amdhsa_exception_fp_ieee_div_zero 0
		.amdhsa_exception_fp_ieee_overflow 0
		.amdhsa_exception_fp_ieee_underflow 0
		.amdhsa_exception_fp_ieee_inexact 0
		.amdhsa_exception_int_div_zero 0
	.end_amdhsa_kernel
	.section	.text._ZN7rocprim17ROCPRIM_400000_NS6detail17trampoline_kernelINS0_14default_configENS1_22reduce_config_selectorIlEEZNS1_11reduce_implILb1ES3_N6thrust23THRUST_200600_302600_NS11hip_rocprim26transform_input_iterator_tIlNS8_12zip_iteratorINS8_5tupleINS8_6detail15normal_iteratorINS8_10device_ptrIjEEEESH_NS8_9null_typeESI_SI_SI_SI_SI_SI_SI_EEEENS9_21zip_adj_not_predicateI22is_equal_div_10_uniqueIjEEEEEPllNS8_4plusIlEEEE10hipError_tPvRmT1_T2_T3_mT4_P12ihipStream_tbEUlT_E0_NS1_11comp_targetILNS1_3genE9ELNS1_11target_archE1100ELNS1_3gpuE3ELNS1_3repE0EEENS1_30default_config_static_selectorELNS0_4arch9wavefront6targetE1EEEvSW_,"axG",@progbits,_ZN7rocprim17ROCPRIM_400000_NS6detail17trampoline_kernelINS0_14default_configENS1_22reduce_config_selectorIlEEZNS1_11reduce_implILb1ES3_N6thrust23THRUST_200600_302600_NS11hip_rocprim26transform_input_iterator_tIlNS8_12zip_iteratorINS8_5tupleINS8_6detail15normal_iteratorINS8_10device_ptrIjEEEESH_NS8_9null_typeESI_SI_SI_SI_SI_SI_SI_EEEENS9_21zip_adj_not_predicateI22is_equal_div_10_uniqueIjEEEEEPllNS8_4plusIlEEEE10hipError_tPvRmT1_T2_T3_mT4_P12ihipStream_tbEUlT_E0_NS1_11comp_targetILNS1_3genE9ELNS1_11target_archE1100ELNS1_3gpuE3ELNS1_3repE0EEENS1_30default_config_static_selectorELNS0_4arch9wavefront6targetE1EEEvSW_,comdat
.Lfunc_end876:
	.size	_ZN7rocprim17ROCPRIM_400000_NS6detail17trampoline_kernelINS0_14default_configENS1_22reduce_config_selectorIlEEZNS1_11reduce_implILb1ES3_N6thrust23THRUST_200600_302600_NS11hip_rocprim26transform_input_iterator_tIlNS8_12zip_iteratorINS8_5tupleINS8_6detail15normal_iteratorINS8_10device_ptrIjEEEESH_NS8_9null_typeESI_SI_SI_SI_SI_SI_SI_EEEENS9_21zip_adj_not_predicateI22is_equal_div_10_uniqueIjEEEEEPllNS8_4plusIlEEEE10hipError_tPvRmT1_T2_T3_mT4_P12ihipStream_tbEUlT_E0_NS1_11comp_targetILNS1_3genE9ELNS1_11target_archE1100ELNS1_3gpuE3ELNS1_3repE0EEENS1_30default_config_static_selectorELNS0_4arch9wavefront6targetE1EEEvSW_, .Lfunc_end876-_ZN7rocprim17ROCPRIM_400000_NS6detail17trampoline_kernelINS0_14default_configENS1_22reduce_config_selectorIlEEZNS1_11reduce_implILb1ES3_N6thrust23THRUST_200600_302600_NS11hip_rocprim26transform_input_iterator_tIlNS8_12zip_iteratorINS8_5tupleINS8_6detail15normal_iteratorINS8_10device_ptrIjEEEESH_NS8_9null_typeESI_SI_SI_SI_SI_SI_SI_EEEENS9_21zip_adj_not_predicateI22is_equal_div_10_uniqueIjEEEEEPllNS8_4plusIlEEEE10hipError_tPvRmT1_T2_T3_mT4_P12ihipStream_tbEUlT_E0_NS1_11comp_targetILNS1_3genE9ELNS1_11target_archE1100ELNS1_3gpuE3ELNS1_3repE0EEENS1_30default_config_static_selectorELNS0_4arch9wavefront6targetE1EEEvSW_
                                        ; -- End function
	.set _ZN7rocprim17ROCPRIM_400000_NS6detail17trampoline_kernelINS0_14default_configENS1_22reduce_config_selectorIlEEZNS1_11reduce_implILb1ES3_N6thrust23THRUST_200600_302600_NS11hip_rocprim26transform_input_iterator_tIlNS8_12zip_iteratorINS8_5tupleINS8_6detail15normal_iteratorINS8_10device_ptrIjEEEESH_NS8_9null_typeESI_SI_SI_SI_SI_SI_SI_EEEENS9_21zip_adj_not_predicateI22is_equal_div_10_uniqueIjEEEEEPllNS8_4plusIlEEEE10hipError_tPvRmT1_T2_T3_mT4_P12ihipStream_tbEUlT_E0_NS1_11comp_targetILNS1_3genE9ELNS1_11target_archE1100ELNS1_3gpuE3ELNS1_3repE0EEENS1_30default_config_static_selectorELNS0_4arch9wavefront6targetE1EEEvSW_.num_vgpr, 0
	.set _ZN7rocprim17ROCPRIM_400000_NS6detail17trampoline_kernelINS0_14default_configENS1_22reduce_config_selectorIlEEZNS1_11reduce_implILb1ES3_N6thrust23THRUST_200600_302600_NS11hip_rocprim26transform_input_iterator_tIlNS8_12zip_iteratorINS8_5tupleINS8_6detail15normal_iteratorINS8_10device_ptrIjEEEESH_NS8_9null_typeESI_SI_SI_SI_SI_SI_SI_EEEENS9_21zip_adj_not_predicateI22is_equal_div_10_uniqueIjEEEEEPllNS8_4plusIlEEEE10hipError_tPvRmT1_T2_T3_mT4_P12ihipStream_tbEUlT_E0_NS1_11comp_targetILNS1_3genE9ELNS1_11target_archE1100ELNS1_3gpuE3ELNS1_3repE0EEENS1_30default_config_static_selectorELNS0_4arch9wavefront6targetE1EEEvSW_.num_agpr, 0
	.set _ZN7rocprim17ROCPRIM_400000_NS6detail17trampoline_kernelINS0_14default_configENS1_22reduce_config_selectorIlEEZNS1_11reduce_implILb1ES3_N6thrust23THRUST_200600_302600_NS11hip_rocprim26transform_input_iterator_tIlNS8_12zip_iteratorINS8_5tupleINS8_6detail15normal_iteratorINS8_10device_ptrIjEEEESH_NS8_9null_typeESI_SI_SI_SI_SI_SI_SI_EEEENS9_21zip_adj_not_predicateI22is_equal_div_10_uniqueIjEEEEEPllNS8_4plusIlEEEE10hipError_tPvRmT1_T2_T3_mT4_P12ihipStream_tbEUlT_E0_NS1_11comp_targetILNS1_3genE9ELNS1_11target_archE1100ELNS1_3gpuE3ELNS1_3repE0EEENS1_30default_config_static_selectorELNS0_4arch9wavefront6targetE1EEEvSW_.numbered_sgpr, 0
	.set _ZN7rocprim17ROCPRIM_400000_NS6detail17trampoline_kernelINS0_14default_configENS1_22reduce_config_selectorIlEEZNS1_11reduce_implILb1ES3_N6thrust23THRUST_200600_302600_NS11hip_rocprim26transform_input_iterator_tIlNS8_12zip_iteratorINS8_5tupleINS8_6detail15normal_iteratorINS8_10device_ptrIjEEEESH_NS8_9null_typeESI_SI_SI_SI_SI_SI_SI_EEEENS9_21zip_adj_not_predicateI22is_equal_div_10_uniqueIjEEEEEPllNS8_4plusIlEEEE10hipError_tPvRmT1_T2_T3_mT4_P12ihipStream_tbEUlT_E0_NS1_11comp_targetILNS1_3genE9ELNS1_11target_archE1100ELNS1_3gpuE3ELNS1_3repE0EEENS1_30default_config_static_selectorELNS0_4arch9wavefront6targetE1EEEvSW_.num_named_barrier, 0
	.set _ZN7rocprim17ROCPRIM_400000_NS6detail17trampoline_kernelINS0_14default_configENS1_22reduce_config_selectorIlEEZNS1_11reduce_implILb1ES3_N6thrust23THRUST_200600_302600_NS11hip_rocprim26transform_input_iterator_tIlNS8_12zip_iteratorINS8_5tupleINS8_6detail15normal_iteratorINS8_10device_ptrIjEEEESH_NS8_9null_typeESI_SI_SI_SI_SI_SI_SI_EEEENS9_21zip_adj_not_predicateI22is_equal_div_10_uniqueIjEEEEEPllNS8_4plusIlEEEE10hipError_tPvRmT1_T2_T3_mT4_P12ihipStream_tbEUlT_E0_NS1_11comp_targetILNS1_3genE9ELNS1_11target_archE1100ELNS1_3gpuE3ELNS1_3repE0EEENS1_30default_config_static_selectorELNS0_4arch9wavefront6targetE1EEEvSW_.private_seg_size, 0
	.set _ZN7rocprim17ROCPRIM_400000_NS6detail17trampoline_kernelINS0_14default_configENS1_22reduce_config_selectorIlEEZNS1_11reduce_implILb1ES3_N6thrust23THRUST_200600_302600_NS11hip_rocprim26transform_input_iterator_tIlNS8_12zip_iteratorINS8_5tupleINS8_6detail15normal_iteratorINS8_10device_ptrIjEEEESH_NS8_9null_typeESI_SI_SI_SI_SI_SI_SI_EEEENS9_21zip_adj_not_predicateI22is_equal_div_10_uniqueIjEEEEEPllNS8_4plusIlEEEE10hipError_tPvRmT1_T2_T3_mT4_P12ihipStream_tbEUlT_E0_NS1_11comp_targetILNS1_3genE9ELNS1_11target_archE1100ELNS1_3gpuE3ELNS1_3repE0EEENS1_30default_config_static_selectorELNS0_4arch9wavefront6targetE1EEEvSW_.uses_vcc, 0
	.set _ZN7rocprim17ROCPRIM_400000_NS6detail17trampoline_kernelINS0_14default_configENS1_22reduce_config_selectorIlEEZNS1_11reduce_implILb1ES3_N6thrust23THRUST_200600_302600_NS11hip_rocprim26transform_input_iterator_tIlNS8_12zip_iteratorINS8_5tupleINS8_6detail15normal_iteratorINS8_10device_ptrIjEEEESH_NS8_9null_typeESI_SI_SI_SI_SI_SI_SI_EEEENS9_21zip_adj_not_predicateI22is_equal_div_10_uniqueIjEEEEEPllNS8_4plusIlEEEE10hipError_tPvRmT1_T2_T3_mT4_P12ihipStream_tbEUlT_E0_NS1_11comp_targetILNS1_3genE9ELNS1_11target_archE1100ELNS1_3gpuE3ELNS1_3repE0EEENS1_30default_config_static_selectorELNS0_4arch9wavefront6targetE1EEEvSW_.uses_flat_scratch, 0
	.set _ZN7rocprim17ROCPRIM_400000_NS6detail17trampoline_kernelINS0_14default_configENS1_22reduce_config_selectorIlEEZNS1_11reduce_implILb1ES3_N6thrust23THRUST_200600_302600_NS11hip_rocprim26transform_input_iterator_tIlNS8_12zip_iteratorINS8_5tupleINS8_6detail15normal_iteratorINS8_10device_ptrIjEEEESH_NS8_9null_typeESI_SI_SI_SI_SI_SI_SI_EEEENS9_21zip_adj_not_predicateI22is_equal_div_10_uniqueIjEEEEEPllNS8_4plusIlEEEE10hipError_tPvRmT1_T2_T3_mT4_P12ihipStream_tbEUlT_E0_NS1_11comp_targetILNS1_3genE9ELNS1_11target_archE1100ELNS1_3gpuE3ELNS1_3repE0EEENS1_30default_config_static_selectorELNS0_4arch9wavefront6targetE1EEEvSW_.has_dyn_sized_stack, 0
	.set _ZN7rocprim17ROCPRIM_400000_NS6detail17trampoline_kernelINS0_14default_configENS1_22reduce_config_selectorIlEEZNS1_11reduce_implILb1ES3_N6thrust23THRUST_200600_302600_NS11hip_rocprim26transform_input_iterator_tIlNS8_12zip_iteratorINS8_5tupleINS8_6detail15normal_iteratorINS8_10device_ptrIjEEEESH_NS8_9null_typeESI_SI_SI_SI_SI_SI_SI_EEEENS9_21zip_adj_not_predicateI22is_equal_div_10_uniqueIjEEEEEPllNS8_4plusIlEEEE10hipError_tPvRmT1_T2_T3_mT4_P12ihipStream_tbEUlT_E0_NS1_11comp_targetILNS1_3genE9ELNS1_11target_archE1100ELNS1_3gpuE3ELNS1_3repE0EEENS1_30default_config_static_selectorELNS0_4arch9wavefront6targetE1EEEvSW_.has_recursion, 0
	.set _ZN7rocprim17ROCPRIM_400000_NS6detail17trampoline_kernelINS0_14default_configENS1_22reduce_config_selectorIlEEZNS1_11reduce_implILb1ES3_N6thrust23THRUST_200600_302600_NS11hip_rocprim26transform_input_iterator_tIlNS8_12zip_iteratorINS8_5tupleINS8_6detail15normal_iteratorINS8_10device_ptrIjEEEESH_NS8_9null_typeESI_SI_SI_SI_SI_SI_SI_EEEENS9_21zip_adj_not_predicateI22is_equal_div_10_uniqueIjEEEEEPllNS8_4plusIlEEEE10hipError_tPvRmT1_T2_T3_mT4_P12ihipStream_tbEUlT_E0_NS1_11comp_targetILNS1_3genE9ELNS1_11target_archE1100ELNS1_3gpuE3ELNS1_3repE0EEENS1_30default_config_static_selectorELNS0_4arch9wavefront6targetE1EEEvSW_.has_indirect_call, 0
	.section	.AMDGPU.csdata,"",@progbits
; Kernel info:
; codeLenInByte = 0
; TotalNumSgprs: 4
; NumVgprs: 0
; ScratchSize: 0
; MemoryBound: 0
; FloatMode: 240
; IeeeMode: 1
; LDSByteSize: 0 bytes/workgroup (compile time only)
; SGPRBlocks: 0
; VGPRBlocks: 0
; NumSGPRsForWavesPerEU: 4
; NumVGPRsForWavesPerEU: 1
; Occupancy: 10
; WaveLimiterHint : 0
; COMPUTE_PGM_RSRC2:SCRATCH_EN: 0
; COMPUTE_PGM_RSRC2:USER_SGPR: 6
; COMPUTE_PGM_RSRC2:TRAP_HANDLER: 0
; COMPUTE_PGM_RSRC2:TGID_X_EN: 1
; COMPUTE_PGM_RSRC2:TGID_Y_EN: 0
; COMPUTE_PGM_RSRC2:TGID_Z_EN: 0
; COMPUTE_PGM_RSRC2:TIDIG_COMP_CNT: 0
	.section	.text._ZN7rocprim17ROCPRIM_400000_NS6detail17trampoline_kernelINS0_14default_configENS1_22reduce_config_selectorIlEEZNS1_11reduce_implILb1ES3_N6thrust23THRUST_200600_302600_NS11hip_rocprim26transform_input_iterator_tIlNS8_12zip_iteratorINS8_5tupleINS8_6detail15normal_iteratorINS8_10device_ptrIjEEEESH_NS8_9null_typeESI_SI_SI_SI_SI_SI_SI_EEEENS9_21zip_adj_not_predicateI22is_equal_div_10_uniqueIjEEEEEPllNS8_4plusIlEEEE10hipError_tPvRmT1_T2_T3_mT4_P12ihipStream_tbEUlT_E0_NS1_11comp_targetILNS1_3genE8ELNS1_11target_archE1030ELNS1_3gpuE2ELNS1_3repE0EEENS1_30default_config_static_selectorELNS0_4arch9wavefront6targetE1EEEvSW_,"axG",@progbits,_ZN7rocprim17ROCPRIM_400000_NS6detail17trampoline_kernelINS0_14default_configENS1_22reduce_config_selectorIlEEZNS1_11reduce_implILb1ES3_N6thrust23THRUST_200600_302600_NS11hip_rocprim26transform_input_iterator_tIlNS8_12zip_iteratorINS8_5tupleINS8_6detail15normal_iteratorINS8_10device_ptrIjEEEESH_NS8_9null_typeESI_SI_SI_SI_SI_SI_SI_EEEENS9_21zip_adj_not_predicateI22is_equal_div_10_uniqueIjEEEEEPllNS8_4plusIlEEEE10hipError_tPvRmT1_T2_T3_mT4_P12ihipStream_tbEUlT_E0_NS1_11comp_targetILNS1_3genE8ELNS1_11target_archE1030ELNS1_3gpuE2ELNS1_3repE0EEENS1_30default_config_static_selectorELNS0_4arch9wavefront6targetE1EEEvSW_,comdat
	.protected	_ZN7rocprim17ROCPRIM_400000_NS6detail17trampoline_kernelINS0_14default_configENS1_22reduce_config_selectorIlEEZNS1_11reduce_implILb1ES3_N6thrust23THRUST_200600_302600_NS11hip_rocprim26transform_input_iterator_tIlNS8_12zip_iteratorINS8_5tupleINS8_6detail15normal_iteratorINS8_10device_ptrIjEEEESH_NS8_9null_typeESI_SI_SI_SI_SI_SI_SI_EEEENS9_21zip_adj_not_predicateI22is_equal_div_10_uniqueIjEEEEEPllNS8_4plusIlEEEE10hipError_tPvRmT1_T2_T3_mT4_P12ihipStream_tbEUlT_E0_NS1_11comp_targetILNS1_3genE8ELNS1_11target_archE1030ELNS1_3gpuE2ELNS1_3repE0EEENS1_30default_config_static_selectorELNS0_4arch9wavefront6targetE1EEEvSW_ ; -- Begin function _ZN7rocprim17ROCPRIM_400000_NS6detail17trampoline_kernelINS0_14default_configENS1_22reduce_config_selectorIlEEZNS1_11reduce_implILb1ES3_N6thrust23THRUST_200600_302600_NS11hip_rocprim26transform_input_iterator_tIlNS8_12zip_iteratorINS8_5tupleINS8_6detail15normal_iteratorINS8_10device_ptrIjEEEESH_NS8_9null_typeESI_SI_SI_SI_SI_SI_SI_EEEENS9_21zip_adj_not_predicateI22is_equal_div_10_uniqueIjEEEEEPllNS8_4plusIlEEEE10hipError_tPvRmT1_T2_T3_mT4_P12ihipStream_tbEUlT_E0_NS1_11comp_targetILNS1_3genE8ELNS1_11target_archE1030ELNS1_3gpuE2ELNS1_3repE0EEENS1_30default_config_static_selectorELNS0_4arch9wavefront6targetE1EEEvSW_
	.globl	_ZN7rocprim17ROCPRIM_400000_NS6detail17trampoline_kernelINS0_14default_configENS1_22reduce_config_selectorIlEEZNS1_11reduce_implILb1ES3_N6thrust23THRUST_200600_302600_NS11hip_rocprim26transform_input_iterator_tIlNS8_12zip_iteratorINS8_5tupleINS8_6detail15normal_iteratorINS8_10device_ptrIjEEEESH_NS8_9null_typeESI_SI_SI_SI_SI_SI_SI_EEEENS9_21zip_adj_not_predicateI22is_equal_div_10_uniqueIjEEEEEPllNS8_4plusIlEEEE10hipError_tPvRmT1_T2_T3_mT4_P12ihipStream_tbEUlT_E0_NS1_11comp_targetILNS1_3genE8ELNS1_11target_archE1030ELNS1_3gpuE2ELNS1_3repE0EEENS1_30default_config_static_selectorELNS0_4arch9wavefront6targetE1EEEvSW_
	.p2align	8
	.type	_ZN7rocprim17ROCPRIM_400000_NS6detail17trampoline_kernelINS0_14default_configENS1_22reduce_config_selectorIlEEZNS1_11reduce_implILb1ES3_N6thrust23THRUST_200600_302600_NS11hip_rocprim26transform_input_iterator_tIlNS8_12zip_iteratorINS8_5tupleINS8_6detail15normal_iteratorINS8_10device_ptrIjEEEESH_NS8_9null_typeESI_SI_SI_SI_SI_SI_SI_EEEENS9_21zip_adj_not_predicateI22is_equal_div_10_uniqueIjEEEEEPllNS8_4plusIlEEEE10hipError_tPvRmT1_T2_T3_mT4_P12ihipStream_tbEUlT_E0_NS1_11comp_targetILNS1_3genE8ELNS1_11target_archE1030ELNS1_3gpuE2ELNS1_3repE0EEENS1_30default_config_static_selectorELNS0_4arch9wavefront6targetE1EEEvSW_,@function
_ZN7rocprim17ROCPRIM_400000_NS6detail17trampoline_kernelINS0_14default_configENS1_22reduce_config_selectorIlEEZNS1_11reduce_implILb1ES3_N6thrust23THRUST_200600_302600_NS11hip_rocprim26transform_input_iterator_tIlNS8_12zip_iteratorINS8_5tupleINS8_6detail15normal_iteratorINS8_10device_ptrIjEEEESH_NS8_9null_typeESI_SI_SI_SI_SI_SI_SI_EEEENS9_21zip_adj_not_predicateI22is_equal_div_10_uniqueIjEEEEEPllNS8_4plusIlEEEE10hipError_tPvRmT1_T2_T3_mT4_P12ihipStream_tbEUlT_E0_NS1_11comp_targetILNS1_3genE8ELNS1_11target_archE1030ELNS1_3gpuE2ELNS1_3repE0EEENS1_30default_config_static_selectorELNS0_4arch9wavefront6targetE1EEEvSW_: ; @_ZN7rocprim17ROCPRIM_400000_NS6detail17trampoline_kernelINS0_14default_configENS1_22reduce_config_selectorIlEEZNS1_11reduce_implILb1ES3_N6thrust23THRUST_200600_302600_NS11hip_rocprim26transform_input_iterator_tIlNS8_12zip_iteratorINS8_5tupleINS8_6detail15normal_iteratorINS8_10device_ptrIjEEEESH_NS8_9null_typeESI_SI_SI_SI_SI_SI_SI_EEEENS9_21zip_adj_not_predicateI22is_equal_div_10_uniqueIjEEEEEPllNS8_4plusIlEEEE10hipError_tPvRmT1_T2_T3_mT4_P12ihipStream_tbEUlT_E0_NS1_11comp_targetILNS1_3genE8ELNS1_11target_archE1030ELNS1_3gpuE2ELNS1_3repE0EEENS1_30default_config_static_selectorELNS0_4arch9wavefront6targetE1EEEvSW_
; %bb.0:
	.section	.rodata,"a",@progbits
	.p2align	6, 0x0
	.amdhsa_kernel _ZN7rocprim17ROCPRIM_400000_NS6detail17trampoline_kernelINS0_14default_configENS1_22reduce_config_selectorIlEEZNS1_11reduce_implILb1ES3_N6thrust23THRUST_200600_302600_NS11hip_rocprim26transform_input_iterator_tIlNS8_12zip_iteratorINS8_5tupleINS8_6detail15normal_iteratorINS8_10device_ptrIjEEEESH_NS8_9null_typeESI_SI_SI_SI_SI_SI_SI_EEEENS9_21zip_adj_not_predicateI22is_equal_div_10_uniqueIjEEEEEPllNS8_4plusIlEEEE10hipError_tPvRmT1_T2_T3_mT4_P12ihipStream_tbEUlT_E0_NS1_11comp_targetILNS1_3genE8ELNS1_11target_archE1030ELNS1_3gpuE2ELNS1_3repE0EEENS1_30default_config_static_selectorELNS0_4arch9wavefront6targetE1EEEvSW_
		.amdhsa_group_segment_fixed_size 0
		.amdhsa_private_segment_fixed_size 0
		.amdhsa_kernarg_size 80
		.amdhsa_user_sgpr_count 6
		.amdhsa_user_sgpr_private_segment_buffer 1
		.amdhsa_user_sgpr_dispatch_ptr 0
		.amdhsa_user_sgpr_queue_ptr 0
		.amdhsa_user_sgpr_kernarg_segment_ptr 1
		.amdhsa_user_sgpr_dispatch_id 0
		.amdhsa_user_sgpr_flat_scratch_init 0
		.amdhsa_user_sgpr_private_segment_size 0
		.amdhsa_uses_dynamic_stack 0
		.amdhsa_system_sgpr_private_segment_wavefront_offset 0
		.amdhsa_system_sgpr_workgroup_id_x 1
		.amdhsa_system_sgpr_workgroup_id_y 0
		.amdhsa_system_sgpr_workgroup_id_z 0
		.amdhsa_system_sgpr_workgroup_info 0
		.amdhsa_system_vgpr_workitem_id 0
		.amdhsa_next_free_vgpr 1
		.amdhsa_next_free_sgpr 0
		.amdhsa_reserve_vcc 0
		.amdhsa_reserve_flat_scratch 0
		.amdhsa_float_round_mode_32 0
		.amdhsa_float_round_mode_16_64 0
		.amdhsa_float_denorm_mode_32 3
		.amdhsa_float_denorm_mode_16_64 3
		.amdhsa_dx10_clamp 1
		.amdhsa_ieee_mode 1
		.amdhsa_fp16_overflow 0
		.amdhsa_exception_fp_ieee_invalid_op 0
		.amdhsa_exception_fp_denorm_src 0
		.amdhsa_exception_fp_ieee_div_zero 0
		.amdhsa_exception_fp_ieee_overflow 0
		.amdhsa_exception_fp_ieee_underflow 0
		.amdhsa_exception_fp_ieee_inexact 0
		.amdhsa_exception_int_div_zero 0
	.end_amdhsa_kernel
	.section	.text._ZN7rocprim17ROCPRIM_400000_NS6detail17trampoline_kernelINS0_14default_configENS1_22reduce_config_selectorIlEEZNS1_11reduce_implILb1ES3_N6thrust23THRUST_200600_302600_NS11hip_rocprim26transform_input_iterator_tIlNS8_12zip_iteratorINS8_5tupleINS8_6detail15normal_iteratorINS8_10device_ptrIjEEEESH_NS8_9null_typeESI_SI_SI_SI_SI_SI_SI_EEEENS9_21zip_adj_not_predicateI22is_equal_div_10_uniqueIjEEEEEPllNS8_4plusIlEEEE10hipError_tPvRmT1_T2_T3_mT4_P12ihipStream_tbEUlT_E0_NS1_11comp_targetILNS1_3genE8ELNS1_11target_archE1030ELNS1_3gpuE2ELNS1_3repE0EEENS1_30default_config_static_selectorELNS0_4arch9wavefront6targetE1EEEvSW_,"axG",@progbits,_ZN7rocprim17ROCPRIM_400000_NS6detail17trampoline_kernelINS0_14default_configENS1_22reduce_config_selectorIlEEZNS1_11reduce_implILb1ES3_N6thrust23THRUST_200600_302600_NS11hip_rocprim26transform_input_iterator_tIlNS8_12zip_iteratorINS8_5tupleINS8_6detail15normal_iteratorINS8_10device_ptrIjEEEESH_NS8_9null_typeESI_SI_SI_SI_SI_SI_SI_EEEENS9_21zip_adj_not_predicateI22is_equal_div_10_uniqueIjEEEEEPllNS8_4plusIlEEEE10hipError_tPvRmT1_T2_T3_mT4_P12ihipStream_tbEUlT_E0_NS1_11comp_targetILNS1_3genE8ELNS1_11target_archE1030ELNS1_3gpuE2ELNS1_3repE0EEENS1_30default_config_static_selectorELNS0_4arch9wavefront6targetE1EEEvSW_,comdat
.Lfunc_end877:
	.size	_ZN7rocprim17ROCPRIM_400000_NS6detail17trampoline_kernelINS0_14default_configENS1_22reduce_config_selectorIlEEZNS1_11reduce_implILb1ES3_N6thrust23THRUST_200600_302600_NS11hip_rocprim26transform_input_iterator_tIlNS8_12zip_iteratorINS8_5tupleINS8_6detail15normal_iteratorINS8_10device_ptrIjEEEESH_NS8_9null_typeESI_SI_SI_SI_SI_SI_SI_EEEENS9_21zip_adj_not_predicateI22is_equal_div_10_uniqueIjEEEEEPllNS8_4plusIlEEEE10hipError_tPvRmT1_T2_T3_mT4_P12ihipStream_tbEUlT_E0_NS1_11comp_targetILNS1_3genE8ELNS1_11target_archE1030ELNS1_3gpuE2ELNS1_3repE0EEENS1_30default_config_static_selectorELNS0_4arch9wavefront6targetE1EEEvSW_, .Lfunc_end877-_ZN7rocprim17ROCPRIM_400000_NS6detail17trampoline_kernelINS0_14default_configENS1_22reduce_config_selectorIlEEZNS1_11reduce_implILb1ES3_N6thrust23THRUST_200600_302600_NS11hip_rocprim26transform_input_iterator_tIlNS8_12zip_iteratorINS8_5tupleINS8_6detail15normal_iteratorINS8_10device_ptrIjEEEESH_NS8_9null_typeESI_SI_SI_SI_SI_SI_SI_EEEENS9_21zip_adj_not_predicateI22is_equal_div_10_uniqueIjEEEEEPllNS8_4plusIlEEEE10hipError_tPvRmT1_T2_T3_mT4_P12ihipStream_tbEUlT_E0_NS1_11comp_targetILNS1_3genE8ELNS1_11target_archE1030ELNS1_3gpuE2ELNS1_3repE0EEENS1_30default_config_static_selectorELNS0_4arch9wavefront6targetE1EEEvSW_
                                        ; -- End function
	.set _ZN7rocprim17ROCPRIM_400000_NS6detail17trampoline_kernelINS0_14default_configENS1_22reduce_config_selectorIlEEZNS1_11reduce_implILb1ES3_N6thrust23THRUST_200600_302600_NS11hip_rocprim26transform_input_iterator_tIlNS8_12zip_iteratorINS8_5tupleINS8_6detail15normal_iteratorINS8_10device_ptrIjEEEESH_NS8_9null_typeESI_SI_SI_SI_SI_SI_SI_EEEENS9_21zip_adj_not_predicateI22is_equal_div_10_uniqueIjEEEEEPllNS8_4plusIlEEEE10hipError_tPvRmT1_T2_T3_mT4_P12ihipStream_tbEUlT_E0_NS1_11comp_targetILNS1_3genE8ELNS1_11target_archE1030ELNS1_3gpuE2ELNS1_3repE0EEENS1_30default_config_static_selectorELNS0_4arch9wavefront6targetE1EEEvSW_.num_vgpr, 0
	.set _ZN7rocprim17ROCPRIM_400000_NS6detail17trampoline_kernelINS0_14default_configENS1_22reduce_config_selectorIlEEZNS1_11reduce_implILb1ES3_N6thrust23THRUST_200600_302600_NS11hip_rocprim26transform_input_iterator_tIlNS8_12zip_iteratorINS8_5tupleINS8_6detail15normal_iteratorINS8_10device_ptrIjEEEESH_NS8_9null_typeESI_SI_SI_SI_SI_SI_SI_EEEENS9_21zip_adj_not_predicateI22is_equal_div_10_uniqueIjEEEEEPllNS8_4plusIlEEEE10hipError_tPvRmT1_T2_T3_mT4_P12ihipStream_tbEUlT_E0_NS1_11comp_targetILNS1_3genE8ELNS1_11target_archE1030ELNS1_3gpuE2ELNS1_3repE0EEENS1_30default_config_static_selectorELNS0_4arch9wavefront6targetE1EEEvSW_.num_agpr, 0
	.set _ZN7rocprim17ROCPRIM_400000_NS6detail17trampoline_kernelINS0_14default_configENS1_22reduce_config_selectorIlEEZNS1_11reduce_implILb1ES3_N6thrust23THRUST_200600_302600_NS11hip_rocprim26transform_input_iterator_tIlNS8_12zip_iteratorINS8_5tupleINS8_6detail15normal_iteratorINS8_10device_ptrIjEEEESH_NS8_9null_typeESI_SI_SI_SI_SI_SI_SI_EEEENS9_21zip_adj_not_predicateI22is_equal_div_10_uniqueIjEEEEEPllNS8_4plusIlEEEE10hipError_tPvRmT1_T2_T3_mT4_P12ihipStream_tbEUlT_E0_NS1_11comp_targetILNS1_3genE8ELNS1_11target_archE1030ELNS1_3gpuE2ELNS1_3repE0EEENS1_30default_config_static_selectorELNS0_4arch9wavefront6targetE1EEEvSW_.numbered_sgpr, 0
	.set _ZN7rocprim17ROCPRIM_400000_NS6detail17trampoline_kernelINS0_14default_configENS1_22reduce_config_selectorIlEEZNS1_11reduce_implILb1ES3_N6thrust23THRUST_200600_302600_NS11hip_rocprim26transform_input_iterator_tIlNS8_12zip_iteratorINS8_5tupleINS8_6detail15normal_iteratorINS8_10device_ptrIjEEEESH_NS8_9null_typeESI_SI_SI_SI_SI_SI_SI_EEEENS9_21zip_adj_not_predicateI22is_equal_div_10_uniqueIjEEEEEPllNS8_4plusIlEEEE10hipError_tPvRmT1_T2_T3_mT4_P12ihipStream_tbEUlT_E0_NS1_11comp_targetILNS1_3genE8ELNS1_11target_archE1030ELNS1_3gpuE2ELNS1_3repE0EEENS1_30default_config_static_selectorELNS0_4arch9wavefront6targetE1EEEvSW_.num_named_barrier, 0
	.set _ZN7rocprim17ROCPRIM_400000_NS6detail17trampoline_kernelINS0_14default_configENS1_22reduce_config_selectorIlEEZNS1_11reduce_implILb1ES3_N6thrust23THRUST_200600_302600_NS11hip_rocprim26transform_input_iterator_tIlNS8_12zip_iteratorINS8_5tupleINS8_6detail15normal_iteratorINS8_10device_ptrIjEEEESH_NS8_9null_typeESI_SI_SI_SI_SI_SI_SI_EEEENS9_21zip_adj_not_predicateI22is_equal_div_10_uniqueIjEEEEEPllNS8_4plusIlEEEE10hipError_tPvRmT1_T2_T3_mT4_P12ihipStream_tbEUlT_E0_NS1_11comp_targetILNS1_3genE8ELNS1_11target_archE1030ELNS1_3gpuE2ELNS1_3repE0EEENS1_30default_config_static_selectorELNS0_4arch9wavefront6targetE1EEEvSW_.private_seg_size, 0
	.set _ZN7rocprim17ROCPRIM_400000_NS6detail17trampoline_kernelINS0_14default_configENS1_22reduce_config_selectorIlEEZNS1_11reduce_implILb1ES3_N6thrust23THRUST_200600_302600_NS11hip_rocprim26transform_input_iterator_tIlNS8_12zip_iteratorINS8_5tupleINS8_6detail15normal_iteratorINS8_10device_ptrIjEEEESH_NS8_9null_typeESI_SI_SI_SI_SI_SI_SI_EEEENS9_21zip_adj_not_predicateI22is_equal_div_10_uniqueIjEEEEEPllNS8_4plusIlEEEE10hipError_tPvRmT1_T2_T3_mT4_P12ihipStream_tbEUlT_E0_NS1_11comp_targetILNS1_3genE8ELNS1_11target_archE1030ELNS1_3gpuE2ELNS1_3repE0EEENS1_30default_config_static_selectorELNS0_4arch9wavefront6targetE1EEEvSW_.uses_vcc, 0
	.set _ZN7rocprim17ROCPRIM_400000_NS6detail17trampoline_kernelINS0_14default_configENS1_22reduce_config_selectorIlEEZNS1_11reduce_implILb1ES3_N6thrust23THRUST_200600_302600_NS11hip_rocprim26transform_input_iterator_tIlNS8_12zip_iteratorINS8_5tupleINS8_6detail15normal_iteratorINS8_10device_ptrIjEEEESH_NS8_9null_typeESI_SI_SI_SI_SI_SI_SI_EEEENS9_21zip_adj_not_predicateI22is_equal_div_10_uniqueIjEEEEEPllNS8_4plusIlEEEE10hipError_tPvRmT1_T2_T3_mT4_P12ihipStream_tbEUlT_E0_NS1_11comp_targetILNS1_3genE8ELNS1_11target_archE1030ELNS1_3gpuE2ELNS1_3repE0EEENS1_30default_config_static_selectorELNS0_4arch9wavefront6targetE1EEEvSW_.uses_flat_scratch, 0
	.set _ZN7rocprim17ROCPRIM_400000_NS6detail17trampoline_kernelINS0_14default_configENS1_22reduce_config_selectorIlEEZNS1_11reduce_implILb1ES3_N6thrust23THRUST_200600_302600_NS11hip_rocprim26transform_input_iterator_tIlNS8_12zip_iteratorINS8_5tupleINS8_6detail15normal_iteratorINS8_10device_ptrIjEEEESH_NS8_9null_typeESI_SI_SI_SI_SI_SI_SI_EEEENS9_21zip_adj_not_predicateI22is_equal_div_10_uniqueIjEEEEEPllNS8_4plusIlEEEE10hipError_tPvRmT1_T2_T3_mT4_P12ihipStream_tbEUlT_E0_NS1_11comp_targetILNS1_3genE8ELNS1_11target_archE1030ELNS1_3gpuE2ELNS1_3repE0EEENS1_30default_config_static_selectorELNS0_4arch9wavefront6targetE1EEEvSW_.has_dyn_sized_stack, 0
	.set _ZN7rocprim17ROCPRIM_400000_NS6detail17trampoline_kernelINS0_14default_configENS1_22reduce_config_selectorIlEEZNS1_11reduce_implILb1ES3_N6thrust23THRUST_200600_302600_NS11hip_rocprim26transform_input_iterator_tIlNS8_12zip_iteratorINS8_5tupleINS8_6detail15normal_iteratorINS8_10device_ptrIjEEEESH_NS8_9null_typeESI_SI_SI_SI_SI_SI_SI_EEEENS9_21zip_adj_not_predicateI22is_equal_div_10_uniqueIjEEEEEPllNS8_4plusIlEEEE10hipError_tPvRmT1_T2_T3_mT4_P12ihipStream_tbEUlT_E0_NS1_11comp_targetILNS1_3genE8ELNS1_11target_archE1030ELNS1_3gpuE2ELNS1_3repE0EEENS1_30default_config_static_selectorELNS0_4arch9wavefront6targetE1EEEvSW_.has_recursion, 0
	.set _ZN7rocprim17ROCPRIM_400000_NS6detail17trampoline_kernelINS0_14default_configENS1_22reduce_config_selectorIlEEZNS1_11reduce_implILb1ES3_N6thrust23THRUST_200600_302600_NS11hip_rocprim26transform_input_iterator_tIlNS8_12zip_iteratorINS8_5tupleINS8_6detail15normal_iteratorINS8_10device_ptrIjEEEESH_NS8_9null_typeESI_SI_SI_SI_SI_SI_SI_EEEENS9_21zip_adj_not_predicateI22is_equal_div_10_uniqueIjEEEEEPllNS8_4plusIlEEEE10hipError_tPvRmT1_T2_T3_mT4_P12ihipStream_tbEUlT_E0_NS1_11comp_targetILNS1_3genE8ELNS1_11target_archE1030ELNS1_3gpuE2ELNS1_3repE0EEENS1_30default_config_static_selectorELNS0_4arch9wavefront6targetE1EEEvSW_.has_indirect_call, 0
	.section	.AMDGPU.csdata,"",@progbits
; Kernel info:
; codeLenInByte = 0
; TotalNumSgprs: 4
; NumVgprs: 0
; ScratchSize: 0
; MemoryBound: 0
; FloatMode: 240
; IeeeMode: 1
; LDSByteSize: 0 bytes/workgroup (compile time only)
; SGPRBlocks: 0
; VGPRBlocks: 0
; NumSGPRsForWavesPerEU: 4
; NumVGPRsForWavesPerEU: 1
; Occupancy: 10
; WaveLimiterHint : 0
; COMPUTE_PGM_RSRC2:SCRATCH_EN: 0
; COMPUTE_PGM_RSRC2:USER_SGPR: 6
; COMPUTE_PGM_RSRC2:TRAP_HANDLER: 0
; COMPUTE_PGM_RSRC2:TGID_X_EN: 1
; COMPUTE_PGM_RSRC2:TGID_Y_EN: 0
; COMPUTE_PGM_RSRC2:TGID_Z_EN: 0
; COMPUTE_PGM_RSRC2:TIDIG_COMP_CNT: 0
	.section	.text._ZN7rocprim17ROCPRIM_400000_NS6detail17trampoline_kernelINS0_14default_configENS1_22reduce_config_selectorIlEEZNS1_11reduce_implILb1ES3_N6thrust23THRUST_200600_302600_NS11hip_rocprim26transform_input_iterator_tIlNS8_12zip_iteratorINS8_5tupleINS8_6detail15normal_iteratorINS8_10device_ptrIjEEEESH_NS8_9null_typeESI_SI_SI_SI_SI_SI_SI_EEEENS9_21zip_adj_not_predicateI22is_equal_div_10_uniqueIjEEEEEPllNS8_4plusIlEEEE10hipError_tPvRmT1_T2_T3_mT4_P12ihipStream_tbEUlT_E1_NS1_11comp_targetILNS1_3genE0ELNS1_11target_archE4294967295ELNS1_3gpuE0ELNS1_3repE0EEENS1_30default_config_static_selectorELNS0_4arch9wavefront6targetE1EEEvSW_,"axG",@progbits,_ZN7rocprim17ROCPRIM_400000_NS6detail17trampoline_kernelINS0_14default_configENS1_22reduce_config_selectorIlEEZNS1_11reduce_implILb1ES3_N6thrust23THRUST_200600_302600_NS11hip_rocprim26transform_input_iterator_tIlNS8_12zip_iteratorINS8_5tupleINS8_6detail15normal_iteratorINS8_10device_ptrIjEEEESH_NS8_9null_typeESI_SI_SI_SI_SI_SI_SI_EEEENS9_21zip_adj_not_predicateI22is_equal_div_10_uniqueIjEEEEEPllNS8_4plusIlEEEE10hipError_tPvRmT1_T2_T3_mT4_P12ihipStream_tbEUlT_E1_NS1_11comp_targetILNS1_3genE0ELNS1_11target_archE4294967295ELNS1_3gpuE0ELNS1_3repE0EEENS1_30default_config_static_selectorELNS0_4arch9wavefront6targetE1EEEvSW_,comdat
	.protected	_ZN7rocprim17ROCPRIM_400000_NS6detail17trampoline_kernelINS0_14default_configENS1_22reduce_config_selectorIlEEZNS1_11reduce_implILb1ES3_N6thrust23THRUST_200600_302600_NS11hip_rocprim26transform_input_iterator_tIlNS8_12zip_iteratorINS8_5tupleINS8_6detail15normal_iteratorINS8_10device_ptrIjEEEESH_NS8_9null_typeESI_SI_SI_SI_SI_SI_SI_EEEENS9_21zip_adj_not_predicateI22is_equal_div_10_uniqueIjEEEEEPllNS8_4plusIlEEEE10hipError_tPvRmT1_T2_T3_mT4_P12ihipStream_tbEUlT_E1_NS1_11comp_targetILNS1_3genE0ELNS1_11target_archE4294967295ELNS1_3gpuE0ELNS1_3repE0EEENS1_30default_config_static_selectorELNS0_4arch9wavefront6targetE1EEEvSW_ ; -- Begin function _ZN7rocprim17ROCPRIM_400000_NS6detail17trampoline_kernelINS0_14default_configENS1_22reduce_config_selectorIlEEZNS1_11reduce_implILb1ES3_N6thrust23THRUST_200600_302600_NS11hip_rocprim26transform_input_iterator_tIlNS8_12zip_iteratorINS8_5tupleINS8_6detail15normal_iteratorINS8_10device_ptrIjEEEESH_NS8_9null_typeESI_SI_SI_SI_SI_SI_SI_EEEENS9_21zip_adj_not_predicateI22is_equal_div_10_uniqueIjEEEEEPllNS8_4plusIlEEEE10hipError_tPvRmT1_T2_T3_mT4_P12ihipStream_tbEUlT_E1_NS1_11comp_targetILNS1_3genE0ELNS1_11target_archE4294967295ELNS1_3gpuE0ELNS1_3repE0EEENS1_30default_config_static_selectorELNS0_4arch9wavefront6targetE1EEEvSW_
	.globl	_ZN7rocprim17ROCPRIM_400000_NS6detail17trampoline_kernelINS0_14default_configENS1_22reduce_config_selectorIlEEZNS1_11reduce_implILb1ES3_N6thrust23THRUST_200600_302600_NS11hip_rocprim26transform_input_iterator_tIlNS8_12zip_iteratorINS8_5tupleINS8_6detail15normal_iteratorINS8_10device_ptrIjEEEESH_NS8_9null_typeESI_SI_SI_SI_SI_SI_SI_EEEENS9_21zip_adj_not_predicateI22is_equal_div_10_uniqueIjEEEEEPllNS8_4plusIlEEEE10hipError_tPvRmT1_T2_T3_mT4_P12ihipStream_tbEUlT_E1_NS1_11comp_targetILNS1_3genE0ELNS1_11target_archE4294967295ELNS1_3gpuE0ELNS1_3repE0EEENS1_30default_config_static_selectorELNS0_4arch9wavefront6targetE1EEEvSW_
	.p2align	8
	.type	_ZN7rocprim17ROCPRIM_400000_NS6detail17trampoline_kernelINS0_14default_configENS1_22reduce_config_selectorIlEEZNS1_11reduce_implILb1ES3_N6thrust23THRUST_200600_302600_NS11hip_rocprim26transform_input_iterator_tIlNS8_12zip_iteratorINS8_5tupleINS8_6detail15normal_iteratorINS8_10device_ptrIjEEEESH_NS8_9null_typeESI_SI_SI_SI_SI_SI_SI_EEEENS9_21zip_adj_not_predicateI22is_equal_div_10_uniqueIjEEEEEPllNS8_4plusIlEEEE10hipError_tPvRmT1_T2_T3_mT4_P12ihipStream_tbEUlT_E1_NS1_11comp_targetILNS1_3genE0ELNS1_11target_archE4294967295ELNS1_3gpuE0ELNS1_3repE0EEENS1_30default_config_static_selectorELNS0_4arch9wavefront6targetE1EEEvSW_,@function
_ZN7rocprim17ROCPRIM_400000_NS6detail17trampoline_kernelINS0_14default_configENS1_22reduce_config_selectorIlEEZNS1_11reduce_implILb1ES3_N6thrust23THRUST_200600_302600_NS11hip_rocprim26transform_input_iterator_tIlNS8_12zip_iteratorINS8_5tupleINS8_6detail15normal_iteratorINS8_10device_ptrIjEEEESH_NS8_9null_typeESI_SI_SI_SI_SI_SI_SI_EEEENS9_21zip_adj_not_predicateI22is_equal_div_10_uniqueIjEEEEEPllNS8_4plusIlEEEE10hipError_tPvRmT1_T2_T3_mT4_P12ihipStream_tbEUlT_E1_NS1_11comp_targetILNS1_3genE0ELNS1_11target_archE4294967295ELNS1_3gpuE0ELNS1_3repE0EEENS1_30default_config_static_selectorELNS0_4arch9wavefront6targetE1EEEvSW_: ; @_ZN7rocprim17ROCPRIM_400000_NS6detail17trampoline_kernelINS0_14default_configENS1_22reduce_config_selectorIlEEZNS1_11reduce_implILb1ES3_N6thrust23THRUST_200600_302600_NS11hip_rocprim26transform_input_iterator_tIlNS8_12zip_iteratorINS8_5tupleINS8_6detail15normal_iteratorINS8_10device_ptrIjEEEESH_NS8_9null_typeESI_SI_SI_SI_SI_SI_SI_EEEENS9_21zip_adj_not_predicateI22is_equal_div_10_uniqueIjEEEEEPllNS8_4plusIlEEEE10hipError_tPvRmT1_T2_T3_mT4_P12ihipStream_tbEUlT_E1_NS1_11comp_targetILNS1_3genE0ELNS1_11target_archE4294967295ELNS1_3gpuE0ELNS1_3repE0EEENS1_30default_config_static_selectorELNS0_4arch9wavefront6targetE1EEEvSW_
; %bb.0:
	.section	.rodata,"a",@progbits
	.p2align	6, 0x0
	.amdhsa_kernel _ZN7rocprim17ROCPRIM_400000_NS6detail17trampoline_kernelINS0_14default_configENS1_22reduce_config_selectorIlEEZNS1_11reduce_implILb1ES3_N6thrust23THRUST_200600_302600_NS11hip_rocprim26transform_input_iterator_tIlNS8_12zip_iteratorINS8_5tupleINS8_6detail15normal_iteratorINS8_10device_ptrIjEEEESH_NS8_9null_typeESI_SI_SI_SI_SI_SI_SI_EEEENS9_21zip_adj_not_predicateI22is_equal_div_10_uniqueIjEEEEEPllNS8_4plusIlEEEE10hipError_tPvRmT1_T2_T3_mT4_P12ihipStream_tbEUlT_E1_NS1_11comp_targetILNS1_3genE0ELNS1_11target_archE4294967295ELNS1_3gpuE0ELNS1_3repE0EEENS1_30default_config_static_selectorELNS0_4arch9wavefront6targetE1EEEvSW_
		.amdhsa_group_segment_fixed_size 0
		.amdhsa_private_segment_fixed_size 0
		.amdhsa_kernarg_size 64
		.amdhsa_user_sgpr_count 6
		.amdhsa_user_sgpr_private_segment_buffer 1
		.amdhsa_user_sgpr_dispatch_ptr 0
		.amdhsa_user_sgpr_queue_ptr 0
		.amdhsa_user_sgpr_kernarg_segment_ptr 1
		.amdhsa_user_sgpr_dispatch_id 0
		.amdhsa_user_sgpr_flat_scratch_init 0
		.amdhsa_user_sgpr_private_segment_size 0
		.amdhsa_uses_dynamic_stack 0
		.amdhsa_system_sgpr_private_segment_wavefront_offset 0
		.amdhsa_system_sgpr_workgroup_id_x 1
		.amdhsa_system_sgpr_workgroup_id_y 0
		.amdhsa_system_sgpr_workgroup_id_z 0
		.amdhsa_system_sgpr_workgroup_info 0
		.amdhsa_system_vgpr_workitem_id 0
		.amdhsa_next_free_vgpr 1
		.amdhsa_next_free_sgpr 0
		.amdhsa_reserve_vcc 0
		.amdhsa_reserve_flat_scratch 0
		.amdhsa_float_round_mode_32 0
		.amdhsa_float_round_mode_16_64 0
		.amdhsa_float_denorm_mode_32 3
		.amdhsa_float_denorm_mode_16_64 3
		.amdhsa_dx10_clamp 1
		.amdhsa_ieee_mode 1
		.amdhsa_fp16_overflow 0
		.amdhsa_exception_fp_ieee_invalid_op 0
		.amdhsa_exception_fp_denorm_src 0
		.amdhsa_exception_fp_ieee_div_zero 0
		.amdhsa_exception_fp_ieee_overflow 0
		.amdhsa_exception_fp_ieee_underflow 0
		.amdhsa_exception_fp_ieee_inexact 0
		.amdhsa_exception_int_div_zero 0
	.end_amdhsa_kernel
	.section	.text._ZN7rocprim17ROCPRIM_400000_NS6detail17trampoline_kernelINS0_14default_configENS1_22reduce_config_selectorIlEEZNS1_11reduce_implILb1ES3_N6thrust23THRUST_200600_302600_NS11hip_rocprim26transform_input_iterator_tIlNS8_12zip_iteratorINS8_5tupleINS8_6detail15normal_iteratorINS8_10device_ptrIjEEEESH_NS8_9null_typeESI_SI_SI_SI_SI_SI_SI_EEEENS9_21zip_adj_not_predicateI22is_equal_div_10_uniqueIjEEEEEPllNS8_4plusIlEEEE10hipError_tPvRmT1_T2_T3_mT4_P12ihipStream_tbEUlT_E1_NS1_11comp_targetILNS1_3genE0ELNS1_11target_archE4294967295ELNS1_3gpuE0ELNS1_3repE0EEENS1_30default_config_static_selectorELNS0_4arch9wavefront6targetE1EEEvSW_,"axG",@progbits,_ZN7rocprim17ROCPRIM_400000_NS6detail17trampoline_kernelINS0_14default_configENS1_22reduce_config_selectorIlEEZNS1_11reduce_implILb1ES3_N6thrust23THRUST_200600_302600_NS11hip_rocprim26transform_input_iterator_tIlNS8_12zip_iteratorINS8_5tupleINS8_6detail15normal_iteratorINS8_10device_ptrIjEEEESH_NS8_9null_typeESI_SI_SI_SI_SI_SI_SI_EEEENS9_21zip_adj_not_predicateI22is_equal_div_10_uniqueIjEEEEEPllNS8_4plusIlEEEE10hipError_tPvRmT1_T2_T3_mT4_P12ihipStream_tbEUlT_E1_NS1_11comp_targetILNS1_3genE0ELNS1_11target_archE4294967295ELNS1_3gpuE0ELNS1_3repE0EEENS1_30default_config_static_selectorELNS0_4arch9wavefront6targetE1EEEvSW_,comdat
.Lfunc_end878:
	.size	_ZN7rocprim17ROCPRIM_400000_NS6detail17trampoline_kernelINS0_14default_configENS1_22reduce_config_selectorIlEEZNS1_11reduce_implILb1ES3_N6thrust23THRUST_200600_302600_NS11hip_rocprim26transform_input_iterator_tIlNS8_12zip_iteratorINS8_5tupleINS8_6detail15normal_iteratorINS8_10device_ptrIjEEEESH_NS8_9null_typeESI_SI_SI_SI_SI_SI_SI_EEEENS9_21zip_adj_not_predicateI22is_equal_div_10_uniqueIjEEEEEPllNS8_4plusIlEEEE10hipError_tPvRmT1_T2_T3_mT4_P12ihipStream_tbEUlT_E1_NS1_11comp_targetILNS1_3genE0ELNS1_11target_archE4294967295ELNS1_3gpuE0ELNS1_3repE0EEENS1_30default_config_static_selectorELNS0_4arch9wavefront6targetE1EEEvSW_, .Lfunc_end878-_ZN7rocprim17ROCPRIM_400000_NS6detail17trampoline_kernelINS0_14default_configENS1_22reduce_config_selectorIlEEZNS1_11reduce_implILb1ES3_N6thrust23THRUST_200600_302600_NS11hip_rocprim26transform_input_iterator_tIlNS8_12zip_iteratorINS8_5tupleINS8_6detail15normal_iteratorINS8_10device_ptrIjEEEESH_NS8_9null_typeESI_SI_SI_SI_SI_SI_SI_EEEENS9_21zip_adj_not_predicateI22is_equal_div_10_uniqueIjEEEEEPllNS8_4plusIlEEEE10hipError_tPvRmT1_T2_T3_mT4_P12ihipStream_tbEUlT_E1_NS1_11comp_targetILNS1_3genE0ELNS1_11target_archE4294967295ELNS1_3gpuE0ELNS1_3repE0EEENS1_30default_config_static_selectorELNS0_4arch9wavefront6targetE1EEEvSW_
                                        ; -- End function
	.set _ZN7rocprim17ROCPRIM_400000_NS6detail17trampoline_kernelINS0_14default_configENS1_22reduce_config_selectorIlEEZNS1_11reduce_implILb1ES3_N6thrust23THRUST_200600_302600_NS11hip_rocprim26transform_input_iterator_tIlNS8_12zip_iteratorINS8_5tupleINS8_6detail15normal_iteratorINS8_10device_ptrIjEEEESH_NS8_9null_typeESI_SI_SI_SI_SI_SI_SI_EEEENS9_21zip_adj_not_predicateI22is_equal_div_10_uniqueIjEEEEEPllNS8_4plusIlEEEE10hipError_tPvRmT1_T2_T3_mT4_P12ihipStream_tbEUlT_E1_NS1_11comp_targetILNS1_3genE0ELNS1_11target_archE4294967295ELNS1_3gpuE0ELNS1_3repE0EEENS1_30default_config_static_selectorELNS0_4arch9wavefront6targetE1EEEvSW_.num_vgpr, 0
	.set _ZN7rocprim17ROCPRIM_400000_NS6detail17trampoline_kernelINS0_14default_configENS1_22reduce_config_selectorIlEEZNS1_11reduce_implILb1ES3_N6thrust23THRUST_200600_302600_NS11hip_rocprim26transform_input_iterator_tIlNS8_12zip_iteratorINS8_5tupleINS8_6detail15normal_iteratorINS8_10device_ptrIjEEEESH_NS8_9null_typeESI_SI_SI_SI_SI_SI_SI_EEEENS9_21zip_adj_not_predicateI22is_equal_div_10_uniqueIjEEEEEPllNS8_4plusIlEEEE10hipError_tPvRmT1_T2_T3_mT4_P12ihipStream_tbEUlT_E1_NS1_11comp_targetILNS1_3genE0ELNS1_11target_archE4294967295ELNS1_3gpuE0ELNS1_3repE0EEENS1_30default_config_static_selectorELNS0_4arch9wavefront6targetE1EEEvSW_.num_agpr, 0
	.set _ZN7rocprim17ROCPRIM_400000_NS6detail17trampoline_kernelINS0_14default_configENS1_22reduce_config_selectorIlEEZNS1_11reduce_implILb1ES3_N6thrust23THRUST_200600_302600_NS11hip_rocprim26transform_input_iterator_tIlNS8_12zip_iteratorINS8_5tupleINS8_6detail15normal_iteratorINS8_10device_ptrIjEEEESH_NS8_9null_typeESI_SI_SI_SI_SI_SI_SI_EEEENS9_21zip_adj_not_predicateI22is_equal_div_10_uniqueIjEEEEEPllNS8_4plusIlEEEE10hipError_tPvRmT1_T2_T3_mT4_P12ihipStream_tbEUlT_E1_NS1_11comp_targetILNS1_3genE0ELNS1_11target_archE4294967295ELNS1_3gpuE0ELNS1_3repE0EEENS1_30default_config_static_selectorELNS0_4arch9wavefront6targetE1EEEvSW_.numbered_sgpr, 0
	.set _ZN7rocprim17ROCPRIM_400000_NS6detail17trampoline_kernelINS0_14default_configENS1_22reduce_config_selectorIlEEZNS1_11reduce_implILb1ES3_N6thrust23THRUST_200600_302600_NS11hip_rocprim26transform_input_iterator_tIlNS8_12zip_iteratorINS8_5tupleINS8_6detail15normal_iteratorINS8_10device_ptrIjEEEESH_NS8_9null_typeESI_SI_SI_SI_SI_SI_SI_EEEENS9_21zip_adj_not_predicateI22is_equal_div_10_uniqueIjEEEEEPllNS8_4plusIlEEEE10hipError_tPvRmT1_T2_T3_mT4_P12ihipStream_tbEUlT_E1_NS1_11comp_targetILNS1_3genE0ELNS1_11target_archE4294967295ELNS1_3gpuE0ELNS1_3repE0EEENS1_30default_config_static_selectorELNS0_4arch9wavefront6targetE1EEEvSW_.num_named_barrier, 0
	.set _ZN7rocprim17ROCPRIM_400000_NS6detail17trampoline_kernelINS0_14default_configENS1_22reduce_config_selectorIlEEZNS1_11reduce_implILb1ES3_N6thrust23THRUST_200600_302600_NS11hip_rocprim26transform_input_iterator_tIlNS8_12zip_iteratorINS8_5tupleINS8_6detail15normal_iteratorINS8_10device_ptrIjEEEESH_NS8_9null_typeESI_SI_SI_SI_SI_SI_SI_EEEENS9_21zip_adj_not_predicateI22is_equal_div_10_uniqueIjEEEEEPllNS8_4plusIlEEEE10hipError_tPvRmT1_T2_T3_mT4_P12ihipStream_tbEUlT_E1_NS1_11comp_targetILNS1_3genE0ELNS1_11target_archE4294967295ELNS1_3gpuE0ELNS1_3repE0EEENS1_30default_config_static_selectorELNS0_4arch9wavefront6targetE1EEEvSW_.private_seg_size, 0
	.set _ZN7rocprim17ROCPRIM_400000_NS6detail17trampoline_kernelINS0_14default_configENS1_22reduce_config_selectorIlEEZNS1_11reduce_implILb1ES3_N6thrust23THRUST_200600_302600_NS11hip_rocprim26transform_input_iterator_tIlNS8_12zip_iteratorINS8_5tupleINS8_6detail15normal_iteratorINS8_10device_ptrIjEEEESH_NS8_9null_typeESI_SI_SI_SI_SI_SI_SI_EEEENS9_21zip_adj_not_predicateI22is_equal_div_10_uniqueIjEEEEEPllNS8_4plusIlEEEE10hipError_tPvRmT1_T2_T3_mT4_P12ihipStream_tbEUlT_E1_NS1_11comp_targetILNS1_3genE0ELNS1_11target_archE4294967295ELNS1_3gpuE0ELNS1_3repE0EEENS1_30default_config_static_selectorELNS0_4arch9wavefront6targetE1EEEvSW_.uses_vcc, 0
	.set _ZN7rocprim17ROCPRIM_400000_NS6detail17trampoline_kernelINS0_14default_configENS1_22reduce_config_selectorIlEEZNS1_11reduce_implILb1ES3_N6thrust23THRUST_200600_302600_NS11hip_rocprim26transform_input_iterator_tIlNS8_12zip_iteratorINS8_5tupleINS8_6detail15normal_iteratorINS8_10device_ptrIjEEEESH_NS8_9null_typeESI_SI_SI_SI_SI_SI_SI_EEEENS9_21zip_adj_not_predicateI22is_equal_div_10_uniqueIjEEEEEPllNS8_4plusIlEEEE10hipError_tPvRmT1_T2_T3_mT4_P12ihipStream_tbEUlT_E1_NS1_11comp_targetILNS1_3genE0ELNS1_11target_archE4294967295ELNS1_3gpuE0ELNS1_3repE0EEENS1_30default_config_static_selectorELNS0_4arch9wavefront6targetE1EEEvSW_.uses_flat_scratch, 0
	.set _ZN7rocprim17ROCPRIM_400000_NS6detail17trampoline_kernelINS0_14default_configENS1_22reduce_config_selectorIlEEZNS1_11reduce_implILb1ES3_N6thrust23THRUST_200600_302600_NS11hip_rocprim26transform_input_iterator_tIlNS8_12zip_iteratorINS8_5tupleINS8_6detail15normal_iteratorINS8_10device_ptrIjEEEESH_NS8_9null_typeESI_SI_SI_SI_SI_SI_SI_EEEENS9_21zip_adj_not_predicateI22is_equal_div_10_uniqueIjEEEEEPllNS8_4plusIlEEEE10hipError_tPvRmT1_T2_T3_mT4_P12ihipStream_tbEUlT_E1_NS1_11comp_targetILNS1_3genE0ELNS1_11target_archE4294967295ELNS1_3gpuE0ELNS1_3repE0EEENS1_30default_config_static_selectorELNS0_4arch9wavefront6targetE1EEEvSW_.has_dyn_sized_stack, 0
	.set _ZN7rocprim17ROCPRIM_400000_NS6detail17trampoline_kernelINS0_14default_configENS1_22reduce_config_selectorIlEEZNS1_11reduce_implILb1ES3_N6thrust23THRUST_200600_302600_NS11hip_rocprim26transform_input_iterator_tIlNS8_12zip_iteratorINS8_5tupleINS8_6detail15normal_iteratorINS8_10device_ptrIjEEEESH_NS8_9null_typeESI_SI_SI_SI_SI_SI_SI_EEEENS9_21zip_adj_not_predicateI22is_equal_div_10_uniqueIjEEEEEPllNS8_4plusIlEEEE10hipError_tPvRmT1_T2_T3_mT4_P12ihipStream_tbEUlT_E1_NS1_11comp_targetILNS1_3genE0ELNS1_11target_archE4294967295ELNS1_3gpuE0ELNS1_3repE0EEENS1_30default_config_static_selectorELNS0_4arch9wavefront6targetE1EEEvSW_.has_recursion, 0
	.set _ZN7rocprim17ROCPRIM_400000_NS6detail17trampoline_kernelINS0_14default_configENS1_22reduce_config_selectorIlEEZNS1_11reduce_implILb1ES3_N6thrust23THRUST_200600_302600_NS11hip_rocprim26transform_input_iterator_tIlNS8_12zip_iteratorINS8_5tupleINS8_6detail15normal_iteratorINS8_10device_ptrIjEEEESH_NS8_9null_typeESI_SI_SI_SI_SI_SI_SI_EEEENS9_21zip_adj_not_predicateI22is_equal_div_10_uniqueIjEEEEEPllNS8_4plusIlEEEE10hipError_tPvRmT1_T2_T3_mT4_P12ihipStream_tbEUlT_E1_NS1_11comp_targetILNS1_3genE0ELNS1_11target_archE4294967295ELNS1_3gpuE0ELNS1_3repE0EEENS1_30default_config_static_selectorELNS0_4arch9wavefront6targetE1EEEvSW_.has_indirect_call, 0
	.section	.AMDGPU.csdata,"",@progbits
; Kernel info:
; codeLenInByte = 0
; TotalNumSgprs: 4
; NumVgprs: 0
; ScratchSize: 0
; MemoryBound: 0
; FloatMode: 240
; IeeeMode: 1
; LDSByteSize: 0 bytes/workgroup (compile time only)
; SGPRBlocks: 0
; VGPRBlocks: 0
; NumSGPRsForWavesPerEU: 4
; NumVGPRsForWavesPerEU: 1
; Occupancy: 10
; WaveLimiterHint : 0
; COMPUTE_PGM_RSRC2:SCRATCH_EN: 0
; COMPUTE_PGM_RSRC2:USER_SGPR: 6
; COMPUTE_PGM_RSRC2:TRAP_HANDLER: 0
; COMPUTE_PGM_RSRC2:TGID_X_EN: 1
; COMPUTE_PGM_RSRC2:TGID_Y_EN: 0
; COMPUTE_PGM_RSRC2:TGID_Z_EN: 0
; COMPUTE_PGM_RSRC2:TIDIG_COMP_CNT: 0
	.section	.text._ZN7rocprim17ROCPRIM_400000_NS6detail17trampoline_kernelINS0_14default_configENS1_22reduce_config_selectorIlEEZNS1_11reduce_implILb1ES3_N6thrust23THRUST_200600_302600_NS11hip_rocprim26transform_input_iterator_tIlNS8_12zip_iteratorINS8_5tupleINS8_6detail15normal_iteratorINS8_10device_ptrIjEEEESH_NS8_9null_typeESI_SI_SI_SI_SI_SI_SI_EEEENS9_21zip_adj_not_predicateI22is_equal_div_10_uniqueIjEEEEEPllNS8_4plusIlEEEE10hipError_tPvRmT1_T2_T3_mT4_P12ihipStream_tbEUlT_E1_NS1_11comp_targetILNS1_3genE5ELNS1_11target_archE942ELNS1_3gpuE9ELNS1_3repE0EEENS1_30default_config_static_selectorELNS0_4arch9wavefront6targetE1EEEvSW_,"axG",@progbits,_ZN7rocprim17ROCPRIM_400000_NS6detail17trampoline_kernelINS0_14default_configENS1_22reduce_config_selectorIlEEZNS1_11reduce_implILb1ES3_N6thrust23THRUST_200600_302600_NS11hip_rocprim26transform_input_iterator_tIlNS8_12zip_iteratorINS8_5tupleINS8_6detail15normal_iteratorINS8_10device_ptrIjEEEESH_NS8_9null_typeESI_SI_SI_SI_SI_SI_SI_EEEENS9_21zip_adj_not_predicateI22is_equal_div_10_uniqueIjEEEEEPllNS8_4plusIlEEEE10hipError_tPvRmT1_T2_T3_mT4_P12ihipStream_tbEUlT_E1_NS1_11comp_targetILNS1_3genE5ELNS1_11target_archE942ELNS1_3gpuE9ELNS1_3repE0EEENS1_30default_config_static_selectorELNS0_4arch9wavefront6targetE1EEEvSW_,comdat
	.protected	_ZN7rocprim17ROCPRIM_400000_NS6detail17trampoline_kernelINS0_14default_configENS1_22reduce_config_selectorIlEEZNS1_11reduce_implILb1ES3_N6thrust23THRUST_200600_302600_NS11hip_rocprim26transform_input_iterator_tIlNS8_12zip_iteratorINS8_5tupleINS8_6detail15normal_iteratorINS8_10device_ptrIjEEEESH_NS8_9null_typeESI_SI_SI_SI_SI_SI_SI_EEEENS9_21zip_adj_not_predicateI22is_equal_div_10_uniqueIjEEEEEPllNS8_4plusIlEEEE10hipError_tPvRmT1_T2_T3_mT4_P12ihipStream_tbEUlT_E1_NS1_11comp_targetILNS1_3genE5ELNS1_11target_archE942ELNS1_3gpuE9ELNS1_3repE0EEENS1_30default_config_static_selectorELNS0_4arch9wavefront6targetE1EEEvSW_ ; -- Begin function _ZN7rocprim17ROCPRIM_400000_NS6detail17trampoline_kernelINS0_14default_configENS1_22reduce_config_selectorIlEEZNS1_11reduce_implILb1ES3_N6thrust23THRUST_200600_302600_NS11hip_rocprim26transform_input_iterator_tIlNS8_12zip_iteratorINS8_5tupleINS8_6detail15normal_iteratorINS8_10device_ptrIjEEEESH_NS8_9null_typeESI_SI_SI_SI_SI_SI_SI_EEEENS9_21zip_adj_not_predicateI22is_equal_div_10_uniqueIjEEEEEPllNS8_4plusIlEEEE10hipError_tPvRmT1_T2_T3_mT4_P12ihipStream_tbEUlT_E1_NS1_11comp_targetILNS1_3genE5ELNS1_11target_archE942ELNS1_3gpuE9ELNS1_3repE0EEENS1_30default_config_static_selectorELNS0_4arch9wavefront6targetE1EEEvSW_
	.globl	_ZN7rocprim17ROCPRIM_400000_NS6detail17trampoline_kernelINS0_14default_configENS1_22reduce_config_selectorIlEEZNS1_11reduce_implILb1ES3_N6thrust23THRUST_200600_302600_NS11hip_rocprim26transform_input_iterator_tIlNS8_12zip_iteratorINS8_5tupleINS8_6detail15normal_iteratorINS8_10device_ptrIjEEEESH_NS8_9null_typeESI_SI_SI_SI_SI_SI_SI_EEEENS9_21zip_adj_not_predicateI22is_equal_div_10_uniqueIjEEEEEPllNS8_4plusIlEEEE10hipError_tPvRmT1_T2_T3_mT4_P12ihipStream_tbEUlT_E1_NS1_11comp_targetILNS1_3genE5ELNS1_11target_archE942ELNS1_3gpuE9ELNS1_3repE0EEENS1_30default_config_static_selectorELNS0_4arch9wavefront6targetE1EEEvSW_
	.p2align	8
	.type	_ZN7rocprim17ROCPRIM_400000_NS6detail17trampoline_kernelINS0_14default_configENS1_22reduce_config_selectorIlEEZNS1_11reduce_implILb1ES3_N6thrust23THRUST_200600_302600_NS11hip_rocprim26transform_input_iterator_tIlNS8_12zip_iteratorINS8_5tupleINS8_6detail15normal_iteratorINS8_10device_ptrIjEEEESH_NS8_9null_typeESI_SI_SI_SI_SI_SI_SI_EEEENS9_21zip_adj_not_predicateI22is_equal_div_10_uniqueIjEEEEEPllNS8_4plusIlEEEE10hipError_tPvRmT1_T2_T3_mT4_P12ihipStream_tbEUlT_E1_NS1_11comp_targetILNS1_3genE5ELNS1_11target_archE942ELNS1_3gpuE9ELNS1_3repE0EEENS1_30default_config_static_selectorELNS0_4arch9wavefront6targetE1EEEvSW_,@function
_ZN7rocprim17ROCPRIM_400000_NS6detail17trampoline_kernelINS0_14default_configENS1_22reduce_config_selectorIlEEZNS1_11reduce_implILb1ES3_N6thrust23THRUST_200600_302600_NS11hip_rocprim26transform_input_iterator_tIlNS8_12zip_iteratorINS8_5tupleINS8_6detail15normal_iteratorINS8_10device_ptrIjEEEESH_NS8_9null_typeESI_SI_SI_SI_SI_SI_SI_EEEENS9_21zip_adj_not_predicateI22is_equal_div_10_uniqueIjEEEEEPllNS8_4plusIlEEEE10hipError_tPvRmT1_T2_T3_mT4_P12ihipStream_tbEUlT_E1_NS1_11comp_targetILNS1_3genE5ELNS1_11target_archE942ELNS1_3gpuE9ELNS1_3repE0EEENS1_30default_config_static_selectorELNS0_4arch9wavefront6targetE1EEEvSW_: ; @_ZN7rocprim17ROCPRIM_400000_NS6detail17trampoline_kernelINS0_14default_configENS1_22reduce_config_selectorIlEEZNS1_11reduce_implILb1ES3_N6thrust23THRUST_200600_302600_NS11hip_rocprim26transform_input_iterator_tIlNS8_12zip_iteratorINS8_5tupleINS8_6detail15normal_iteratorINS8_10device_ptrIjEEEESH_NS8_9null_typeESI_SI_SI_SI_SI_SI_SI_EEEENS9_21zip_adj_not_predicateI22is_equal_div_10_uniqueIjEEEEEPllNS8_4plusIlEEEE10hipError_tPvRmT1_T2_T3_mT4_P12ihipStream_tbEUlT_E1_NS1_11comp_targetILNS1_3genE5ELNS1_11target_archE942ELNS1_3gpuE9ELNS1_3repE0EEENS1_30default_config_static_selectorELNS0_4arch9wavefront6targetE1EEEvSW_
; %bb.0:
	.section	.rodata,"a",@progbits
	.p2align	6, 0x0
	.amdhsa_kernel _ZN7rocprim17ROCPRIM_400000_NS6detail17trampoline_kernelINS0_14default_configENS1_22reduce_config_selectorIlEEZNS1_11reduce_implILb1ES3_N6thrust23THRUST_200600_302600_NS11hip_rocprim26transform_input_iterator_tIlNS8_12zip_iteratorINS8_5tupleINS8_6detail15normal_iteratorINS8_10device_ptrIjEEEESH_NS8_9null_typeESI_SI_SI_SI_SI_SI_SI_EEEENS9_21zip_adj_not_predicateI22is_equal_div_10_uniqueIjEEEEEPllNS8_4plusIlEEEE10hipError_tPvRmT1_T2_T3_mT4_P12ihipStream_tbEUlT_E1_NS1_11comp_targetILNS1_3genE5ELNS1_11target_archE942ELNS1_3gpuE9ELNS1_3repE0EEENS1_30default_config_static_selectorELNS0_4arch9wavefront6targetE1EEEvSW_
		.amdhsa_group_segment_fixed_size 0
		.amdhsa_private_segment_fixed_size 0
		.amdhsa_kernarg_size 64
		.amdhsa_user_sgpr_count 6
		.amdhsa_user_sgpr_private_segment_buffer 1
		.amdhsa_user_sgpr_dispatch_ptr 0
		.amdhsa_user_sgpr_queue_ptr 0
		.amdhsa_user_sgpr_kernarg_segment_ptr 1
		.amdhsa_user_sgpr_dispatch_id 0
		.amdhsa_user_sgpr_flat_scratch_init 0
		.amdhsa_user_sgpr_private_segment_size 0
		.amdhsa_uses_dynamic_stack 0
		.amdhsa_system_sgpr_private_segment_wavefront_offset 0
		.amdhsa_system_sgpr_workgroup_id_x 1
		.amdhsa_system_sgpr_workgroup_id_y 0
		.amdhsa_system_sgpr_workgroup_id_z 0
		.amdhsa_system_sgpr_workgroup_info 0
		.amdhsa_system_vgpr_workitem_id 0
		.amdhsa_next_free_vgpr 1
		.amdhsa_next_free_sgpr 0
		.amdhsa_reserve_vcc 0
		.amdhsa_reserve_flat_scratch 0
		.amdhsa_float_round_mode_32 0
		.amdhsa_float_round_mode_16_64 0
		.amdhsa_float_denorm_mode_32 3
		.amdhsa_float_denorm_mode_16_64 3
		.amdhsa_dx10_clamp 1
		.amdhsa_ieee_mode 1
		.amdhsa_fp16_overflow 0
		.amdhsa_exception_fp_ieee_invalid_op 0
		.amdhsa_exception_fp_denorm_src 0
		.amdhsa_exception_fp_ieee_div_zero 0
		.amdhsa_exception_fp_ieee_overflow 0
		.amdhsa_exception_fp_ieee_underflow 0
		.amdhsa_exception_fp_ieee_inexact 0
		.amdhsa_exception_int_div_zero 0
	.end_amdhsa_kernel
	.section	.text._ZN7rocprim17ROCPRIM_400000_NS6detail17trampoline_kernelINS0_14default_configENS1_22reduce_config_selectorIlEEZNS1_11reduce_implILb1ES3_N6thrust23THRUST_200600_302600_NS11hip_rocprim26transform_input_iterator_tIlNS8_12zip_iteratorINS8_5tupleINS8_6detail15normal_iteratorINS8_10device_ptrIjEEEESH_NS8_9null_typeESI_SI_SI_SI_SI_SI_SI_EEEENS9_21zip_adj_not_predicateI22is_equal_div_10_uniqueIjEEEEEPllNS8_4plusIlEEEE10hipError_tPvRmT1_T2_T3_mT4_P12ihipStream_tbEUlT_E1_NS1_11comp_targetILNS1_3genE5ELNS1_11target_archE942ELNS1_3gpuE9ELNS1_3repE0EEENS1_30default_config_static_selectorELNS0_4arch9wavefront6targetE1EEEvSW_,"axG",@progbits,_ZN7rocprim17ROCPRIM_400000_NS6detail17trampoline_kernelINS0_14default_configENS1_22reduce_config_selectorIlEEZNS1_11reduce_implILb1ES3_N6thrust23THRUST_200600_302600_NS11hip_rocprim26transform_input_iterator_tIlNS8_12zip_iteratorINS8_5tupleINS8_6detail15normal_iteratorINS8_10device_ptrIjEEEESH_NS8_9null_typeESI_SI_SI_SI_SI_SI_SI_EEEENS9_21zip_adj_not_predicateI22is_equal_div_10_uniqueIjEEEEEPllNS8_4plusIlEEEE10hipError_tPvRmT1_T2_T3_mT4_P12ihipStream_tbEUlT_E1_NS1_11comp_targetILNS1_3genE5ELNS1_11target_archE942ELNS1_3gpuE9ELNS1_3repE0EEENS1_30default_config_static_selectorELNS0_4arch9wavefront6targetE1EEEvSW_,comdat
.Lfunc_end879:
	.size	_ZN7rocprim17ROCPRIM_400000_NS6detail17trampoline_kernelINS0_14default_configENS1_22reduce_config_selectorIlEEZNS1_11reduce_implILb1ES3_N6thrust23THRUST_200600_302600_NS11hip_rocprim26transform_input_iterator_tIlNS8_12zip_iteratorINS8_5tupleINS8_6detail15normal_iteratorINS8_10device_ptrIjEEEESH_NS8_9null_typeESI_SI_SI_SI_SI_SI_SI_EEEENS9_21zip_adj_not_predicateI22is_equal_div_10_uniqueIjEEEEEPllNS8_4plusIlEEEE10hipError_tPvRmT1_T2_T3_mT4_P12ihipStream_tbEUlT_E1_NS1_11comp_targetILNS1_3genE5ELNS1_11target_archE942ELNS1_3gpuE9ELNS1_3repE0EEENS1_30default_config_static_selectorELNS0_4arch9wavefront6targetE1EEEvSW_, .Lfunc_end879-_ZN7rocprim17ROCPRIM_400000_NS6detail17trampoline_kernelINS0_14default_configENS1_22reduce_config_selectorIlEEZNS1_11reduce_implILb1ES3_N6thrust23THRUST_200600_302600_NS11hip_rocprim26transform_input_iterator_tIlNS8_12zip_iteratorINS8_5tupleINS8_6detail15normal_iteratorINS8_10device_ptrIjEEEESH_NS8_9null_typeESI_SI_SI_SI_SI_SI_SI_EEEENS9_21zip_adj_not_predicateI22is_equal_div_10_uniqueIjEEEEEPllNS8_4plusIlEEEE10hipError_tPvRmT1_T2_T3_mT4_P12ihipStream_tbEUlT_E1_NS1_11comp_targetILNS1_3genE5ELNS1_11target_archE942ELNS1_3gpuE9ELNS1_3repE0EEENS1_30default_config_static_selectorELNS0_4arch9wavefront6targetE1EEEvSW_
                                        ; -- End function
	.set _ZN7rocprim17ROCPRIM_400000_NS6detail17trampoline_kernelINS0_14default_configENS1_22reduce_config_selectorIlEEZNS1_11reduce_implILb1ES3_N6thrust23THRUST_200600_302600_NS11hip_rocprim26transform_input_iterator_tIlNS8_12zip_iteratorINS8_5tupleINS8_6detail15normal_iteratorINS8_10device_ptrIjEEEESH_NS8_9null_typeESI_SI_SI_SI_SI_SI_SI_EEEENS9_21zip_adj_not_predicateI22is_equal_div_10_uniqueIjEEEEEPllNS8_4plusIlEEEE10hipError_tPvRmT1_T2_T3_mT4_P12ihipStream_tbEUlT_E1_NS1_11comp_targetILNS1_3genE5ELNS1_11target_archE942ELNS1_3gpuE9ELNS1_3repE0EEENS1_30default_config_static_selectorELNS0_4arch9wavefront6targetE1EEEvSW_.num_vgpr, 0
	.set _ZN7rocprim17ROCPRIM_400000_NS6detail17trampoline_kernelINS0_14default_configENS1_22reduce_config_selectorIlEEZNS1_11reduce_implILb1ES3_N6thrust23THRUST_200600_302600_NS11hip_rocprim26transform_input_iterator_tIlNS8_12zip_iteratorINS8_5tupleINS8_6detail15normal_iteratorINS8_10device_ptrIjEEEESH_NS8_9null_typeESI_SI_SI_SI_SI_SI_SI_EEEENS9_21zip_adj_not_predicateI22is_equal_div_10_uniqueIjEEEEEPllNS8_4plusIlEEEE10hipError_tPvRmT1_T2_T3_mT4_P12ihipStream_tbEUlT_E1_NS1_11comp_targetILNS1_3genE5ELNS1_11target_archE942ELNS1_3gpuE9ELNS1_3repE0EEENS1_30default_config_static_selectorELNS0_4arch9wavefront6targetE1EEEvSW_.num_agpr, 0
	.set _ZN7rocprim17ROCPRIM_400000_NS6detail17trampoline_kernelINS0_14default_configENS1_22reduce_config_selectorIlEEZNS1_11reduce_implILb1ES3_N6thrust23THRUST_200600_302600_NS11hip_rocprim26transform_input_iterator_tIlNS8_12zip_iteratorINS8_5tupleINS8_6detail15normal_iteratorINS8_10device_ptrIjEEEESH_NS8_9null_typeESI_SI_SI_SI_SI_SI_SI_EEEENS9_21zip_adj_not_predicateI22is_equal_div_10_uniqueIjEEEEEPllNS8_4plusIlEEEE10hipError_tPvRmT1_T2_T3_mT4_P12ihipStream_tbEUlT_E1_NS1_11comp_targetILNS1_3genE5ELNS1_11target_archE942ELNS1_3gpuE9ELNS1_3repE0EEENS1_30default_config_static_selectorELNS0_4arch9wavefront6targetE1EEEvSW_.numbered_sgpr, 0
	.set _ZN7rocprim17ROCPRIM_400000_NS6detail17trampoline_kernelINS0_14default_configENS1_22reduce_config_selectorIlEEZNS1_11reduce_implILb1ES3_N6thrust23THRUST_200600_302600_NS11hip_rocprim26transform_input_iterator_tIlNS8_12zip_iteratorINS8_5tupleINS8_6detail15normal_iteratorINS8_10device_ptrIjEEEESH_NS8_9null_typeESI_SI_SI_SI_SI_SI_SI_EEEENS9_21zip_adj_not_predicateI22is_equal_div_10_uniqueIjEEEEEPllNS8_4plusIlEEEE10hipError_tPvRmT1_T2_T3_mT4_P12ihipStream_tbEUlT_E1_NS1_11comp_targetILNS1_3genE5ELNS1_11target_archE942ELNS1_3gpuE9ELNS1_3repE0EEENS1_30default_config_static_selectorELNS0_4arch9wavefront6targetE1EEEvSW_.num_named_barrier, 0
	.set _ZN7rocprim17ROCPRIM_400000_NS6detail17trampoline_kernelINS0_14default_configENS1_22reduce_config_selectorIlEEZNS1_11reduce_implILb1ES3_N6thrust23THRUST_200600_302600_NS11hip_rocprim26transform_input_iterator_tIlNS8_12zip_iteratorINS8_5tupleINS8_6detail15normal_iteratorINS8_10device_ptrIjEEEESH_NS8_9null_typeESI_SI_SI_SI_SI_SI_SI_EEEENS9_21zip_adj_not_predicateI22is_equal_div_10_uniqueIjEEEEEPllNS8_4plusIlEEEE10hipError_tPvRmT1_T2_T3_mT4_P12ihipStream_tbEUlT_E1_NS1_11comp_targetILNS1_3genE5ELNS1_11target_archE942ELNS1_3gpuE9ELNS1_3repE0EEENS1_30default_config_static_selectorELNS0_4arch9wavefront6targetE1EEEvSW_.private_seg_size, 0
	.set _ZN7rocprim17ROCPRIM_400000_NS6detail17trampoline_kernelINS0_14default_configENS1_22reduce_config_selectorIlEEZNS1_11reduce_implILb1ES3_N6thrust23THRUST_200600_302600_NS11hip_rocprim26transform_input_iterator_tIlNS8_12zip_iteratorINS8_5tupleINS8_6detail15normal_iteratorINS8_10device_ptrIjEEEESH_NS8_9null_typeESI_SI_SI_SI_SI_SI_SI_EEEENS9_21zip_adj_not_predicateI22is_equal_div_10_uniqueIjEEEEEPllNS8_4plusIlEEEE10hipError_tPvRmT1_T2_T3_mT4_P12ihipStream_tbEUlT_E1_NS1_11comp_targetILNS1_3genE5ELNS1_11target_archE942ELNS1_3gpuE9ELNS1_3repE0EEENS1_30default_config_static_selectorELNS0_4arch9wavefront6targetE1EEEvSW_.uses_vcc, 0
	.set _ZN7rocprim17ROCPRIM_400000_NS6detail17trampoline_kernelINS0_14default_configENS1_22reduce_config_selectorIlEEZNS1_11reduce_implILb1ES3_N6thrust23THRUST_200600_302600_NS11hip_rocprim26transform_input_iterator_tIlNS8_12zip_iteratorINS8_5tupleINS8_6detail15normal_iteratorINS8_10device_ptrIjEEEESH_NS8_9null_typeESI_SI_SI_SI_SI_SI_SI_EEEENS9_21zip_adj_not_predicateI22is_equal_div_10_uniqueIjEEEEEPllNS8_4plusIlEEEE10hipError_tPvRmT1_T2_T3_mT4_P12ihipStream_tbEUlT_E1_NS1_11comp_targetILNS1_3genE5ELNS1_11target_archE942ELNS1_3gpuE9ELNS1_3repE0EEENS1_30default_config_static_selectorELNS0_4arch9wavefront6targetE1EEEvSW_.uses_flat_scratch, 0
	.set _ZN7rocprim17ROCPRIM_400000_NS6detail17trampoline_kernelINS0_14default_configENS1_22reduce_config_selectorIlEEZNS1_11reduce_implILb1ES3_N6thrust23THRUST_200600_302600_NS11hip_rocprim26transform_input_iterator_tIlNS8_12zip_iteratorINS8_5tupleINS8_6detail15normal_iteratorINS8_10device_ptrIjEEEESH_NS8_9null_typeESI_SI_SI_SI_SI_SI_SI_EEEENS9_21zip_adj_not_predicateI22is_equal_div_10_uniqueIjEEEEEPllNS8_4plusIlEEEE10hipError_tPvRmT1_T2_T3_mT4_P12ihipStream_tbEUlT_E1_NS1_11comp_targetILNS1_3genE5ELNS1_11target_archE942ELNS1_3gpuE9ELNS1_3repE0EEENS1_30default_config_static_selectorELNS0_4arch9wavefront6targetE1EEEvSW_.has_dyn_sized_stack, 0
	.set _ZN7rocprim17ROCPRIM_400000_NS6detail17trampoline_kernelINS0_14default_configENS1_22reduce_config_selectorIlEEZNS1_11reduce_implILb1ES3_N6thrust23THRUST_200600_302600_NS11hip_rocprim26transform_input_iterator_tIlNS8_12zip_iteratorINS8_5tupleINS8_6detail15normal_iteratorINS8_10device_ptrIjEEEESH_NS8_9null_typeESI_SI_SI_SI_SI_SI_SI_EEEENS9_21zip_adj_not_predicateI22is_equal_div_10_uniqueIjEEEEEPllNS8_4plusIlEEEE10hipError_tPvRmT1_T2_T3_mT4_P12ihipStream_tbEUlT_E1_NS1_11comp_targetILNS1_3genE5ELNS1_11target_archE942ELNS1_3gpuE9ELNS1_3repE0EEENS1_30default_config_static_selectorELNS0_4arch9wavefront6targetE1EEEvSW_.has_recursion, 0
	.set _ZN7rocprim17ROCPRIM_400000_NS6detail17trampoline_kernelINS0_14default_configENS1_22reduce_config_selectorIlEEZNS1_11reduce_implILb1ES3_N6thrust23THRUST_200600_302600_NS11hip_rocprim26transform_input_iterator_tIlNS8_12zip_iteratorINS8_5tupleINS8_6detail15normal_iteratorINS8_10device_ptrIjEEEESH_NS8_9null_typeESI_SI_SI_SI_SI_SI_SI_EEEENS9_21zip_adj_not_predicateI22is_equal_div_10_uniqueIjEEEEEPllNS8_4plusIlEEEE10hipError_tPvRmT1_T2_T3_mT4_P12ihipStream_tbEUlT_E1_NS1_11comp_targetILNS1_3genE5ELNS1_11target_archE942ELNS1_3gpuE9ELNS1_3repE0EEENS1_30default_config_static_selectorELNS0_4arch9wavefront6targetE1EEEvSW_.has_indirect_call, 0
	.section	.AMDGPU.csdata,"",@progbits
; Kernel info:
; codeLenInByte = 0
; TotalNumSgprs: 4
; NumVgprs: 0
; ScratchSize: 0
; MemoryBound: 0
; FloatMode: 240
; IeeeMode: 1
; LDSByteSize: 0 bytes/workgroup (compile time only)
; SGPRBlocks: 0
; VGPRBlocks: 0
; NumSGPRsForWavesPerEU: 4
; NumVGPRsForWavesPerEU: 1
; Occupancy: 10
; WaveLimiterHint : 0
; COMPUTE_PGM_RSRC2:SCRATCH_EN: 0
; COMPUTE_PGM_RSRC2:USER_SGPR: 6
; COMPUTE_PGM_RSRC2:TRAP_HANDLER: 0
; COMPUTE_PGM_RSRC2:TGID_X_EN: 1
; COMPUTE_PGM_RSRC2:TGID_Y_EN: 0
; COMPUTE_PGM_RSRC2:TGID_Z_EN: 0
; COMPUTE_PGM_RSRC2:TIDIG_COMP_CNT: 0
	.section	.text._ZN7rocprim17ROCPRIM_400000_NS6detail17trampoline_kernelINS0_14default_configENS1_22reduce_config_selectorIlEEZNS1_11reduce_implILb1ES3_N6thrust23THRUST_200600_302600_NS11hip_rocprim26transform_input_iterator_tIlNS8_12zip_iteratorINS8_5tupleINS8_6detail15normal_iteratorINS8_10device_ptrIjEEEESH_NS8_9null_typeESI_SI_SI_SI_SI_SI_SI_EEEENS9_21zip_adj_not_predicateI22is_equal_div_10_uniqueIjEEEEEPllNS8_4plusIlEEEE10hipError_tPvRmT1_T2_T3_mT4_P12ihipStream_tbEUlT_E1_NS1_11comp_targetILNS1_3genE4ELNS1_11target_archE910ELNS1_3gpuE8ELNS1_3repE0EEENS1_30default_config_static_selectorELNS0_4arch9wavefront6targetE1EEEvSW_,"axG",@progbits,_ZN7rocprim17ROCPRIM_400000_NS6detail17trampoline_kernelINS0_14default_configENS1_22reduce_config_selectorIlEEZNS1_11reduce_implILb1ES3_N6thrust23THRUST_200600_302600_NS11hip_rocprim26transform_input_iterator_tIlNS8_12zip_iteratorINS8_5tupleINS8_6detail15normal_iteratorINS8_10device_ptrIjEEEESH_NS8_9null_typeESI_SI_SI_SI_SI_SI_SI_EEEENS9_21zip_adj_not_predicateI22is_equal_div_10_uniqueIjEEEEEPllNS8_4plusIlEEEE10hipError_tPvRmT1_T2_T3_mT4_P12ihipStream_tbEUlT_E1_NS1_11comp_targetILNS1_3genE4ELNS1_11target_archE910ELNS1_3gpuE8ELNS1_3repE0EEENS1_30default_config_static_selectorELNS0_4arch9wavefront6targetE1EEEvSW_,comdat
	.protected	_ZN7rocprim17ROCPRIM_400000_NS6detail17trampoline_kernelINS0_14default_configENS1_22reduce_config_selectorIlEEZNS1_11reduce_implILb1ES3_N6thrust23THRUST_200600_302600_NS11hip_rocprim26transform_input_iterator_tIlNS8_12zip_iteratorINS8_5tupleINS8_6detail15normal_iteratorINS8_10device_ptrIjEEEESH_NS8_9null_typeESI_SI_SI_SI_SI_SI_SI_EEEENS9_21zip_adj_not_predicateI22is_equal_div_10_uniqueIjEEEEEPllNS8_4plusIlEEEE10hipError_tPvRmT1_T2_T3_mT4_P12ihipStream_tbEUlT_E1_NS1_11comp_targetILNS1_3genE4ELNS1_11target_archE910ELNS1_3gpuE8ELNS1_3repE0EEENS1_30default_config_static_selectorELNS0_4arch9wavefront6targetE1EEEvSW_ ; -- Begin function _ZN7rocprim17ROCPRIM_400000_NS6detail17trampoline_kernelINS0_14default_configENS1_22reduce_config_selectorIlEEZNS1_11reduce_implILb1ES3_N6thrust23THRUST_200600_302600_NS11hip_rocprim26transform_input_iterator_tIlNS8_12zip_iteratorINS8_5tupleINS8_6detail15normal_iteratorINS8_10device_ptrIjEEEESH_NS8_9null_typeESI_SI_SI_SI_SI_SI_SI_EEEENS9_21zip_adj_not_predicateI22is_equal_div_10_uniqueIjEEEEEPllNS8_4plusIlEEEE10hipError_tPvRmT1_T2_T3_mT4_P12ihipStream_tbEUlT_E1_NS1_11comp_targetILNS1_3genE4ELNS1_11target_archE910ELNS1_3gpuE8ELNS1_3repE0EEENS1_30default_config_static_selectorELNS0_4arch9wavefront6targetE1EEEvSW_
	.globl	_ZN7rocprim17ROCPRIM_400000_NS6detail17trampoline_kernelINS0_14default_configENS1_22reduce_config_selectorIlEEZNS1_11reduce_implILb1ES3_N6thrust23THRUST_200600_302600_NS11hip_rocprim26transform_input_iterator_tIlNS8_12zip_iteratorINS8_5tupleINS8_6detail15normal_iteratorINS8_10device_ptrIjEEEESH_NS8_9null_typeESI_SI_SI_SI_SI_SI_SI_EEEENS9_21zip_adj_not_predicateI22is_equal_div_10_uniqueIjEEEEEPllNS8_4plusIlEEEE10hipError_tPvRmT1_T2_T3_mT4_P12ihipStream_tbEUlT_E1_NS1_11comp_targetILNS1_3genE4ELNS1_11target_archE910ELNS1_3gpuE8ELNS1_3repE0EEENS1_30default_config_static_selectorELNS0_4arch9wavefront6targetE1EEEvSW_
	.p2align	8
	.type	_ZN7rocprim17ROCPRIM_400000_NS6detail17trampoline_kernelINS0_14default_configENS1_22reduce_config_selectorIlEEZNS1_11reduce_implILb1ES3_N6thrust23THRUST_200600_302600_NS11hip_rocprim26transform_input_iterator_tIlNS8_12zip_iteratorINS8_5tupleINS8_6detail15normal_iteratorINS8_10device_ptrIjEEEESH_NS8_9null_typeESI_SI_SI_SI_SI_SI_SI_EEEENS9_21zip_adj_not_predicateI22is_equal_div_10_uniqueIjEEEEEPllNS8_4plusIlEEEE10hipError_tPvRmT1_T2_T3_mT4_P12ihipStream_tbEUlT_E1_NS1_11comp_targetILNS1_3genE4ELNS1_11target_archE910ELNS1_3gpuE8ELNS1_3repE0EEENS1_30default_config_static_selectorELNS0_4arch9wavefront6targetE1EEEvSW_,@function
_ZN7rocprim17ROCPRIM_400000_NS6detail17trampoline_kernelINS0_14default_configENS1_22reduce_config_selectorIlEEZNS1_11reduce_implILb1ES3_N6thrust23THRUST_200600_302600_NS11hip_rocprim26transform_input_iterator_tIlNS8_12zip_iteratorINS8_5tupleINS8_6detail15normal_iteratorINS8_10device_ptrIjEEEESH_NS8_9null_typeESI_SI_SI_SI_SI_SI_SI_EEEENS9_21zip_adj_not_predicateI22is_equal_div_10_uniqueIjEEEEEPllNS8_4plusIlEEEE10hipError_tPvRmT1_T2_T3_mT4_P12ihipStream_tbEUlT_E1_NS1_11comp_targetILNS1_3genE4ELNS1_11target_archE910ELNS1_3gpuE8ELNS1_3repE0EEENS1_30default_config_static_selectorELNS0_4arch9wavefront6targetE1EEEvSW_: ; @_ZN7rocprim17ROCPRIM_400000_NS6detail17trampoline_kernelINS0_14default_configENS1_22reduce_config_selectorIlEEZNS1_11reduce_implILb1ES3_N6thrust23THRUST_200600_302600_NS11hip_rocprim26transform_input_iterator_tIlNS8_12zip_iteratorINS8_5tupleINS8_6detail15normal_iteratorINS8_10device_ptrIjEEEESH_NS8_9null_typeESI_SI_SI_SI_SI_SI_SI_EEEENS9_21zip_adj_not_predicateI22is_equal_div_10_uniqueIjEEEEEPllNS8_4plusIlEEEE10hipError_tPvRmT1_T2_T3_mT4_P12ihipStream_tbEUlT_E1_NS1_11comp_targetILNS1_3genE4ELNS1_11target_archE910ELNS1_3gpuE8ELNS1_3repE0EEENS1_30default_config_static_selectorELNS0_4arch9wavefront6targetE1EEEvSW_
; %bb.0:
	.section	.rodata,"a",@progbits
	.p2align	6, 0x0
	.amdhsa_kernel _ZN7rocprim17ROCPRIM_400000_NS6detail17trampoline_kernelINS0_14default_configENS1_22reduce_config_selectorIlEEZNS1_11reduce_implILb1ES3_N6thrust23THRUST_200600_302600_NS11hip_rocprim26transform_input_iterator_tIlNS8_12zip_iteratorINS8_5tupleINS8_6detail15normal_iteratorINS8_10device_ptrIjEEEESH_NS8_9null_typeESI_SI_SI_SI_SI_SI_SI_EEEENS9_21zip_adj_not_predicateI22is_equal_div_10_uniqueIjEEEEEPllNS8_4plusIlEEEE10hipError_tPvRmT1_T2_T3_mT4_P12ihipStream_tbEUlT_E1_NS1_11comp_targetILNS1_3genE4ELNS1_11target_archE910ELNS1_3gpuE8ELNS1_3repE0EEENS1_30default_config_static_selectorELNS0_4arch9wavefront6targetE1EEEvSW_
		.amdhsa_group_segment_fixed_size 0
		.amdhsa_private_segment_fixed_size 0
		.amdhsa_kernarg_size 64
		.amdhsa_user_sgpr_count 6
		.amdhsa_user_sgpr_private_segment_buffer 1
		.amdhsa_user_sgpr_dispatch_ptr 0
		.amdhsa_user_sgpr_queue_ptr 0
		.amdhsa_user_sgpr_kernarg_segment_ptr 1
		.amdhsa_user_sgpr_dispatch_id 0
		.amdhsa_user_sgpr_flat_scratch_init 0
		.amdhsa_user_sgpr_private_segment_size 0
		.amdhsa_uses_dynamic_stack 0
		.amdhsa_system_sgpr_private_segment_wavefront_offset 0
		.amdhsa_system_sgpr_workgroup_id_x 1
		.amdhsa_system_sgpr_workgroup_id_y 0
		.amdhsa_system_sgpr_workgroup_id_z 0
		.amdhsa_system_sgpr_workgroup_info 0
		.amdhsa_system_vgpr_workitem_id 0
		.amdhsa_next_free_vgpr 1
		.amdhsa_next_free_sgpr 0
		.amdhsa_reserve_vcc 0
		.amdhsa_reserve_flat_scratch 0
		.amdhsa_float_round_mode_32 0
		.amdhsa_float_round_mode_16_64 0
		.amdhsa_float_denorm_mode_32 3
		.amdhsa_float_denorm_mode_16_64 3
		.amdhsa_dx10_clamp 1
		.amdhsa_ieee_mode 1
		.amdhsa_fp16_overflow 0
		.amdhsa_exception_fp_ieee_invalid_op 0
		.amdhsa_exception_fp_denorm_src 0
		.amdhsa_exception_fp_ieee_div_zero 0
		.amdhsa_exception_fp_ieee_overflow 0
		.amdhsa_exception_fp_ieee_underflow 0
		.amdhsa_exception_fp_ieee_inexact 0
		.amdhsa_exception_int_div_zero 0
	.end_amdhsa_kernel
	.section	.text._ZN7rocprim17ROCPRIM_400000_NS6detail17trampoline_kernelINS0_14default_configENS1_22reduce_config_selectorIlEEZNS1_11reduce_implILb1ES3_N6thrust23THRUST_200600_302600_NS11hip_rocprim26transform_input_iterator_tIlNS8_12zip_iteratorINS8_5tupleINS8_6detail15normal_iteratorINS8_10device_ptrIjEEEESH_NS8_9null_typeESI_SI_SI_SI_SI_SI_SI_EEEENS9_21zip_adj_not_predicateI22is_equal_div_10_uniqueIjEEEEEPllNS8_4plusIlEEEE10hipError_tPvRmT1_T2_T3_mT4_P12ihipStream_tbEUlT_E1_NS1_11comp_targetILNS1_3genE4ELNS1_11target_archE910ELNS1_3gpuE8ELNS1_3repE0EEENS1_30default_config_static_selectorELNS0_4arch9wavefront6targetE1EEEvSW_,"axG",@progbits,_ZN7rocprim17ROCPRIM_400000_NS6detail17trampoline_kernelINS0_14default_configENS1_22reduce_config_selectorIlEEZNS1_11reduce_implILb1ES3_N6thrust23THRUST_200600_302600_NS11hip_rocprim26transform_input_iterator_tIlNS8_12zip_iteratorINS8_5tupleINS8_6detail15normal_iteratorINS8_10device_ptrIjEEEESH_NS8_9null_typeESI_SI_SI_SI_SI_SI_SI_EEEENS9_21zip_adj_not_predicateI22is_equal_div_10_uniqueIjEEEEEPllNS8_4plusIlEEEE10hipError_tPvRmT1_T2_T3_mT4_P12ihipStream_tbEUlT_E1_NS1_11comp_targetILNS1_3genE4ELNS1_11target_archE910ELNS1_3gpuE8ELNS1_3repE0EEENS1_30default_config_static_selectorELNS0_4arch9wavefront6targetE1EEEvSW_,comdat
.Lfunc_end880:
	.size	_ZN7rocprim17ROCPRIM_400000_NS6detail17trampoline_kernelINS0_14default_configENS1_22reduce_config_selectorIlEEZNS1_11reduce_implILb1ES3_N6thrust23THRUST_200600_302600_NS11hip_rocprim26transform_input_iterator_tIlNS8_12zip_iteratorINS8_5tupleINS8_6detail15normal_iteratorINS8_10device_ptrIjEEEESH_NS8_9null_typeESI_SI_SI_SI_SI_SI_SI_EEEENS9_21zip_adj_not_predicateI22is_equal_div_10_uniqueIjEEEEEPllNS8_4plusIlEEEE10hipError_tPvRmT1_T2_T3_mT4_P12ihipStream_tbEUlT_E1_NS1_11comp_targetILNS1_3genE4ELNS1_11target_archE910ELNS1_3gpuE8ELNS1_3repE0EEENS1_30default_config_static_selectorELNS0_4arch9wavefront6targetE1EEEvSW_, .Lfunc_end880-_ZN7rocprim17ROCPRIM_400000_NS6detail17trampoline_kernelINS0_14default_configENS1_22reduce_config_selectorIlEEZNS1_11reduce_implILb1ES3_N6thrust23THRUST_200600_302600_NS11hip_rocprim26transform_input_iterator_tIlNS8_12zip_iteratorINS8_5tupleINS8_6detail15normal_iteratorINS8_10device_ptrIjEEEESH_NS8_9null_typeESI_SI_SI_SI_SI_SI_SI_EEEENS9_21zip_adj_not_predicateI22is_equal_div_10_uniqueIjEEEEEPllNS8_4plusIlEEEE10hipError_tPvRmT1_T2_T3_mT4_P12ihipStream_tbEUlT_E1_NS1_11comp_targetILNS1_3genE4ELNS1_11target_archE910ELNS1_3gpuE8ELNS1_3repE0EEENS1_30default_config_static_selectorELNS0_4arch9wavefront6targetE1EEEvSW_
                                        ; -- End function
	.set _ZN7rocprim17ROCPRIM_400000_NS6detail17trampoline_kernelINS0_14default_configENS1_22reduce_config_selectorIlEEZNS1_11reduce_implILb1ES3_N6thrust23THRUST_200600_302600_NS11hip_rocprim26transform_input_iterator_tIlNS8_12zip_iteratorINS8_5tupleINS8_6detail15normal_iteratorINS8_10device_ptrIjEEEESH_NS8_9null_typeESI_SI_SI_SI_SI_SI_SI_EEEENS9_21zip_adj_not_predicateI22is_equal_div_10_uniqueIjEEEEEPllNS8_4plusIlEEEE10hipError_tPvRmT1_T2_T3_mT4_P12ihipStream_tbEUlT_E1_NS1_11comp_targetILNS1_3genE4ELNS1_11target_archE910ELNS1_3gpuE8ELNS1_3repE0EEENS1_30default_config_static_selectorELNS0_4arch9wavefront6targetE1EEEvSW_.num_vgpr, 0
	.set _ZN7rocprim17ROCPRIM_400000_NS6detail17trampoline_kernelINS0_14default_configENS1_22reduce_config_selectorIlEEZNS1_11reduce_implILb1ES3_N6thrust23THRUST_200600_302600_NS11hip_rocprim26transform_input_iterator_tIlNS8_12zip_iteratorINS8_5tupleINS8_6detail15normal_iteratorINS8_10device_ptrIjEEEESH_NS8_9null_typeESI_SI_SI_SI_SI_SI_SI_EEEENS9_21zip_adj_not_predicateI22is_equal_div_10_uniqueIjEEEEEPllNS8_4plusIlEEEE10hipError_tPvRmT1_T2_T3_mT4_P12ihipStream_tbEUlT_E1_NS1_11comp_targetILNS1_3genE4ELNS1_11target_archE910ELNS1_3gpuE8ELNS1_3repE0EEENS1_30default_config_static_selectorELNS0_4arch9wavefront6targetE1EEEvSW_.num_agpr, 0
	.set _ZN7rocprim17ROCPRIM_400000_NS6detail17trampoline_kernelINS0_14default_configENS1_22reduce_config_selectorIlEEZNS1_11reduce_implILb1ES3_N6thrust23THRUST_200600_302600_NS11hip_rocprim26transform_input_iterator_tIlNS8_12zip_iteratorINS8_5tupleINS8_6detail15normal_iteratorINS8_10device_ptrIjEEEESH_NS8_9null_typeESI_SI_SI_SI_SI_SI_SI_EEEENS9_21zip_adj_not_predicateI22is_equal_div_10_uniqueIjEEEEEPllNS8_4plusIlEEEE10hipError_tPvRmT1_T2_T3_mT4_P12ihipStream_tbEUlT_E1_NS1_11comp_targetILNS1_3genE4ELNS1_11target_archE910ELNS1_3gpuE8ELNS1_3repE0EEENS1_30default_config_static_selectorELNS0_4arch9wavefront6targetE1EEEvSW_.numbered_sgpr, 0
	.set _ZN7rocprim17ROCPRIM_400000_NS6detail17trampoline_kernelINS0_14default_configENS1_22reduce_config_selectorIlEEZNS1_11reduce_implILb1ES3_N6thrust23THRUST_200600_302600_NS11hip_rocprim26transform_input_iterator_tIlNS8_12zip_iteratorINS8_5tupleINS8_6detail15normal_iteratorINS8_10device_ptrIjEEEESH_NS8_9null_typeESI_SI_SI_SI_SI_SI_SI_EEEENS9_21zip_adj_not_predicateI22is_equal_div_10_uniqueIjEEEEEPllNS8_4plusIlEEEE10hipError_tPvRmT1_T2_T3_mT4_P12ihipStream_tbEUlT_E1_NS1_11comp_targetILNS1_3genE4ELNS1_11target_archE910ELNS1_3gpuE8ELNS1_3repE0EEENS1_30default_config_static_selectorELNS0_4arch9wavefront6targetE1EEEvSW_.num_named_barrier, 0
	.set _ZN7rocprim17ROCPRIM_400000_NS6detail17trampoline_kernelINS0_14default_configENS1_22reduce_config_selectorIlEEZNS1_11reduce_implILb1ES3_N6thrust23THRUST_200600_302600_NS11hip_rocprim26transform_input_iterator_tIlNS8_12zip_iteratorINS8_5tupleINS8_6detail15normal_iteratorINS8_10device_ptrIjEEEESH_NS8_9null_typeESI_SI_SI_SI_SI_SI_SI_EEEENS9_21zip_adj_not_predicateI22is_equal_div_10_uniqueIjEEEEEPllNS8_4plusIlEEEE10hipError_tPvRmT1_T2_T3_mT4_P12ihipStream_tbEUlT_E1_NS1_11comp_targetILNS1_3genE4ELNS1_11target_archE910ELNS1_3gpuE8ELNS1_3repE0EEENS1_30default_config_static_selectorELNS0_4arch9wavefront6targetE1EEEvSW_.private_seg_size, 0
	.set _ZN7rocprim17ROCPRIM_400000_NS6detail17trampoline_kernelINS0_14default_configENS1_22reduce_config_selectorIlEEZNS1_11reduce_implILb1ES3_N6thrust23THRUST_200600_302600_NS11hip_rocprim26transform_input_iterator_tIlNS8_12zip_iteratorINS8_5tupleINS8_6detail15normal_iteratorINS8_10device_ptrIjEEEESH_NS8_9null_typeESI_SI_SI_SI_SI_SI_SI_EEEENS9_21zip_adj_not_predicateI22is_equal_div_10_uniqueIjEEEEEPllNS8_4plusIlEEEE10hipError_tPvRmT1_T2_T3_mT4_P12ihipStream_tbEUlT_E1_NS1_11comp_targetILNS1_3genE4ELNS1_11target_archE910ELNS1_3gpuE8ELNS1_3repE0EEENS1_30default_config_static_selectorELNS0_4arch9wavefront6targetE1EEEvSW_.uses_vcc, 0
	.set _ZN7rocprim17ROCPRIM_400000_NS6detail17trampoline_kernelINS0_14default_configENS1_22reduce_config_selectorIlEEZNS1_11reduce_implILb1ES3_N6thrust23THRUST_200600_302600_NS11hip_rocprim26transform_input_iterator_tIlNS8_12zip_iteratorINS8_5tupleINS8_6detail15normal_iteratorINS8_10device_ptrIjEEEESH_NS8_9null_typeESI_SI_SI_SI_SI_SI_SI_EEEENS9_21zip_adj_not_predicateI22is_equal_div_10_uniqueIjEEEEEPllNS8_4plusIlEEEE10hipError_tPvRmT1_T2_T3_mT4_P12ihipStream_tbEUlT_E1_NS1_11comp_targetILNS1_3genE4ELNS1_11target_archE910ELNS1_3gpuE8ELNS1_3repE0EEENS1_30default_config_static_selectorELNS0_4arch9wavefront6targetE1EEEvSW_.uses_flat_scratch, 0
	.set _ZN7rocprim17ROCPRIM_400000_NS6detail17trampoline_kernelINS0_14default_configENS1_22reduce_config_selectorIlEEZNS1_11reduce_implILb1ES3_N6thrust23THRUST_200600_302600_NS11hip_rocprim26transform_input_iterator_tIlNS8_12zip_iteratorINS8_5tupleINS8_6detail15normal_iteratorINS8_10device_ptrIjEEEESH_NS8_9null_typeESI_SI_SI_SI_SI_SI_SI_EEEENS9_21zip_adj_not_predicateI22is_equal_div_10_uniqueIjEEEEEPllNS8_4plusIlEEEE10hipError_tPvRmT1_T2_T3_mT4_P12ihipStream_tbEUlT_E1_NS1_11comp_targetILNS1_3genE4ELNS1_11target_archE910ELNS1_3gpuE8ELNS1_3repE0EEENS1_30default_config_static_selectorELNS0_4arch9wavefront6targetE1EEEvSW_.has_dyn_sized_stack, 0
	.set _ZN7rocprim17ROCPRIM_400000_NS6detail17trampoline_kernelINS0_14default_configENS1_22reduce_config_selectorIlEEZNS1_11reduce_implILb1ES3_N6thrust23THRUST_200600_302600_NS11hip_rocprim26transform_input_iterator_tIlNS8_12zip_iteratorINS8_5tupleINS8_6detail15normal_iteratorINS8_10device_ptrIjEEEESH_NS8_9null_typeESI_SI_SI_SI_SI_SI_SI_EEEENS9_21zip_adj_not_predicateI22is_equal_div_10_uniqueIjEEEEEPllNS8_4plusIlEEEE10hipError_tPvRmT1_T2_T3_mT4_P12ihipStream_tbEUlT_E1_NS1_11comp_targetILNS1_3genE4ELNS1_11target_archE910ELNS1_3gpuE8ELNS1_3repE0EEENS1_30default_config_static_selectorELNS0_4arch9wavefront6targetE1EEEvSW_.has_recursion, 0
	.set _ZN7rocprim17ROCPRIM_400000_NS6detail17trampoline_kernelINS0_14default_configENS1_22reduce_config_selectorIlEEZNS1_11reduce_implILb1ES3_N6thrust23THRUST_200600_302600_NS11hip_rocprim26transform_input_iterator_tIlNS8_12zip_iteratorINS8_5tupleINS8_6detail15normal_iteratorINS8_10device_ptrIjEEEESH_NS8_9null_typeESI_SI_SI_SI_SI_SI_SI_EEEENS9_21zip_adj_not_predicateI22is_equal_div_10_uniqueIjEEEEEPllNS8_4plusIlEEEE10hipError_tPvRmT1_T2_T3_mT4_P12ihipStream_tbEUlT_E1_NS1_11comp_targetILNS1_3genE4ELNS1_11target_archE910ELNS1_3gpuE8ELNS1_3repE0EEENS1_30default_config_static_selectorELNS0_4arch9wavefront6targetE1EEEvSW_.has_indirect_call, 0
	.section	.AMDGPU.csdata,"",@progbits
; Kernel info:
; codeLenInByte = 0
; TotalNumSgprs: 4
; NumVgprs: 0
; ScratchSize: 0
; MemoryBound: 0
; FloatMode: 240
; IeeeMode: 1
; LDSByteSize: 0 bytes/workgroup (compile time only)
; SGPRBlocks: 0
; VGPRBlocks: 0
; NumSGPRsForWavesPerEU: 4
; NumVGPRsForWavesPerEU: 1
; Occupancy: 10
; WaveLimiterHint : 0
; COMPUTE_PGM_RSRC2:SCRATCH_EN: 0
; COMPUTE_PGM_RSRC2:USER_SGPR: 6
; COMPUTE_PGM_RSRC2:TRAP_HANDLER: 0
; COMPUTE_PGM_RSRC2:TGID_X_EN: 1
; COMPUTE_PGM_RSRC2:TGID_Y_EN: 0
; COMPUTE_PGM_RSRC2:TGID_Z_EN: 0
; COMPUTE_PGM_RSRC2:TIDIG_COMP_CNT: 0
	.section	.text._ZN7rocprim17ROCPRIM_400000_NS6detail17trampoline_kernelINS0_14default_configENS1_22reduce_config_selectorIlEEZNS1_11reduce_implILb1ES3_N6thrust23THRUST_200600_302600_NS11hip_rocprim26transform_input_iterator_tIlNS8_12zip_iteratorINS8_5tupleINS8_6detail15normal_iteratorINS8_10device_ptrIjEEEESH_NS8_9null_typeESI_SI_SI_SI_SI_SI_SI_EEEENS9_21zip_adj_not_predicateI22is_equal_div_10_uniqueIjEEEEEPllNS8_4plusIlEEEE10hipError_tPvRmT1_T2_T3_mT4_P12ihipStream_tbEUlT_E1_NS1_11comp_targetILNS1_3genE3ELNS1_11target_archE908ELNS1_3gpuE7ELNS1_3repE0EEENS1_30default_config_static_selectorELNS0_4arch9wavefront6targetE1EEEvSW_,"axG",@progbits,_ZN7rocprim17ROCPRIM_400000_NS6detail17trampoline_kernelINS0_14default_configENS1_22reduce_config_selectorIlEEZNS1_11reduce_implILb1ES3_N6thrust23THRUST_200600_302600_NS11hip_rocprim26transform_input_iterator_tIlNS8_12zip_iteratorINS8_5tupleINS8_6detail15normal_iteratorINS8_10device_ptrIjEEEESH_NS8_9null_typeESI_SI_SI_SI_SI_SI_SI_EEEENS9_21zip_adj_not_predicateI22is_equal_div_10_uniqueIjEEEEEPllNS8_4plusIlEEEE10hipError_tPvRmT1_T2_T3_mT4_P12ihipStream_tbEUlT_E1_NS1_11comp_targetILNS1_3genE3ELNS1_11target_archE908ELNS1_3gpuE7ELNS1_3repE0EEENS1_30default_config_static_selectorELNS0_4arch9wavefront6targetE1EEEvSW_,comdat
	.protected	_ZN7rocprim17ROCPRIM_400000_NS6detail17trampoline_kernelINS0_14default_configENS1_22reduce_config_selectorIlEEZNS1_11reduce_implILb1ES3_N6thrust23THRUST_200600_302600_NS11hip_rocprim26transform_input_iterator_tIlNS8_12zip_iteratorINS8_5tupleINS8_6detail15normal_iteratorINS8_10device_ptrIjEEEESH_NS8_9null_typeESI_SI_SI_SI_SI_SI_SI_EEEENS9_21zip_adj_not_predicateI22is_equal_div_10_uniqueIjEEEEEPllNS8_4plusIlEEEE10hipError_tPvRmT1_T2_T3_mT4_P12ihipStream_tbEUlT_E1_NS1_11comp_targetILNS1_3genE3ELNS1_11target_archE908ELNS1_3gpuE7ELNS1_3repE0EEENS1_30default_config_static_selectorELNS0_4arch9wavefront6targetE1EEEvSW_ ; -- Begin function _ZN7rocprim17ROCPRIM_400000_NS6detail17trampoline_kernelINS0_14default_configENS1_22reduce_config_selectorIlEEZNS1_11reduce_implILb1ES3_N6thrust23THRUST_200600_302600_NS11hip_rocprim26transform_input_iterator_tIlNS8_12zip_iteratorINS8_5tupleINS8_6detail15normal_iteratorINS8_10device_ptrIjEEEESH_NS8_9null_typeESI_SI_SI_SI_SI_SI_SI_EEEENS9_21zip_adj_not_predicateI22is_equal_div_10_uniqueIjEEEEEPllNS8_4plusIlEEEE10hipError_tPvRmT1_T2_T3_mT4_P12ihipStream_tbEUlT_E1_NS1_11comp_targetILNS1_3genE3ELNS1_11target_archE908ELNS1_3gpuE7ELNS1_3repE0EEENS1_30default_config_static_selectorELNS0_4arch9wavefront6targetE1EEEvSW_
	.globl	_ZN7rocprim17ROCPRIM_400000_NS6detail17trampoline_kernelINS0_14default_configENS1_22reduce_config_selectorIlEEZNS1_11reduce_implILb1ES3_N6thrust23THRUST_200600_302600_NS11hip_rocprim26transform_input_iterator_tIlNS8_12zip_iteratorINS8_5tupleINS8_6detail15normal_iteratorINS8_10device_ptrIjEEEESH_NS8_9null_typeESI_SI_SI_SI_SI_SI_SI_EEEENS9_21zip_adj_not_predicateI22is_equal_div_10_uniqueIjEEEEEPllNS8_4plusIlEEEE10hipError_tPvRmT1_T2_T3_mT4_P12ihipStream_tbEUlT_E1_NS1_11comp_targetILNS1_3genE3ELNS1_11target_archE908ELNS1_3gpuE7ELNS1_3repE0EEENS1_30default_config_static_selectorELNS0_4arch9wavefront6targetE1EEEvSW_
	.p2align	8
	.type	_ZN7rocprim17ROCPRIM_400000_NS6detail17trampoline_kernelINS0_14default_configENS1_22reduce_config_selectorIlEEZNS1_11reduce_implILb1ES3_N6thrust23THRUST_200600_302600_NS11hip_rocprim26transform_input_iterator_tIlNS8_12zip_iteratorINS8_5tupleINS8_6detail15normal_iteratorINS8_10device_ptrIjEEEESH_NS8_9null_typeESI_SI_SI_SI_SI_SI_SI_EEEENS9_21zip_adj_not_predicateI22is_equal_div_10_uniqueIjEEEEEPllNS8_4plusIlEEEE10hipError_tPvRmT1_T2_T3_mT4_P12ihipStream_tbEUlT_E1_NS1_11comp_targetILNS1_3genE3ELNS1_11target_archE908ELNS1_3gpuE7ELNS1_3repE0EEENS1_30default_config_static_selectorELNS0_4arch9wavefront6targetE1EEEvSW_,@function
_ZN7rocprim17ROCPRIM_400000_NS6detail17trampoline_kernelINS0_14default_configENS1_22reduce_config_selectorIlEEZNS1_11reduce_implILb1ES3_N6thrust23THRUST_200600_302600_NS11hip_rocprim26transform_input_iterator_tIlNS8_12zip_iteratorINS8_5tupleINS8_6detail15normal_iteratorINS8_10device_ptrIjEEEESH_NS8_9null_typeESI_SI_SI_SI_SI_SI_SI_EEEENS9_21zip_adj_not_predicateI22is_equal_div_10_uniqueIjEEEEEPllNS8_4plusIlEEEE10hipError_tPvRmT1_T2_T3_mT4_P12ihipStream_tbEUlT_E1_NS1_11comp_targetILNS1_3genE3ELNS1_11target_archE908ELNS1_3gpuE7ELNS1_3repE0EEENS1_30default_config_static_selectorELNS0_4arch9wavefront6targetE1EEEvSW_: ; @_ZN7rocprim17ROCPRIM_400000_NS6detail17trampoline_kernelINS0_14default_configENS1_22reduce_config_selectorIlEEZNS1_11reduce_implILb1ES3_N6thrust23THRUST_200600_302600_NS11hip_rocprim26transform_input_iterator_tIlNS8_12zip_iteratorINS8_5tupleINS8_6detail15normal_iteratorINS8_10device_ptrIjEEEESH_NS8_9null_typeESI_SI_SI_SI_SI_SI_SI_EEEENS9_21zip_adj_not_predicateI22is_equal_div_10_uniqueIjEEEEEPllNS8_4plusIlEEEE10hipError_tPvRmT1_T2_T3_mT4_P12ihipStream_tbEUlT_E1_NS1_11comp_targetILNS1_3genE3ELNS1_11target_archE908ELNS1_3gpuE7ELNS1_3repE0EEENS1_30default_config_static_selectorELNS0_4arch9wavefront6targetE1EEEvSW_
; %bb.0:
	.section	.rodata,"a",@progbits
	.p2align	6, 0x0
	.amdhsa_kernel _ZN7rocprim17ROCPRIM_400000_NS6detail17trampoline_kernelINS0_14default_configENS1_22reduce_config_selectorIlEEZNS1_11reduce_implILb1ES3_N6thrust23THRUST_200600_302600_NS11hip_rocprim26transform_input_iterator_tIlNS8_12zip_iteratorINS8_5tupleINS8_6detail15normal_iteratorINS8_10device_ptrIjEEEESH_NS8_9null_typeESI_SI_SI_SI_SI_SI_SI_EEEENS9_21zip_adj_not_predicateI22is_equal_div_10_uniqueIjEEEEEPllNS8_4plusIlEEEE10hipError_tPvRmT1_T2_T3_mT4_P12ihipStream_tbEUlT_E1_NS1_11comp_targetILNS1_3genE3ELNS1_11target_archE908ELNS1_3gpuE7ELNS1_3repE0EEENS1_30default_config_static_selectorELNS0_4arch9wavefront6targetE1EEEvSW_
		.amdhsa_group_segment_fixed_size 0
		.amdhsa_private_segment_fixed_size 0
		.amdhsa_kernarg_size 64
		.amdhsa_user_sgpr_count 6
		.amdhsa_user_sgpr_private_segment_buffer 1
		.amdhsa_user_sgpr_dispatch_ptr 0
		.amdhsa_user_sgpr_queue_ptr 0
		.amdhsa_user_sgpr_kernarg_segment_ptr 1
		.amdhsa_user_sgpr_dispatch_id 0
		.amdhsa_user_sgpr_flat_scratch_init 0
		.amdhsa_user_sgpr_private_segment_size 0
		.amdhsa_uses_dynamic_stack 0
		.amdhsa_system_sgpr_private_segment_wavefront_offset 0
		.amdhsa_system_sgpr_workgroup_id_x 1
		.amdhsa_system_sgpr_workgroup_id_y 0
		.amdhsa_system_sgpr_workgroup_id_z 0
		.amdhsa_system_sgpr_workgroup_info 0
		.amdhsa_system_vgpr_workitem_id 0
		.amdhsa_next_free_vgpr 1
		.amdhsa_next_free_sgpr 0
		.amdhsa_reserve_vcc 0
		.amdhsa_reserve_flat_scratch 0
		.amdhsa_float_round_mode_32 0
		.amdhsa_float_round_mode_16_64 0
		.amdhsa_float_denorm_mode_32 3
		.amdhsa_float_denorm_mode_16_64 3
		.amdhsa_dx10_clamp 1
		.amdhsa_ieee_mode 1
		.amdhsa_fp16_overflow 0
		.amdhsa_exception_fp_ieee_invalid_op 0
		.amdhsa_exception_fp_denorm_src 0
		.amdhsa_exception_fp_ieee_div_zero 0
		.amdhsa_exception_fp_ieee_overflow 0
		.amdhsa_exception_fp_ieee_underflow 0
		.amdhsa_exception_fp_ieee_inexact 0
		.amdhsa_exception_int_div_zero 0
	.end_amdhsa_kernel
	.section	.text._ZN7rocprim17ROCPRIM_400000_NS6detail17trampoline_kernelINS0_14default_configENS1_22reduce_config_selectorIlEEZNS1_11reduce_implILb1ES3_N6thrust23THRUST_200600_302600_NS11hip_rocprim26transform_input_iterator_tIlNS8_12zip_iteratorINS8_5tupleINS8_6detail15normal_iteratorINS8_10device_ptrIjEEEESH_NS8_9null_typeESI_SI_SI_SI_SI_SI_SI_EEEENS9_21zip_adj_not_predicateI22is_equal_div_10_uniqueIjEEEEEPllNS8_4plusIlEEEE10hipError_tPvRmT1_T2_T3_mT4_P12ihipStream_tbEUlT_E1_NS1_11comp_targetILNS1_3genE3ELNS1_11target_archE908ELNS1_3gpuE7ELNS1_3repE0EEENS1_30default_config_static_selectorELNS0_4arch9wavefront6targetE1EEEvSW_,"axG",@progbits,_ZN7rocprim17ROCPRIM_400000_NS6detail17trampoline_kernelINS0_14default_configENS1_22reduce_config_selectorIlEEZNS1_11reduce_implILb1ES3_N6thrust23THRUST_200600_302600_NS11hip_rocprim26transform_input_iterator_tIlNS8_12zip_iteratorINS8_5tupleINS8_6detail15normal_iteratorINS8_10device_ptrIjEEEESH_NS8_9null_typeESI_SI_SI_SI_SI_SI_SI_EEEENS9_21zip_adj_not_predicateI22is_equal_div_10_uniqueIjEEEEEPllNS8_4plusIlEEEE10hipError_tPvRmT1_T2_T3_mT4_P12ihipStream_tbEUlT_E1_NS1_11comp_targetILNS1_3genE3ELNS1_11target_archE908ELNS1_3gpuE7ELNS1_3repE0EEENS1_30default_config_static_selectorELNS0_4arch9wavefront6targetE1EEEvSW_,comdat
.Lfunc_end881:
	.size	_ZN7rocprim17ROCPRIM_400000_NS6detail17trampoline_kernelINS0_14default_configENS1_22reduce_config_selectorIlEEZNS1_11reduce_implILb1ES3_N6thrust23THRUST_200600_302600_NS11hip_rocprim26transform_input_iterator_tIlNS8_12zip_iteratorINS8_5tupleINS8_6detail15normal_iteratorINS8_10device_ptrIjEEEESH_NS8_9null_typeESI_SI_SI_SI_SI_SI_SI_EEEENS9_21zip_adj_not_predicateI22is_equal_div_10_uniqueIjEEEEEPllNS8_4plusIlEEEE10hipError_tPvRmT1_T2_T3_mT4_P12ihipStream_tbEUlT_E1_NS1_11comp_targetILNS1_3genE3ELNS1_11target_archE908ELNS1_3gpuE7ELNS1_3repE0EEENS1_30default_config_static_selectorELNS0_4arch9wavefront6targetE1EEEvSW_, .Lfunc_end881-_ZN7rocprim17ROCPRIM_400000_NS6detail17trampoline_kernelINS0_14default_configENS1_22reduce_config_selectorIlEEZNS1_11reduce_implILb1ES3_N6thrust23THRUST_200600_302600_NS11hip_rocprim26transform_input_iterator_tIlNS8_12zip_iteratorINS8_5tupleINS8_6detail15normal_iteratorINS8_10device_ptrIjEEEESH_NS8_9null_typeESI_SI_SI_SI_SI_SI_SI_EEEENS9_21zip_adj_not_predicateI22is_equal_div_10_uniqueIjEEEEEPllNS8_4plusIlEEEE10hipError_tPvRmT1_T2_T3_mT4_P12ihipStream_tbEUlT_E1_NS1_11comp_targetILNS1_3genE3ELNS1_11target_archE908ELNS1_3gpuE7ELNS1_3repE0EEENS1_30default_config_static_selectorELNS0_4arch9wavefront6targetE1EEEvSW_
                                        ; -- End function
	.set _ZN7rocprim17ROCPRIM_400000_NS6detail17trampoline_kernelINS0_14default_configENS1_22reduce_config_selectorIlEEZNS1_11reduce_implILb1ES3_N6thrust23THRUST_200600_302600_NS11hip_rocprim26transform_input_iterator_tIlNS8_12zip_iteratorINS8_5tupleINS8_6detail15normal_iteratorINS8_10device_ptrIjEEEESH_NS8_9null_typeESI_SI_SI_SI_SI_SI_SI_EEEENS9_21zip_adj_not_predicateI22is_equal_div_10_uniqueIjEEEEEPllNS8_4plusIlEEEE10hipError_tPvRmT1_T2_T3_mT4_P12ihipStream_tbEUlT_E1_NS1_11comp_targetILNS1_3genE3ELNS1_11target_archE908ELNS1_3gpuE7ELNS1_3repE0EEENS1_30default_config_static_selectorELNS0_4arch9wavefront6targetE1EEEvSW_.num_vgpr, 0
	.set _ZN7rocprim17ROCPRIM_400000_NS6detail17trampoline_kernelINS0_14default_configENS1_22reduce_config_selectorIlEEZNS1_11reduce_implILb1ES3_N6thrust23THRUST_200600_302600_NS11hip_rocprim26transform_input_iterator_tIlNS8_12zip_iteratorINS8_5tupleINS8_6detail15normal_iteratorINS8_10device_ptrIjEEEESH_NS8_9null_typeESI_SI_SI_SI_SI_SI_SI_EEEENS9_21zip_adj_not_predicateI22is_equal_div_10_uniqueIjEEEEEPllNS8_4plusIlEEEE10hipError_tPvRmT1_T2_T3_mT4_P12ihipStream_tbEUlT_E1_NS1_11comp_targetILNS1_3genE3ELNS1_11target_archE908ELNS1_3gpuE7ELNS1_3repE0EEENS1_30default_config_static_selectorELNS0_4arch9wavefront6targetE1EEEvSW_.num_agpr, 0
	.set _ZN7rocprim17ROCPRIM_400000_NS6detail17trampoline_kernelINS0_14default_configENS1_22reduce_config_selectorIlEEZNS1_11reduce_implILb1ES3_N6thrust23THRUST_200600_302600_NS11hip_rocprim26transform_input_iterator_tIlNS8_12zip_iteratorINS8_5tupleINS8_6detail15normal_iteratorINS8_10device_ptrIjEEEESH_NS8_9null_typeESI_SI_SI_SI_SI_SI_SI_EEEENS9_21zip_adj_not_predicateI22is_equal_div_10_uniqueIjEEEEEPllNS8_4plusIlEEEE10hipError_tPvRmT1_T2_T3_mT4_P12ihipStream_tbEUlT_E1_NS1_11comp_targetILNS1_3genE3ELNS1_11target_archE908ELNS1_3gpuE7ELNS1_3repE0EEENS1_30default_config_static_selectorELNS0_4arch9wavefront6targetE1EEEvSW_.numbered_sgpr, 0
	.set _ZN7rocprim17ROCPRIM_400000_NS6detail17trampoline_kernelINS0_14default_configENS1_22reduce_config_selectorIlEEZNS1_11reduce_implILb1ES3_N6thrust23THRUST_200600_302600_NS11hip_rocprim26transform_input_iterator_tIlNS8_12zip_iteratorINS8_5tupleINS8_6detail15normal_iteratorINS8_10device_ptrIjEEEESH_NS8_9null_typeESI_SI_SI_SI_SI_SI_SI_EEEENS9_21zip_adj_not_predicateI22is_equal_div_10_uniqueIjEEEEEPllNS8_4plusIlEEEE10hipError_tPvRmT1_T2_T3_mT4_P12ihipStream_tbEUlT_E1_NS1_11comp_targetILNS1_3genE3ELNS1_11target_archE908ELNS1_3gpuE7ELNS1_3repE0EEENS1_30default_config_static_selectorELNS0_4arch9wavefront6targetE1EEEvSW_.num_named_barrier, 0
	.set _ZN7rocprim17ROCPRIM_400000_NS6detail17trampoline_kernelINS0_14default_configENS1_22reduce_config_selectorIlEEZNS1_11reduce_implILb1ES3_N6thrust23THRUST_200600_302600_NS11hip_rocprim26transform_input_iterator_tIlNS8_12zip_iteratorINS8_5tupleINS8_6detail15normal_iteratorINS8_10device_ptrIjEEEESH_NS8_9null_typeESI_SI_SI_SI_SI_SI_SI_EEEENS9_21zip_adj_not_predicateI22is_equal_div_10_uniqueIjEEEEEPllNS8_4plusIlEEEE10hipError_tPvRmT1_T2_T3_mT4_P12ihipStream_tbEUlT_E1_NS1_11comp_targetILNS1_3genE3ELNS1_11target_archE908ELNS1_3gpuE7ELNS1_3repE0EEENS1_30default_config_static_selectorELNS0_4arch9wavefront6targetE1EEEvSW_.private_seg_size, 0
	.set _ZN7rocprim17ROCPRIM_400000_NS6detail17trampoline_kernelINS0_14default_configENS1_22reduce_config_selectorIlEEZNS1_11reduce_implILb1ES3_N6thrust23THRUST_200600_302600_NS11hip_rocprim26transform_input_iterator_tIlNS8_12zip_iteratorINS8_5tupleINS8_6detail15normal_iteratorINS8_10device_ptrIjEEEESH_NS8_9null_typeESI_SI_SI_SI_SI_SI_SI_EEEENS9_21zip_adj_not_predicateI22is_equal_div_10_uniqueIjEEEEEPllNS8_4plusIlEEEE10hipError_tPvRmT1_T2_T3_mT4_P12ihipStream_tbEUlT_E1_NS1_11comp_targetILNS1_3genE3ELNS1_11target_archE908ELNS1_3gpuE7ELNS1_3repE0EEENS1_30default_config_static_selectorELNS0_4arch9wavefront6targetE1EEEvSW_.uses_vcc, 0
	.set _ZN7rocprim17ROCPRIM_400000_NS6detail17trampoline_kernelINS0_14default_configENS1_22reduce_config_selectorIlEEZNS1_11reduce_implILb1ES3_N6thrust23THRUST_200600_302600_NS11hip_rocprim26transform_input_iterator_tIlNS8_12zip_iteratorINS8_5tupleINS8_6detail15normal_iteratorINS8_10device_ptrIjEEEESH_NS8_9null_typeESI_SI_SI_SI_SI_SI_SI_EEEENS9_21zip_adj_not_predicateI22is_equal_div_10_uniqueIjEEEEEPllNS8_4plusIlEEEE10hipError_tPvRmT1_T2_T3_mT4_P12ihipStream_tbEUlT_E1_NS1_11comp_targetILNS1_3genE3ELNS1_11target_archE908ELNS1_3gpuE7ELNS1_3repE0EEENS1_30default_config_static_selectorELNS0_4arch9wavefront6targetE1EEEvSW_.uses_flat_scratch, 0
	.set _ZN7rocprim17ROCPRIM_400000_NS6detail17trampoline_kernelINS0_14default_configENS1_22reduce_config_selectorIlEEZNS1_11reduce_implILb1ES3_N6thrust23THRUST_200600_302600_NS11hip_rocprim26transform_input_iterator_tIlNS8_12zip_iteratorINS8_5tupleINS8_6detail15normal_iteratorINS8_10device_ptrIjEEEESH_NS8_9null_typeESI_SI_SI_SI_SI_SI_SI_EEEENS9_21zip_adj_not_predicateI22is_equal_div_10_uniqueIjEEEEEPllNS8_4plusIlEEEE10hipError_tPvRmT1_T2_T3_mT4_P12ihipStream_tbEUlT_E1_NS1_11comp_targetILNS1_3genE3ELNS1_11target_archE908ELNS1_3gpuE7ELNS1_3repE0EEENS1_30default_config_static_selectorELNS0_4arch9wavefront6targetE1EEEvSW_.has_dyn_sized_stack, 0
	.set _ZN7rocprim17ROCPRIM_400000_NS6detail17trampoline_kernelINS0_14default_configENS1_22reduce_config_selectorIlEEZNS1_11reduce_implILb1ES3_N6thrust23THRUST_200600_302600_NS11hip_rocprim26transform_input_iterator_tIlNS8_12zip_iteratorINS8_5tupleINS8_6detail15normal_iteratorINS8_10device_ptrIjEEEESH_NS8_9null_typeESI_SI_SI_SI_SI_SI_SI_EEEENS9_21zip_adj_not_predicateI22is_equal_div_10_uniqueIjEEEEEPllNS8_4plusIlEEEE10hipError_tPvRmT1_T2_T3_mT4_P12ihipStream_tbEUlT_E1_NS1_11comp_targetILNS1_3genE3ELNS1_11target_archE908ELNS1_3gpuE7ELNS1_3repE0EEENS1_30default_config_static_selectorELNS0_4arch9wavefront6targetE1EEEvSW_.has_recursion, 0
	.set _ZN7rocprim17ROCPRIM_400000_NS6detail17trampoline_kernelINS0_14default_configENS1_22reduce_config_selectorIlEEZNS1_11reduce_implILb1ES3_N6thrust23THRUST_200600_302600_NS11hip_rocprim26transform_input_iterator_tIlNS8_12zip_iteratorINS8_5tupleINS8_6detail15normal_iteratorINS8_10device_ptrIjEEEESH_NS8_9null_typeESI_SI_SI_SI_SI_SI_SI_EEEENS9_21zip_adj_not_predicateI22is_equal_div_10_uniqueIjEEEEEPllNS8_4plusIlEEEE10hipError_tPvRmT1_T2_T3_mT4_P12ihipStream_tbEUlT_E1_NS1_11comp_targetILNS1_3genE3ELNS1_11target_archE908ELNS1_3gpuE7ELNS1_3repE0EEENS1_30default_config_static_selectorELNS0_4arch9wavefront6targetE1EEEvSW_.has_indirect_call, 0
	.section	.AMDGPU.csdata,"",@progbits
; Kernel info:
; codeLenInByte = 0
; TotalNumSgprs: 4
; NumVgprs: 0
; ScratchSize: 0
; MemoryBound: 0
; FloatMode: 240
; IeeeMode: 1
; LDSByteSize: 0 bytes/workgroup (compile time only)
; SGPRBlocks: 0
; VGPRBlocks: 0
; NumSGPRsForWavesPerEU: 4
; NumVGPRsForWavesPerEU: 1
; Occupancy: 10
; WaveLimiterHint : 0
; COMPUTE_PGM_RSRC2:SCRATCH_EN: 0
; COMPUTE_PGM_RSRC2:USER_SGPR: 6
; COMPUTE_PGM_RSRC2:TRAP_HANDLER: 0
; COMPUTE_PGM_RSRC2:TGID_X_EN: 1
; COMPUTE_PGM_RSRC2:TGID_Y_EN: 0
; COMPUTE_PGM_RSRC2:TGID_Z_EN: 0
; COMPUTE_PGM_RSRC2:TIDIG_COMP_CNT: 0
	.section	.text._ZN7rocprim17ROCPRIM_400000_NS6detail17trampoline_kernelINS0_14default_configENS1_22reduce_config_selectorIlEEZNS1_11reduce_implILb1ES3_N6thrust23THRUST_200600_302600_NS11hip_rocprim26transform_input_iterator_tIlNS8_12zip_iteratorINS8_5tupleINS8_6detail15normal_iteratorINS8_10device_ptrIjEEEESH_NS8_9null_typeESI_SI_SI_SI_SI_SI_SI_EEEENS9_21zip_adj_not_predicateI22is_equal_div_10_uniqueIjEEEEEPllNS8_4plusIlEEEE10hipError_tPvRmT1_T2_T3_mT4_P12ihipStream_tbEUlT_E1_NS1_11comp_targetILNS1_3genE2ELNS1_11target_archE906ELNS1_3gpuE6ELNS1_3repE0EEENS1_30default_config_static_selectorELNS0_4arch9wavefront6targetE1EEEvSW_,"axG",@progbits,_ZN7rocprim17ROCPRIM_400000_NS6detail17trampoline_kernelINS0_14default_configENS1_22reduce_config_selectorIlEEZNS1_11reduce_implILb1ES3_N6thrust23THRUST_200600_302600_NS11hip_rocprim26transform_input_iterator_tIlNS8_12zip_iteratorINS8_5tupleINS8_6detail15normal_iteratorINS8_10device_ptrIjEEEESH_NS8_9null_typeESI_SI_SI_SI_SI_SI_SI_EEEENS9_21zip_adj_not_predicateI22is_equal_div_10_uniqueIjEEEEEPllNS8_4plusIlEEEE10hipError_tPvRmT1_T2_T3_mT4_P12ihipStream_tbEUlT_E1_NS1_11comp_targetILNS1_3genE2ELNS1_11target_archE906ELNS1_3gpuE6ELNS1_3repE0EEENS1_30default_config_static_selectorELNS0_4arch9wavefront6targetE1EEEvSW_,comdat
	.protected	_ZN7rocprim17ROCPRIM_400000_NS6detail17trampoline_kernelINS0_14default_configENS1_22reduce_config_selectorIlEEZNS1_11reduce_implILb1ES3_N6thrust23THRUST_200600_302600_NS11hip_rocprim26transform_input_iterator_tIlNS8_12zip_iteratorINS8_5tupleINS8_6detail15normal_iteratorINS8_10device_ptrIjEEEESH_NS8_9null_typeESI_SI_SI_SI_SI_SI_SI_EEEENS9_21zip_adj_not_predicateI22is_equal_div_10_uniqueIjEEEEEPllNS8_4plusIlEEEE10hipError_tPvRmT1_T2_T3_mT4_P12ihipStream_tbEUlT_E1_NS1_11comp_targetILNS1_3genE2ELNS1_11target_archE906ELNS1_3gpuE6ELNS1_3repE0EEENS1_30default_config_static_selectorELNS0_4arch9wavefront6targetE1EEEvSW_ ; -- Begin function _ZN7rocprim17ROCPRIM_400000_NS6detail17trampoline_kernelINS0_14default_configENS1_22reduce_config_selectorIlEEZNS1_11reduce_implILb1ES3_N6thrust23THRUST_200600_302600_NS11hip_rocprim26transform_input_iterator_tIlNS8_12zip_iteratorINS8_5tupleINS8_6detail15normal_iteratorINS8_10device_ptrIjEEEESH_NS8_9null_typeESI_SI_SI_SI_SI_SI_SI_EEEENS9_21zip_adj_not_predicateI22is_equal_div_10_uniqueIjEEEEEPllNS8_4plusIlEEEE10hipError_tPvRmT1_T2_T3_mT4_P12ihipStream_tbEUlT_E1_NS1_11comp_targetILNS1_3genE2ELNS1_11target_archE906ELNS1_3gpuE6ELNS1_3repE0EEENS1_30default_config_static_selectorELNS0_4arch9wavefront6targetE1EEEvSW_
	.globl	_ZN7rocprim17ROCPRIM_400000_NS6detail17trampoline_kernelINS0_14default_configENS1_22reduce_config_selectorIlEEZNS1_11reduce_implILb1ES3_N6thrust23THRUST_200600_302600_NS11hip_rocprim26transform_input_iterator_tIlNS8_12zip_iteratorINS8_5tupleINS8_6detail15normal_iteratorINS8_10device_ptrIjEEEESH_NS8_9null_typeESI_SI_SI_SI_SI_SI_SI_EEEENS9_21zip_adj_not_predicateI22is_equal_div_10_uniqueIjEEEEEPllNS8_4plusIlEEEE10hipError_tPvRmT1_T2_T3_mT4_P12ihipStream_tbEUlT_E1_NS1_11comp_targetILNS1_3genE2ELNS1_11target_archE906ELNS1_3gpuE6ELNS1_3repE0EEENS1_30default_config_static_selectorELNS0_4arch9wavefront6targetE1EEEvSW_
	.p2align	8
	.type	_ZN7rocprim17ROCPRIM_400000_NS6detail17trampoline_kernelINS0_14default_configENS1_22reduce_config_selectorIlEEZNS1_11reduce_implILb1ES3_N6thrust23THRUST_200600_302600_NS11hip_rocprim26transform_input_iterator_tIlNS8_12zip_iteratorINS8_5tupleINS8_6detail15normal_iteratorINS8_10device_ptrIjEEEESH_NS8_9null_typeESI_SI_SI_SI_SI_SI_SI_EEEENS9_21zip_adj_not_predicateI22is_equal_div_10_uniqueIjEEEEEPllNS8_4plusIlEEEE10hipError_tPvRmT1_T2_T3_mT4_P12ihipStream_tbEUlT_E1_NS1_11comp_targetILNS1_3genE2ELNS1_11target_archE906ELNS1_3gpuE6ELNS1_3repE0EEENS1_30default_config_static_selectorELNS0_4arch9wavefront6targetE1EEEvSW_,@function
_ZN7rocprim17ROCPRIM_400000_NS6detail17trampoline_kernelINS0_14default_configENS1_22reduce_config_selectorIlEEZNS1_11reduce_implILb1ES3_N6thrust23THRUST_200600_302600_NS11hip_rocprim26transform_input_iterator_tIlNS8_12zip_iteratorINS8_5tupleINS8_6detail15normal_iteratorINS8_10device_ptrIjEEEESH_NS8_9null_typeESI_SI_SI_SI_SI_SI_SI_EEEENS9_21zip_adj_not_predicateI22is_equal_div_10_uniqueIjEEEEEPllNS8_4plusIlEEEE10hipError_tPvRmT1_T2_T3_mT4_P12ihipStream_tbEUlT_E1_NS1_11comp_targetILNS1_3genE2ELNS1_11target_archE906ELNS1_3gpuE6ELNS1_3repE0EEENS1_30default_config_static_selectorELNS0_4arch9wavefront6targetE1EEEvSW_: ; @_ZN7rocprim17ROCPRIM_400000_NS6detail17trampoline_kernelINS0_14default_configENS1_22reduce_config_selectorIlEEZNS1_11reduce_implILb1ES3_N6thrust23THRUST_200600_302600_NS11hip_rocprim26transform_input_iterator_tIlNS8_12zip_iteratorINS8_5tupleINS8_6detail15normal_iteratorINS8_10device_ptrIjEEEESH_NS8_9null_typeESI_SI_SI_SI_SI_SI_SI_EEEENS9_21zip_adj_not_predicateI22is_equal_div_10_uniqueIjEEEEEPllNS8_4plusIlEEEE10hipError_tPvRmT1_T2_T3_mT4_P12ihipStream_tbEUlT_E1_NS1_11comp_targetILNS1_3genE2ELNS1_11target_archE906ELNS1_3gpuE6ELNS1_3repE0EEENS1_30default_config_static_selectorELNS0_4arch9wavefront6targetE1EEEvSW_
; %bb.0:
	s_load_dword s30, s[4:5], 0x4
	s_load_dwordx4 s[24:27], s[4:5], 0x8
	s_load_dwordx4 s[20:23], s[4:5], 0x20
	s_waitcnt lgkmcnt(0)
	s_cmp_lt_i32 s30, 4
	s_cbranch_scc1 .LBB882_10
; %bb.1:
	s_cmp_gt_i32 s30, 7
	s_cbranch_scc0 .LBB882_11
; %bb.2:
	s_cmp_gt_i32 s30, 15
	s_cbranch_scc0 .LBB882_12
; %bb.3:
	s_mov_b64 s[2:3], 0
	s_cmp_eq_u32 s30, 16
	s_mov_b64 s[0:1], 0
                                        ; implicit-def: $vgpr1_vgpr2
                                        ; implicit-def: $vgpr3_vgpr4
	s_cbranch_scc0 .LBB882_13
; %bb.4:
	s_mov_b32 s7, 0
	s_lshl_b32 s12, s6, 12
	s_mov_b32 s13, s7
	s_lshr_b64 s[0:1], s[20:21], 12
	s_lshl_b64 s[10:11], s[12:13], 2
	s_add_u32 s8, s24, s10
	s_addc_u32 s9, s25, s11
	s_add_u32 s10, s26, s10
	s_addc_u32 s11, s27, s11
	s_cmp_lg_u64 s[0:1], s[6:7]
	s_cbranch_scc0 .LBB882_21
; %bb.5:
	v_lshlrev_b32_e32 v3, 2, v0
	v_mov_b32_e32 v1, s9
	v_add_co_u32_e32 v9, vcc, s8, v3
	v_addc_co_u32_e32 v10, vcc, 0, v1, vcc
	global_load_dword v11, v3, s[8:9]
	global_load_dword v12, v3, s[10:11]
	global_load_dword v13, v3, s[8:9] offset:1024
	global_load_dword v14, v3, s[10:11] offset:1024
	;; [unrolled: 1-line block ×6, first 2 shown]
	s_movk_i32 s0, 0x2000
	v_add_co_u32_e32 v1, vcc, s0, v9
	v_addc_co_u32_e32 v2, vcc, 0, v10, vcc
	v_mov_b32_e32 v4, s11
	v_add_co_u32_e32 v20, vcc, s10, v3
	v_addc_co_u32_e32 v21, vcc, 0, v4, vcc
	v_add_co_u32_e32 v3, vcc, s0, v20
	v_addc_co_u32_e32 v4, vcc, 0, v21, vcc
	global_load_dword v19, v[1:2], off offset:-4096
	global_load_dword v22, v[3:4], off offset:-4096
	s_movk_i32 s0, 0x1000
	v_add_co_u32_e32 v5, vcc, s0, v9
	v_addc_co_u32_e32 v6, vcc, 0, v10, vcc
	global_load_dword v23, v[5:6], off offset:1024
	v_add_co_u32_e32 v7, vcc, s0, v20
	v_addc_co_u32_e32 v8, vcc, 0, v21, vcc
	global_load_dword v24, v[7:8], off offset:1024
	global_load_dword v25, v[5:6], off offset:2048
	global_load_dword v26, v[7:8], off offset:2048
	s_mov_b32 s13, 0x66666667
	global_load_dword v28, v[5:6], off offset:3072
	global_load_dword v29, v[7:8], off offset:3072
	global_load_dword v30, v[3:4], off
	global_load_dword v31, v[3:4], off offset:1024
	global_load_dword v32, v[3:4], off offset:2048
	global_load_dword v33, v[1:2], off
	global_load_dword v34, v[1:2], off offset:1024
	global_load_dword v35, v[1:2], off offset:2048
                                        ; kill: killed $vgpr7 killed $vgpr8
                                        ; kill: killed $vgpr5 killed $vgpr6
	global_load_dword v5, v[1:2], off offset:3072
	s_movk_i32 s0, 0x3000
	v_mov_b32_e32 v27, 0
	s_waitcnt vmcnt(22)
	v_mul_hi_i32 v1, v11, s13
	s_waitcnt vmcnt(21)
	v_mul_hi_i32 v2, v12, s13
	s_waitcnt vmcnt(20)
	v_mul_hi_i32 v6, v13, s13
	s_waitcnt vmcnt(19)
	v_mul_hi_i32 v7, v14, s13
	s_waitcnt vmcnt(18)
	v_mul_hi_i32 v8, v15, s13
	v_lshrrev_b32_e32 v15, 31, v1
	v_ashrrev_i32_e32 v1, 2, v1
	s_waitcnt vmcnt(17)
	v_mul_hi_i32 v11, v16, s13
	v_add_u32_e32 v15, v1, v15
	v_lshrrev_b32_e32 v1, 31, v2
	v_ashrrev_i32_e32 v2, 2, v2
	s_waitcnt vmcnt(15)
	v_mul_hi_i32 v12, v18, s13
	v_add_u32_e32 v16, v2, v1
	v_lshrrev_b32_e32 v1, 31, v6
	v_ashrrev_i32_e32 v2, 2, v6
	v_mul_hi_i32 v13, v17, s13
	v_add_u32_e32 v6, v2, v1
	v_lshrrev_b32_e32 v1, 31, v7
	v_ashrrev_i32_e32 v2, 2, v7
	v_add_u32_e32 v7, v2, v1
	v_lshrrev_b32_e32 v1, 31, v8
	v_ashrrev_i32_e32 v2, 2, v8
	;; [unrolled: 3-line block ×5, first 2 shown]
	v_add_u32_e32 v2, v12, v2
	s_waitcnt vmcnt(14)
	v_mul_hi_i32 v14, v19, s13
	v_cmp_ne_u32_e32 vcc, v1, v2
	s_waitcnt vmcnt(13)
	v_mul_hi_i32 v1, v22, s13
	v_cndmask_b32_e64 v12, 0, 1, vcc
	global_load_dword v13, v[3:4], off offset:3072
	v_lshrrev_b32_e32 v2, 31, v14
	v_ashrrev_i32_e32 v3, 2, v14
	v_lshrrev_b32_e32 v17, 31, v1
	v_ashrrev_i32_e32 v18, 2, v1
	v_add_co_u32_e32 v1, vcc, s0, v9
	v_add_u32_e32 v14, v3, v2
	v_addc_co_u32_e32 v2, vcc, 0, v10, vcc
	v_add_co_u32_e32 v3, vcc, s0, v20
	global_load_dword v9, v[1:2], off
	v_addc_co_u32_e32 v4, vcc, 0, v21, vcc
	s_waitcnt vmcnt(14)
	v_mul_hi_i32 v19, v23, s13
	global_load_dword v10, v[3:4], off
	global_load_dword v21, v[3:4], off offset:1024
	global_load_dword v22, v[3:4], off offset:2048
	v_add_u32_e32 v17, v18, v17
	v_cmp_ne_u32_e32 vcc, v14, v17
	v_lshrrev_b32_e32 v14, 31, v19
	v_ashrrev_i32_e32 v18, 2, v19
	s_waitcnt vmcnt(16)
	v_mul_hi_i32 v17, v24, s13
	v_add_u32_e32 v14, v18, v14
	global_load_dword v18, v[1:2], off offset:1024
	s_waitcnt vmcnt(16)
	v_mul_hi_i32 v20, v25, s13
	v_lshrrev_b32_e32 v19, 31, v17
	v_ashrrev_i32_e32 v17, 2, v17
	v_add_u32_e32 v17, v17, v19
	v_cmp_ne_u32_e64 s[0:1], v14, v17
	v_lshrrev_b32_e32 v14, 31, v20
	v_ashrrev_i32_e32 v19, 2, v20
	global_load_dword v20, v[1:2], off offset:2048
	s_waitcnt vmcnt(16)
	v_mul_hi_i32 v17, v26, s13
	global_load_dword v1, v[1:2], off offset:3072
	v_add_u32_e32 v14, v19, v14
	global_load_dword v3, v[3:4], off offset:3072
	v_lshrrev_b32_e32 v19, 31, v17
	v_ashrrev_i32_e32 v17, 2, v17
	v_add_u32_e32 v17, v17, v19
	s_waitcnt vmcnt(17)
	v_mul_hi_i32 v23, v28, s13
	v_cndmask_b32_e64 v19, 0, 1, vcc
	v_cmp_ne_u32_e32 vcc, v14, v17
	s_waitcnt vmcnt(16)
	v_mul_hi_i32 v17, v29, s13
	v_lshrrev_b32_e32 v4, 31, v23
	v_ashrrev_i32_e32 v23, 2, v23
	v_add_u32_e32 v4, v23, v4
	v_lshrrev_b32_e32 v23, 31, v17
	v_ashrrev_i32_e32 v17, 2, v17
	v_add_u32_e32 v17, v17, v23
	s_waitcnt vmcnt(12)
	v_mul_hi_i32 v23, v33, s13
	v_cndmask_b32_e64 v14, 0, 1, vcc
	v_cmp_ne_u32_e32 vcc, v4, v17
	v_mul_hi_i32 v17, v30, s13
	v_lshrrev_b32_e32 v24, 31, v23
	v_ashrrev_i32_e32 v23, 2, v23
	v_add_u32_e32 v23, v23, v24
	v_lshrrev_b32_e32 v24, 31, v17
	v_ashrrev_i32_e32 v17, 2, v17
	v_add_u32_e32 v17, v17, v24
	s_waitcnt vmcnt(11)
	v_mul_hi_i32 v24, v34, s13
	v_cndmask_b32_e64 v4, 0, 1, vcc
	v_cmp_ne_u32_e32 vcc, v23, v17
	;; [unrolled: 11-line block ×3, first 2 shown]
	v_mul_hi_i32 v24, v32, s13
	s_waitcnt vmcnt(9)
	v_mul_hi_i32 v5, v5, s13
	v_lshrrev_b32_e32 v26, 31, v25
	v_ashrrev_i32_e32 v25, 2, v25
	v_add_u32_e32 v25, v25, v26
	v_lshrrev_b32_e32 v26, 31, v24
	s_waitcnt vmcnt(8)
	v_mul_hi_i32 v13, v13, s13
	v_ashrrev_i32_e32 v24, 2, v24
	v_add_u32_e32 v24, v24, v26
	v_cndmask_b32_e64 v23, 0, 1, vcc
	v_cmp_ne_u32_e32 vcc, v25, v24
	v_lshrrev_b32_e32 v25, 31, v5
	v_ashrrev_i32_e32 v5, 2, v5
	v_add_u32_e32 v5, v5, v25
	v_lshrrev_b32_e32 v25, 31, v13
	v_ashrrev_i32_e32 v13, 2, v13
	v_add_u32_e32 v13, v13, v25
	v_cndmask_b32_e64 v24, 0, 1, vcc
	s_waitcnt vmcnt(7)
	v_mul_hi_i32 v9, v9, s13
	v_cmp_ne_u32_e32 vcc, v5, v13
	v_cndmask_b32_e64 v5, 0, 1, vcc
	v_cndmask_b32_e64 v2, 0, 1, s[0:1]
	s_waitcnt vmcnt(6)
	v_mul_hi_i32 v10, v10, s13
	v_lshrrev_b32_e32 v13, 31, v9
	v_ashrrev_i32_e32 v9, 2, v9
	v_add_u32_e32 v9, v9, v13
	v_lshrrev_b32_e32 v13, 31, v10
	v_ashrrev_i32_e32 v10, 2, v10
	v_add_u32_e32 v10, v10, v13
	v_cmp_ne_u32_e32 vcc, v9, v10
	s_waitcnt vmcnt(5)
	v_mul_hi_i32 v10, v21, s13
	s_waitcnt vmcnt(3)
	v_mul_hi_i32 v13, v18, s13
	v_cndmask_b32_e64 v9, 0, 1, vcc
	v_lshrrev_b32_e32 v18, 31, v13
	v_ashrrev_i32_e32 v13, 2, v13
	v_add_u32_e32 v13, v13, v18
	v_lshrrev_b32_e32 v18, 31, v10
	v_ashrrev_i32_e32 v10, 2, v10
	v_add_u32_e32 v10, v10, v18
	s_waitcnt vmcnt(2)
	v_mul_hi_i32 v18, v20, s13
	v_cmp_ne_u32_e32 vcc, v13, v10
	v_mul_hi_i32 v13, v22, s13
	s_waitcnt vmcnt(1)
	v_mul_hi_i32 v1, v1, s13
	v_lshrrev_b32_e32 v20, 31, v18
	v_ashrrev_i32_e32 v18, 2, v18
	s_waitcnt vmcnt(0)
	v_mul_hi_i32 v3, v3, s13
	v_add_u32_e32 v18, v18, v20
	v_lshrrev_b32_e32 v20, 31, v13
	v_ashrrev_i32_e32 v13, 2, v13
	v_add_u32_e32 v13, v13, v20
	v_cndmask_b32_e64 v10, 0, 1, vcc
	v_cmp_ne_u32_e32 vcc, v18, v13
	v_lshrrev_b32_e32 v18, 31, v1
	v_ashrrev_i32_e32 v1, 2, v1
	v_add_u32_e32 v1, v1, v18
	v_lshrrev_b32_e32 v18, 31, v3
	v_ashrrev_i32_e32 v3, 2, v3
	v_add_u32_e32 v3, v3, v18
	v_cndmask_b32_e64 v13, 0, 1, vcc
	v_cmp_ne_u32_e32 vcc, v1, v3
	v_cndmask_b32_e64 v1, 0, 1, vcc
	v_cmp_ne_u32_e32 vcc, v6, v7
	;; [unrolled: 2-line block ×4, first 2 shown]
	v_addc_co_u32_e32 v3, vcc, v3, v6, vcc
	v_add_co_u32_e32 v3, vcc, v3, v12
	v_addc_co_u32_e64 v6, s[0:1], 0, 0, vcc
	v_add_co_u32_e32 v3, vcc, v3, v19
	v_addc_co_u32_e32 v6, vcc, 0, v6, vcc
	v_add_co_u32_e32 v2, vcc, v3, v2
	v_addc_co_u32_e32 v3, vcc, 0, v6, vcc
	;; [unrolled: 2-line block ×12, first 2 shown]
	s_nop 0
	v_mov_b32_dpp v4, v1 quad_perm:[1,0,3,2] row_mask:0xf bank_mask:0xf bound_ctrl:1
	v_add_co_u32_e32 v1, vcc, v1, v4
	v_addc_co_u32_e32 v2, vcc, 0, v2, vcc
	v_mov_b32_dpp v5, v27 quad_perm:[1,0,3,2] row_mask:0xf bank_mask:0xf bound_ctrl:1
	v_add_co_u32_e32 v4, vcc, 0, v1
	v_addc_co_u32_e32 v2, vcc, v5, v2, vcc
	v_mov_b32_dpp v1, v1 quad_perm:[2,3,0,1] row_mask:0xf bank_mask:0xf bound_ctrl:1
	v_add_co_u32_e32 v1, vcc, v4, v1
	v_mov_b32_dpp v5, v2 quad_perm:[2,3,0,1] row_mask:0xf bank_mask:0xf bound_ctrl:1
	v_addc_co_u32_e32 v2, vcc, 0, v2, vcc
	v_add_co_u32_e32 v4, vcc, 0, v1
	v_addc_co_u32_e32 v2, vcc, v2, v5, vcc
	v_mov_b32_dpp v1, v1 row_ror:4 row_mask:0xf bank_mask:0xf bound_ctrl:1
	v_add_co_u32_e32 v1, vcc, v4, v1
	v_mov_b32_dpp v5, v2 row_ror:4 row_mask:0xf bank_mask:0xf bound_ctrl:1
	v_addc_co_u32_e32 v2, vcc, 0, v2, vcc
	v_add_co_u32_e32 v4, vcc, 0, v1
	v_addc_co_u32_e32 v2, vcc, v2, v5, vcc
	v_mov_b32_dpp v1, v1 row_ror:8 row_mask:0xf bank_mask:0xf bound_ctrl:1
	v_add_co_u32_e32 v1, vcc, v4, v1
	v_mov_b32_dpp v5, v2 row_ror:8 row_mask:0xf bank_mask:0xf bound_ctrl:1
	v_addc_co_u32_e32 v2, vcc, 0, v2, vcc
	v_add_co_u32_e32 v4, vcc, 0, v1
	v_addc_co_u32_e32 v2, vcc, v2, v5, vcc
	v_mov_b32_dpp v1, v1 row_bcast:15 row_mask:0xf bank_mask:0xf bound_ctrl:1
	v_add_co_u32_e32 v1, vcc, v4, v1
	v_mov_b32_dpp v5, v2 row_bcast:15 row_mask:0xf bank_mask:0xf bound_ctrl:1
	v_addc_co_u32_e32 v2, vcc, 0, v2, vcc
	v_add_co_u32_e32 v4, vcc, 0, v1
	v_addc_co_u32_e32 v2, vcc, v2, v5, vcc
	v_mov_b32_dpp v1, v1 row_bcast:31 row_mask:0xf bank_mask:0xf bound_ctrl:1
	v_mbcnt_lo_u32_b32 v3, -1, 0
	v_add_co_u32_e32 v1, vcc, v4, v1
	v_mbcnt_hi_u32_b32 v3, -1, v3
	v_addc_co_u32_e32 v4, vcc, 0, v2, vcc
	v_cmp_eq_u32_e32 vcc, 0, v3
	s_nop 0
	v_add_u32_dpp v2, v2, v4 row_bcast:31 row_mask:0xf bank_mask:0xf bound_ctrl:1
	v_lshlrev_b32_e32 v4, 2, v3
	v_or_b32_e32 v5, 0xfc, v4
	ds_bpermute_b32 v1, v5, v1
	ds_bpermute_b32 v2, v5, v2
	s_and_saveexec_b64 s[0:1], vcc
	s_cbranch_execz .LBB882_7
; %bb.6:
	v_lshrrev_b32_e32 v5, 3, v0
	v_and_b32_e32 v5, 24, v5
	s_waitcnt lgkmcnt(0)
	ds_write_b64 v5, v[1:2]
.LBB882_7:
	s_or_b64 exec, exec, s[0:1]
	v_cmp_gt_u32_e32 vcc, 64, v0
	s_waitcnt lgkmcnt(0)
	s_barrier
	s_and_saveexec_b64 s[0:1], vcc
	s_cbranch_execz .LBB882_9
; %bb.8:
	v_and_b32_e32 v5, 3, v3
	v_lshlrev_b32_e32 v1, 3, v5
	ds_read_b64 v[1:2], v1
	v_cmp_ne_u32_e32 vcc, 3, v5
	v_addc_co_u32_e32 v3, vcc, 0, v3, vcc
	v_lshlrev_b32_e32 v3, 2, v3
	s_waitcnt lgkmcnt(0)
	ds_bpermute_b32 v5, v3, v1
	ds_bpermute_b32 v3, v3, v2
	v_or_b32_e32 v4, 8, v4
	s_waitcnt lgkmcnt(1)
	v_add_co_u32_e32 v1, vcc, v1, v5
	v_addc_co_u32_e32 v2, vcc, 0, v2, vcc
	ds_bpermute_b32 v5, v4, v1
	v_add_co_u32_e32 v1, vcc, 0, v1
	s_waitcnt lgkmcnt(1)
	v_addc_co_u32_e32 v2, vcc, v3, v2, vcc
	ds_bpermute_b32 v3, v4, v2
	s_waitcnt lgkmcnt(1)
	v_add_co_u32_e32 v1, vcc, v1, v5
	v_addc_co_u32_e32 v2, vcc, 0, v2, vcc
	v_add_co_u32_e32 v1, vcc, 0, v1
	s_waitcnt lgkmcnt(0)
	v_addc_co_u32_e32 v2, vcc, v2, v3, vcc
.LBB882_9:
	s_or_b64 exec, exec, s[0:1]
	s_mov_b64 s[0:1], 0
	s_branch .LBB882_22
.LBB882_10:
	s_mov_b64 s[0:1], 0
                                        ; implicit-def: $vgpr1_vgpr2
                                        ; implicit-def: $vgpr3_vgpr4
	s_cbranch_execnz .LBB882_145
	s_branch .LBB882_206
.LBB882_11:
	s_mov_b64 s[0:1], 0
                                        ; implicit-def: $vgpr1_vgpr2
                                        ; implicit-def: $vgpr3_vgpr4
	s_cbranch_execnz .LBB882_110
	s_branch .LBB882_144
.LBB882_12:
	s_mov_b64 s[2:3], -1
	s_mov_b64 s[0:1], 0
                                        ; implicit-def: $vgpr1_vgpr2
                                        ; implicit-def: $vgpr3_vgpr4
.LBB882_13:
	s_and_b64 vcc, exec, s[2:3]
	s_cbranch_vccz .LBB882_109
.LBB882_14:
	s_cmp_eq_u32 s30, 8
                                        ; implicit-def: $vgpr1_vgpr2
                                        ; implicit-def: $vgpr3_vgpr4
	s_cbranch_scc0 .LBB882_109
; %bb.15:
	s_mov_b32 s7, 0
	s_lshl_b32 s0, s6, 11
	s_mov_b32 s1, s7
	s_lshr_b64 s[2:3], s[20:21], 11
	s_lshl_b64 s[8:9], s[0:1], 2
	s_add_u32 s16, s24, s8
	s_addc_u32 s17, s25, s9
	s_add_u32 s18, s26, s8
	s_addc_u32 s19, s27, s9
	s_cmp_lg_u64 s[2:3], s[6:7]
	s_cbranch_scc0 .LBB882_73
; %bb.16:
	v_lshlrev_b32_e32 v1, 2, v0
	v_mov_b32_e32 v2, s17
	v_add_co_u32_e32 v3, vcc, s16, v1
	v_addc_co_u32_e32 v2, vcc, 0, v2, vcc
	v_mov_b32_e32 v4, s19
	v_add_co_u32_e32 v5, vcc, s18, v1
	v_addc_co_u32_e32 v4, vcc, 0, v4, vcc
	s_movk_i32 s1, 0x1000
	global_load_dword v6, v1, s[16:17]
	global_load_dword v7, v1, s[18:19]
	global_load_dword v8, v1, s[16:17] offset:1024
	global_load_dword v9, v1, s[18:19] offset:1024
	;; [unrolled: 1-line block ×6, first 2 shown]
	v_add_co_u32_e32 v1, vcc, s1, v3
	v_addc_co_u32_e32 v2, vcc, 0, v2, vcc
	global_load_dword v14, v[1:2], off
	v_add_co_u32_e32 v3, vcc, s1, v5
	v_addc_co_u32_e32 v4, vcc, 0, v4, vcc
	global_load_dword v5, v[3:4], off
	global_load_dword v15, v[1:2], off offset:1024
	global_load_dword v16, v[3:4], off offset:1024
	;; [unrolled: 1-line block ×6, first 2 shown]
	s_mov_b32 s1, 0x66666667
	v_mov_b32_e32 v1, 0
	s_waitcnt vmcnt(15)
	v_mul_hi_i32 v2, v6, s1
	s_waitcnt vmcnt(14)
	v_mul_hi_i32 v3, v7, s1
	;; [unrolled: 2-line block ×8, first 2 shown]
	v_lshrrev_b32_e32 v21, 31, v6
	v_ashrrev_i32_e32 v6, 2, v6
	v_lshrrev_b32_e32 v25, 31, v10
	s_waitcnt vmcnt(6)
	v_mul_hi_i32 v5, v5, s1
	v_mul_hi_i32 v11, v14, s1
	s_waitcnt vmcnt(5)
	v_mul_hi_i32 v12, v15, s1
	s_waitcnt vmcnt(4)
	v_mul_hi_i32 v13, v16, s1
	v_lshrrev_b32_e32 v24, 31, v9
	v_ashrrev_i32_e32 v9, 2, v9
	v_ashrrev_i32_e32 v10, 2, v10
	v_lshrrev_b32_e32 v14, 31, v2
	v_ashrrev_i32_e32 v2, 2, v2
	v_add_u32_e32 v9, v9, v24
	v_add_u32_e32 v10, v10, v25
	v_lshrrev_b32_e32 v15, 31, v3
	v_ashrrev_i32_e32 v3, 2, v3
	v_lshrrev_b32_e32 v16, 31, v4
	v_ashrrev_i32_e32 v4, 2, v4
	v_add_u32_e32 v2, v2, v14
	v_cmp_ne_u32_e32 vcc, v9, v10
	v_lshrrev_b32_e32 v10, 31, v11
	v_ashrrev_i32_e32 v11, 2, v11
	v_lshrrev_b32_e32 v14, 31, v5
	v_ashrrev_i32_e32 v5, 2, v5
	v_add_u32_e32 v3, v3, v15
	v_add_u32_e32 v4, v4, v16
	v_lshrrev_b32_e32 v15, 31, v12
	v_ashrrev_i32_e32 v12, 2, v12
	v_lshrrev_b32_e32 v16, 31, v13
	v_ashrrev_i32_e32 v13, 2, v13
	v_add_u32_e32 v10, v11, v10
	v_add_u32_e32 v5, v5, v14
	v_cndmask_b32_e64 v9, 0, 1, vcc
	v_add_u32_e32 v11, v12, v15
	v_add_u32_e32 v12, v13, v16
	v_cmp_ne_u32_e32 vcc, v10, v5
	s_waitcnt vmcnt(3)
	v_mul_hi_i32 v10, v17, s1
	v_cndmask_b32_e64 v5, 0, 1, vcc
	v_cmp_ne_u32_e32 vcc, v11, v12
	s_waitcnt vmcnt(2)
	v_mul_hi_i32 v12, v18, s1
	v_lshrrev_b32_e32 v13, 31, v10
	v_ashrrev_i32_e32 v10, 2, v10
	v_add_u32_e32 v10, v10, v13
	v_lshrrev_b32_e32 v13, 31, v12
	v_ashrrev_i32_e32 v12, 2, v12
	v_add_u32_e32 v12, v12, v13
	s_waitcnt vmcnt(1)
	v_mul_hi_i32 v13, v19, s1
	v_cndmask_b32_e64 v11, 0, 1, vcc
	v_cmp_ne_u32_e32 vcc, v10, v12
	s_waitcnt vmcnt(0)
	v_mul_hi_i32 v12, v20, s1
	v_lshrrev_b32_e32 v14, 31, v13
	v_ashrrev_i32_e32 v13, 2, v13
	v_add_u32_e32 v13, v13, v14
	v_lshrrev_b32_e32 v14, 31, v12
	v_ashrrev_i32_e32 v12, 2, v12
	v_add_u32_e32 v12, v12, v14
	v_add_u32_e32 v6, v6, v21
	v_cndmask_b32_e64 v10, 0, 1, vcc
	v_cmp_ne_u32_e32 vcc, v13, v12
	v_lshrrev_b32_e32 v22, 31, v7
	v_ashrrev_i32_e32 v7, 2, v7
	v_lshrrev_b32_e32 v23, 31, v8
	v_ashrrev_i32_e32 v8, 2, v8
	v_cndmask_b32_e64 v12, 0, 1, vcc
	v_cmp_ne_u32_e32 vcc, v4, v6
	v_add_u32_e32 v7, v7, v22
	v_add_u32_e32 v8, v8, v23
	v_cndmask_b32_e64 v4, 0, 1, vcc
	v_cmp_ne_u32_e32 vcc, v2, v3
	v_cndmask_b32_e64 v2, 0, 1, vcc
	v_cmp_ne_u32_e32 vcc, v7, v8
	v_addc_co_u32_e32 v2, vcc, v4, v2, vcc
	v_add_co_u32_e32 v2, vcc, v2, v9
	v_addc_co_u32_e64 v3, s[2:3], 0, 0, vcc
	v_add_co_u32_e32 v2, vcc, v2, v5
	v_addc_co_u32_e32 v3, vcc, 0, v3, vcc
	v_add_co_u32_e32 v2, vcc, v2, v11
	v_addc_co_u32_e32 v3, vcc, 0, v3, vcc
	;; [unrolled: 2-line block ×4, first 2 shown]
	s_nop 0
	v_mov_b32_dpp v5, v2 quad_perm:[1,0,3,2] row_mask:0xf bank_mask:0xf bound_ctrl:1
	v_add_co_u32_e32 v2, vcc, v2, v5
	v_addc_co_u32_e32 v4, vcc, 0, v4, vcc
	v_mov_b32_dpp v1, v1 quad_perm:[1,0,3,2] row_mask:0xf bank_mask:0xf bound_ctrl:1
	v_add_co_u32_e32 v5, vcc, 0, v2
	v_addc_co_u32_e32 v1, vcc, v1, v4, vcc
	v_mov_b32_dpp v2, v2 quad_perm:[2,3,0,1] row_mask:0xf bank_mask:0xf bound_ctrl:1
	v_add_co_u32_e32 v2, vcc, v5, v2
	v_mov_b32_dpp v4, v1 quad_perm:[2,3,0,1] row_mask:0xf bank_mask:0xf bound_ctrl:1
	v_addc_co_u32_e32 v1, vcc, 0, v1, vcc
	v_add_co_u32_e32 v5, vcc, 0, v2
	v_addc_co_u32_e32 v1, vcc, v1, v4, vcc
	v_mov_b32_dpp v2, v2 row_ror:4 row_mask:0xf bank_mask:0xf bound_ctrl:1
	v_add_co_u32_e32 v2, vcc, v5, v2
	v_mov_b32_dpp v4, v1 row_ror:4 row_mask:0xf bank_mask:0xf bound_ctrl:1
	v_addc_co_u32_e32 v1, vcc, 0, v1, vcc
	v_add_co_u32_e32 v5, vcc, 0, v2
	v_addc_co_u32_e32 v1, vcc, v1, v4, vcc
	v_mov_b32_dpp v2, v2 row_ror:8 row_mask:0xf bank_mask:0xf bound_ctrl:1
	v_add_co_u32_e32 v2, vcc, v5, v2
	v_mov_b32_dpp v4, v1 row_ror:8 row_mask:0xf bank_mask:0xf bound_ctrl:1
	v_addc_co_u32_e32 v1, vcc, 0, v1, vcc
	v_add_co_u32_e32 v5, vcc, 0, v2
	v_addc_co_u32_e32 v1, vcc, v1, v4, vcc
	v_mov_b32_dpp v2, v2 row_bcast:15 row_mask:0xf bank_mask:0xf bound_ctrl:1
	v_add_co_u32_e32 v2, vcc, v5, v2
	v_mov_b32_dpp v4, v1 row_bcast:15 row_mask:0xf bank_mask:0xf bound_ctrl:1
	v_addc_co_u32_e32 v1, vcc, 0, v1, vcc
	v_add_co_u32_e32 v5, vcc, 0, v2
	v_addc_co_u32_e32 v1, vcc, v1, v4, vcc
	v_mov_b32_dpp v2, v2 row_bcast:31 row_mask:0xf bank_mask:0xf bound_ctrl:1
	v_mbcnt_lo_u32_b32 v3, -1, 0
	v_add_co_u32_e32 v2, vcc, v5, v2
	v_mbcnt_hi_u32_b32 v3, -1, v3
	v_addc_co_u32_e32 v4, vcc, 0, v1, vcc
	v_cmp_eq_u32_e32 vcc, 0, v3
	s_nop 0
	v_add_u32_dpp v5, v1, v4 row_bcast:31 row_mask:0xf bank_mask:0xf bound_ctrl:1
	v_lshlrev_b32_e32 v4, 2, v3
	v_or_b32_e32 v6, 0xfc, v4
	ds_bpermute_b32 v1, v6, v2
	ds_bpermute_b32 v2, v6, v5
	s_and_saveexec_b64 s[2:3], vcc
	s_cbranch_execz .LBB882_18
; %bb.17:
	v_lshrrev_b32_e32 v5, 3, v0
	v_and_b32_e32 v5, 24, v5
	s_waitcnt lgkmcnt(0)
	ds_write_b64 v5, v[1:2] offset:128
.LBB882_18:
	s_or_b64 exec, exec, s[2:3]
	v_cmp_gt_u32_e32 vcc, 64, v0
	s_waitcnt lgkmcnt(0)
	s_barrier
	s_and_saveexec_b64 s[2:3], vcc
	s_cbranch_execz .LBB882_20
; %bb.19:
	v_and_b32_e32 v5, 3, v3
	v_lshlrev_b32_e32 v1, 3, v5
	ds_read_b64 v[1:2], v1 offset:128
	v_cmp_ne_u32_e32 vcc, 3, v5
	v_addc_co_u32_e32 v3, vcc, 0, v3, vcc
	v_lshlrev_b32_e32 v3, 2, v3
	s_waitcnt lgkmcnt(0)
	ds_bpermute_b32 v5, v3, v1
	ds_bpermute_b32 v3, v3, v2
	v_or_b32_e32 v4, 8, v4
	s_waitcnt lgkmcnt(1)
	v_add_co_u32_e32 v1, vcc, v1, v5
	v_addc_co_u32_e32 v2, vcc, 0, v2, vcc
	ds_bpermute_b32 v5, v4, v1
	v_add_co_u32_e32 v1, vcc, 0, v1
	s_waitcnt lgkmcnt(1)
	v_addc_co_u32_e32 v2, vcc, v3, v2, vcc
	ds_bpermute_b32 v3, v4, v2
	s_waitcnt lgkmcnt(1)
	v_add_co_u32_e32 v1, vcc, v1, v5
	v_addc_co_u32_e32 v2, vcc, 0, v2, vcc
	v_add_co_u32_e32 v1, vcc, 0, v1
	s_waitcnt lgkmcnt(0)
	v_addc_co_u32_e32 v2, vcc, v2, v3, vcc
.LBB882_20:
	s_or_b64 exec, exec, s[2:3]
	s_mov_b64 s[2:3], 0
	s_branch .LBB882_74
.LBB882_21:
	s_mov_b64 s[0:1], -1
                                        ; implicit-def: $vgpr1_vgpr2
.LBB882_22:
	s_and_b64 vcc, exec, s[0:1]
	s_cbranch_vccz .LBB882_72
; %bb.23:
	s_sub_i32 s12, s20, s12
	v_cmp_gt_u32_e32 vcc, s12, v0
                                        ; implicit-def: $vgpr1_vgpr2
	s_and_saveexec_b64 s[0:1], vcc
	s_cbranch_execz .LBB882_25
; %bb.24:
	v_lshlrev_b32_e32 v1, 2, v0
	global_load_dword v2, v1, s[8:9]
	global_load_dword v3, v1, s[10:11]
	s_mov_b32 s13, 0x66666667
	s_waitcnt vmcnt(1)
	v_mul_hi_i32 v1, v2, s13
	s_waitcnt vmcnt(0)
	v_mul_hi_i32 v2, v3, s13
	s_mov_b32 s13, 0
	v_lshrrev_b32_e32 v3, 31, v1
	v_ashrrev_i32_e32 v1, 2, v1
	v_lshrrev_b32_e32 v4, 31, v2
	v_ashrrev_i32_e32 v2, 2, v2
	v_add_u32_e32 v1, v1, v3
	v_add_u32_e32 v2, v2, v4
	v_cmp_ne_u32_e32 vcc, v1, v2
	v_cndmask_b32_e64 v1, 0, 1, vcc
	v_mov_b32_e32 v2, s13
.LBB882_25:
	s_or_b64 exec, exec, s[0:1]
	v_or_b32_e32 v7, 0x100, v0
	v_mov_b32_e32 v3, 0
	v_mov_b32_e32 v5, 0
	;; [unrolled: 1-line block ×4, first 2 shown]
	v_cmp_gt_u32_e32 vcc, s12, v7
	s_and_saveexec_b64 s[0:1], vcc
	s_cbranch_execz .LBB882_27
; %bb.26:
	v_lshlrev_b32_e32 v5, 2, v0
	global_load_dword v6, v5, s[8:9] offset:1024
	global_load_dword v7, v5, s[10:11] offset:1024
	s_mov_b32 s13, 0x66666667
	s_waitcnt vmcnt(1)
	v_mul_hi_i32 v5, v6, s13
	s_waitcnt vmcnt(0)
	v_mul_hi_i32 v6, v7, s13
	s_mov_b32 s13, 0
	v_lshrrev_b32_e32 v7, 31, v5
	v_ashrrev_i32_e32 v5, 2, v5
	v_lshrrev_b32_e32 v8, 31, v6
	v_ashrrev_i32_e32 v6, 2, v6
	v_add_u32_e32 v5, v5, v7
	v_add_u32_e32 v6, v6, v8
	v_cmp_ne_u32_e32 vcc, v5, v6
	v_cndmask_b32_e64 v5, 0, 1, vcc
	v_mov_b32_e32 v6, s13
.LBB882_27:
	s_or_b64 exec, exec, s[0:1]
	v_or_b32_e32 v7, 0x200, v0
	v_cmp_gt_u32_e32 vcc, s12, v7
	s_and_saveexec_b64 s[0:1], vcc
	s_cbranch_execz .LBB882_29
; %bb.28:
	v_lshlrev_b32_e32 v3, 2, v0
	global_load_dword v4, v3, s[8:9] offset:2048
	global_load_dword v7, v3, s[10:11] offset:2048
	s_mov_b32 s13, 0x66666667
	s_waitcnt vmcnt(1)
	v_mul_hi_i32 v3, v4, s13
	s_waitcnt vmcnt(0)
	v_mul_hi_i32 v4, v7, s13
	s_mov_b32 s13, 0
	v_lshrrev_b32_e32 v7, 31, v3
	v_ashrrev_i32_e32 v3, 2, v3
	v_lshrrev_b32_e32 v8, 31, v4
	v_ashrrev_i32_e32 v4, 2, v4
	v_add_u32_e32 v3, v3, v7
	v_add_u32_e32 v4, v4, v8
	v_cmp_ne_u32_e32 vcc, v3, v4
	v_cndmask_b32_e64 v3, 0, 1, vcc
	v_mov_b32_e32 v4, s13
.LBB882_29:
	s_or_b64 exec, exec, s[0:1]
	v_or_b32_e32 v11, 0x300, v0
	v_mov_b32_e32 v7, 0
	v_mov_b32_e32 v9, 0
	;; [unrolled: 1-line block ×4, first 2 shown]
	v_cmp_gt_u32_e32 vcc, s12, v11
	s_and_saveexec_b64 s[0:1], vcc
	s_cbranch_execz .LBB882_31
; %bb.30:
	v_lshlrev_b32_e32 v9, 2, v0
	global_load_dword v10, v9, s[8:9] offset:3072
	global_load_dword v11, v9, s[10:11] offset:3072
	s_mov_b32 s13, 0x66666667
	s_waitcnt vmcnt(1)
	v_mul_hi_i32 v9, v10, s13
	s_waitcnt vmcnt(0)
	v_mul_hi_i32 v10, v11, s13
	s_mov_b32 s13, 0
	v_lshrrev_b32_e32 v11, 31, v9
	v_ashrrev_i32_e32 v9, 2, v9
	v_lshrrev_b32_e32 v12, 31, v10
	v_ashrrev_i32_e32 v10, 2, v10
	v_add_u32_e32 v9, v9, v11
	v_add_u32_e32 v10, v10, v12
	v_cmp_ne_u32_e32 vcc, v9, v10
	v_cndmask_b32_e64 v9, 0, 1, vcc
	v_mov_b32_e32 v10, s13
.LBB882_31:
	s_or_b64 exec, exec, s[0:1]
	v_or_b32_e32 v11, 0x400, v0
	v_cmp_gt_u32_e32 vcc, s12, v11
	s_and_saveexec_b64 s[0:1], vcc
	s_cbranch_execz .LBB882_33
; %bb.32:
	v_lshlrev_b32_e32 v7, 2, v11
	global_load_dword v8, v7, s[8:9]
	global_load_dword v11, v7, s[10:11]
	s_mov_b32 s13, 0x66666667
	s_waitcnt vmcnt(1)
	v_mul_hi_i32 v7, v8, s13
	s_waitcnt vmcnt(0)
	v_mul_hi_i32 v8, v11, s13
	s_mov_b32 s13, 0
	v_lshrrev_b32_e32 v11, 31, v7
	v_ashrrev_i32_e32 v7, 2, v7
	v_lshrrev_b32_e32 v12, 31, v8
	v_ashrrev_i32_e32 v8, 2, v8
	v_add_u32_e32 v7, v7, v11
	v_add_u32_e32 v8, v8, v12
	v_cmp_ne_u32_e32 vcc, v7, v8
	v_cndmask_b32_e64 v7, 0, 1, vcc
	v_mov_b32_e32 v8, s13
.LBB882_33:
	s_or_b64 exec, exec, s[0:1]
	v_or_b32_e32 v15, 0x500, v0
	v_mov_b32_e32 v11, 0
	v_mov_b32_e32 v13, 0
	v_mov_b32_e32 v12, 0
	v_mov_b32_e32 v14, 0
	v_cmp_gt_u32_e32 vcc, s12, v15
	s_and_saveexec_b64 s[0:1], vcc
	s_cbranch_execz .LBB882_35
; %bb.34:
	v_lshlrev_b32_e32 v13, 2, v15
	global_load_dword v14, v13, s[8:9]
	global_load_dword v15, v13, s[10:11]
	s_mov_b32 s13, 0x66666667
	s_waitcnt vmcnt(1)
	v_mul_hi_i32 v13, v14, s13
	s_waitcnt vmcnt(0)
	v_mul_hi_i32 v14, v15, s13
	s_mov_b32 s13, 0
	v_lshrrev_b32_e32 v15, 31, v13
	v_ashrrev_i32_e32 v13, 2, v13
	v_lshrrev_b32_e32 v16, 31, v14
	v_ashrrev_i32_e32 v14, 2, v14
	v_add_u32_e32 v13, v13, v15
	v_add_u32_e32 v14, v14, v16
	v_cmp_ne_u32_e32 vcc, v13, v14
	v_cndmask_b32_e64 v13, 0, 1, vcc
	v_mov_b32_e32 v14, s13
.LBB882_35:
	s_or_b64 exec, exec, s[0:1]
	v_or_b32_e32 v15, 0x600, v0
	v_cmp_gt_u32_e32 vcc, s12, v15
	s_and_saveexec_b64 s[0:1], vcc
	s_cbranch_execz .LBB882_37
; %bb.36:
	v_lshlrev_b32_e32 v11, 2, v15
	global_load_dword v12, v11, s[8:9]
	global_load_dword v15, v11, s[10:11]
	s_mov_b32 s13, 0x66666667
	s_waitcnt vmcnt(1)
	v_mul_hi_i32 v11, v12, s13
	s_waitcnt vmcnt(0)
	v_mul_hi_i32 v12, v15, s13
	s_mov_b32 s13, 0
	v_lshrrev_b32_e32 v15, 31, v11
	v_ashrrev_i32_e32 v11, 2, v11
	v_lshrrev_b32_e32 v16, 31, v12
	v_ashrrev_i32_e32 v12, 2, v12
	v_add_u32_e32 v11, v11, v15
	v_add_u32_e32 v12, v12, v16
	v_cmp_ne_u32_e32 vcc, v11, v12
	v_cndmask_b32_e64 v11, 0, 1, vcc
	v_mov_b32_e32 v12, s13
.LBB882_37:
	s_or_b64 exec, exec, s[0:1]
	v_or_b32_e32 v19, 0x700, v0
	v_mov_b32_e32 v15, 0
	v_mov_b32_e32 v17, 0
	v_mov_b32_e32 v16, 0
	v_mov_b32_e32 v18, 0
	v_cmp_gt_u32_e32 vcc, s12, v19
	s_and_saveexec_b64 s[0:1], vcc
	s_cbranch_execz .LBB882_39
; %bb.38:
	v_lshlrev_b32_e32 v17, 2, v19
	global_load_dword v18, v17, s[8:9]
	global_load_dword v19, v17, s[10:11]
	s_mov_b32 s13, 0x66666667
	s_waitcnt vmcnt(1)
	v_mul_hi_i32 v17, v18, s13
	s_waitcnt vmcnt(0)
	v_mul_hi_i32 v18, v19, s13
	s_mov_b32 s13, 0
	v_lshrrev_b32_e32 v19, 31, v17
	v_ashrrev_i32_e32 v17, 2, v17
	v_lshrrev_b32_e32 v20, 31, v18
	v_ashrrev_i32_e32 v18, 2, v18
	v_add_u32_e32 v17, v17, v19
	v_add_u32_e32 v18, v18, v20
	v_cmp_ne_u32_e32 vcc, v17, v18
	v_cndmask_b32_e64 v17, 0, 1, vcc
	v_mov_b32_e32 v18, s13
.LBB882_39:
	;; [unrolled: 54-line block ×5, first 2 shown]
	s_or_b64 exec, exec, s[0:1]
	v_or_b32_e32 v31, 0xe00, v0
	v_cmp_gt_u32_e32 vcc, s12, v31
	s_and_saveexec_b64 s[0:1], vcc
	s_cbranch_execz .LBB882_53
; %bb.52:
	v_lshlrev_b32_e32 v27, 2, v31
	global_load_dword v28, v27, s[8:9]
	global_load_dword v31, v27, s[10:11]
	s_mov_b32 s13, 0x66666667
	s_waitcnt vmcnt(1)
	v_mul_hi_i32 v27, v28, s13
	s_waitcnt vmcnt(0)
	v_mul_hi_i32 v28, v31, s13
	s_mov_b32 s13, 0
	v_lshrrev_b32_e32 v31, 31, v27
	v_ashrrev_i32_e32 v27, 2, v27
	v_lshrrev_b32_e32 v32, 31, v28
	v_ashrrev_i32_e32 v28, 2, v28
	v_add_u32_e32 v27, v27, v31
	v_add_u32_e32 v28, v28, v32
	v_cmp_ne_u32_e32 vcc, v27, v28
	v_cndmask_b32_e64 v27, 0, 1, vcc
	v_mov_b32_e32 v28, s13
.LBB882_53:
	s_or_b64 exec, exec, s[0:1]
	v_or_b32_e32 v33, 0xf00, v0
	v_mov_b32_e32 v31, 0
	v_mov_b32_e32 v32, 0
	v_cmp_gt_u32_e32 vcc, s12, v33
	s_and_saveexec_b64 s[0:1], vcc
	s_cbranch_execz .LBB882_55
; %bb.54:
	v_lshlrev_b32_e32 v31, 2, v33
	global_load_dword v32, v31, s[8:9]
	global_load_dword v33, v31, s[10:11]
	s_mov_b32 s8, 0x66666667
	s_waitcnt vmcnt(1)
	v_mul_hi_i32 v31, v32, s8
	s_waitcnt vmcnt(0)
	v_mul_hi_i32 v32, v33, s8
	s_mov_b32 s8, 0
	v_lshrrev_b32_e32 v33, 31, v31
	v_ashrrev_i32_e32 v31, 2, v31
	v_lshrrev_b32_e32 v34, 31, v32
	v_ashrrev_i32_e32 v32, 2, v32
	v_add_u32_e32 v31, v31, v33
	v_add_u32_e32 v32, v32, v34
	v_cmp_ne_u32_e32 vcc, v31, v32
	v_cndmask_b32_e64 v31, 0, 1, vcc
	v_mov_b32_e32 v32, s8
.LBB882_55:
	s_or_b64 exec, exec, s[0:1]
	v_add_co_u32_e32 v1, vcc, v5, v1
	v_addc_co_u32_e32 v2, vcc, v6, v2, vcc
	v_add_co_u32_e32 v1, vcc, v1, v3
	v_addc_co_u32_e32 v2, vcc, v2, v4, vcc
	;; [unrolled: 2-line block ×14, first 2 shown]
	v_mbcnt_lo_u32_b32 v3, -1, 0
	v_add_co_u32_e32 v1, vcc, v1, v31
	v_mbcnt_hi_u32_b32 v3, -1, v3
	v_addc_co_u32_e32 v2, vcc, v2, v32, vcc
	v_and_b32_e32 v4, 63, v3
	v_cmp_ne_u32_e32 vcc, 63, v4
	v_addc_co_u32_e32 v6, vcc, 0, v3, vcc
	v_lshlrev_b32_e32 v6, 2, v6
	ds_bpermute_b32 v8, v6, v1
	ds_bpermute_b32 v7, v6, v2
	s_min_u32 s8, s12, 0x100
	v_and_b32_e32 v5, 0xc0, v0
	v_sub_u32_e64 v5, s8, v5 clamp
	v_add_u32_e32 v6, 1, v4
	v_cmp_lt_u32_e32 vcc, v6, v5
	v_mov_b32_e32 v6, v1
	s_and_saveexec_b64 s[0:1], vcc
	s_cbranch_execz .LBB882_57
; %bb.56:
	s_waitcnt lgkmcnt(1)
	v_add_co_u32_e32 v6, vcc, v1, v8
	v_addc_co_u32_e32 v2, vcc, 0, v2, vcc
	v_add_co_u32_e32 v1, vcc, 0, v6
	s_waitcnt lgkmcnt(0)
	v_addc_co_u32_e32 v2, vcc, v7, v2, vcc
.LBB882_57:
	s_or_b64 exec, exec, s[0:1]
	v_cmp_gt_u32_e32 vcc, 62, v4
	s_waitcnt lgkmcnt(0)
	v_cndmask_b32_e64 v7, 0, 2, vcc
	v_add_lshl_u32 v7, v7, v3, 2
	ds_bpermute_b32 v8, v7, v6
	ds_bpermute_b32 v7, v7, v2
	v_add_u32_e32 v9, 2, v4
	v_cmp_lt_u32_e32 vcc, v9, v5
	s_and_saveexec_b64 s[0:1], vcc
	s_cbranch_execz .LBB882_59
; %bb.58:
	s_waitcnt lgkmcnt(1)
	v_add_co_u32_e32 v6, vcc, v1, v8
	v_addc_co_u32_e32 v2, vcc, 0, v2, vcc
	v_add_co_u32_e32 v1, vcc, 0, v6
	s_waitcnt lgkmcnt(0)
	v_addc_co_u32_e32 v2, vcc, v7, v2, vcc
.LBB882_59:
	s_or_b64 exec, exec, s[0:1]
	v_cmp_gt_u32_e32 vcc, 60, v4
	s_waitcnt lgkmcnt(0)
	v_cndmask_b32_e64 v7, 0, 4, vcc
	v_add_lshl_u32 v7, v7, v3, 2
	ds_bpermute_b32 v8, v7, v6
	ds_bpermute_b32 v7, v7, v2
	v_add_u32_e32 v9, 4, v4
	v_cmp_lt_u32_e32 vcc, v9, v5
	;; [unrolled: 19-line block ×4, first 2 shown]
	s_and_saveexec_b64 s[0:1], vcc
	s_cbranch_execz .LBB882_65
; %bb.64:
	s_waitcnt lgkmcnt(1)
	v_add_co_u32_e32 v6, vcc, v1, v8
	v_addc_co_u32_e32 v2, vcc, 0, v2, vcc
	v_add_co_u32_e32 v1, vcc, 0, v6
	s_waitcnt lgkmcnt(0)
	v_addc_co_u32_e32 v2, vcc, v7, v2, vcc
.LBB882_65:
	s_or_b64 exec, exec, s[0:1]
	s_waitcnt lgkmcnt(0)
	v_lshlrev_b32_e32 v7, 2, v3
	v_or_b32_e32 v8, 0x80, v7
	ds_bpermute_b32 v6, v8, v6
	ds_bpermute_b32 v8, v8, v2
	v_add_u32_e32 v4, 32, v4
	s_waitcnt lgkmcnt(1)
	v_add_co_u32_e32 v6, vcc, v1, v6
	v_addc_co_u32_e32 v9, vcc, 0, v2, vcc
	v_add_co_u32_e32 v6, vcc, 0, v6
	s_waitcnt lgkmcnt(0)
	v_addc_co_u32_e32 v8, vcc, v9, v8, vcc
	v_cmp_lt_u32_e32 vcc, v4, v5
	v_cndmask_b32_e32 v2, v2, v8, vcc
	v_cndmask_b32_e32 v1, v1, v6, vcc
	v_cmp_eq_u32_e32 vcc, 0, v3
	s_and_saveexec_b64 s[0:1], vcc
; %bb.66:
	v_lshrrev_b32_e32 v4, 3, v0
	v_and_b32_e32 v4, 24, v4
	ds_write_b64 v4, v[1:2] offset:160
; %bb.67:
	s_or_b64 exec, exec, s[0:1]
	v_cmp_gt_u32_e32 vcc, 4, v0
	s_waitcnt lgkmcnt(0)
	s_barrier
	s_and_saveexec_b64 s[0:1], vcc
	s_cbranch_execz .LBB882_71
; %bb.68:
	v_lshlrev_b32_e32 v1, 3, v3
	ds_read_b64 v[1:2], v1 offset:160
	v_and_b32_e32 v4, 3, v3
	v_cmp_ne_u32_e32 vcc, 3, v4
	v_addc_co_u32_e32 v3, vcc, 0, v3, vcc
	v_lshlrev_b32_e32 v3, 2, v3
	s_waitcnt lgkmcnt(0)
	ds_bpermute_b32 v6, v3, v1
	ds_bpermute_b32 v5, v3, v2
	s_add_i32 s8, s8, 63
	s_lshr_b32 s10, s8, 6
	v_add_u32_e32 v3, 1, v4
	v_cmp_gt_u32_e32 vcc, s10, v3
	v_mov_b32_e32 v3, v1
	s_and_saveexec_b64 s[8:9], vcc
	s_cbranch_execz .LBB882_70
; %bb.69:
	s_waitcnt lgkmcnt(1)
	v_add_co_u32_e32 v3, vcc, v1, v6
	v_addc_co_u32_e32 v2, vcc, 0, v2, vcc
	v_add_co_u32_e32 v1, vcc, 0, v3
	s_waitcnt lgkmcnt(0)
	v_addc_co_u32_e32 v2, vcc, v5, v2, vcc
.LBB882_70:
	s_or_b64 exec, exec, s[8:9]
	s_waitcnt lgkmcnt(0)
	v_or_b32_e32 v5, 8, v7
	ds_bpermute_b32 v3, v5, v3
	ds_bpermute_b32 v5, v5, v2
	v_add_u32_e32 v4, 2, v4
	s_waitcnt lgkmcnt(1)
	v_add_co_u32_e32 v3, vcc, v1, v3
	v_addc_co_u32_e32 v6, vcc, 0, v2, vcc
	v_add_co_u32_e32 v3, vcc, 0, v3
	s_waitcnt lgkmcnt(0)
	v_addc_co_u32_e32 v5, vcc, v6, v5, vcc
	v_cmp_gt_u32_e32 vcc, s10, v4
	v_cndmask_b32_e32 v2, v2, v5, vcc
	v_cndmask_b32_e32 v1, v1, v3, vcc
.LBB882_71:
	s_or_b64 exec, exec, s[0:1]
.LBB882_72:
	v_mov_b32_e32 v3, s6
	v_cmp_eq_u32_e64 s[0:1], 0, v0
	v_mov_b32_e32 v4, s7
	s_and_b64 vcc, exec, s[2:3]
	s_cbranch_vccnz .LBB882_14
	s_branch .LBB882_109
.LBB882_73:
	s_mov_b64 s[2:3], -1
                                        ; implicit-def: $vgpr1_vgpr2
.LBB882_74:
	s_and_b64 vcc, exec, s[2:3]
	s_cbranch_vccz .LBB882_108
; %bb.75:
	s_sub_i32 s31, s20, s0
	v_mov_b32_e32 v1, 0
	v_cmp_gt_u32_e32 vcc, s31, v0
	v_mov_b32_e32 v2, v1
	v_mov_b32_e32 v3, v1
	;; [unrolled: 1-line block ×15, first 2 shown]
	s_and_saveexec_b64 s[0:1], vcc
	s_cbranch_execz .LBB882_77
; %bb.76:
	v_mov_b32_e32 v2, v1
	v_mov_b32_e32 v3, v1
	;; [unrolled: 1-line block ×15, first 2 shown]
	v_lshlrev_b32_e32 v1, 2, v0
	global_load_dword v17, v1, s[16:17]
	global_load_dword v18, v1, s[18:19]
	s_mov_b32 s2, 0x66666667
	s_waitcnt vmcnt(1)
	v_mul_hi_i32 v1, v17, s2
	s_waitcnt vmcnt(0)
	v_mul_hi_i32 v17, v18, s2
	v_lshrrev_b32_e32 v18, 31, v1
	v_ashrrev_i32_e32 v1, 2, v1
	v_lshrrev_b32_e32 v19, 31, v17
	v_ashrrev_i32_e32 v17, 2, v17
	v_add_u32_e32 v1, v1, v18
	v_add_u32_e32 v17, v17, v19
	v_cmp_ne_u32_e32 vcc, v1, v17
	v_cndmask_b32_e64 v1, 0, 1, vcc
	v_and_b32_e32 v1, 0xffff, v1
.LBB882_77:
	s_or_b64 exec, exec, s[0:1]
	v_or_b32_e32 v17, 0x100, v0
	v_cmp_gt_u32_e32 vcc, s31, v17
	s_and_saveexec_b64 s[2:3], vcc
	s_cbranch_execz .LBB882_79
; %bb.78:
	v_lshlrev_b32_e32 v3, 2, v0
	global_load_dword v4, v3, s[16:17] offset:1024
	global_load_dword v17, v3, s[18:19] offset:1024
	s_mov_b32 s0, 0x66666667
	s_mov_b32 s8, 0
	s_waitcnt vmcnt(1)
	v_mul_hi_i32 v3, v4, s0
	s_waitcnt vmcnt(0)
	v_mul_hi_i32 v4, v17, s0
	v_lshrrev_b32_e32 v17, 31, v3
	v_ashrrev_i32_e32 v3, 2, v3
	v_lshrrev_b32_e32 v18, 31, v4
	v_ashrrev_i32_e32 v4, 2, v4
	v_add_u32_e32 v3, v3, v17
	v_add_u32_e32 v4, v4, v18
	v_cmp_ne_u32_e64 s[0:1], v3, v4
	v_cndmask_b32_e64 v3, 0, 1, s[0:1]
	v_mov_b32_e32 v4, s8
.LBB882_79:
	s_or_b64 exec, exec, s[2:3]
	v_or_b32_e32 v17, 0x200, v0
	v_cmp_gt_u32_e64 s[0:1], s31, v17
	s_and_saveexec_b64 s[8:9], s[0:1]
	s_cbranch_execz .LBB882_81
; %bb.80:
	v_lshlrev_b32_e32 v5, 2, v0
	global_load_dword v6, v5, s[16:17] offset:2048
	global_load_dword v17, v5, s[18:19] offset:2048
	s_mov_b32 s2, 0x66666667
	s_mov_b32 s10, 0
	s_waitcnt vmcnt(1)
	v_mul_hi_i32 v5, v6, s2
	s_waitcnt vmcnt(0)
	v_mul_hi_i32 v6, v17, s2
	v_lshrrev_b32_e32 v17, 31, v5
	v_ashrrev_i32_e32 v5, 2, v5
	v_lshrrev_b32_e32 v18, 31, v6
	v_ashrrev_i32_e32 v6, 2, v6
	v_add_u32_e32 v5, v5, v17
	v_add_u32_e32 v6, v6, v18
	v_cmp_ne_u32_e64 s[2:3], v5, v6
	v_cndmask_b32_e64 v5, 0, 1, s[2:3]
	v_mov_b32_e32 v6, s10
.LBB882_81:
	s_or_b64 exec, exec, s[8:9]
	v_or_b32_e32 v17, 0x300, v0
	v_cmp_gt_u32_e64 s[2:3], s31, v17
	s_and_saveexec_b64 s[10:11], s[2:3]
	;; [unrolled: 25-line block ×3, first 2 shown]
	s_cbranch_execz .LBB882_85
; %bb.84:
	v_lshlrev_b32_e32 v9, 2, v17
	global_load_dword v10, v9, s[16:17]
	global_load_dword v17, v9, s[18:19]
	s_mov_b32 s10, 0x66666667
	s_mov_b32 s14, 0
	s_waitcnt vmcnt(1)
	v_mul_hi_i32 v9, v10, s10
	s_waitcnt vmcnt(0)
	v_mul_hi_i32 v10, v17, s10
	v_lshrrev_b32_e32 v17, 31, v9
	v_ashrrev_i32_e32 v9, 2, v9
	v_lshrrev_b32_e32 v18, 31, v10
	v_ashrrev_i32_e32 v10, 2, v10
	v_add_u32_e32 v9, v9, v17
	v_add_u32_e32 v10, v10, v18
	v_cmp_ne_u32_e64 s[10:11], v9, v10
	v_cndmask_b32_e64 v9, 0, 1, s[10:11]
	v_mov_b32_e32 v10, s14
.LBB882_85:
	s_or_b64 exec, exec, s[12:13]
	v_or_b32_e32 v17, 0x500, v0
	v_cmp_gt_u32_e64 s[10:11], s31, v17
	s_and_saveexec_b64 s[14:15], s[10:11]
	s_cbranch_execz .LBB882_87
; %bb.86:
	v_lshlrev_b32_e32 v11, 2, v17
	global_load_dword v12, v11, s[16:17]
	global_load_dword v17, v11, s[18:19]
	s_mov_b32 s12, 0x66666667
	s_mov_b32 s28, 0
	s_waitcnt vmcnt(1)
	v_mul_hi_i32 v11, v12, s12
	s_waitcnt vmcnt(0)
	v_mul_hi_i32 v12, v17, s12
	v_lshrrev_b32_e32 v17, 31, v11
	v_ashrrev_i32_e32 v11, 2, v11
	v_lshrrev_b32_e32 v18, 31, v12
	v_ashrrev_i32_e32 v12, 2, v12
	v_add_u32_e32 v11, v11, v17
	v_add_u32_e32 v12, v12, v18
	v_cmp_ne_u32_e64 s[12:13], v11, v12
	v_cndmask_b32_e64 v11, 0, 1, s[12:13]
	v_mov_b32_e32 v12, s28
.LBB882_87:
	s_or_b64 exec, exec, s[14:15]
	v_or_b32_e32 v17, 0x600, v0
	v_cmp_gt_u32_e64 s[12:13], s31, v17
	s_and_saveexec_b64 s[28:29], s[12:13]
	s_cbranch_execz .LBB882_89
; %bb.88:
	v_lshlrev_b32_e32 v13, 2, v17
	global_load_dword v14, v13, s[16:17]
	global_load_dword v17, v13, s[18:19]
	s_mov_b32 s14, 0x66666667
	s_mov_b32 s33, 0
	s_waitcnt vmcnt(1)
	v_mul_hi_i32 v13, v14, s14
	s_waitcnt vmcnt(0)
	v_mul_hi_i32 v14, v17, s14
	v_lshrrev_b32_e32 v17, 31, v13
	v_ashrrev_i32_e32 v13, 2, v13
	v_lshrrev_b32_e32 v18, 31, v14
	v_ashrrev_i32_e32 v14, 2, v14
	v_add_u32_e32 v13, v13, v17
	v_add_u32_e32 v14, v14, v18
	v_cmp_ne_u32_e64 s[14:15], v13, v14
	v_cndmask_b32_e64 v13, 0, 1, s[14:15]
	v_mov_b32_e32 v14, s33
.LBB882_89:
	s_or_b64 exec, exec, s[28:29]
	v_or_b32_e32 v17, 0x700, v0
	v_cmp_gt_u32_e64 s[14:15], s31, v17
	s_and_saveexec_b64 s[28:29], s[14:15]
	s_cbranch_execz .LBB882_91
; %bb.90:
	v_lshlrev_b32_e32 v15, 2, v17
	global_load_dword v16, v15, s[16:17]
	global_load_dword v17, v15, s[18:19]
	s_mov_b32 s16, 0x66666667
	s_mov_b32 s18, 0
	s_waitcnt vmcnt(1)
	v_mul_hi_i32 v15, v16, s16
	s_waitcnt vmcnt(0)
	v_mul_hi_i32 v16, v17, s16
	v_lshrrev_b32_e32 v17, 31, v15
	v_ashrrev_i32_e32 v15, 2, v15
	v_lshrrev_b32_e32 v18, 31, v16
	v_ashrrev_i32_e32 v16, 2, v16
	v_add_u32_e32 v15, v15, v17
	v_add_u32_e32 v16, v16, v18
	v_cmp_ne_u32_e64 s[16:17], v15, v16
	v_cndmask_b32_e64 v15, 0, 1, s[16:17]
	v_mov_b32_e32 v16, s18
.LBB882_91:
	s_or_b64 exec, exec, s[28:29]
	v_cndmask_b32_e32 v3, 0, v3, vcc
	v_cndmask_b32_e32 v4, 0, v4, vcc
	v_add_co_u32_e32 v1, vcc, v3, v1
	v_addc_co_u32_e32 v2, vcc, v4, v2, vcc
	v_cndmask_b32_e64 v4, 0, v5, s[0:1]
	v_cndmask_b32_e64 v3, 0, v6, s[0:1]
	v_add_co_u32_e32 v1, vcc, v1, v4
	v_addc_co_u32_e32 v2, vcc, v2, v3, vcc
	v_cndmask_b32_e64 v4, 0, v7, s[2:3]
	v_cndmask_b32_e64 v3, 0, v8, s[2:3]
	;; [unrolled: 4-line block ×6, first 2 shown]
	v_add_co_u32_e32 v1, vcc, v1, v4
	v_addc_co_u32_e32 v2, vcc, v2, v3, vcc
	v_mbcnt_lo_u32_b32 v3, -1, 0
	v_mbcnt_hi_u32_b32 v3, -1, v3
	v_and_b32_e32 v4, 63, v3
	v_cmp_ne_u32_e32 vcc, 63, v4
	v_addc_co_u32_e32 v6, vcc, 0, v3, vcc
	v_lshlrev_b32_e32 v6, 2, v6
	ds_bpermute_b32 v8, v6, v1
	ds_bpermute_b32 v7, v6, v2
	s_min_u32 s2, s31, 0x100
	v_and_b32_e32 v5, 0xc0, v0
	v_sub_u32_e64 v5, s2, v5 clamp
	v_add_u32_e32 v6, 1, v4
	v_cmp_lt_u32_e32 vcc, v6, v5
	v_mov_b32_e32 v6, v1
	s_and_saveexec_b64 s[0:1], vcc
	s_cbranch_execz .LBB882_93
; %bb.92:
	s_waitcnt lgkmcnt(1)
	v_add_co_u32_e32 v6, vcc, v1, v8
	v_addc_co_u32_e32 v2, vcc, 0, v2, vcc
	v_add_co_u32_e32 v1, vcc, 0, v6
	s_waitcnt lgkmcnt(0)
	v_addc_co_u32_e32 v2, vcc, v2, v7, vcc
.LBB882_93:
	s_or_b64 exec, exec, s[0:1]
	v_cmp_gt_u32_e32 vcc, 62, v4
	s_waitcnt lgkmcnt(0)
	v_cndmask_b32_e64 v7, 0, 2, vcc
	v_add_lshl_u32 v7, v7, v3, 2
	ds_bpermute_b32 v8, v7, v6
	ds_bpermute_b32 v7, v7, v2
	v_add_u32_e32 v9, 2, v4
	v_cmp_lt_u32_e32 vcc, v9, v5
	s_and_saveexec_b64 s[0:1], vcc
	s_cbranch_execz .LBB882_95
; %bb.94:
	s_waitcnt lgkmcnt(1)
	v_add_co_u32_e32 v6, vcc, v1, v8
	v_addc_co_u32_e32 v2, vcc, 0, v2, vcc
	v_add_co_u32_e32 v1, vcc, 0, v6
	s_waitcnt lgkmcnt(0)
	v_addc_co_u32_e32 v2, vcc, v7, v2, vcc
.LBB882_95:
	s_or_b64 exec, exec, s[0:1]
	v_cmp_gt_u32_e32 vcc, 60, v4
	s_waitcnt lgkmcnt(0)
	v_cndmask_b32_e64 v7, 0, 4, vcc
	v_add_lshl_u32 v7, v7, v3, 2
	ds_bpermute_b32 v8, v7, v6
	ds_bpermute_b32 v7, v7, v2
	v_add_u32_e32 v9, 4, v4
	v_cmp_lt_u32_e32 vcc, v9, v5
	;; [unrolled: 19-line block ×4, first 2 shown]
	s_and_saveexec_b64 s[0:1], vcc
	s_cbranch_execz .LBB882_101
; %bb.100:
	s_waitcnt lgkmcnt(1)
	v_add_co_u32_e32 v6, vcc, v1, v8
	v_addc_co_u32_e32 v2, vcc, 0, v2, vcc
	v_add_co_u32_e32 v1, vcc, 0, v6
	s_waitcnt lgkmcnt(0)
	v_addc_co_u32_e32 v2, vcc, v7, v2, vcc
.LBB882_101:
	s_or_b64 exec, exec, s[0:1]
	s_waitcnt lgkmcnt(0)
	v_lshlrev_b32_e32 v7, 2, v3
	v_or_b32_e32 v8, 0x80, v7
	ds_bpermute_b32 v6, v8, v6
	ds_bpermute_b32 v8, v8, v2
	v_add_u32_e32 v4, 32, v4
	s_waitcnt lgkmcnt(1)
	v_add_co_u32_e32 v6, vcc, v1, v6
	v_addc_co_u32_e32 v9, vcc, 0, v2, vcc
	v_add_co_u32_e32 v6, vcc, 0, v6
	s_waitcnt lgkmcnt(0)
	v_addc_co_u32_e32 v8, vcc, v9, v8, vcc
	v_cmp_lt_u32_e32 vcc, v4, v5
	v_cndmask_b32_e32 v2, v2, v8, vcc
	v_cndmask_b32_e32 v1, v1, v6, vcc
	v_cmp_eq_u32_e32 vcc, 0, v3
	s_and_saveexec_b64 s[0:1], vcc
; %bb.102:
	v_lshrrev_b32_e32 v4, 3, v0
	v_and_b32_e32 v4, 24, v4
	ds_write_b64 v4, v[1:2] offset:160
; %bb.103:
	s_or_b64 exec, exec, s[0:1]
	v_cmp_gt_u32_e32 vcc, 4, v0
	s_waitcnt lgkmcnt(0)
	s_barrier
	s_and_saveexec_b64 s[0:1], vcc
	s_cbranch_execz .LBB882_107
; %bb.104:
	v_lshlrev_b32_e32 v1, 3, v3
	ds_read_b64 v[1:2], v1 offset:160
	v_and_b32_e32 v4, 3, v3
	v_cmp_ne_u32_e32 vcc, 3, v4
	v_addc_co_u32_e32 v3, vcc, 0, v3, vcc
	v_lshlrev_b32_e32 v3, 2, v3
	s_waitcnt lgkmcnt(0)
	ds_bpermute_b32 v6, v3, v1
	ds_bpermute_b32 v5, v3, v2
	s_add_i32 s2, s2, 63
	s_lshr_b32 s8, s2, 6
	v_add_u32_e32 v3, 1, v4
	v_cmp_gt_u32_e32 vcc, s8, v3
	v_mov_b32_e32 v3, v1
	s_and_saveexec_b64 s[2:3], vcc
	s_cbranch_execz .LBB882_106
; %bb.105:
	s_waitcnt lgkmcnt(1)
	v_add_co_u32_e32 v3, vcc, v1, v6
	v_addc_co_u32_e32 v2, vcc, 0, v2, vcc
	v_add_co_u32_e32 v1, vcc, 0, v3
	s_waitcnt lgkmcnt(0)
	v_addc_co_u32_e32 v2, vcc, v5, v2, vcc
.LBB882_106:
	s_or_b64 exec, exec, s[2:3]
	s_waitcnt lgkmcnt(0)
	v_or_b32_e32 v5, 8, v7
	ds_bpermute_b32 v3, v5, v3
	ds_bpermute_b32 v5, v5, v2
	v_add_u32_e32 v4, 2, v4
	s_waitcnt lgkmcnt(1)
	v_add_co_u32_e32 v3, vcc, v1, v3
	v_addc_co_u32_e32 v6, vcc, 0, v2, vcc
	v_add_co_u32_e32 v3, vcc, 0, v3
	s_waitcnt lgkmcnt(0)
	v_addc_co_u32_e32 v5, vcc, v6, v5, vcc
	v_cmp_gt_u32_e32 vcc, s8, v4
	v_cndmask_b32_e32 v2, v2, v5, vcc
	v_cndmask_b32_e32 v1, v1, v3, vcc
.LBB882_107:
	s_or_b64 exec, exec, s[0:1]
.LBB882_108:
	v_mov_b32_e32 v3, s6
	v_cmp_eq_u32_e64 s[0:1], 0, v0
	v_mov_b32_e32 v4, s7
.LBB882_109:
	s_branch .LBB882_144
.LBB882_110:
	s_cmp_eq_u32 s30, 4
                                        ; implicit-def: $vgpr1_vgpr2
                                        ; implicit-def: $vgpr3_vgpr4
	s_cbranch_scc0 .LBB882_144
; %bb.111:
	s_mov_b32 s7, 0
	s_lshl_b32 s0, s6, 10
	s_mov_b32 s1, s7
	s_lshr_b64 s[2:3], s[20:21], 10
	s_lshl_b64 s[10:11], s[0:1], 2
	s_add_u32 s8, s24, s10
	s_addc_u32 s9, s25, s11
	s_add_u32 s10, s26, s10
	s_addc_u32 s11, s27, s11
	s_cmp_lg_u64 s[2:3], s[6:7]
	s_cbranch_scc0 .LBB882_117
; %bb.112:
	v_lshlrev_b32_e32 v1, 2, v0
	global_load_dword v2, v1, s[8:9]
	global_load_dword v4, v1, s[10:11]
	global_load_dword v5, v1, s[8:9] offset:1024
	global_load_dword v6, v1, s[10:11] offset:1024
	;; [unrolled: 1-line block ×6, first 2 shown]
	s_mov_b32 s1, 0x66666667
	v_mov_b32_e32 v1, 0
	v_mbcnt_lo_u32_b32 v3, -1, 0
	v_mbcnt_hi_u32_b32 v3, -1, v3
	v_mov_b32_dpp v1, v1 quad_perm:[1,0,3,2] row_mask:0xf bank_mask:0xf bound_ctrl:1
	s_waitcnt vmcnt(7)
	v_mul_hi_i32 v2, v2, s1
	s_waitcnt vmcnt(6)
	v_mul_hi_i32 v4, v4, s1
	;; [unrolled: 2-line block ×8, first 2 shown]
	v_lshrrev_b32_e32 v13, 31, v5
	v_ashrrev_i32_e32 v5, 2, v5
	v_lshrrev_b32_e32 v18, 31, v9
	v_lshrrev_b32_e32 v17, 31, v10
	v_ashrrev_i32_e32 v10, 2, v10
	v_ashrrev_i32_e32 v9, 2, v9
	v_lshrrev_b32_e32 v14, 31, v6
	v_ashrrev_i32_e32 v6, 2, v6
	v_add_u32_e32 v10, v10, v17
	v_add_u32_e32 v9, v9, v18
	v_lshrrev_b32_e32 v11, 31, v2
	v_ashrrev_i32_e32 v2, 2, v2
	v_lshrrev_b32_e32 v12, 31, v4
	v_ashrrev_i32_e32 v4, 2, v4
	v_add_u32_e32 v5, v5, v13
	v_add_u32_e32 v6, v6, v14
	v_cmp_ne_u32_e32 vcc, v10, v9
	v_lshrrev_b32_e32 v15, 31, v7
	v_ashrrev_i32_e32 v7, 2, v7
	v_lshrrev_b32_e32 v16, 31, v8
	v_ashrrev_i32_e32 v8, 2, v8
	v_add_u32_e32 v2, v2, v11
	v_add_u32_e32 v4, v4, v12
	v_cndmask_b32_e64 v9, 0, 1, vcc
	v_cmp_ne_u32_e32 vcc, v5, v6
	v_add_u32_e32 v7, v7, v15
	v_add_u32_e32 v8, v8, v16
	v_cndmask_b32_e64 v5, 0, 1, vcc
	v_cmp_ne_u32_e32 vcc, v2, v4
	v_cndmask_b32_e64 v2, 0, 1, vcc
	v_cmp_ne_u32_e32 vcc, v7, v8
	v_addc_co_u32_e32 v2, vcc, v5, v2, vcc
	v_add_co_u32_e32 v2, vcc, v2, v9
	v_addc_co_u32_e64 v4, s[2:3], 0, 0, vcc
	s_nop 0
	v_mov_b32_dpp v5, v2 quad_perm:[1,0,3,2] row_mask:0xf bank_mask:0xf bound_ctrl:1
	v_add_co_u32_e32 v2, vcc, v2, v5
	v_addc_co_u32_e32 v4, vcc, 0, v4, vcc
	v_add_co_u32_e32 v5, vcc, 0, v2
	v_addc_co_u32_e32 v1, vcc, v1, v4, vcc
	v_mov_b32_dpp v2, v2 quad_perm:[2,3,0,1] row_mask:0xf bank_mask:0xf bound_ctrl:1
	v_add_co_u32_e32 v2, vcc, v5, v2
	v_mov_b32_dpp v4, v1 quad_perm:[2,3,0,1] row_mask:0xf bank_mask:0xf bound_ctrl:1
	v_addc_co_u32_e32 v1, vcc, 0, v1, vcc
	v_add_co_u32_e32 v5, vcc, 0, v2
	v_addc_co_u32_e32 v1, vcc, v1, v4, vcc
	v_mov_b32_dpp v2, v2 row_ror:4 row_mask:0xf bank_mask:0xf bound_ctrl:1
	v_add_co_u32_e32 v2, vcc, v5, v2
	v_mov_b32_dpp v4, v1 row_ror:4 row_mask:0xf bank_mask:0xf bound_ctrl:1
	v_addc_co_u32_e32 v1, vcc, 0, v1, vcc
	v_add_co_u32_e32 v5, vcc, 0, v2
	v_addc_co_u32_e32 v1, vcc, v1, v4, vcc
	v_mov_b32_dpp v2, v2 row_ror:8 row_mask:0xf bank_mask:0xf bound_ctrl:1
	v_add_co_u32_e32 v2, vcc, v5, v2
	v_mov_b32_dpp v4, v1 row_ror:8 row_mask:0xf bank_mask:0xf bound_ctrl:1
	v_addc_co_u32_e32 v1, vcc, 0, v1, vcc
	v_add_co_u32_e32 v5, vcc, 0, v2
	v_addc_co_u32_e32 v1, vcc, v1, v4, vcc
	v_mov_b32_dpp v2, v2 row_bcast:15 row_mask:0xf bank_mask:0xf bound_ctrl:1
	v_add_co_u32_e32 v2, vcc, v5, v2
	v_mov_b32_dpp v4, v1 row_bcast:15 row_mask:0xf bank_mask:0xf bound_ctrl:1
	v_addc_co_u32_e32 v1, vcc, 0, v1, vcc
	v_add_co_u32_e32 v5, vcc, 0, v2
	v_addc_co_u32_e32 v1, vcc, v1, v4, vcc
	v_mov_b32_dpp v2, v2 row_bcast:31 row_mask:0xf bank_mask:0xf bound_ctrl:1
	v_add_co_u32_e32 v2, vcc, v5, v2
	v_addc_co_u32_e32 v4, vcc, 0, v1, vcc
	v_cmp_eq_u32_e32 vcc, 0, v3
	s_nop 0
	v_add_u32_dpp v5, v1, v4 row_bcast:31 row_mask:0xf bank_mask:0xf bound_ctrl:1
	v_lshlrev_b32_e32 v4, 2, v3
	v_or_b32_e32 v6, 0xfc, v4
	ds_bpermute_b32 v1, v6, v2
	ds_bpermute_b32 v2, v6, v5
	s_and_saveexec_b64 s[2:3], vcc
	s_cbranch_execz .LBB882_114
; %bb.113:
	v_lshrrev_b32_e32 v5, 3, v0
	v_and_b32_e32 v5, 24, v5
	s_waitcnt lgkmcnt(0)
	ds_write_b64 v5, v[1:2] offset:96
.LBB882_114:
	s_or_b64 exec, exec, s[2:3]
	v_cmp_gt_u32_e32 vcc, 64, v0
	s_waitcnt lgkmcnt(0)
	s_barrier
	s_and_saveexec_b64 s[2:3], vcc
	s_cbranch_execz .LBB882_116
; %bb.115:
	v_and_b32_e32 v5, 3, v3
	v_lshlrev_b32_e32 v1, 3, v5
	ds_read_b64 v[1:2], v1 offset:96
	v_cmp_ne_u32_e32 vcc, 3, v5
	v_addc_co_u32_e32 v3, vcc, 0, v3, vcc
	v_lshlrev_b32_e32 v3, 2, v3
	s_waitcnt lgkmcnt(0)
	ds_bpermute_b32 v5, v3, v1
	ds_bpermute_b32 v3, v3, v2
	v_or_b32_e32 v4, 8, v4
	s_waitcnt lgkmcnt(1)
	v_add_co_u32_e32 v1, vcc, v1, v5
	v_addc_co_u32_e32 v2, vcc, 0, v2, vcc
	ds_bpermute_b32 v5, v4, v1
	v_add_co_u32_e32 v1, vcc, 0, v1
	s_waitcnt lgkmcnt(1)
	v_addc_co_u32_e32 v2, vcc, v3, v2, vcc
	ds_bpermute_b32 v3, v4, v2
	s_waitcnt lgkmcnt(1)
	v_add_co_u32_e32 v1, vcc, v1, v5
	v_addc_co_u32_e32 v2, vcc, 0, v2, vcc
	v_add_co_u32_e32 v1, vcc, 0, v1
	s_waitcnt lgkmcnt(0)
	v_addc_co_u32_e32 v2, vcc, v2, v3, vcc
.LBB882_116:
	s_or_b64 exec, exec, s[2:3]
	s_branch .LBB882_143
.LBB882_117:
                                        ; implicit-def: $vgpr1_vgpr2
	s_cbranch_execz .LBB882_143
; %bb.118:
	s_sub_i32 s14, s20, s0
	v_mov_b32_e32 v1, 0
	v_cmp_gt_u32_e32 vcc, s14, v0
	v_mov_b32_e32 v2, v1
	v_mov_b32_e32 v3, v1
	;; [unrolled: 1-line block ×7, first 2 shown]
	s_and_saveexec_b64 s[0:1], vcc
	s_cbranch_execz .LBB882_120
; %bb.119:
	v_lshlrev_b32_e32 v2, 2, v0
	global_load_dword v7, v2, s[8:9]
	global_load_dword v8, v2, s[10:11]
	s_mov_b32 s2, 0x66666667
	v_mov_b32_e32 v3, v1
	v_mov_b32_e32 v4, v1
	;; [unrolled: 1-line block ×4, first 2 shown]
	s_waitcnt vmcnt(1)
	v_mul_hi_i32 v2, v7, s2
	s_waitcnt vmcnt(0)
	v_mul_hi_i32 v9, v8, s2
	v_mov_b32_e32 v7, v1
	v_mov_b32_e32 v8, v1
	v_lshrrev_b32_e32 v10, 31, v2
	v_ashrrev_i32_e32 v2, 2, v2
	v_lshrrev_b32_e32 v11, 31, v9
	v_ashrrev_i32_e32 v9, 2, v9
	v_add_u32_e32 v2, v2, v10
	v_add_u32_e32 v9, v9, v11
	v_cmp_ne_u32_e32 vcc, v2, v9
	v_cndmask_b32_e64 v2, 0, 1, vcc
	v_and_b32_e32 v2, 0xffff, v2
	v_mov_b32_e32 v9, v1
	v_mov_b32_e32 v1, v2
	;; [unrolled: 1-line block ×9, first 2 shown]
.LBB882_120:
	s_or_b64 exec, exec, s[0:1]
	v_or_b32_e32 v9, 0x100, v0
	v_cmp_gt_u32_e32 vcc, s14, v9
	s_and_saveexec_b64 s[2:3], vcc
	s_cbranch_execz .LBB882_122
; %bb.121:
	v_lshlrev_b32_e32 v3, 2, v0
	global_load_dword v4, v3, s[8:9] offset:1024
	global_load_dword v9, v3, s[10:11] offset:1024
	s_mov_b32 s0, 0x66666667
	s_mov_b32 s12, 0
	s_waitcnt vmcnt(1)
	v_mul_hi_i32 v3, v4, s0
	s_waitcnt vmcnt(0)
	v_mul_hi_i32 v4, v9, s0
	v_lshrrev_b32_e32 v9, 31, v3
	v_ashrrev_i32_e32 v3, 2, v3
	v_lshrrev_b32_e32 v10, 31, v4
	v_ashrrev_i32_e32 v4, 2, v4
	v_add_u32_e32 v3, v3, v9
	v_add_u32_e32 v4, v4, v10
	v_cmp_ne_u32_e64 s[0:1], v3, v4
	v_cndmask_b32_e64 v3, 0, 1, s[0:1]
	v_mov_b32_e32 v4, s12
.LBB882_122:
	s_or_b64 exec, exec, s[2:3]
	v_or_b32_e32 v9, 0x200, v0
	v_cmp_gt_u32_e64 s[0:1], s14, v9
	s_and_saveexec_b64 s[12:13], s[0:1]
	s_cbranch_execz .LBB882_124
; %bb.123:
	v_lshlrev_b32_e32 v5, 2, v0
	global_load_dword v6, v5, s[8:9] offset:2048
	global_load_dword v9, v5, s[10:11] offset:2048
	s_mov_b32 s2, 0x66666667
	s_mov_b32 s15, 0
	s_waitcnt vmcnt(1)
	v_mul_hi_i32 v5, v6, s2
	s_waitcnt vmcnt(0)
	v_mul_hi_i32 v6, v9, s2
	v_lshrrev_b32_e32 v9, 31, v5
	v_ashrrev_i32_e32 v5, 2, v5
	v_lshrrev_b32_e32 v10, 31, v6
	v_ashrrev_i32_e32 v6, 2, v6
	v_add_u32_e32 v5, v5, v9
	v_add_u32_e32 v6, v6, v10
	v_cmp_ne_u32_e64 s[2:3], v5, v6
	v_cndmask_b32_e64 v5, 0, 1, s[2:3]
	v_mov_b32_e32 v6, s15
.LBB882_124:
	s_or_b64 exec, exec, s[12:13]
	v_or_b32_e32 v9, 0x300, v0
	v_cmp_gt_u32_e64 s[2:3], s14, v9
	s_and_saveexec_b64 s[12:13], s[2:3]
	s_cbranch_execz .LBB882_126
; %bb.125:
	v_lshlrev_b32_e32 v7, 2, v0
	global_load_dword v8, v7, s[8:9] offset:3072
	global_load_dword v9, v7, s[10:11] offset:3072
	s_mov_b32 s8, 0x66666667
	s_mov_b32 s10, 0
	s_waitcnt vmcnt(1)
	v_mul_hi_i32 v7, v8, s8
	s_waitcnt vmcnt(0)
	v_mul_hi_i32 v8, v9, s8
	v_lshrrev_b32_e32 v9, 31, v7
	v_ashrrev_i32_e32 v7, 2, v7
	v_lshrrev_b32_e32 v10, 31, v8
	v_ashrrev_i32_e32 v8, 2, v8
	v_add_u32_e32 v7, v7, v9
	v_add_u32_e32 v8, v8, v10
	v_cmp_ne_u32_e64 s[8:9], v7, v8
	v_cndmask_b32_e64 v7, 0, 1, s[8:9]
	v_mov_b32_e32 v8, s10
.LBB882_126:
	s_or_b64 exec, exec, s[12:13]
	v_cndmask_b32_e32 v3, 0, v3, vcc
	v_cndmask_b32_e32 v4, 0, v4, vcc
	v_add_co_u32_e32 v1, vcc, v3, v1
	v_addc_co_u32_e32 v2, vcc, v4, v2, vcc
	v_cndmask_b32_e64 v4, 0, v5, s[0:1]
	v_cndmask_b32_e64 v3, 0, v6, s[0:1]
	v_add_co_u32_e32 v1, vcc, v1, v4
	v_addc_co_u32_e32 v2, vcc, v2, v3, vcc
	v_cndmask_b32_e64 v4, 0, v7, s[2:3]
	v_cndmask_b32_e64 v3, 0, v8, s[2:3]
	v_add_co_u32_e32 v1, vcc, v1, v4
	v_addc_co_u32_e32 v2, vcc, v2, v3, vcc
	v_mbcnt_lo_u32_b32 v3, -1, 0
	v_mbcnt_hi_u32_b32 v3, -1, v3
	v_and_b32_e32 v4, 63, v3
	v_cmp_ne_u32_e32 vcc, 63, v4
	v_addc_co_u32_e32 v6, vcc, 0, v3, vcc
	v_lshlrev_b32_e32 v6, 2, v6
	ds_bpermute_b32 v8, v6, v1
	ds_bpermute_b32 v7, v6, v2
	s_min_u32 s2, s14, 0x100
	v_and_b32_e32 v5, 0xc0, v0
	v_sub_u32_e64 v5, s2, v5 clamp
	v_add_u32_e32 v6, 1, v4
	v_cmp_lt_u32_e32 vcc, v6, v5
	v_mov_b32_e32 v6, v1
	s_and_saveexec_b64 s[0:1], vcc
	s_cbranch_execz .LBB882_128
; %bb.127:
	s_waitcnt lgkmcnt(1)
	v_add_co_u32_e32 v6, vcc, v1, v8
	v_addc_co_u32_e32 v2, vcc, 0, v2, vcc
	v_add_co_u32_e32 v1, vcc, 0, v6
	s_waitcnt lgkmcnt(0)
	v_addc_co_u32_e32 v2, vcc, v7, v2, vcc
.LBB882_128:
	s_or_b64 exec, exec, s[0:1]
	v_cmp_gt_u32_e32 vcc, 62, v4
	s_waitcnt lgkmcnt(0)
	v_cndmask_b32_e64 v7, 0, 2, vcc
	v_add_lshl_u32 v7, v7, v3, 2
	ds_bpermute_b32 v8, v7, v6
	ds_bpermute_b32 v7, v7, v2
	v_add_u32_e32 v9, 2, v4
	v_cmp_lt_u32_e32 vcc, v9, v5
	s_and_saveexec_b64 s[0:1], vcc
	s_cbranch_execz .LBB882_130
; %bb.129:
	s_waitcnt lgkmcnt(1)
	v_add_co_u32_e32 v6, vcc, v1, v8
	v_addc_co_u32_e32 v2, vcc, 0, v2, vcc
	v_add_co_u32_e32 v1, vcc, 0, v6
	s_waitcnt lgkmcnt(0)
	v_addc_co_u32_e32 v2, vcc, v7, v2, vcc
.LBB882_130:
	s_or_b64 exec, exec, s[0:1]
	v_cmp_gt_u32_e32 vcc, 60, v4
	s_waitcnt lgkmcnt(0)
	v_cndmask_b32_e64 v7, 0, 4, vcc
	v_add_lshl_u32 v7, v7, v3, 2
	ds_bpermute_b32 v8, v7, v6
	ds_bpermute_b32 v7, v7, v2
	v_add_u32_e32 v9, 4, v4
	v_cmp_lt_u32_e32 vcc, v9, v5
	;; [unrolled: 19-line block ×4, first 2 shown]
	s_and_saveexec_b64 s[0:1], vcc
	s_cbranch_execz .LBB882_136
; %bb.135:
	s_waitcnt lgkmcnt(1)
	v_add_co_u32_e32 v6, vcc, v1, v8
	v_addc_co_u32_e32 v2, vcc, 0, v2, vcc
	v_add_co_u32_e32 v1, vcc, 0, v6
	s_waitcnt lgkmcnt(0)
	v_addc_co_u32_e32 v2, vcc, v7, v2, vcc
.LBB882_136:
	s_or_b64 exec, exec, s[0:1]
	s_waitcnt lgkmcnt(0)
	v_lshlrev_b32_e32 v7, 2, v3
	v_or_b32_e32 v8, 0x80, v7
	ds_bpermute_b32 v6, v8, v6
	ds_bpermute_b32 v8, v8, v2
	v_add_u32_e32 v4, 32, v4
	s_waitcnt lgkmcnt(1)
	v_add_co_u32_e32 v6, vcc, v1, v6
	v_addc_co_u32_e32 v9, vcc, 0, v2, vcc
	v_add_co_u32_e32 v6, vcc, 0, v6
	s_waitcnt lgkmcnt(0)
	v_addc_co_u32_e32 v8, vcc, v9, v8, vcc
	v_cmp_lt_u32_e32 vcc, v4, v5
	v_cndmask_b32_e32 v2, v2, v8, vcc
	v_cndmask_b32_e32 v1, v1, v6, vcc
	v_cmp_eq_u32_e32 vcc, 0, v3
	s_and_saveexec_b64 s[0:1], vcc
; %bb.137:
	v_lshrrev_b32_e32 v4, 3, v0
	v_and_b32_e32 v4, 24, v4
	ds_write_b64 v4, v[1:2] offset:160
; %bb.138:
	s_or_b64 exec, exec, s[0:1]
	v_cmp_gt_u32_e32 vcc, 4, v0
	s_waitcnt lgkmcnt(0)
	s_barrier
	s_and_saveexec_b64 s[0:1], vcc
	s_cbranch_execz .LBB882_142
; %bb.139:
	v_lshlrev_b32_e32 v1, 3, v3
	ds_read_b64 v[1:2], v1 offset:160
	v_and_b32_e32 v4, 3, v3
	v_cmp_ne_u32_e32 vcc, 3, v4
	v_addc_co_u32_e32 v3, vcc, 0, v3, vcc
	v_lshlrev_b32_e32 v3, 2, v3
	s_waitcnt lgkmcnt(0)
	ds_bpermute_b32 v6, v3, v1
	ds_bpermute_b32 v5, v3, v2
	s_add_i32 s2, s2, 63
	s_lshr_b32 s8, s2, 6
	v_add_u32_e32 v3, 1, v4
	v_cmp_gt_u32_e32 vcc, s8, v3
	v_mov_b32_e32 v3, v1
	s_and_saveexec_b64 s[2:3], vcc
	s_cbranch_execz .LBB882_141
; %bb.140:
	s_waitcnt lgkmcnt(1)
	v_add_co_u32_e32 v3, vcc, v1, v6
	v_addc_co_u32_e32 v2, vcc, 0, v2, vcc
	v_add_co_u32_e32 v1, vcc, 0, v3
	s_waitcnt lgkmcnt(0)
	v_addc_co_u32_e32 v2, vcc, v5, v2, vcc
.LBB882_141:
	s_or_b64 exec, exec, s[2:3]
	s_waitcnt lgkmcnt(0)
	v_or_b32_e32 v5, 8, v7
	ds_bpermute_b32 v3, v5, v3
	ds_bpermute_b32 v5, v5, v2
	v_add_u32_e32 v4, 2, v4
	s_waitcnt lgkmcnt(1)
	v_add_co_u32_e32 v3, vcc, v1, v3
	v_addc_co_u32_e32 v6, vcc, 0, v2, vcc
	v_add_co_u32_e32 v3, vcc, 0, v3
	s_waitcnt lgkmcnt(0)
	v_addc_co_u32_e32 v5, vcc, v6, v5, vcc
	v_cmp_gt_u32_e32 vcc, s8, v4
	v_cndmask_b32_e32 v2, v2, v5, vcc
	v_cndmask_b32_e32 v1, v1, v3, vcc
.LBB882_142:
	s_or_b64 exec, exec, s[0:1]
.LBB882_143:
	v_mov_b32_e32 v3, s6
	v_cmp_eq_u32_e64 s[0:1], 0, v0
	v_mov_b32_e32 v4, s7
.LBB882_144:
	s_branch .LBB882_206
.LBB882_145:
	s_cmp_gt_i32 s30, 1
	s_cbranch_scc0 .LBB882_153
; %bb.146:
	s_cmp_eq_u32 s30, 2
                                        ; implicit-def: $vgpr1_vgpr2
                                        ; implicit-def: $vgpr3_vgpr4
	s_cbranch_scc0 .LBB882_154
; %bb.147:
	s_mov_b32 s7, 0
	s_lshl_b32 s8, s6, 9
	s_mov_b32 s9, s7
	s_lshr_b64 s[10:11], s[20:21], 9
	s_lshl_b64 s[2:3], s[8:9], 2
	s_add_u32 s0, s24, s2
	s_addc_u32 s1, s25, s3
	s_add_u32 s2, s26, s2
	s_addc_u32 s3, s27, s3
	s_cmp_lg_u64 s[10:11], s[6:7]
	s_cbranch_scc0 .LBB882_155
; %bb.148:
	v_lshlrev_b32_e32 v1, 2, v0
	global_load_dword v2, v1, s[0:1]
	global_load_dword v5, v1, s[2:3]
	global_load_dword v6, v1, s[2:3] offset:1024
	global_load_dword v7, v1, s[0:1] offset:1024
	s_mov_b32 s9, 0x66666667
	v_mov_b32_e32 v1, 0
	v_mbcnt_lo_u32_b32 v3, -1, 0
	v_mbcnt_hi_u32_b32 v3, -1, v3
	v_mov_b32_dpp v1, v1 quad_perm:[1,0,3,2] row_mask:0xf bank_mask:0xf bound_ctrl:1
	v_lshlrev_b32_e32 v4, 2, v3
	v_or_b32_e32 v8, 0xfc, v4
	s_waitcnt vmcnt(3)
	v_mul_hi_i32 v2, v2, s9
	s_waitcnt vmcnt(2)
	v_mul_hi_i32 v5, v5, s9
	;; [unrolled: 2-line block ×4, first 2 shown]
	v_lshrrev_b32_e32 v9, 31, v2
	v_ashrrev_i32_e32 v2, 2, v2
	v_lshrrev_b32_e32 v10, 31, v5
	v_ashrrev_i32_e32 v5, 2, v5
	;; [unrolled: 2-line block ×4, first 2 shown]
	v_add_u32_e32 v2, v2, v9
	v_add_u32_e32 v5, v5, v10
	v_add_u32_e32 v7, v7, v11
	v_add_u32_e32 v6, v6, v12
	v_cmp_ne_u32_e32 vcc, v2, v5
	v_cndmask_b32_e64 v2, 0, 1, vcc
	v_cmp_ne_u32_e32 vcc, v7, v6
	v_addc_co_u32_e32 v2, vcc, 0, v2, vcc
	s_nop 1
	v_mov_b32_dpp v5, v2 quad_perm:[1,0,3,2] row_mask:0xf bank_mask:0xf bound_ctrl:1
	v_add_co_u32_e32 v2, vcc, v2, v5
	v_addc_co_u32_e64 v5, s[10:11], 0, 0, vcc
	v_add_co_u32_e32 v6, vcc, 0, v2
	v_addc_co_u32_e32 v1, vcc, v1, v5, vcc
	v_mov_b32_dpp v2, v2 quad_perm:[2,3,0,1] row_mask:0xf bank_mask:0xf bound_ctrl:1
	v_add_co_u32_e32 v2, vcc, v6, v2
	v_mov_b32_dpp v5, v1 quad_perm:[2,3,0,1] row_mask:0xf bank_mask:0xf bound_ctrl:1
	v_addc_co_u32_e32 v1, vcc, 0, v1, vcc
	v_add_co_u32_e32 v6, vcc, 0, v2
	v_addc_co_u32_e32 v1, vcc, v1, v5, vcc
	v_mov_b32_dpp v2, v2 row_ror:4 row_mask:0xf bank_mask:0xf bound_ctrl:1
	v_add_co_u32_e32 v2, vcc, v6, v2
	v_mov_b32_dpp v5, v1 row_ror:4 row_mask:0xf bank_mask:0xf bound_ctrl:1
	v_addc_co_u32_e32 v1, vcc, 0, v1, vcc
	v_add_co_u32_e32 v6, vcc, 0, v2
	v_addc_co_u32_e32 v1, vcc, v1, v5, vcc
	v_mov_b32_dpp v2, v2 row_ror:8 row_mask:0xf bank_mask:0xf bound_ctrl:1
	v_add_co_u32_e32 v2, vcc, v6, v2
	v_mov_b32_dpp v5, v1 row_ror:8 row_mask:0xf bank_mask:0xf bound_ctrl:1
	v_addc_co_u32_e32 v1, vcc, 0, v1, vcc
	v_add_co_u32_e32 v6, vcc, 0, v2
	v_addc_co_u32_e32 v1, vcc, v1, v5, vcc
	v_mov_b32_dpp v2, v2 row_bcast:15 row_mask:0xf bank_mask:0xf bound_ctrl:1
	v_add_co_u32_e32 v2, vcc, v6, v2
	v_mov_b32_dpp v5, v1 row_bcast:15 row_mask:0xf bank_mask:0xf bound_ctrl:1
	v_addc_co_u32_e32 v1, vcc, 0, v1, vcc
	v_add_co_u32_e32 v6, vcc, 0, v2
	v_addc_co_u32_e32 v1, vcc, v1, v5, vcc
	v_mov_b32_dpp v2, v2 row_bcast:31 row_mask:0xf bank_mask:0xf bound_ctrl:1
	v_add_co_u32_e32 v2, vcc, v6, v2
	v_addc_co_u32_e32 v5, vcc, 0, v1, vcc
	v_cmp_eq_u32_e32 vcc, 0, v3
	s_nop 0
	v_add_u32_dpp v5, v1, v5 row_bcast:31 row_mask:0xf bank_mask:0xf bound_ctrl:1
	ds_bpermute_b32 v1, v8, v2
	ds_bpermute_b32 v2, v8, v5
	s_and_saveexec_b64 s[10:11], vcc
	s_cbranch_execz .LBB882_150
; %bb.149:
	v_lshrrev_b32_e32 v5, 3, v0
	v_and_b32_e32 v5, 24, v5
	s_waitcnt lgkmcnt(0)
	ds_write_b64 v5, v[1:2] offset:64
.LBB882_150:
	s_or_b64 exec, exec, s[10:11]
	v_cmp_gt_u32_e32 vcc, 64, v0
	s_waitcnt lgkmcnt(0)
	s_barrier
	s_and_saveexec_b64 s[10:11], vcc
	s_cbranch_execz .LBB882_152
; %bb.151:
	v_and_b32_e32 v5, 3, v3
	v_lshlrev_b32_e32 v1, 3, v5
	ds_read_b64 v[1:2], v1 offset:64
	v_cmp_ne_u32_e32 vcc, 3, v5
	v_addc_co_u32_e32 v3, vcc, 0, v3, vcc
	v_lshlrev_b32_e32 v3, 2, v3
	s_waitcnt lgkmcnt(0)
	ds_bpermute_b32 v5, v3, v1
	ds_bpermute_b32 v3, v3, v2
	v_or_b32_e32 v4, 8, v4
	s_waitcnt lgkmcnt(1)
	v_add_co_u32_e32 v1, vcc, v1, v5
	v_addc_co_u32_e32 v2, vcc, 0, v2, vcc
	ds_bpermute_b32 v5, v4, v1
	v_add_co_u32_e32 v1, vcc, 0, v1
	s_waitcnt lgkmcnt(1)
	v_addc_co_u32_e32 v2, vcc, v3, v2, vcc
	ds_bpermute_b32 v3, v4, v2
	s_waitcnt lgkmcnt(1)
	v_add_co_u32_e32 v1, vcc, v1, v5
	v_addc_co_u32_e32 v2, vcc, 0, v2, vcc
	v_add_co_u32_e32 v1, vcc, 0, v1
	s_waitcnt lgkmcnt(0)
	v_addc_co_u32_e32 v2, vcc, v2, v3, vcc
.LBB882_152:
	s_or_b64 exec, exec, s[10:11]
	s_branch .LBB882_177
.LBB882_153:
                                        ; implicit-def: $vgpr1_vgpr2
                                        ; implicit-def: $vgpr3_vgpr4
	s_cbranch_execnz .LBB882_178
	s_branch .LBB882_206
.LBB882_154:
	s_branch .LBB882_206
.LBB882_155:
                                        ; implicit-def: $vgpr1_vgpr2
	s_cbranch_execz .LBB882_177
; %bb.156:
	s_sub_i32 s10, s20, s8
	v_mov_b32_e32 v1, 0
	v_cmp_gt_u32_e32 vcc, s10, v0
	v_mov_b32_e32 v2, v1
	v_mov_b32_e32 v3, v1
	;; [unrolled: 1-line block ×3, first 2 shown]
	s_and_saveexec_b64 s[8:9], vcc
	s_cbranch_execz .LBB882_158
; %bb.157:
	v_lshlrev_b32_e32 v2, 2, v0
	global_load_dword v3, v2, s[0:1]
	global_load_dword v4, v2, s[2:3]
	s_mov_b32 s11, 0x66666667
	s_waitcnt vmcnt(1)
	v_mul_hi_i32 v2, v3, s11
	s_waitcnt vmcnt(0)
	v_mul_hi_i32 v5, v4, s11
	v_mov_b32_e32 v3, v1
	v_mov_b32_e32 v4, v1
	v_lshrrev_b32_e32 v6, 31, v2
	v_ashrrev_i32_e32 v2, 2, v2
	v_lshrrev_b32_e32 v7, 31, v5
	v_ashrrev_i32_e32 v5, 2, v5
	v_add_u32_e32 v2, v2, v6
	v_add_u32_e32 v5, v5, v7
	v_cmp_ne_u32_e32 vcc, v2, v5
	v_cndmask_b32_e64 v2, 0, 1, vcc
	v_and_b32_e32 v2, 0xffff, v2
	v_mov_b32_e32 v5, v1
	v_mov_b32_e32 v1, v2
	;; [unrolled: 1-line block ×5, first 2 shown]
.LBB882_158:
	s_or_b64 exec, exec, s[8:9]
	v_or_b32_e32 v5, 0x100, v0
	v_cmp_gt_u32_e32 vcc, s10, v5
	s_and_saveexec_b64 s[8:9], vcc
	s_cbranch_execz .LBB882_160
; %bb.159:
	v_lshlrev_b32_e32 v3, 2, v0
	global_load_dword v4, v3, s[0:1] offset:1024
	global_load_dword v5, v3, s[2:3] offset:1024
	s_mov_b32 s0, 0x66666667
	s_mov_b32 s2, 0
	s_waitcnt vmcnt(1)
	v_mul_hi_i32 v3, v4, s0
	s_waitcnt vmcnt(0)
	v_mul_hi_i32 v4, v5, s0
	v_lshrrev_b32_e32 v5, 31, v3
	v_ashrrev_i32_e32 v3, 2, v3
	v_lshrrev_b32_e32 v6, 31, v4
	v_ashrrev_i32_e32 v4, 2, v4
	v_add_u32_e32 v3, v3, v5
	v_add_u32_e32 v4, v4, v6
	v_cmp_ne_u32_e64 s[0:1], v3, v4
	v_cndmask_b32_e64 v3, 0, 1, s[0:1]
	v_mov_b32_e32 v4, s2
.LBB882_160:
	s_or_b64 exec, exec, s[8:9]
	v_cndmask_b32_e32 v3, 0, v3, vcc
	v_cndmask_b32_e32 v4, 0, v4, vcc
	v_add_co_u32_e32 v1, vcc, v3, v1
	v_mbcnt_lo_u32_b32 v3, -1, 0
	v_mbcnt_hi_u32_b32 v3, -1, v3
	v_addc_co_u32_e32 v2, vcc, v4, v2, vcc
	v_and_b32_e32 v4, 63, v3
	v_cmp_ne_u32_e32 vcc, 63, v4
	v_addc_co_u32_e32 v6, vcc, 0, v3, vcc
	v_lshlrev_b32_e32 v6, 2, v6
	ds_bpermute_b32 v8, v6, v1
	ds_bpermute_b32 v7, v6, v2
	s_min_u32 s2, s10, 0x100
	v_and_b32_e32 v5, 0xc0, v0
	v_sub_u32_e64 v5, s2, v5 clamp
	v_add_u32_e32 v6, 1, v4
	v_cmp_lt_u32_e32 vcc, v6, v5
	v_mov_b32_e32 v6, v1
	s_and_saveexec_b64 s[0:1], vcc
	s_cbranch_execz .LBB882_162
; %bb.161:
	s_waitcnt lgkmcnt(1)
	v_add_co_u32_e32 v6, vcc, v1, v8
	v_addc_co_u32_e32 v2, vcc, 0, v2, vcc
	v_add_co_u32_e32 v1, vcc, 0, v6
	s_waitcnt lgkmcnt(0)
	v_addc_co_u32_e32 v2, vcc, v7, v2, vcc
.LBB882_162:
	s_or_b64 exec, exec, s[0:1]
	v_cmp_gt_u32_e32 vcc, 62, v4
	s_waitcnt lgkmcnt(0)
	v_cndmask_b32_e64 v7, 0, 2, vcc
	v_add_lshl_u32 v7, v7, v3, 2
	ds_bpermute_b32 v8, v7, v6
	ds_bpermute_b32 v7, v7, v2
	v_add_u32_e32 v9, 2, v4
	v_cmp_lt_u32_e32 vcc, v9, v5
	s_and_saveexec_b64 s[0:1], vcc
	s_cbranch_execz .LBB882_164
; %bb.163:
	s_waitcnt lgkmcnt(1)
	v_add_co_u32_e32 v6, vcc, v1, v8
	v_addc_co_u32_e32 v2, vcc, 0, v2, vcc
	v_add_co_u32_e32 v1, vcc, 0, v6
	s_waitcnt lgkmcnt(0)
	v_addc_co_u32_e32 v2, vcc, v7, v2, vcc
.LBB882_164:
	s_or_b64 exec, exec, s[0:1]
	v_cmp_gt_u32_e32 vcc, 60, v4
	s_waitcnt lgkmcnt(0)
	v_cndmask_b32_e64 v7, 0, 4, vcc
	v_add_lshl_u32 v7, v7, v3, 2
	ds_bpermute_b32 v8, v7, v6
	ds_bpermute_b32 v7, v7, v2
	v_add_u32_e32 v9, 4, v4
	v_cmp_lt_u32_e32 vcc, v9, v5
	;; [unrolled: 19-line block ×4, first 2 shown]
	s_and_saveexec_b64 s[0:1], vcc
	s_cbranch_execz .LBB882_170
; %bb.169:
	s_waitcnt lgkmcnt(1)
	v_add_co_u32_e32 v6, vcc, v1, v8
	v_addc_co_u32_e32 v2, vcc, 0, v2, vcc
	v_add_co_u32_e32 v1, vcc, 0, v6
	s_waitcnt lgkmcnt(0)
	v_addc_co_u32_e32 v2, vcc, v7, v2, vcc
.LBB882_170:
	s_or_b64 exec, exec, s[0:1]
	s_waitcnt lgkmcnt(0)
	v_lshlrev_b32_e32 v7, 2, v3
	v_or_b32_e32 v8, 0x80, v7
	ds_bpermute_b32 v6, v8, v6
	ds_bpermute_b32 v8, v8, v2
	v_add_u32_e32 v4, 32, v4
	s_waitcnt lgkmcnt(1)
	v_add_co_u32_e32 v6, vcc, v1, v6
	v_addc_co_u32_e32 v9, vcc, 0, v2, vcc
	v_add_co_u32_e32 v6, vcc, 0, v6
	s_waitcnt lgkmcnt(0)
	v_addc_co_u32_e32 v8, vcc, v9, v8, vcc
	v_cmp_lt_u32_e32 vcc, v4, v5
	v_cndmask_b32_e32 v2, v2, v8, vcc
	v_cndmask_b32_e32 v1, v1, v6, vcc
	v_cmp_eq_u32_e32 vcc, 0, v3
	s_and_saveexec_b64 s[0:1], vcc
; %bb.171:
	v_lshrrev_b32_e32 v4, 3, v0
	v_and_b32_e32 v4, 24, v4
	ds_write_b64 v4, v[1:2] offset:160
; %bb.172:
	s_or_b64 exec, exec, s[0:1]
	v_cmp_gt_u32_e32 vcc, 4, v0
	s_waitcnt lgkmcnt(0)
	s_barrier
	s_and_saveexec_b64 s[0:1], vcc
	s_cbranch_execz .LBB882_176
; %bb.173:
	v_lshlrev_b32_e32 v1, 3, v3
	ds_read_b64 v[1:2], v1 offset:160
	v_and_b32_e32 v4, 3, v3
	v_cmp_ne_u32_e32 vcc, 3, v4
	v_addc_co_u32_e32 v3, vcc, 0, v3, vcc
	v_lshlrev_b32_e32 v3, 2, v3
	s_waitcnt lgkmcnt(0)
	ds_bpermute_b32 v6, v3, v1
	ds_bpermute_b32 v5, v3, v2
	s_add_i32 s2, s2, 63
	s_lshr_b32 s8, s2, 6
	v_add_u32_e32 v3, 1, v4
	v_cmp_gt_u32_e32 vcc, s8, v3
	v_mov_b32_e32 v3, v1
	s_and_saveexec_b64 s[2:3], vcc
	s_cbranch_execz .LBB882_175
; %bb.174:
	s_waitcnt lgkmcnt(1)
	v_add_co_u32_e32 v3, vcc, v1, v6
	v_addc_co_u32_e32 v2, vcc, 0, v2, vcc
	v_add_co_u32_e32 v1, vcc, 0, v3
	s_waitcnt lgkmcnt(0)
	v_addc_co_u32_e32 v2, vcc, v5, v2, vcc
.LBB882_175:
	s_or_b64 exec, exec, s[2:3]
	s_waitcnt lgkmcnt(0)
	v_or_b32_e32 v5, 8, v7
	ds_bpermute_b32 v3, v5, v3
	ds_bpermute_b32 v5, v5, v2
	v_add_u32_e32 v4, 2, v4
	s_waitcnt lgkmcnt(1)
	v_add_co_u32_e32 v3, vcc, v1, v3
	v_addc_co_u32_e32 v6, vcc, 0, v2, vcc
	v_add_co_u32_e32 v3, vcc, 0, v3
	s_waitcnt lgkmcnt(0)
	v_addc_co_u32_e32 v5, vcc, v6, v5, vcc
	v_cmp_gt_u32_e32 vcc, s8, v4
	v_cndmask_b32_e32 v2, v2, v5, vcc
	v_cndmask_b32_e32 v1, v1, v3, vcc
.LBB882_176:
	s_or_b64 exec, exec, s[0:1]
.LBB882_177:
	v_mov_b32_e32 v3, s6
	v_cmp_eq_u32_e64 s[0:1], 0, v0
	v_mov_b32_e32 v4, s7
	s_branch .LBB882_206
.LBB882_178:
	s_cmp_eq_u32 s30, 1
                                        ; implicit-def: $vgpr1_vgpr2
                                        ; implicit-def: $vgpr3_vgpr4
	s_cbranch_scc0 .LBB882_206
; %bb.179:
	s_mov_b32 s1, 0
	s_lshl_b32 s0, s6, 8
	s_mov_b32 s7, s1
	s_lshr_b64 s[2:3], s[20:21], 8
	s_cmp_lg_u64 s[2:3], s[6:7]
	v_mbcnt_lo_u32_b32 v3, -1, 0
	s_cbranch_scc0 .LBB882_185
; %bb.180:
	s_lshl_b64 s[2:3], s[0:1], 2
	s_add_u32 s8, s24, s2
	s_addc_u32 s9, s25, s3
	v_lshlrev_b32_e32 v1, 2, v0
	s_add_u32 s2, s26, s2
	global_load_dword v2, v1, s[8:9]
	s_addc_u32 s3, s27, s3
	global_load_dword v1, v1, s[2:3]
	s_mov_b32 s2, 0x66666667
	v_mov_b32_e32 v5, 0
	v_mbcnt_hi_u32_b32 v4, -1, v3
	s_waitcnt vmcnt(1)
	v_mul_hi_i32 v2, v2, s2
	v_mov_b32_dpp v6, v5 quad_perm:[1,0,3,2] row_mask:0xf bank_mask:0xf bound_ctrl:1
	s_waitcnt vmcnt(0)
	v_mul_hi_i32 v1, v1, s2
	v_lshlrev_b32_e32 v5, 2, v4
	v_lshrrev_b32_e32 v8, 31, v2
	v_ashrrev_i32_e32 v2, 2, v2
	v_add_u32_e32 v2, v2, v8
	v_lshrrev_b32_e32 v8, 31, v1
	v_ashrrev_i32_e32 v1, 2, v1
	v_add_u32_e32 v1, v1, v8
	v_cmp_ne_u32_e32 vcc, v2, v1
	v_cndmask_b32_e64 v1, 0, 1, vcc
	v_or_b32_e32 v7, 0xfc, v5
	s_nop 0
	v_mov_b32_dpp v2, v1 quad_perm:[1,0,3,2] row_mask:0xf bank_mask:0xf bound_ctrl:1
	v_add_co_u32_e32 v1, vcc, v2, v1
	v_addc_co_u32_e64 v2, s[2:3], 0, 0, vcc
	v_add_co_u32_e32 v8, vcc, 0, v1
	v_addc_co_u32_e32 v2, vcc, v6, v2, vcc
	v_mov_b32_dpp v1, v1 quad_perm:[2,3,0,1] row_mask:0xf bank_mask:0xf bound_ctrl:1
	v_add_co_u32_e32 v1, vcc, v8, v1
	v_mov_b32_dpp v6, v2 quad_perm:[2,3,0,1] row_mask:0xf bank_mask:0xf bound_ctrl:1
	v_addc_co_u32_e32 v2, vcc, 0, v2, vcc
	v_add_co_u32_e32 v8, vcc, 0, v1
	v_addc_co_u32_e32 v2, vcc, v2, v6, vcc
	v_mov_b32_dpp v1, v1 row_ror:4 row_mask:0xf bank_mask:0xf bound_ctrl:1
	v_add_co_u32_e32 v1, vcc, v8, v1
	v_mov_b32_dpp v6, v2 row_ror:4 row_mask:0xf bank_mask:0xf bound_ctrl:1
	v_addc_co_u32_e32 v2, vcc, 0, v2, vcc
	v_add_co_u32_e32 v8, vcc, 0, v1
	v_addc_co_u32_e32 v2, vcc, v2, v6, vcc
	v_mov_b32_dpp v1, v1 row_ror:8 row_mask:0xf bank_mask:0xf bound_ctrl:1
	v_add_co_u32_e32 v1, vcc, v8, v1
	v_mov_b32_dpp v6, v2 row_ror:8 row_mask:0xf bank_mask:0xf bound_ctrl:1
	v_addc_co_u32_e32 v2, vcc, 0, v2, vcc
	v_add_co_u32_e32 v8, vcc, 0, v1
	v_addc_co_u32_e32 v2, vcc, v2, v6, vcc
	v_mov_b32_dpp v1, v1 row_bcast:15 row_mask:0xf bank_mask:0xf bound_ctrl:1
	v_add_co_u32_e32 v1, vcc, v8, v1
	v_mov_b32_dpp v6, v2 row_bcast:15 row_mask:0xf bank_mask:0xf bound_ctrl:1
	v_addc_co_u32_e32 v2, vcc, 0, v2, vcc
	v_add_co_u32_e32 v8, vcc, 0, v1
	v_addc_co_u32_e32 v2, vcc, v2, v6, vcc
	v_mov_b32_dpp v1, v1 row_bcast:31 row_mask:0xf bank_mask:0xf bound_ctrl:1
	v_add_co_u32_e32 v1, vcc, v8, v1
	v_addc_co_u32_e32 v6, vcc, 0, v2, vcc
	ds_bpermute_b32 v1, v7, v1
	s_nop 0
	v_add_u32_dpp v2, v2, v6 row_bcast:31 row_mask:0xf bank_mask:0xf bound_ctrl:1
	ds_bpermute_b32 v2, v7, v2
	v_cmp_eq_u32_e32 vcc, 0, v4
	s_and_saveexec_b64 s[2:3], vcc
	s_cbranch_execz .LBB882_182
; %bb.181:
	v_lshrrev_b32_e32 v6, 3, v0
	v_and_b32_e32 v6, 24, v6
	s_waitcnt lgkmcnt(0)
	ds_write_b64 v6, v[1:2] offset:32
.LBB882_182:
	s_or_b64 exec, exec, s[2:3]
	v_cmp_gt_u32_e32 vcc, 64, v0
	s_waitcnt lgkmcnt(0)
	s_barrier
	s_and_saveexec_b64 s[2:3], vcc
	s_cbranch_execz .LBB882_184
; %bb.183:
	v_and_b32_e32 v6, 3, v4
	v_lshlrev_b32_e32 v1, 3, v6
	ds_read_b64 v[1:2], v1 offset:32
	v_cmp_ne_u32_e32 vcc, 3, v6
	v_addc_co_u32_e32 v4, vcc, 0, v4, vcc
	v_lshlrev_b32_e32 v4, 2, v4
	s_waitcnt lgkmcnt(0)
	ds_bpermute_b32 v6, v4, v1
	ds_bpermute_b32 v4, v4, v2
	v_or_b32_e32 v5, 8, v5
	s_waitcnt lgkmcnt(1)
	v_add_co_u32_e32 v1, vcc, v1, v6
	v_addc_co_u32_e32 v2, vcc, 0, v2, vcc
	ds_bpermute_b32 v6, v5, v1
	v_add_co_u32_e32 v1, vcc, 0, v1
	s_waitcnt lgkmcnt(1)
	v_addc_co_u32_e32 v2, vcc, v4, v2, vcc
	ds_bpermute_b32 v4, v5, v2
	s_waitcnt lgkmcnt(1)
	v_add_co_u32_e32 v1, vcc, v1, v6
	v_addc_co_u32_e32 v2, vcc, 0, v2, vcc
	v_add_co_u32_e32 v1, vcc, 0, v1
	s_waitcnt lgkmcnt(0)
	v_addc_co_u32_e32 v2, vcc, v2, v4, vcc
.LBB882_184:
	s_or_b64 exec, exec, s[2:3]
	s_branch .LBB882_205
.LBB882_185:
                                        ; implicit-def: $vgpr1_vgpr2
	s_cbranch_execz .LBB882_205
; %bb.186:
	s_sub_i32 s8, s20, s0
	v_cmp_gt_u32_e32 vcc, s8, v0
                                        ; implicit-def: $vgpr1_vgpr2
	s_and_saveexec_b64 s[2:3], vcc
	s_cbranch_execz .LBB882_188
; %bb.187:
	s_lshl_b64 s[0:1], s[0:1], 2
	s_add_u32 s10, s26, s0
	s_addc_u32 s11, s27, s1
	s_add_u32 s0, s24, s0
	s_addc_u32 s1, s25, s1
	v_lshlrev_b32_e32 v1, 2, v0
	global_load_dword v2, v1, s[0:1]
	global_load_dword v4, v1, s[10:11]
	s_mov_b32 s0, 0x66666667
	s_waitcnt vmcnt(1)
	v_mul_hi_i32 v1, v2, s0
	s_waitcnt vmcnt(0)
	v_mul_hi_i32 v2, v4, s0
	s_mov_b32 s0, 0
	v_lshrrev_b32_e32 v4, 31, v1
	v_ashrrev_i32_e32 v1, 2, v1
	v_lshrrev_b32_e32 v5, 31, v2
	v_ashrrev_i32_e32 v2, 2, v2
	v_add_u32_e32 v1, v1, v4
	v_add_u32_e32 v2, v2, v5
	v_cmp_ne_u32_e32 vcc, v1, v2
	v_cndmask_b32_e64 v1, 0, 1, vcc
	v_mov_b32_e32 v2, s0
.LBB882_188:
	s_or_b64 exec, exec, s[2:3]
	v_mbcnt_hi_u32_b32 v3, -1, v3
	v_and_b32_e32 v4, 63, v3
	v_cmp_ne_u32_e32 vcc, 63, v4
	v_addc_co_u32_e32 v6, vcc, 0, v3, vcc
	v_lshlrev_b32_e32 v6, 2, v6
	ds_bpermute_b32 v8, v6, v1
	ds_bpermute_b32 v7, v6, v2
	s_min_u32 s2, s8, 0x100
	v_and_b32_e32 v5, 0xc0, v0
	v_sub_u32_e64 v5, s2, v5 clamp
	v_add_u32_e32 v6, 1, v4
	v_cmp_lt_u32_e32 vcc, v6, v5
	v_mov_b32_e32 v6, v1
	s_and_saveexec_b64 s[0:1], vcc
	s_cbranch_execz .LBB882_190
; %bb.189:
	s_waitcnt lgkmcnt(1)
	v_add_co_u32_e32 v6, vcc, v1, v8
	v_addc_co_u32_e32 v2, vcc, 0, v2, vcc
	v_add_co_u32_e32 v1, vcc, 0, v6
	s_waitcnt lgkmcnt(0)
	v_addc_co_u32_e32 v2, vcc, v7, v2, vcc
.LBB882_190:
	s_or_b64 exec, exec, s[0:1]
	v_cmp_gt_u32_e32 vcc, 62, v4
	s_waitcnt lgkmcnt(0)
	v_cndmask_b32_e64 v7, 0, 2, vcc
	v_add_lshl_u32 v7, v7, v3, 2
	ds_bpermute_b32 v8, v7, v6
	ds_bpermute_b32 v7, v7, v2
	v_add_u32_e32 v9, 2, v4
	v_cmp_lt_u32_e32 vcc, v9, v5
	s_and_saveexec_b64 s[0:1], vcc
	s_cbranch_execz .LBB882_192
; %bb.191:
	s_waitcnt lgkmcnt(1)
	v_add_co_u32_e32 v6, vcc, v1, v8
	v_addc_co_u32_e32 v2, vcc, 0, v2, vcc
	v_add_co_u32_e32 v1, vcc, 0, v6
	s_waitcnt lgkmcnt(0)
	v_addc_co_u32_e32 v2, vcc, v7, v2, vcc
.LBB882_192:
	s_or_b64 exec, exec, s[0:1]
	v_cmp_gt_u32_e32 vcc, 60, v4
	s_waitcnt lgkmcnt(0)
	v_cndmask_b32_e64 v7, 0, 4, vcc
	v_add_lshl_u32 v7, v7, v3, 2
	ds_bpermute_b32 v8, v7, v6
	ds_bpermute_b32 v7, v7, v2
	v_add_u32_e32 v9, 4, v4
	v_cmp_lt_u32_e32 vcc, v9, v5
	s_and_saveexec_b64 s[0:1], vcc
	s_cbranch_execz .LBB882_194
; %bb.193:
	s_waitcnt lgkmcnt(1)
	v_add_co_u32_e32 v6, vcc, v1, v8
	v_addc_co_u32_e32 v2, vcc, 0, v2, vcc
	v_add_co_u32_e32 v1, vcc, 0, v6
	s_waitcnt lgkmcnt(0)
	v_addc_co_u32_e32 v2, vcc, v7, v2, vcc
.LBB882_194:
	s_or_b64 exec, exec, s[0:1]
	v_cmp_gt_u32_e32 vcc, 56, v4
	s_waitcnt lgkmcnt(0)
	v_cndmask_b32_e64 v7, 0, 8, vcc
	v_add_lshl_u32 v7, v7, v3, 2
	ds_bpermute_b32 v8, v7, v6
	ds_bpermute_b32 v7, v7, v2
	v_add_u32_e32 v9, 8, v4
	v_cmp_lt_u32_e32 vcc, v9, v5
	s_and_saveexec_b64 s[0:1], vcc
	s_cbranch_execz .LBB882_196
; %bb.195:
	s_waitcnt lgkmcnt(1)
	v_add_co_u32_e32 v6, vcc, v1, v8
	v_addc_co_u32_e32 v2, vcc, 0, v2, vcc
	v_add_co_u32_e32 v1, vcc, 0, v6
	s_waitcnt lgkmcnt(0)
	v_addc_co_u32_e32 v2, vcc, v7, v2, vcc
.LBB882_196:
	s_or_b64 exec, exec, s[0:1]
	v_cmp_gt_u32_e32 vcc, 48, v4
	s_waitcnt lgkmcnt(0)
	v_cndmask_b32_e64 v7, 0, 16, vcc
	v_add_lshl_u32 v7, v7, v3, 2
	ds_bpermute_b32 v8, v7, v6
	ds_bpermute_b32 v7, v7, v2
	v_add_u32_e32 v9, 16, v4
	v_cmp_lt_u32_e32 vcc, v9, v5
	s_and_saveexec_b64 s[0:1], vcc
	s_cbranch_execz .LBB882_198
; %bb.197:
	s_waitcnt lgkmcnt(1)
	v_add_co_u32_e32 v6, vcc, v1, v8
	v_addc_co_u32_e32 v2, vcc, 0, v2, vcc
	v_add_co_u32_e32 v1, vcc, 0, v6
	s_waitcnt lgkmcnt(0)
	v_addc_co_u32_e32 v2, vcc, v7, v2, vcc
.LBB882_198:
	s_or_b64 exec, exec, s[0:1]
	s_waitcnt lgkmcnt(0)
	v_lshlrev_b32_e32 v7, 2, v3
	v_or_b32_e32 v8, 0x80, v7
	ds_bpermute_b32 v6, v8, v6
	ds_bpermute_b32 v8, v8, v2
	v_add_u32_e32 v4, 32, v4
	s_waitcnt lgkmcnt(1)
	v_add_co_u32_e32 v6, vcc, v1, v6
	v_addc_co_u32_e32 v9, vcc, 0, v2, vcc
	v_add_co_u32_e32 v6, vcc, 0, v6
	s_waitcnt lgkmcnt(0)
	v_addc_co_u32_e32 v8, vcc, v9, v8, vcc
	v_cmp_lt_u32_e32 vcc, v4, v5
	v_cndmask_b32_e32 v2, v2, v8, vcc
	v_cndmask_b32_e32 v1, v1, v6, vcc
	v_cmp_eq_u32_e32 vcc, 0, v3
	s_and_saveexec_b64 s[0:1], vcc
; %bb.199:
	v_lshrrev_b32_e32 v4, 3, v0
	v_and_b32_e32 v4, 24, v4
	ds_write_b64 v4, v[1:2] offset:160
; %bb.200:
	s_or_b64 exec, exec, s[0:1]
	v_cmp_gt_u32_e32 vcc, 4, v0
	s_waitcnt lgkmcnt(0)
	s_barrier
	s_and_saveexec_b64 s[0:1], vcc
	s_cbranch_execz .LBB882_204
; %bb.201:
	v_lshlrev_b32_e32 v1, 3, v3
	ds_read_b64 v[1:2], v1 offset:160
	v_and_b32_e32 v4, 3, v3
	v_cmp_ne_u32_e32 vcc, 3, v4
	v_addc_co_u32_e32 v3, vcc, 0, v3, vcc
	v_lshlrev_b32_e32 v3, 2, v3
	s_waitcnt lgkmcnt(0)
	ds_bpermute_b32 v6, v3, v1
	ds_bpermute_b32 v5, v3, v2
	s_add_i32 s2, s2, 63
	s_lshr_b32 s8, s2, 6
	v_add_u32_e32 v3, 1, v4
	v_cmp_gt_u32_e32 vcc, s8, v3
	v_mov_b32_e32 v3, v1
	s_and_saveexec_b64 s[2:3], vcc
	s_cbranch_execz .LBB882_203
; %bb.202:
	s_waitcnt lgkmcnt(1)
	v_add_co_u32_e32 v3, vcc, v1, v6
	v_addc_co_u32_e32 v2, vcc, 0, v2, vcc
	v_add_co_u32_e32 v1, vcc, 0, v3
	s_waitcnt lgkmcnt(0)
	v_addc_co_u32_e32 v2, vcc, v5, v2, vcc
.LBB882_203:
	s_or_b64 exec, exec, s[2:3]
	s_waitcnt lgkmcnt(0)
	v_or_b32_e32 v5, 8, v7
	ds_bpermute_b32 v3, v5, v3
	ds_bpermute_b32 v5, v5, v2
	v_add_u32_e32 v4, 2, v4
	s_waitcnt lgkmcnt(1)
	v_add_co_u32_e32 v3, vcc, v1, v3
	v_addc_co_u32_e32 v6, vcc, 0, v2, vcc
	v_add_co_u32_e32 v3, vcc, 0, v3
	s_waitcnt lgkmcnt(0)
	v_addc_co_u32_e32 v5, vcc, v6, v5, vcc
	v_cmp_gt_u32_e32 vcc, s8, v4
	v_cndmask_b32_e32 v2, v2, v5, vcc
	v_cndmask_b32_e32 v1, v1, v3, vcc
.LBB882_204:
	s_or_b64 exec, exec, s[0:1]
.LBB882_205:
	v_mov_b32_e32 v3, s6
	v_cmp_eq_u32_e64 s[0:1], 0, v0
	v_mov_b32_e32 v4, s7
.LBB882_206:
	s_and_saveexec_b64 s[2:3], s[0:1]
	s_cbranch_execz .LBB882_208
; %bb.207:
	v_lshlrev_b64 v[3:4], 3, v[3:4]
	s_load_dwordx2 s[0:1], s[4:5], 0x30
	v_mov_b32_e32 v0, s23
	v_add_co_u32_e32 v3, vcc, s22, v3
	v_addc_co_u32_e32 v4, vcc, v0, v4, vcc
	s_cmp_lg_u64 s[20:21], 0
	s_cselect_b64 vcc, -1, 0
	v_cndmask_b32_e32 v0, 0, v1, vcc
	v_cndmask_b32_e32 v2, 0, v2, vcc
	s_waitcnt lgkmcnt(0)
	v_mov_b32_e32 v1, s1
	v_add_co_u32_e32 v0, vcc, s0, v0
	v_addc_co_u32_e32 v1, vcc, v2, v1, vcc
	global_store_dwordx2 v[3:4], v[0:1], off
.LBB882_208:
	s_endpgm
	.section	.rodata,"a",@progbits
	.p2align	6, 0x0
	.amdhsa_kernel _ZN7rocprim17ROCPRIM_400000_NS6detail17trampoline_kernelINS0_14default_configENS1_22reduce_config_selectorIlEEZNS1_11reduce_implILb1ES3_N6thrust23THRUST_200600_302600_NS11hip_rocprim26transform_input_iterator_tIlNS8_12zip_iteratorINS8_5tupleINS8_6detail15normal_iteratorINS8_10device_ptrIjEEEESH_NS8_9null_typeESI_SI_SI_SI_SI_SI_SI_EEEENS9_21zip_adj_not_predicateI22is_equal_div_10_uniqueIjEEEEEPllNS8_4plusIlEEEE10hipError_tPvRmT1_T2_T3_mT4_P12ihipStream_tbEUlT_E1_NS1_11comp_targetILNS1_3genE2ELNS1_11target_archE906ELNS1_3gpuE6ELNS1_3repE0EEENS1_30default_config_static_selectorELNS0_4arch9wavefront6targetE1EEEvSW_
		.amdhsa_group_segment_fixed_size 192
		.amdhsa_private_segment_fixed_size 0
		.amdhsa_kernarg_size 64
		.amdhsa_user_sgpr_count 6
		.amdhsa_user_sgpr_private_segment_buffer 1
		.amdhsa_user_sgpr_dispatch_ptr 0
		.amdhsa_user_sgpr_queue_ptr 0
		.amdhsa_user_sgpr_kernarg_segment_ptr 1
		.amdhsa_user_sgpr_dispatch_id 0
		.amdhsa_user_sgpr_flat_scratch_init 0
		.amdhsa_user_sgpr_private_segment_size 0
		.amdhsa_uses_dynamic_stack 0
		.amdhsa_system_sgpr_private_segment_wavefront_offset 0
		.amdhsa_system_sgpr_workgroup_id_x 1
		.amdhsa_system_sgpr_workgroup_id_y 0
		.amdhsa_system_sgpr_workgroup_id_z 0
		.amdhsa_system_sgpr_workgroup_info 0
		.amdhsa_system_vgpr_workitem_id 0
		.amdhsa_next_free_vgpr 36
		.amdhsa_next_free_sgpr 34
		.amdhsa_reserve_vcc 1
		.amdhsa_reserve_flat_scratch 0
		.amdhsa_float_round_mode_32 0
		.amdhsa_float_round_mode_16_64 0
		.amdhsa_float_denorm_mode_32 3
		.amdhsa_float_denorm_mode_16_64 3
		.amdhsa_dx10_clamp 1
		.amdhsa_ieee_mode 1
		.amdhsa_fp16_overflow 0
		.amdhsa_exception_fp_ieee_invalid_op 0
		.amdhsa_exception_fp_denorm_src 0
		.amdhsa_exception_fp_ieee_div_zero 0
		.amdhsa_exception_fp_ieee_overflow 0
		.amdhsa_exception_fp_ieee_underflow 0
		.amdhsa_exception_fp_ieee_inexact 0
		.amdhsa_exception_int_div_zero 0
	.end_amdhsa_kernel
	.section	.text._ZN7rocprim17ROCPRIM_400000_NS6detail17trampoline_kernelINS0_14default_configENS1_22reduce_config_selectorIlEEZNS1_11reduce_implILb1ES3_N6thrust23THRUST_200600_302600_NS11hip_rocprim26transform_input_iterator_tIlNS8_12zip_iteratorINS8_5tupleINS8_6detail15normal_iteratorINS8_10device_ptrIjEEEESH_NS8_9null_typeESI_SI_SI_SI_SI_SI_SI_EEEENS9_21zip_adj_not_predicateI22is_equal_div_10_uniqueIjEEEEEPllNS8_4plusIlEEEE10hipError_tPvRmT1_T2_T3_mT4_P12ihipStream_tbEUlT_E1_NS1_11comp_targetILNS1_3genE2ELNS1_11target_archE906ELNS1_3gpuE6ELNS1_3repE0EEENS1_30default_config_static_selectorELNS0_4arch9wavefront6targetE1EEEvSW_,"axG",@progbits,_ZN7rocprim17ROCPRIM_400000_NS6detail17trampoline_kernelINS0_14default_configENS1_22reduce_config_selectorIlEEZNS1_11reduce_implILb1ES3_N6thrust23THRUST_200600_302600_NS11hip_rocprim26transform_input_iterator_tIlNS8_12zip_iteratorINS8_5tupleINS8_6detail15normal_iteratorINS8_10device_ptrIjEEEESH_NS8_9null_typeESI_SI_SI_SI_SI_SI_SI_EEEENS9_21zip_adj_not_predicateI22is_equal_div_10_uniqueIjEEEEEPllNS8_4plusIlEEEE10hipError_tPvRmT1_T2_T3_mT4_P12ihipStream_tbEUlT_E1_NS1_11comp_targetILNS1_3genE2ELNS1_11target_archE906ELNS1_3gpuE6ELNS1_3repE0EEENS1_30default_config_static_selectorELNS0_4arch9wavefront6targetE1EEEvSW_,comdat
.Lfunc_end882:
	.size	_ZN7rocprim17ROCPRIM_400000_NS6detail17trampoline_kernelINS0_14default_configENS1_22reduce_config_selectorIlEEZNS1_11reduce_implILb1ES3_N6thrust23THRUST_200600_302600_NS11hip_rocprim26transform_input_iterator_tIlNS8_12zip_iteratorINS8_5tupleINS8_6detail15normal_iteratorINS8_10device_ptrIjEEEESH_NS8_9null_typeESI_SI_SI_SI_SI_SI_SI_EEEENS9_21zip_adj_not_predicateI22is_equal_div_10_uniqueIjEEEEEPllNS8_4plusIlEEEE10hipError_tPvRmT1_T2_T3_mT4_P12ihipStream_tbEUlT_E1_NS1_11comp_targetILNS1_3genE2ELNS1_11target_archE906ELNS1_3gpuE6ELNS1_3repE0EEENS1_30default_config_static_selectorELNS0_4arch9wavefront6targetE1EEEvSW_, .Lfunc_end882-_ZN7rocprim17ROCPRIM_400000_NS6detail17trampoline_kernelINS0_14default_configENS1_22reduce_config_selectorIlEEZNS1_11reduce_implILb1ES3_N6thrust23THRUST_200600_302600_NS11hip_rocprim26transform_input_iterator_tIlNS8_12zip_iteratorINS8_5tupleINS8_6detail15normal_iteratorINS8_10device_ptrIjEEEESH_NS8_9null_typeESI_SI_SI_SI_SI_SI_SI_EEEENS9_21zip_adj_not_predicateI22is_equal_div_10_uniqueIjEEEEEPllNS8_4plusIlEEEE10hipError_tPvRmT1_T2_T3_mT4_P12ihipStream_tbEUlT_E1_NS1_11comp_targetILNS1_3genE2ELNS1_11target_archE906ELNS1_3gpuE6ELNS1_3repE0EEENS1_30default_config_static_selectorELNS0_4arch9wavefront6targetE1EEEvSW_
                                        ; -- End function
	.set _ZN7rocprim17ROCPRIM_400000_NS6detail17trampoline_kernelINS0_14default_configENS1_22reduce_config_selectorIlEEZNS1_11reduce_implILb1ES3_N6thrust23THRUST_200600_302600_NS11hip_rocprim26transform_input_iterator_tIlNS8_12zip_iteratorINS8_5tupleINS8_6detail15normal_iteratorINS8_10device_ptrIjEEEESH_NS8_9null_typeESI_SI_SI_SI_SI_SI_SI_EEEENS9_21zip_adj_not_predicateI22is_equal_div_10_uniqueIjEEEEEPllNS8_4plusIlEEEE10hipError_tPvRmT1_T2_T3_mT4_P12ihipStream_tbEUlT_E1_NS1_11comp_targetILNS1_3genE2ELNS1_11target_archE906ELNS1_3gpuE6ELNS1_3repE0EEENS1_30default_config_static_selectorELNS0_4arch9wavefront6targetE1EEEvSW_.num_vgpr, 36
	.set _ZN7rocprim17ROCPRIM_400000_NS6detail17trampoline_kernelINS0_14default_configENS1_22reduce_config_selectorIlEEZNS1_11reduce_implILb1ES3_N6thrust23THRUST_200600_302600_NS11hip_rocprim26transform_input_iterator_tIlNS8_12zip_iteratorINS8_5tupleINS8_6detail15normal_iteratorINS8_10device_ptrIjEEEESH_NS8_9null_typeESI_SI_SI_SI_SI_SI_SI_EEEENS9_21zip_adj_not_predicateI22is_equal_div_10_uniqueIjEEEEEPllNS8_4plusIlEEEE10hipError_tPvRmT1_T2_T3_mT4_P12ihipStream_tbEUlT_E1_NS1_11comp_targetILNS1_3genE2ELNS1_11target_archE906ELNS1_3gpuE6ELNS1_3repE0EEENS1_30default_config_static_selectorELNS0_4arch9wavefront6targetE1EEEvSW_.num_agpr, 0
	.set _ZN7rocprim17ROCPRIM_400000_NS6detail17trampoline_kernelINS0_14default_configENS1_22reduce_config_selectorIlEEZNS1_11reduce_implILb1ES3_N6thrust23THRUST_200600_302600_NS11hip_rocprim26transform_input_iterator_tIlNS8_12zip_iteratorINS8_5tupleINS8_6detail15normal_iteratorINS8_10device_ptrIjEEEESH_NS8_9null_typeESI_SI_SI_SI_SI_SI_SI_EEEENS9_21zip_adj_not_predicateI22is_equal_div_10_uniqueIjEEEEEPllNS8_4plusIlEEEE10hipError_tPvRmT1_T2_T3_mT4_P12ihipStream_tbEUlT_E1_NS1_11comp_targetILNS1_3genE2ELNS1_11target_archE906ELNS1_3gpuE6ELNS1_3repE0EEENS1_30default_config_static_selectorELNS0_4arch9wavefront6targetE1EEEvSW_.numbered_sgpr, 34
	.set _ZN7rocprim17ROCPRIM_400000_NS6detail17trampoline_kernelINS0_14default_configENS1_22reduce_config_selectorIlEEZNS1_11reduce_implILb1ES3_N6thrust23THRUST_200600_302600_NS11hip_rocprim26transform_input_iterator_tIlNS8_12zip_iteratorINS8_5tupleINS8_6detail15normal_iteratorINS8_10device_ptrIjEEEESH_NS8_9null_typeESI_SI_SI_SI_SI_SI_SI_EEEENS9_21zip_adj_not_predicateI22is_equal_div_10_uniqueIjEEEEEPllNS8_4plusIlEEEE10hipError_tPvRmT1_T2_T3_mT4_P12ihipStream_tbEUlT_E1_NS1_11comp_targetILNS1_3genE2ELNS1_11target_archE906ELNS1_3gpuE6ELNS1_3repE0EEENS1_30default_config_static_selectorELNS0_4arch9wavefront6targetE1EEEvSW_.num_named_barrier, 0
	.set _ZN7rocprim17ROCPRIM_400000_NS6detail17trampoline_kernelINS0_14default_configENS1_22reduce_config_selectorIlEEZNS1_11reduce_implILb1ES3_N6thrust23THRUST_200600_302600_NS11hip_rocprim26transform_input_iterator_tIlNS8_12zip_iteratorINS8_5tupleINS8_6detail15normal_iteratorINS8_10device_ptrIjEEEESH_NS8_9null_typeESI_SI_SI_SI_SI_SI_SI_EEEENS9_21zip_adj_not_predicateI22is_equal_div_10_uniqueIjEEEEEPllNS8_4plusIlEEEE10hipError_tPvRmT1_T2_T3_mT4_P12ihipStream_tbEUlT_E1_NS1_11comp_targetILNS1_3genE2ELNS1_11target_archE906ELNS1_3gpuE6ELNS1_3repE0EEENS1_30default_config_static_selectorELNS0_4arch9wavefront6targetE1EEEvSW_.private_seg_size, 0
	.set _ZN7rocprim17ROCPRIM_400000_NS6detail17trampoline_kernelINS0_14default_configENS1_22reduce_config_selectorIlEEZNS1_11reduce_implILb1ES3_N6thrust23THRUST_200600_302600_NS11hip_rocprim26transform_input_iterator_tIlNS8_12zip_iteratorINS8_5tupleINS8_6detail15normal_iteratorINS8_10device_ptrIjEEEESH_NS8_9null_typeESI_SI_SI_SI_SI_SI_SI_EEEENS9_21zip_adj_not_predicateI22is_equal_div_10_uniqueIjEEEEEPllNS8_4plusIlEEEE10hipError_tPvRmT1_T2_T3_mT4_P12ihipStream_tbEUlT_E1_NS1_11comp_targetILNS1_3genE2ELNS1_11target_archE906ELNS1_3gpuE6ELNS1_3repE0EEENS1_30default_config_static_selectorELNS0_4arch9wavefront6targetE1EEEvSW_.uses_vcc, 1
	.set _ZN7rocprim17ROCPRIM_400000_NS6detail17trampoline_kernelINS0_14default_configENS1_22reduce_config_selectorIlEEZNS1_11reduce_implILb1ES3_N6thrust23THRUST_200600_302600_NS11hip_rocprim26transform_input_iterator_tIlNS8_12zip_iteratorINS8_5tupleINS8_6detail15normal_iteratorINS8_10device_ptrIjEEEESH_NS8_9null_typeESI_SI_SI_SI_SI_SI_SI_EEEENS9_21zip_adj_not_predicateI22is_equal_div_10_uniqueIjEEEEEPllNS8_4plusIlEEEE10hipError_tPvRmT1_T2_T3_mT4_P12ihipStream_tbEUlT_E1_NS1_11comp_targetILNS1_3genE2ELNS1_11target_archE906ELNS1_3gpuE6ELNS1_3repE0EEENS1_30default_config_static_selectorELNS0_4arch9wavefront6targetE1EEEvSW_.uses_flat_scratch, 0
	.set _ZN7rocprim17ROCPRIM_400000_NS6detail17trampoline_kernelINS0_14default_configENS1_22reduce_config_selectorIlEEZNS1_11reduce_implILb1ES3_N6thrust23THRUST_200600_302600_NS11hip_rocprim26transform_input_iterator_tIlNS8_12zip_iteratorINS8_5tupleINS8_6detail15normal_iteratorINS8_10device_ptrIjEEEESH_NS8_9null_typeESI_SI_SI_SI_SI_SI_SI_EEEENS9_21zip_adj_not_predicateI22is_equal_div_10_uniqueIjEEEEEPllNS8_4plusIlEEEE10hipError_tPvRmT1_T2_T3_mT4_P12ihipStream_tbEUlT_E1_NS1_11comp_targetILNS1_3genE2ELNS1_11target_archE906ELNS1_3gpuE6ELNS1_3repE0EEENS1_30default_config_static_selectorELNS0_4arch9wavefront6targetE1EEEvSW_.has_dyn_sized_stack, 0
	.set _ZN7rocprim17ROCPRIM_400000_NS6detail17trampoline_kernelINS0_14default_configENS1_22reduce_config_selectorIlEEZNS1_11reduce_implILb1ES3_N6thrust23THRUST_200600_302600_NS11hip_rocprim26transform_input_iterator_tIlNS8_12zip_iteratorINS8_5tupleINS8_6detail15normal_iteratorINS8_10device_ptrIjEEEESH_NS8_9null_typeESI_SI_SI_SI_SI_SI_SI_EEEENS9_21zip_adj_not_predicateI22is_equal_div_10_uniqueIjEEEEEPllNS8_4plusIlEEEE10hipError_tPvRmT1_T2_T3_mT4_P12ihipStream_tbEUlT_E1_NS1_11comp_targetILNS1_3genE2ELNS1_11target_archE906ELNS1_3gpuE6ELNS1_3repE0EEENS1_30default_config_static_selectorELNS0_4arch9wavefront6targetE1EEEvSW_.has_recursion, 0
	.set _ZN7rocprim17ROCPRIM_400000_NS6detail17trampoline_kernelINS0_14default_configENS1_22reduce_config_selectorIlEEZNS1_11reduce_implILb1ES3_N6thrust23THRUST_200600_302600_NS11hip_rocprim26transform_input_iterator_tIlNS8_12zip_iteratorINS8_5tupleINS8_6detail15normal_iteratorINS8_10device_ptrIjEEEESH_NS8_9null_typeESI_SI_SI_SI_SI_SI_SI_EEEENS9_21zip_adj_not_predicateI22is_equal_div_10_uniqueIjEEEEEPllNS8_4plusIlEEEE10hipError_tPvRmT1_T2_T3_mT4_P12ihipStream_tbEUlT_E1_NS1_11comp_targetILNS1_3genE2ELNS1_11target_archE906ELNS1_3gpuE6ELNS1_3repE0EEENS1_30default_config_static_selectorELNS0_4arch9wavefront6targetE1EEEvSW_.has_indirect_call, 0
	.section	.AMDGPU.csdata,"",@progbits
; Kernel info:
; codeLenInByte = 13656
; TotalNumSgprs: 38
; NumVgprs: 36
; ScratchSize: 0
; MemoryBound: 0
; FloatMode: 240
; IeeeMode: 1
; LDSByteSize: 192 bytes/workgroup (compile time only)
; SGPRBlocks: 4
; VGPRBlocks: 8
; NumSGPRsForWavesPerEU: 38
; NumVGPRsForWavesPerEU: 36
; Occupancy: 7
; WaveLimiterHint : 0
; COMPUTE_PGM_RSRC2:SCRATCH_EN: 0
; COMPUTE_PGM_RSRC2:USER_SGPR: 6
; COMPUTE_PGM_RSRC2:TRAP_HANDLER: 0
; COMPUTE_PGM_RSRC2:TGID_X_EN: 1
; COMPUTE_PGM_RSRC2:TGID_Y_EN: 0
; COMPUTE_PGM_RSRC2:TGID_Z_EN: 0
; COMPUTE_PGM_RSRC2:TIDIG_COMP_CNT: 0
	.section	.text._ZN7rocprim17ROCPRIM_400000_NS6detail17trampoline_kernelINS0_14default_configENS1_22reduce_config_selectorIlEEZNS1_11reduce_implILb1ES3_N6thrust23THRUST_200600_302600_NS11hip_rocprim26transform_input_iterator_tIlNS8_12zip_iteratorINS8_5tupleINS8_6detail15normal_iteratorINS8_10device_ptrIjEEEESH_NS8_9null_typeESI_SI_SI_SI_SI_SI_SI_EEEENS9_21zip_adj_not_predicateI22is_equal_div_10_uniqueIjEEEEEPllNS8_4plusIlEEEE10hipError_tPvRmT1_T2_T3_mT4_P12ihipStream_tbEUlT_E1_NS1_11comp_targetILNS1_3genE10ELNS1_11target_archE1201ELNS1_3gpuE5ELNS1_3repE0EEENS1_30default_config_static_selectorELNS0_4arch9wavefront6targetE1EEEvSW_,"axG",@progbits,_ZN7rocprim17ROCPRIM_400000_NS6detail17trampoline_kernelINS0_14default_configENS1_22reduce_config_selectorIlEEZNS1_11reduce_implILb1ES3_N6thrust23THRUST_200600_302600_NS11hip_rocprim26transform_input_iterator_tIlNS8_12zip_iteratorINS8_5tupleINS8_6detail15normal_iteratorINS8_10device_ptrIjEEEESH_NS8_9null_typeESI_SI_SI_SI_SI_SI_SI_EEEENS9_21zip_adj_not_predicateI22is_equal_div_10_uniqueIjEEEEEPllNS8_4plusIlEEEE10hipError_tPvRmT1_T2_T3_mT4_P12ihipStream_tbEUlT_E1_NS1_11comp_targetILNS1_3genE10ELNS1_11target_archE1201ELNS1_3gpuE5ELNS1_3repE0EEENS1_30default_config_static_selectorELNS0_4arch9wavefront6targetE1EEEvSW_,comdat
	.protected	_ZN7rocprim17ROCPRIM_400000_NS6detail17trampoline_kernelINS0_14default_configENS1_22reduce_config_selectorIlEEZNS1_11reduce_implILb1ES3_N6thrust23THRUST_200600_302600_NS11hip_rocprim26transform_input_iterator_tIlNS8_12zip_iteratorINS8_5tupleINS8_6detail15normal_iteratorINS8_10device_ptrIjEEEESH_NS8_9null_typeESI_SI_SI_SI_SI_SI_SI_EEEENS9_21zip_adj_not_predicateI22is_equal_div_10_uniqueIjEEEEEPllNS8_4plusIlEEEE10hipError_tPvRmT1_T2_T3_mT4_P12ihipStream_tbEUlT_E1_NS1_11comp_targetILNS1_3genE10ELNS1_11target_archE1201ELNS1_3gpuE5ELNS1_3repE0EEENS1_30default_config_static_selectorELNS0_4arch9wavefront6targetE1EEEvSW_ ; -- Begin function _ZN7rocprim17ROCPRIM_400000_NS6detail17trampoline_kernelINS0_14default_configENS1_22reduce_config_selectorIlEEZNS1_11reduce_implILb1ES3_N6thrust23THRUST_200600_302600_NS11hip_rocprim26transform_input_iterator_tIlNS8_12zip_iteratorINS8_5tupleINS8_6detail15normal_iteratorINS8_10device_ptrIjEEEESH_NS8_9null_typeESI_SI_SI_SI_SI_SI_SI_EEEENS9_21zip_adj_not_predicateI22is_equal_div_10_uniqueIjEEEEEPllNS8_4plusIlEEEE10hipError_tPvRmT1_T2_T3_mT4_P12ihipStream_tbEUlT_E1_NS1_11comp_targetILNS1_3genE10ELNS1_11target_archE1201ELNS1_3gpuE5ELNS1_3repE0EEENS1_30default_config_static_selectorELNS0_4arch9wavefront6targetE1EEEvSW_
	.globl	_ZN7rocprim17ROCPRIM_400000_NS6detail17trampoline_kernelINS0_14default_configENS1_22reduce_config_selectorIlEEZNS1_11reduce_implILb1ES3_N6thrust23THRUST_200600_302600_NS11hip_rocprim26transform_input_iterator_tIlNS8_12zip_iteratorINS8_5tupleINS8_6detail15normal_iteratorINS8_10device_ptrIjEEEESH_NS8_9null_typeESI_SI_SI_SI_SI_SI_SI_EEEENS9_21zip_adj_not_predicateI22is_equal_div_10_uniqueIjEEEEEPllNS8_4plusIlEEEE10hipError_tPvRmT1_T2_T3_mT4_P12ihipStream_tbEUlT_E1_NS1_11comp_targetILNS1_3genE10ELNS1_11target_archE1201ELNS1_3gpuE5ELNS1_3repE0EEENS1_30default_config_static_selectorELNS0_4arch9wavefront6targetE1EEEvSW_
	.p2align	8
	.type	_ZN7rocprim17ROCPRIM_400000_NS6detail17trampoline_kernelINS0_14default_configENS1_22reduce_config_selectorIlEEZNS1_11reduce_implILb1ES3_N6thrust23THRUST_200600_302600_NS11hip_rocprim26transform_input_iterator_tIlNS8_12zip_iteratorINS8_5tupleINS8_6detail15normal_iteratorINS8_10device_ptrIjEEEESH_NS8_9null_typeESI_SI_SI_SI_SI_SI_SI_EEEENS9_21zip_adj_not_predicateI22is_equal_div_10_uniqueIjEEEEEPllNS8_4plusIlEEEE10hipError_tPvRmT1_T2_T3_mT4_P12ihipStream_tbEUlT_E1_NS1_11comp_targetILNS1_3genE10ELNS1_11target_archE1201ELNS1_3gpuE5ELNS1_3repE0EEENS1_30default_config_static_selectorELNS0_4arch9wavefront6targetE1EEEvSW_,@function
_ZN7rocprim17ROCPRIM_400000_NS6detail17trampoline_kernelINS0_14default_configENS1_22reduce_config_selectorIlEEZNS1_11reduce_implILb1ES3_N6thrust23THRUST_200600_302600_NS11hip_rocprim26transform_input_iterator_tIlNS8_12zip_iteratorINS8_5tupleINS8_6detail15normal_iteratorINS8_10device_ptrIjEEEESH_NS8_9null_typeESI_SI_SI_SI_SI_SI_SI_EEEENS9_21zip_adj_not_predicateI22is_equal_div_10_uniqueIjEEEEEPllNS8_4plusIlEEEE10hipError_tPvRmT1_T2_T3_mT4_P12ihipStream_tbEUlT_E1_NS1_11comp_targetILNS1_3genE10ELNS1_11target_archE1201ELNS1_3gpuE5ELNS1_3repE0EEENS1_30default_config_static_selectorELNS0_4arch9wavefront6targetE1EEEvSW_: ; @_ZN7rocprim17ROCPRIM_400000_NS6detail17trampoline_kernelINS0_14default_configENS1_22reduce_config_selectorIlEEZNS1_11reduce_implILb1ES3_N6thrust23THRUST_200600_302600_NS11hip_rocprim26transform_input_iterator_tIlNS8_12zip_iteratorINS8_5tupleINS8_6detail15normal_iteratorINS8_10device_ptrIjEEEESH_NS8_9null_typeESI_SI_SI_SI_SI_SI_SI_EEEENS9_21zip_adj_not_predicateI22is_equal_div_10_uniqueIjEEEEEPllNS8_4plusIlEEEE10hipError_tPvRmT1_T2_T3_mT4_P12ihipStream_tbEUlT_E1_NS1_11comp_targetILNS1_3genE10ELNS1_11target_archE1201ELNS1_3gpuE5ELNS1_3repE0EEENS1_30default_config_static_selectorELNS0_4arch9wavefront6targetE1EEEvSW_
; %bb.0:
	.section	.rodata,"a",@progbits
	.p2align	6, 0x0
	.amdhsa_kernel _ZN7rocprim17ROCPRIM_400000_NS6detail17trampoline_kernelINS0_14default_configENS1_22reduce_config_selectorIlEEZNS1_11reduce_implILb1ES3_N6thrust23THRUST_200600_302600_NS11hip_rocprim26transform_input_iterator_tIlNS8_12zip_iteratorINS8_5tupleINS8_6detail15normal_iteratorINS8_10device_ptrIjEEEESH_NS8_9null_typeESI_SI_SI_SI_SI_SI_SI_EEEENS9_21zip_adj_not_predicateI22is_equal_div_10_uniqueIjEEEEEPllNS8_4plusIlEEEE10hipError_tPvRmT1_T2_T3_mT4_P12ihipStream_tbEUlT_E1_NS1_11comp_targetILNS1_3genE10ELNS1_11target_archE1201ELNS1_3gpuE5ELNS1_3repE0EEENS1_30default_config_static_selectorELNS0_4arch9wavefront6targetE1EEEvSW_
		.amdhsa_group_segment_fixed_size 0
		.amdhsa_private_segment_fixed_size 0
		.amdhsa_kernarg_size 64
		.amdhsa_user_sgpr_count 6
		.amdhsa_user_sgpr_private_segment_buffer 1
		.amdhsa_user_sgpr_dispatch_ptr 0
		.amdhsa_user_sgpr_queue_ptr 0
		.amdhsa_user_sgpr_kernarg_segment_ptr 1
		.amdhsa_user_sgpr_dispatch_id 0
		.amdhsa_user_sgpr_flat_scratch_init 0
		.amdhsa_user_sgpr_private_segment_size 0
		.amdhsa_uses_dynamic_stack 0
		.amdhsa_system_sgpr_private_segment_wavefront_offset 0
		.amdhsa_system_sgpr_workgroup_id_x 1
		.amdhsa_system_sgpr_workgroup_id_y 0
		.amdhsa_system_sgpr_workgroup_id_z 0
		.amdhsa_system_sgpr_workgroup_info 0
		.amdhsa_system_vgpr_workitem_id 0
		.amdhsa_next_free_vgpr 1
		.amdhsa_next_free_sgpr 0
		.amdhsa_reserve_vcc 0
		.amdhsa_reserve_flat_scratch 0
		.amdhsa_float_round_mode_32 0
		.amdhsa_float_round_mode_16_64 0
		.amdhsa_float_denorm_mode_32 3
		.amdhsa_float_denorm_mode_16_64 3
		.amdhsa_dx10_clamp 1
		.amdhsa_ieee_mode 1
		.amdhsa_fp16_overflow 0
		.amdhsa_exception_fp_ieee_invalid_op 0
		.amdhsa_exception_fp_denorm_src 0
		.amdhsa_exception_fp_ieee_div_zero 0
		.amdhsa_exception_fp_ieee_overflow 0
		.amdhsa_exception_fp_ieee_underflow 0
		.amdhsa_exception_fp_ieee_inexact 0
		.amdhsa_exception_int_div_zero 0
	.end_amdhsa_kernel
	.section	.text._ZN7rocprim17ROCPRIM_400000_NS6detail17trampoline_kernelINS0_14default_configENS1_22reduce_config_selectorIlEEZNS1_11reduce_implILb1ES3_N6thrust23THRUST_200600_302600_NS11hip_rocprim26transform_input_iterator_tIlNS8_12zip_iteratorINS8_5tupleINS8_6detail15normal_iteratorINS8_10device_ptrIjEEEESH_NS8_9null_typeESI_SI_SI_SI_SI_SI_SI_EEEENS9_21zip_adj_not_predicateI22is_equal_div_10_uniqueIjEEEEEPllNS8_4plusIlEEEE10hipError_tPvRmT1_T2_T3_mT4_P12ihipStream_tbEUlT_E1_NS1_11comp_targetILNS1_3genE10ELNS1_11target_archE1201ELNS1_3gpuE5ELNS1_3repE0EEENS1_30default_config_static_selectorELNS0_4arch9wavefront6targetE1EEEvSW_,"axG",@progbits,_ZN7rocprim17ROCPRIM_400000_NS6detail17trampoline_kernelINS0_14default_configENS1_22reduce_config_selectorIlEEZNS1_11reduce_implILb1ES3_N6thrust23THRUST_200600_302600_NS11hip_rocprim26transform_input_iterator_tIlNS8_12zip_iteratorINS8_5tupleINS8_6detail15normal_iteratorINS8_10device_ptrIjEEEESH_NS8_9null_typeESI_SI_SI_SI_SI_SI_SI_EEEENS9_21zip_adj_not_predicateI22is_equal_div_10_uniqueIjEEEEEPllNS8_4plusIlEEEE10hipError_tPvRmT1_T2_T3_mT4_P12ihipStream_tbEUlT_E1_NS1_11comp_targetILNS1_3genE10ELNS1_11target_archE1201ELNS1_3gpuE5ELNS1_3repE0EEENS1_30default_config_static_selectorELNS0_4arch9wavefront6targetE1EEEvSW_,comdat
.Lfunc_end883:
	.size	_ZN7rocprim17ROCPRIM_400000_NS6detail17trampoline_kernelINS0_14default_configENS1_22reduce_config_selectorIlEEZNS1_11reduce_implILb1ES3_N6thrust23THRUST_200600_302600_NS11hip_rocprim26transform_input_iterator_tIlNS8_12zip_iteratorINS8_5tupleINS8_6detail15normal_iteratorINS8_10device_ptrIjEEEESH_NS8_9null_typeESI_SI_SI_SI_SI_SI_SI_EEEENS9_21zip_adj_not_predicateI22is_equal_div_10_uniqueIjEEEEEPllNS8_4plusIlEEEE10hipError_tPvRmT1_T2_T3_mT4_P12ihipStream_tbEUlT_E1_NS1_11comp_targetILNS1_3genE10ELNS1_11target_archE1201ELNS1_3gpuE5ELNS1_3repE0EEENS1_30default_config_static_selectorELNS0_4arch9wavefront6targetE1EEEvSW_, .Lfunc_end883-_ZN7rocprim17ROCPRIM_400000_NS6detail17trampoline_kernelINS0_14default_configENS1_22reduce_config_selectorIlEEZNS1_11reduce_implILb1ES3_N6thrust23THRUST_200600_302600_NS11hip_rocprim26transform_input_iterator_tIlNS8_12zip_iteratorINS8_5tupleINS8_6detail15normal_iteratorINS8_10device_ptrIjEEEESH_NS8_9null_typeESI_SI_SI_SI_SI_SI_SI_EEEENS9_21zip_adj_not_predicateI22is_equal_div_10_uniqueIjEEEEEPllNS8_4plusIlEEEE10hipError_tPvRmT1_T2_T3_mT4_P12ihipStream_tbEUlT_E1_NS1_11comp_targetILNS1_3genE10ELNS1_11target_archE1201ELNS1_3gpuE5ELNS1_3repE0EEENS1_30default_config_static_selectorELNS0_4arch9wavefront6targetE1EEEvSW_
                                        ; -- End function
	.set _ZN7rocprim17ROCPRIM_400000_NS6detail17trampoline_kernelINS0_14default_configENS1_22reduce_config_selectorIlEEZNS1_11reduce_implILb1ES3_N6thrust23THRUST_200600_302600_NS11hip_rocprim26transform_input_iterator_tIlNS8_12zip_iteratorINS8_5tupleINS8_6detail15normal_iteratorINS8_10device_ptrIjEEEESH_NS8_9null_typeESI_SI_SI_SI_SI_SI_SI_EEEENS9_21zip_adj_not_predicateI22is_equal_div_10_uniqueIjEEEEEPllNS8_4plusIlEEEE10hipError_tPvRmT1_T2_T3_mT4_P12ihipStream_tbEUlT_E1_NS1_11comp_targetILNS1_3genE10ELNS1_11target_archE1201ELNS1_3gpuE5ELNS1_3repE0EEENS1_30default_config_static_selectorELNS0_4arch9wavefront6targetE1EEEvSW_.num_vgpr, 0
	.set _ZN7rocprim17ROCPRIM_400000_NS6detail17trampoline_kernelINS0_14default_configENS1_22reduce_config_selectorIlEEZNS1_11reduce_implILb1ES3_N6thrust23THRUST_200600_302600_NS11hip_rocprim26transform_input_iterator_tIlNS8_12zip_iteratorINS8_5tupleINS8_6detail15normal_iteratorINS8_10device_ptrIjEEEESH_NS8_9null_typeESI_SI_SI_SI_SI_SI_SI_EEEENS9_21zip_adj_not_predicateI22is_equal_div_10_uniqueIjEEEEEPllNS8_4plusIlEEEE10hipError_tPvRmT1_T2_T3_mT4_P12ihipStream_tbEUlT_E1_NS1_11comp_targetILNS1_3genE10ELNS1_11target_archE1201ELNS1_3gpuE5ELNS1_3repE0EEENS1_30default_config_static_selectorELNS0_4arch9wavefront6targetE1EEEvSW_.num_agpr, 0
	.set _ZN7rocprim17ROCPRIM_400000_NS6detail17trampoline_kernelINS0_14default_configENS1_22reduce_config_selectorIlEEZNS1_11reduce_implILb1ES3_N6thrust23THRUST_200600_302600_NS11hip_rocprim26transform_input_iterator_tIlNS8_12zip_iteratorINS8_5tupleINS8_6detail15normal_iteratorINS8_10device_ptrIjEEEESH_NS8_9null_typeESI_SI_SI_SI_SI_SI_SI_EEEENS9_21zip_adj_not_predicateI22is_equal_div_10_uniqueIjEEEEEPllNS8_4plusIlEEEE10hipError_tPvRmT1_T2_T3_mT4_P12ihipStream_tbEUlT_E1_NS1_11comp_targetILNS1_3genE10ELNS1_11target_archE1201ELNS1_3gpuE5ELNS1_3repE0EEENS1_30default_config_static_selectorELNS0_4arch9wavefront6targetE1EEEvSW_.numbered_sgpr, 0
	.set _ZN7rocprim17ROCPRIM_400000_NS6detail17trampoline_kernelINS0_14default_configENS1_22reduce_config_selectorIlEEZNS1_11reduce_implILb1ES3_N6thrust23THRUST_200600_302600_NS11hip_rocprim26transform_input_iterator_tIlNS8_12zip_iteratorINS8_5tupleINS8_6detail15normal_iteratorINS8_10device_ptrIjEEEESH_NS8_9null_typeESI_SI_SI_SI_SI_SI_SI_EEEENS9_21zip_adj_not_predicateI22is_equal_div_10_uniqueIjEEEEEPllNS8_4plusIlEEEE10hipError_tPvRmT1_T2_T3_mT4_P12ihipStream_tbEUlT_E1_NS1_11comp_targetILNS1_3genE10ELNS1_11target_archE1201ELNS1_3gpuE5ELNS1_3repE0EEENS1_30default_config_static_selectorELNS0_4arch9wavefront6targetE1EEEvSW_.num_named_barrier, 0
	.set _ZN7rocprim17ROCPRIM_400000_NS6detail17trampoline_kernelINS0_14default_configENS1_22reduce_config_selectorIlEEZNS1_11reduce_implILb1ES3_N6thrust23THRUST_200600_302600_NS11hip_rocprim26transform_input_iterator_tIlNS8_12zip_iteratorINS8_5tupleINS8_6detail15normal_iteratorINS8_10device_ptrIjEEEESH_NS8_9null_typeESI_SI_SI_SI_SI_SI_SI_EEEENS9_21zip_adj_not_predicateI22is_equal_div_10_uniqueIjEEEEEPllNS8_4plusIlEEEE10hipError_tPvRmT1_T2_T3_mT4_P12ihipStream_tbEUlT_E1_NS1_11comp_targetILNS1_3genE10ELNS1_11target_archE1201ELNS1_3gpuE5ELNS1_3repE0EEENS1_30default_config_static_selectorELNS0_4arch9wavefront6targetE1EEEvSW_.private_seg_size, 0
	.set _ZN7rocprim17ROCPRIM_400000_NS6detail17trampoline_kernelINS0_14default_configENS1_22reduce_config_selectorIlEEZNS1_11reduce_implILb1ES3_N6thrust23THRUST_200600_302600_NS11hip_rocprim26transform_input_iterator_tIlNS8_12zip_iteratorINS8_5tupleINS8_6detail15normal_iteratorINS8_10device_ptrIjEEEESH_NS8_9null_typeESI_SI_SI_SI_SI_SI_SI_EEEENS9_21zip_adj_not_predicateI22is_equal_div_10_uniqueIjEEEEEPllNS8_4plusIlEEEE10hipError_tPvRmT1_T2_T3_mT4_P12ihipStream_tbEUlT_E1_NS1_11comp_targetILNS1_3genE10ELNS1_11target_archE1201ELNS1_3gpuE5ELNS1_3repE0EEENS1_30default_config_static_selectorELNS0_4arch9wavefront6targetE1EEEvSW_.uses_vcc, 0
	.set _ZN7rocprim17ROCPRIM_400000_NS6detail17trampoline_kernelINS0_14default_configENS1_22reduce_config_selectorIlEEZNS1_11reduce_implILb1ES3_N6thrust23THRUST_200600_302600_NS11hip_rocprim26transform_input_iterator_tIlNS8_12zip_iteratorINS8_5tupleINS8_6detail15normal_iteratorINS8_10device_ptrIjEEEESH_NS8_9null_typeESI_SI_SI_SI_SI_SI_SI_EEEENS9_21zip_adj_not_predicateI22is_equal_div_10_uniqueIjEEEEEPllNS8_4plusIlEEEE10hipError_tPvRmT1_T2_T3_mT4_P12ihipStream_tbEUlT_E1_NS1_11comp_targetILNS1_3genE10ELNS1_11target_archE1201ELNS1_3gpuE5ELNS1_3repE0EEENS1_30default_config_static_selectorELNS0_4arch9wavefront6targetE1EEEvSW_.uses_flat_scratch, 0
	.set _ZN7rocprim17ROCPRIM_400000_NS6detail17trampoline_kernelINS0_14default_configENS1_22reduce_config_selectorIlEEZNS1_11reduce_implILb1ES3_N6thrust23THRUST_200600_302600_NS11hip_rocprim26transform_input_iterator_tIlNS8_12zip_iteratorINS8_5tupleINS8_6detail15normal_iteratorINS8_10device_ptrIjEEEESH_NS8_9null_typeESI_SI_SI_SI_SI_SI_SI_EEEENS9_21zip_adj_not_predicateI22is_equal_div_10_uniqueIjEEEEEPllNS8_4plusIlEEEE10hipError_tPvRmT1_T2_T3_mT4_P12ihipStream_tbEUlT_E1_NS1_11comp_targetILNS1_3genE10ELNS1_11target_archE1201ELNS1_3gpuE5ELNS1_3repE0EEENS1_30default_config_static_selectorELNS0_4arch9wavefront6targetE1EEEvSW_.has_dyn_sized_stack, 0
	.set _ZN7rocprim17ROCPRIM_400000_NS6detail17trampoline_kernelINS0_14default_configENS1_22reduce_config_selectorIlEEZNS1_11reduce_implILb1ES3_N6thrust23THRUST_200600_302600_NS11hip_rocprim26transform_input_iterator_tIlNS8_12zip_iteratorINS8_5tupleINS8_6detail15normal_iteratorINS8_10device_ptrIjEEEESH_NS8_9null_typeESI_SI_SI_SI_SI_SI_SI_EEEENS9_21zip_adj_not_predicateI22is_equal_div_10_uniqueIjEEEEEPllNS8_4plusIlEEEE10hipError_tPvRmT1_T2_T3_mT4_P12ihipStream_tbEUlT_E1_NS1_11comp_targetILNS1_3genE10ELNS1_11target_archE1201ELNS1_3gpuE5ELNS1_3repE0EEENS1_30default_config_static_selectorELNS0_4arch9wavefront6targetE1EEEvSW_.has_recursion, 0
	.set _ZN7rocprim17ROCPRIM_400000_NS6detail17trampoline_kernelINS0_14default_configENS1_22reduce_config_selectorIlEEZNS1_11reduce_implILb1ES3_N6thrust23THRUST_200600_302600_NS11hip_rocprim26transform_input_iterator_tIlNS8_12zip_iteratorINS8_5tupleINS8_6detail15normal_iteratorINS8_10device_ptrIjEEEESH_NS8_9null_typeESI_SI_SI_SI_SI_SI_SI_EEEENS9_21zip_adj_not_predicateI22is_equal_div_10_uniqueIjEEEEEPllNS8_4plusIlEEEE10hipError_tPvRmT1_T2_T3_mT4_P12ihipStream_tbEUlT_E1_NS1_11comp_targetILNS1_3genE10ELNS1_11target_archE1201ELNS1_3gpuE5ELNS1_3repE0EEENS1_30default_config_static_selectorELNS0_4arch9wavefront6targetE1EEEvSW_.has_indirect_call, 0
	.section	.AMDGPU.csdata,"",@progbits
; Kernel info:
; codeLenInByte = 0
; TotalNumSgprs: 4
; NumVgprs: 0
; ScratchSize: 0
; MemoryBound: 0
; FloatMode: 240
; IeeeMode: 1
; LDSByteSize: 0 bytes/workgroup (compile time only)
; SGPRBlocks: 0
; VGPRBlocks: 0
; NumSGPRsForWavesPerEU: 4
; NumVGPRsForWavesPerEU: 1
; Occupancy: 10
; WaveLimiterHint : 0
; COMPUTE_PGM_RSRC2:SCRATCH_EN: 0
; COMPUTE_PGM_RSRC2:USER_SGPR: 6
; COMPUTE_PGM_RSRC2:TRAP_HANDLER: 0
; COMPUTE_PGM_RSRC2:TGID_X_EN: 1
; COMPUTE_PGM_RSRC2:TGID_Y_EN: 0
; COMPUTE_PGM_RSRC2:TGID_Z_EN: 0
; COMPUTE_PGM_RSRC2:TIDIG_COMP_CNT: 0
	.section	.text._ZN7rocprim17ROCPRIM_400000_NS6detail17trampoline_kernelINS0_14default_configENS1_22reduce_config_selectorIlEEZNS1_11reduce_implILb1ES3_N6thrust23THRUST_200600_302600_NS11hip_rocprim26transform_input_iterator_tIlNS8_12zip_iteratorINS8_5tupleINS8_6detail15normal_iteratorINS8_10device_ptrIjEEEESH_NS8_9null_typeESI_SI_SI_SI_SI_SI_SI_EEEENS9_21zip_adj_not_predicateI22is_equal_div_10_uniqueIjEEEEEPllNS8_4plusIlEEEE10hipError_tPvRmT1_T2_T3_mT4_P12ihipStream_tbEUlT_E1_NS1_11comp_targetILNS1_3genE10ELNS1_11target_archE1200ELNS1_3gpuE4ELNS1_3repE0EEENS1_30default_config_static_selectorELNS0_4arch9wavefront6targetE1EEEvSW_,"axG",@progbits,_ZN7rocprim17ROCPRIM_400000_NS6detail17trampoline_kernelINS0_14default_configENS1_22reduce_config_selectorIlEEZNS1_11reduce_implILb1ES3_N6thrust23THRUST_200600_302600_NS11hip_rocprim26transform_input_iterator_tIlNS8_12zip_iteratorINS8_5tupleINS8_6detail15normal_iteratorINS8_10device_ptrIjEEEESH_NS8_9null_typeESI_SI_SI_SI_SI_SI_SI_EEEENS9_21zip_adj_not_predicateI22is_equal_div_10_uniqueIjEEEEEPllNS8_4plusIlEEEE10hipError_tPvRmT1_T2_T3_mT4_P12ihipStream_tbEUlT_E1_NS1_11comp_targetILNS1_3genE10ELNS1_11target_archE1200ELNS1_3gpuE4ELNS1_3repE0EEENS1_30default_config_static_selectorELNS0_4arch9wavefront6targetE1EEEvSW_,comdat
	.protected	_ZN7rocprim17ROCPRIM_400000_NS6detail17trampoline_kernelINS0_14default_configENS1_22reduce_config_selectorIlEEZNS1_11reduce_implILb1ES3_N6thrust23THRUST_200600_302600_NS11hip_rocprim26transform_input_iterator_tIlNS8_12zip_iteratorINS8_5tupleINS8_6detail15normal_iteratorINS8_10device_ptrIjEEEESH_NS8_9null_typeESI_SI_SI_SI_SI_SI_SI_EEEENS9_21zip_adj_not_predicateI22is_equal_div_10_uniqueIjEEEEEPllNS8_4plusIlEEEE10hipError_tPvRmT1_T2_T3_mT4_P12ihipStream_tbEUlT_E1_NS1_11comp_targetILNS1_3genE10ELNS1_11target_archE1200ELNS1_3gpuE4ELNS1_3repE0EEENS1_30default_config_static_selectorELNS0_4arch9wavefront6targetE1EEEvSW_ ; -- Begin function _ZN7rocprim17ROCPRIM_400000_NS6detail17trampoline_kernelINS0_14default_configENS1_22reduce_config_selectorIlEEZNS1_11reduce_implILb1ES3_N6thrust23THRUST_200600_302600_NS11hip_rocprim26transform_input_iterator_tIlNS8_12zip_iteratorINS8_5tupleINS8_6detail15normal_iteratorINS8_10device_ptrIjEEEESH_NS8_9null_typeESI_SI_SI_SI_SI_SI_SI_EEEENS9_21zip_adj_not_predicateI22is_equal_div_10_uniqueIjEEEEEPllNS8_4plusIlEEEE10hipError_tPvRmT1_T2_T3_mT4_P12ihipStream_tbEUlT_E1_NS1_11comp_targetILNS1_3genE10ELNS1_11target_archE1200ELNS1_3gpuE4ELNS1_3repE0EEENS1_30default_config_static_selectorELNS0_4arch9wavefront6targetE1EEEvSW_
	.globl	_ZN7rocprim17ROCPRIM_400000_NS6detail17trampoline_kernelINS0_14default_configENS1_22reduce_config_selectorIlEEZNS1_11reduce_implILb1ES3_N6thrust23THRUST_200600_302600_NS11hip_rocprim26transform_input_iterator_tIlNS8_12zip_iteratorINS8_5tupleINS8_6detail15normal_iteratorINS8_10device_ptrIjEEEESH_NS8_9null_typeESI_SI_SI_SI_SI_SI_SI_EEEENS9_21zip_adj_not_predicateI22is_equal_div_10_uniqueIjEEEEEPllNS8_4plusIlEEEE10hipError_tPvRmT1_T2_T3_mT4_P12ihipStream_tbEUlT_E1_NS1_11comp_targetILNS1_3genE10ELNS1_11target_archE1200ELNS1_3gpuE4ELNS1_3repE0EEENS1_30default_config_static_selectorELNS0_4arch9wavefront6targetE1EEEvSW_
	.p2align	8
	.type	_ZN7rocprim17ROCPRIM_400000_NS6detail17trampoline_kernelINS0_14default_configENS1_22reduce_config_selectorIlEEZNS1_11reduce_implILb1ES3_N6thrust23THRUST_200600_302600_NS11hip_rocprim26transform_input_iterator_tIlNS8_12zip_iteratorINS8_5tupleINS8_6detail15normal_iteratorINS8_10device_ptrIjEEEESH_NS8_9null_typeESI_SI_SI_SI_SI_SI_SI_EEEENS9_21zip_adj_not_predicateI22is_equal_div_10_uniqueIjEEEEEPllNS8_4plusIlEEEE10hipError_tPvRmT1_T2_T3_mT4_P12ihipStream_tbEUlT_E1_NS1_11comp_targetILNS1_3genE10ELNS1_11target_archE1200ELNS1_3gpuE4ELNS1_3repE0EEENS1_30default_config_static_selectorELNS0_4arch9wavefront6targetE1EEEvSW_,@function
_ZN7rocprim17ROCPRIM_400000_NS6detail17trampoline_kernelINS0_14default_configENS1_22reduce_config_selectorIlEEZNS1_11reduce_implILb1ES3_N6thrust23THRUST_200600_302600_NS11hip_rocprim26transform_input_iterator_tIlNS8_12zip_iteratorINS8_5tupleINS8_6detail15normal_iteratorINS8_10device_ptrIjEEEESH_NS8_9null_typeESI_SI_SI_SI_SI_SI_SI_EEEENS9_21zip_adj_not_predicateI22is_equal_div_10_uniqueIjEEEEEPllNS8_4plusIlEEEE10hipError_tPvRmT1_T2_T3_mT4_P12ihipStream_tbEUlT_E1_NS1_11comp_targetILNS1_3genE10ELNS1_11target_archE1200ELNS1_3gpuE4ELNS1_3repE0EEENS1_30default_config_static_selectorELNS0_4arch9wavefront6targetE1EEEvSW_: ; @_ZN7rocprim17ROCPRIM_400000_NS6detail17trampoline_kernelINS0_14default_configENS1_22reduce_config_selectorIlEEZNS1_11reduce_implILb1ES3_N6thrust23THRUST_200600_302600_NS11hip_rocprim26transform_input_iterator_tIlNS8_12zip_iteratorINS8_5tupleINS8_6detail15normal_iteratorINS8_10device_ptrIjEEEESH_NS8_9null_typeESI_SI_SI_SI_SI_SI_SI_EEEENS9_21zip_adj_not_predicateI22is_equal_div_10_uniqueIjEEEEEPllNS8_4plusIlEEEE10hipError_tPvRmT1_T2_T3_mT4_P12ihipStream_tbEUlT_E1_NS1_11comp_targetILNS1_3genE10ELNS1_11target_archE1200ELNS1_3gpuE4ELNS1_3repE0EEENS1_30default_config_static_selectorELNS0_4arch9wavefront6targetE1EEEvSW_
; %bb.0:
	.section	.rodata,"a",@progbits
	.p2align	6, 0x0
	.amdhsa_kernel _ZN7rocprim17ROCPRIM_400000_NS6detail17trampoline_kernelINS0_14default_configENS1_22reduce_config_selectorIlEEZNS1_11reduce_implILb1ES3_N6thrust23THRUST_200600_302600_NS11hip_rocprim26transform_input_iterator_tIlNS8_12zip_iteratorINS8_5tupleINS8_6detail15normal_iteratorINS8_10device_ptrIjEEEESH_NS8_9null_typeESI_SI_SI_SI_SI_SI_SI_EEEENS9_21zip_adj_not_predicateI22is_equal_div_10_uniqueIjEEEEEPllNS8_4plusIlEEEE10hipError_tPvRmT1_T2_T3_mT4_P12ihipStream_tbEUlT_E1_NS1_11comp_targetILNS1_3genE10ELNS1_11target_archE1200ELNS1_3gpuE4ELNS1_3repE0EEENS1_30default_config_static_selectorELNS0_4arch9wavefront6targetE1EEEvSW_
		.amdhsa_group_segment_fixed_size 0
		.amdhsa_private_segment_fixed_size 0
		.amdhsa_kernarg_size 64
		.amdhsa_user_sgpr_count 6
		.amdhsa_user_sgpr_private_segment_buffer 1
		.amdhsa_user_sgpr_dispatch_ptr 0
		.amdhsa_user_sgpr_queue_ptr 0
		.amdhsa_user_sgpr_kernarg_segment_ptr 1
		.amdhsa_user_sgpr_dispatch_id 0
		.amdhsa_user_sgpr_flat_scratch_init 0
		.amdhsa_user_sgpr_private_segment_size 0
		.amdhsa_uses_dynamic_stack 0
		.amdhsa_system_sgpr_private_segment_wavefront_offset 0
		.amdhsa_system_sgpr_workgroup_id_x 1
		.amdhsa_system_sgpr_workgroup_id_y 0
		.amdhsa_system_sgpr_workgroup_id_z 0
		.amdhsa_system_sgpr_workgroup_info 0
		.amdhsa_system_vgpr_workitem_id 0
		.amdhsa_next_free_vgpr 1
		.amdhsa_next_free_sgpr 0
		.amdhsa_reserve_vcc 0
		.amdhsa_reserve_flat_scratch 0
		.amdhsa_float_round_mode_32 0
		.amdhsa_float_round_mode_16_64 0
		.amdhsa_float_denorm_mode_32 3
		.amdhsa_float_denorm_mode_16_64 3
		.amdhsa_dx10_clamp 1
		.amdhsa_ieee_mode 1
		.amdhsa_fp16_overflow 0
		.amdhsa_exception_fp_ieee_invalid_op 0
		.amdhsa_exception_fp_denorm_src 0
		.amdhsa_exception_fp_ieee_div_zero 0
		.amdhsa_exception_fp_ieee_overflow 0
		.amdhsa_exception_fp_ieee_underflow 0
		.amdhsa_exception_fp_ieee_inexact 0
		.amdhsa_exception_int_div_zero 0
	.end_amdhsa_kernel
	.section	.text._ZN7rocprim17ROCPRIM_400000_NS6detail17trampoline_kernelINS0_14default_configENS1_22reduce_config_selectorIlEEZNS1_11reduce_implILb1ES3_N6thrust23THRUST_200600_302600_NS11hip_rocprim26transform_input_iterator_tIlNS8_12zip_iteratorINS8_5tupleINS8_6detail15normal_iteratorINS8_10device_ptrIjEEEESH_NS8_9null_typeESI_SI_SI_SI_SI_SI_SI_EEEENS9_21zip_adj_not_predicateI22is_equal_div_10_uniqueIjEEEEEPllNS8_4plusIlEEEE10hipError_tPvRmT1_T2_T3_mT4_P12ihipStream_tbEUlT_E1_NS1_11comp_targetILNS1_3genE10ELNS1_11target_archE1200ELNS1_3gpuE4ELNS1_3repE0EEENS1_30default_config_static_selectorELNS0_4arch9wavefront6targetE1EEEvSW_,"axG",@progbits,_ZN7rocprim17ROCPRIM_400000_NS6detail17trampoline_kernelINS0_14default_configENS1_22reduce_config_selectorIlEEZNS1_11reduce_implILb1ES3_N6thrust23THRUST_200600_302600_NS11hip_rocprim26transform_input_iterator_tIlNS8_12zip_iteratorINS8_5tupleINS8_6detail15normal_iteratorINS8_10device_ptrIjEEEESH_NS8_9null_typeESI_SI_SI_SI_SI_SI_SI_EEEENS9_21zip_adj_not_predicateI22is_equal_div_10_uniqueIjEEEEEPllNS8_4plusIlEEEE10hipError_tPvRmT1_T2_T3_mT4_P12ihipStream_tbEUlT_E1_NS1_11comp_targetILNS1_3genE10ELNS1_11target_archE1200ELNS1_3gpuE4ELNS1_3repE0EEENS1_30default_config_static_selectorELNS0_4arch9wavefront6targetE1EEEvSW_,comdat
.Lfunc_end884:
	.size	_ZN7rocprim17ROCPRIM_400000_NS6detail17trampoline_kernelINS0_14default_configENS1_22reduce_config_selectorIlEEZNS1_11reduce_implILb1ES3_N6thrust23THRUST_200600_302600_NS11hip_rocprim26transform_input_iterator_tIlNS8_12zip_iteratorINS8_5tupleINS8_6detail15normal_iteratorINS8_10device_ptrIjEEEESH_NS8_9null_typeESI_SI_SI_SI_SI_SI_SI_EEEENS9_21zip_adj_not_predicateI22is_equal_div_10_uniqueIjEEEEEPllNS8_4plusIlEEEE10hipError_tPvRmT1_T2_T3_mT4_P12ihipStream_tbEUlT_E1_NS1_11comp_targetILNS1_3genE10ELNS1_11target_archE1200ELNS1_3gpuE4ELNS1_3repE0EEENS1_30default_config_static_selectorELNS0_4arch9wavefront6targetE1EEEvSW_, .Lfunc_end884-_ZN7rocprim17ROCPRIM_400000_NS6detail17trampoline_kernelINS0_14default_configENS1_22reduce_config_selectorIlEEZNS1_11reduce_implILb1ES3_N6thrust23THRUST_200600_302600_NS11hip_rocprim26transform_input_iterator_tIlNS8_12zip_iteratorINS8_5tupleINS8_6detail15normal_iteratorINS8_10device_ptrIjEEEESH_NS8_9null_typeESI_SI_SI_SI_SI_SI_SI_EEEENS9_21zip_adj_not_predicateI22is_equal_div_10_uniqueIjEEEEEPllNS8_4plusIlEEEE10hipError_tPvRmT1_T2_T3_mT4_P12ihipStream_tbEUlT_E1_NS1_11comp_targetILNS1_3genE10ELNS1_11target_archE1200ELNS1_3gpuE4ELNS1_3repE0EEENS1_30default_config_static_selectorELNS0_4arch9wavefront6targetE1EEEvSW_
                                        ; -- End function
	.set _ZN7rocprim17ROCPRIM_400000_NS6detail17trampoline_kernelINS0_14default_configENS1_22reduce_config_selectorIlEEZNS1_11reduce_implILb1ES3_N6thrust23THRUST_200600_302600_NS11hip_rocprim26transform_input_iterator_tIlNS8_12zip_iteratorINS8_5tupleINS8_6detail15normal_iteratorINS8_10device_ptrIjEEEESH_NS8_9null_typeESI_SI_SI_SI_SI_SI_SI_EEEENS9_21zip_adj_not_predicateI22is_equal_div_10_uniqueIjEEEEEPllNS8_4plusIlEEEE10hipError_tPvRmT1_T2_T3_mT4_P12ihipStream_tbEUlT_E1_NS1_11comp_targetILNS1_3genE10ELNS1_11target_archE1200ELNS1_3gpuE4ELNS1_3repE0EEENS1_30default_config_static_selectorELNS0_4arch9wavefront6targetE1EEEvSW_.num_vgpr, 0
	.set _ZN7rocprim17ROCPRIM_400000_NS6detail17trampoline_kernelINS0_14default_configENS1_22reduce_config_selectorIlEEZNS1_11reduce_implILb1ES3_N6thrust23THRUST_200600_302600_NS11hip_rocprim26transform_input_iterator_tIlNS8_12zip_iteratorINS8_5tupleINS8_6detail15normal_iteratorINS8_10device_ptrIjEEEESH_NS8_9null_typeESI_SI_SI_SI_SI_SI_SI_EEEENS9_21zip_adj_not_predicateI22is_equal_div_10_uniqueIjEEEEEPllNS8_4plusIlEEEE10hipError_tPvRmT1_T2_T3_mT4_P12ihipStream_tbEUlT_E1_NS1_11comp_targetILNS1_3genE10ELNS1_11target_archE1200ELNS1_3gpuE4ELNS1_3repE0EEENS1_30default_config_static_selectorELNS0_4arch9wavefront6targetE1EEEvSW_.num_agpr, 0
	.set _ZN7rocprim17ROCPRIM_400000_NS6detail17trampoline_kernelINS0_14default_configENS1_22reduce_config_selectorIlEEZNS1_11reduce_implILb1ES3_N6thrust23THRUST_200600_302600_NS11hip_rocprim26transform_input_iterator_tIlNS8_12zip_iteratorINS8_5tupleINS8_6detail15normal_iteratorINS8_10device_ptrIjEEEESH_NS8_9null_typeESI_SI_SI_SI_SI_SI_SI_EEEENS9_21zip_adj_not_predicateI22is_equal_div_10_uniqueIjEEEEEPllNS8_4plusIlEEEE10hipError_tPvRmT1_T2_T3_mT4_P12ihipStream_tbEUlT_E1_NS1_11comp_targetILNS1_3genE10ELNS1_11target_archE1200ELNS1_3gpuE4ELNS1_3repE0EEENS1_30default_config_static_selectorELNS0_4arch9wavefront6targetE1EEEvSW_.numbered_sgpr, 0
	.set _ZN7rocprim17ROCPRIM_400000_NS6detail17trampoline_kernelINS0_14default_configENS1_22reduce_config_selectorIlEEZNS1_11reduce_implILb1ES3_N6thrust23THRUST_200600_302600_NS11hip_rocprim26transform_input_iterator_tIlNS8_12zip_iteratorINS8_5tupleINS8_6detail15normal_iteratorINS8_10device_ptrIjEEEESH_NS8_9null_typeESI_SI_SI_SI_SI_SI_SI_EEEENS9_21zip_adj_not_predicateI22is_equal_div_10_uniqueIjEEEEEPllNS8_4plusIlEEEE10hipError_tPvRmT1_T2_T3_mT4_P12ihipStream_tbEUlT_E1_NS1_11comp_targetILNS1_3genE10ELNS1_11target_archE1200ELNS1_3gpuE4ELNS1_3repE0EEENS1_30default_config_static_selectorELNS0_4arch9wavefront6targetE1EEEvSW_.num_named_barrier, 0
	.set _ZN7rocprim17ROCPRIM_400000_NS6detail17trampoline_kernelINS0_14default_configENS1_22reduce_config_selectorIlEEZNS1_11reduce_implILb1ES3_N6thrust23THRUST_200600_302600_NS11hip_rocprim26transform_input_iterator_tIlNS8_12zip_iteratorINS8_5tupleINS8_6detail15normal_iteratorINS8_10device_ptrIjEEEESH_NS8_9null_typeESI_SI_SI_SI_SI_SI_SI_EEEENS9_21zip_adj_not_predicateI22is_equal_div_10_uniqueIjEEEEEPllNS8_4plusIlEEEE10hipError_tPvRmT1_T2_T3_mT4_P12ihipStream_tbEUlT_E1_NS1_11comp_targetILNS1_3genE10ELNS1_11target_archE1200ELNS1_3gpuE4ELNS1_3repE0EEENS1_30default_config_static_selectorELNS0_4arch9wavefront6targetE1EEEvSW_.private_seg_size, 0
	.set _ZN7rocprim17ROCPRIM_400000_NS6detail17trampoline_kernelINS0_14default_configENS1_22reduce_config_selectorIlEEZNS1_11reduce_implILb1ES3_N6thrust23THRUST_200600_302600_NS11hip_rocprim26transform_input_iterator_tIlNS8_12zip_iteratorINS8_5tupleINS8_6detail15normal_iteratorINS8_10device_ptrIjEEEESH_NS8_9null_typeESI_SI_SI_SI_SI_SI_SI_EEEENS9_21zip_adj_not_predicateI22is_equal_div_10_uniqueIjEEEEEPllNS8_4plusIlEEEE10hipError_tPvRmT1_T2_T3_mT4_P12ihipStream_tbEUlT_E1_NS1_11comp_targetILNS1_3genE10ELNS1_11target_archE1200ELNS1_3gpuE4ELNS1_3repE0EEENS1_30default_config_static_selectorELNS0_4arch9wavefront6targetE1EEEvSW_.uses_vcc, 0
	.set _ZN7rocprim17ROCPRIM_400000_NS6detail17trampoline_kernelINS0_14default_configENS1_22reduce_config_selectorIlEEZNS1_11reduce_implILb1ES3_N6thrust23THRUST_200600_302600_NS11hip_rocprim26transform_input_iterator_tIlNS8_12zip_iteratorINS8_5tupleINS8_6detail15normal_iteratorINS8_10device_ptrIjEEEESH_NS8_9null_typeESI_SI_SI_SI_SI_SI_SI_EEEENS9_21zip_adj_not_predicateI22is_equal_div_10_uniqueIjEEEEEPllNS8_4plusIlEEEE10hipError_tPvRmT1_T2_T3_mT4_P12ihipStream_tbEUlT_E1_NS1_11comp_targetILNS1_3genE10ELNS1_11target_archE1200ELNS1_3gpuE4ELNS1_3repE0EEENS1_30default_config_static_selectorELNS0_4arch9wavefront6targetE1EEEvSW_.uses_flat_scratch, 0
	.set _ZN7rocprim17ROCPRIM_400000_NS6detail17trampoline_kernelINS0_14default_configENS1_22reduce_config_selectorIlEEZNS1_11reduce_implILb1ES3_N6thrust23THRUST_200600_302600_NS11hip_rocprim26transform_input_iterator_tIlNS8_12zip_iteratorINS8_5tupleINS8_6detail15normal_iteratorINS8_10device_ptrIjEEEESH_NS8_9null_typeESI_SI_SI_SI_SI_SI_SI_EEEENS9_21zip_adj_not_predicateI22is_equal_div_10_uniqueIjEEEEEPllNS8_4plusIlEEEE10hipError_tPvRmT1_T2_T3_mT4_P12ihipStream_tbEUlT_E1_NS1_11comp_targetILNS1_3genE10ELNS1_11target_archE1200ELNS1_3gpuE4ELNS1_3repE0EEENS1_30default_config_static_selectorELNS0_4arch9wavefront6targetE1EEEvSW_.has_dyn_sized_stack, 0
	.set _ZN7rocprim17ROCPRIM_400000_NS6detail17trampoline_kernelINS0_14default_configENS1_22reduce_config_selectorIlEEZNS1_11reduce_implILb1ES3_N6thrust23THRUST_200600_302600_NS11hip_rocprim26transform_input_iterator_tIlNS8_12zip_iteratorINS8_5tupleINS8_6detail15normal_iteratorINS8_10device_ptrIjEEEESH_NS8_9null_typeESI_SI_SI_SI_SI_SI_SI_EEEENS9_21zip_adj_not_predicateI22is_equal_div_10_uniqueIjEEEEEPllNS8_4plusIlEEEE10hipError_tPvRmT1_T2_T3_mT4_P12ihipStream_tbEUlT_E1_NS1_11comp_targetILNS1_3genE10ELNS1_11target_archE1200ELNS1_3gpuE4ELNS1_3repE0EEENS1_30default_config_static_selectorELNS0_4arch9wavefront6targetE1EEEvSW_.has_recursion, 0
	.set _ZN7rocprim17ROCPRIM_400000_NS6detail17trampoline_kernelINS0_14default_configENS1_22reduce_config_selectorIlEEZNS1_11reduce_implILb1ES3_N6thrust23THRUST_200600_302600_NS11hip_rocprim26transform_input_iterator_tIlNS8_12zip_iteratorINS8_5tupleINS8_6detail15normal_iteratorINS8_10device_ptrIjEEEESH_NS8_9null_typeESI_SI_SI_SI_SI_SI_SI_EEEENS9_21zip_adj_not_predicateI22is_equal_div_10_uniqueIjEEEEEPllNS8_4plusIlEEEE10hipError_tPvRmT1_T2_T3_mT4_P12ihipStream_tbEUlT_E1_NS1_11comp_targetILNS1_3genE10ELNS1_11target_archE1200ELNS1_3gpuE4ELNS1_3repE0EEENS1_30default_config_static_selectorELNS0_4arch9wavefront6targetE1EEEvSW_.has_indirect_call, 0
	.section	.AMDGPU.csdata,"",@progbits
; Kernel info:
; codeLenInByte = 0
; TotalNumSgprs: 4
; NumVgprs: 0
; ScratchSize: 0
; MemoryBound: 0
; FloatMode: 240
; IeeeMode: 1
; LDSByteSize: 0 bytes/workgroup (compile time only)
; SGPRBlocks: 0
; VGPRBlocks: 0
; NumSGPRsForWavesPerEU: 4
; NumVGPRsForWavesPerEU: 1
; Occupancy: 10
; WaveLimiterHint : 0
; COMPUTE_PGM_RSRC2:SCRATCH_EN: 0
; COMPUTE_PGM_RSRC2:USER_SGPR: 6
; COMPUTE_PGM_RSRC2:TRAP_HANDLER: 0
; COMPUTE_PGM_RSRC2:TGID_X_EN: 1
; COMPUTE_PGM_RSRC2:TGID_Y_EN: 0
; COMPUTE_PGM_RSRC2:TGID_Z_EN: 0
; COMPUTE_PGM_RSRC2:TIDIG_COMP_CNT: 0
	.section	.text._ZN7rocprim17ROCPRIM_400000_NS6detail17trampoline_kernelINS0_14default_configENS1_22reduce_config_selectorIlEEZNS1_11reduce_implILb1ES3_N6thrust23THRUST_200600_302600_NS11hip_rocprim26transform_input_iterator_tIlNS8_12zip_iteratorINS8_5tupleINS8_6detail15normal_iteratorINS8_10device_ptrIjEEEESH_NS8_9null_typeESI_SI_SI_SI_SI_SI_SI_EEEENS9_21zip_adj_not_predicateI22is_equal_div_10_uniqueIjEEEEEPllNS8_4plusIlEEEE10hipError_tPvRmT1_T2_T3_mT4_P12ihipStream_tbEUlT_E1_NS1_11comp_targetILNS1_3genE9ELNS1_11target_archE1100ELNS1_3gpuE3ELNS1_3repE0EEENS1_30default_config_static_selectorELNS0_4arch9wavefront6targetE1EEEvSW_,"axG",@progbits,_ZN7rocprim17ROCPRIM_400000_NS6detail17trampoline_kernelINS0_14default_configENS1_22reduce_config_selectorIlEEZNS1_11reduce_implILb1ES3_N6thrust23THRUST_200600_302600_NS11hip_rocprim26transform_input_iterator_tIlNS8_12zip_iteratorINS8_5tupleINS8_6detail15normal_iteratorINS8_10device_ptrIjEEEESH_NS8_9null_typeESI_SI_SI_SI_SI_SI_SI_EEEENS9_21zip_adj_not_predicateI22is_equal_div_10_uniqueIjEEEEEPllNS8_4plusIlEEEE10hipError_tPvRmT1_T2_T3_mT4_P12ihipStream_tbEUlT_E1_NS1_11comp_targetILNS1_3genE9ELNS1_11target_archE1100ELNS1_3gpuE3ELNS1_3repE0EEENS1_30default_config_static_selectorELNS0_4arch9wavefront6targetE1EEEvSW_,comdat
	.protected	_ZN7rocprim17ROCPRIM_400000_NS6detail17trampoline_kernelINS0_14default_configENS1_22reduce_config_selectorIlEEZNS1_11reduce_implILb1ES3_N6thrust23THRUST_200600_302600_NS11hip_rocprim26transform_input_iterator_tIlNS8_12zip_iteratorINS8_5tupleINS8_6detail15normal_iteratorINS8_10device_ptrIjEEEESH_NS8_9null_typeESI_SI_SI_SI_SI_SI_SI_EEEENS9_21zip_adj_not_predicateI22is_equal_div_10_uniqueIjEEEEEPllNS8_4plusIlEEEE10hipError_tPvRmT1_T2_T3_mT4_P12ihipStream_tbEUlT_E1_NS1_11comp_targetILNS1_3genE9ELNS1_11target_archE1100ELNS1_3gpuE3ELNS1_3repE0EEENS1_30default_config_static_selectorELNS0_4arch9wavefront6targetE1EEEvSW_ ; -- Begin function _ZN7rocprim17ROCPRIM_400000_NS6detail17trampoline_kernelINS0_14default_configENS1_22reduce_config_selectorIlEEZNS1_11reduce_implILb1ES3_N6thrust23THRUST_200600_302600_NS11hip_rocprim26transform_input_iterator_tIlNS8_12zip_iteratorINS8_5tupleINS8_6detail15normal_iteratorINS8_10device_ptrIjEEEESH_NS8_9null_typeESI_SI_SI_SI_SI_SI_SI_EEEENS9_21zip_adj_not_predicateI22is_equal_div_10_uniqueIjEEEEEPllNS8_4plusIlEEEE10hipError_tPvRmT1_T2_T3_mT4_P12ihipStream_tbEUlT_E1_NS1_11comp_targetILNS1_3genE9ELNS1_11target_archE1100ELNS1_3gpuE3ELNS1_3repE0EEENS1_30default_config_static_selectorELNS0_4arch9wavefront6targetE1EEEvSW_
	.globl	_ZN7rocprim17ROCPRIM_400000_NS6detail17trampoline_kernelINS0_14default_configENS1_22reduce_config_selectorIlEEZNS1_11reduce_implILb1ES3_N6thrust23THRUST_200600_302600_NS11hip_rocprim26transform_input_iterator_tIlNS8_12zip_iteratorINS8_5tupleINS8_6detail15normal_iteratorINS8_10device_ptrIjEEEESH_NS8_9null_typeESI_SI_SI_SI_SI_SI_SI_EEEENS9_21zip_adj_not_predicateI22is_equal_div_10_uniqueIjEEEEEPllNS8_4plusIlEEEE10hipError_tPvRmT1_T2_T3_mT4_P12ihipStream_tbEUlT_E1_NS1_11comp_targetILNS1_3genE9ELNS1_11target_archE1100ELNS1_3gpuE3ELNS1_3repE0EEENS1_30default_config_static_selectorELNS0_4arch9wavefront6targetE1EEEvSW_
	.p2align	8
	.type	_ZN7rocprim17ROCPRIM_400000_NS6detail17trampoline_kernelINS0_14default_configENS1_22reduce_config_selectorIlEEZNS1_11reduce_implILb1ES3_N6thrust23THRUST_200600_302600_NS11hip_rocprim26transform_input_iterator_tIlNS8_12zip_iteratorINS8_5tupleINS8_6detail15normal_iteratorINS8_10device_ptrIjEEEESH_NS8_9null_typeESI_SI_SI_SI_SI_SI_SI_EEEENS9_21zip_adj_not_predicateI22is_equal_div_10_uniqueIjEEEEEPllNS8_4plusIlEEEE10hipError_tPvRmT1_T2_T3_mT4_P12ihipStream_tbEUlT_E1_NS1_11comp_targetILNS1_3genE9ELNS1_11target_archE1100ELNS1_3gpuE3ELNS1_3repE0EEENS1_30default_config_static_selectorELNS0_4arch9wavefront6targetE1EEEvSW_,@function
_ZN7rocprim17ROCPRIM_400000_NS6detail17trampoline_kernelINS0_14default_configENS1_22reduce_config_selectorIlEEZNS1_11reduce_implILb1ES3_N6thrust23THRUST_200600_302600_NS11hip_rocprim26transform_input_iterator_tIlNS8_12zip_iteratorINS8_5tupleINS8_6detail15normal_iteratorINS8_10device_ptrIjEEEESH_NS8_9null_typeESI_SI_SI_SI_SI_SI_SI_EEEENS9_21zip_adj_not_predicateI22is_equal_div_10_uniqueIjEEEEEPllNS8_4plusIlEEEE10hipError_tPvRmT1_T2_T3_mT4_P12ihipStream_tbEUlT_E1_NS1_11comp_targetILNS1_3genE9ELNS1_11target_archE1100ELNS1_3gpuE3ELNS1_3repE0EEENS1_30default_config_static_selectorELNS0_4arch9wavefront6targetE1EEEvSW_: ; @_ZN7rocprim17ROCPRIM_400000_NS6detail17trampoline_kernelINS0_14default_configENS1_22reduce_config_selectorIlEEZNS1_11reduce_implILb1ES3_N6thrust23THRUST_200600_302600_NS11hip_rocprim26transform_input_iterator_tIlNS8_12zip_iteratorINS8_5tupleINS8_6detail15normal_iteratorINS8_10device_ptrIjEEEESH_NS8_9null_typeESI_SI_SI_SI_SI_SI_SI_EEEENS9_21zip_adj_not_predicateI22is_equal_div_10_uniqueIjEEEEEPllNS8_4plusIlEEEE10hipError_tPvRmT1_T2_T3_mT4_P12ihipStream_tbEUlT_E1_NS1_11comp_targetILNS1_3genE9ELNS1_11target_archE1100ELNS1_3gpuE3ELNS1_3repE0EEENS1_30default_config_static_selectorELNS0_4arch9wavefront6targetE1EEEvSW_
; %bb.0:
	.section	.rodata,"a",@progbits
	.p2align	6, 0x0
	.amdhsa_kernel _ZN7rocprim17ROCPRIM_400000_NS6detail17trampoline_kernelINS0_14default_configENS1_22reduce_config_selectorIlEEZNS1_11reduce_implILb1ES3_N6thrust23THRUST_200600_302600_NS11hip_rocprim26transform_input_iterator_tIlNS8_12zip_iteratorINS8_5tupleINS8_6detail15normal_iteratorINS8_10device_ptrIjEEEESH_NS8_9null_typeESI_SI_SI_SI_SI_SI_SI_EEEENS9_21zip_adj_not_predicateI22is_equal_div_10_uniqueIjEEEEEPllNS8_4plusIlEEEE10hipError_tPvRmT1_T2_T3_mT4_P12ihipStream_tbEUlT_E1_NS1_11comp_targetILNS1_3genE9ELNS1_11target_archE1100ELNS1_3gpuE3ELNS1_3repE0EEENS1_30default_config_static_selectorELNS0_4arch9wavefront6targetE1EEEvSW_
		.amdhsa_group_segment_fixed_size 0
		.amdhsa_private_segment_fixed_size 0
		.amdhsa_kernarg_size 64
		.amdhsa_user_sgpr_count 6
		.amdhsa_user_sgpr_private_segment_buffer 1
		.amdhsa_user_sgpr_dispatch_ptr 0
		.amdhsa_user_sgpr_queue_ptr 0
		.amdhsa_user_sgpr_kernarg_segment_ptr 1
		.amdhsa_user_sgpr_dispatch_id 0
		.amdhsa_user_sgpr_flat_scratch_init 0
		.amdhsa_user_sgpr_private_segment_size 0
		.amdhsa_uses_dynamic_stack 0
		.amdhsa_system_sgpr_private_segment_wavefront_offset 0
		.amdhsa_system_sgpr_workgroup_id_x 1
		.amdhsa_system_sgpr_workgroup_id_y 0
		.amdhsa_system_sgpr_workgroup_id_z 0
		.amdhsa_system_sgpr_workgroup_info 0
		.amdhsa_system_vgpr_workitem_id 0
		.amdhsa_next_free_vgpr 1
		.amdhsa_next_free_sgpr 0
		.amdhsa_reserve_vcc 0
		.amdhsa_reserve_flat_scratch 0
		.amdhsa_float_round_mode_32 0
		.amdhsa_float_round_mode_16_64 0
		.amdhsa_float_denorm_mode_32 3
		.amdhsa_float_denorm_mode_16_64 3
		.amdhsa_dx10_clamp 1
		.amdhsa_ieee_mode 1
		.amdhsa_fp16_overflow 0
		.amdhsa_exception_fp_ieee_invalid_op 0
		.amdhsa_exception_fp_denorm_src 0
		.amdhsa_exception_fp_ieee_div_zero 0
		.amdhsa_exception_fp_ieee_overflow 0
		.amdhsa_exception_fp_ieee_underflow 0
		.amdhsa_exception_fp_ieee_inexact 0
		.amdhsa_exception_int_div_zero 0
	.end_amdhsa_kernel
	.section	.text._ZN7rocprim17ROCPRIM_400000_NS6detail17trampoline_kernelINS0_14default_configENS1_22reduce_config_selectorIlEEZNS1_11reduce_implILb1ES3_N6thrust23THRUST_200600_302600_NS11hip_rocprim26transform_input_iterator_tIlNS8_12zip_iteratorINS8_5tupleINS8_6detail15normal_iteratorINS8_10device_ptrIjEEEESH_NS8_9null_typeESI_SI_SI_SI_SI_SI_SI_EEEENS9_21zip_adj_not_predicateI22is_equal_div_10_uniqueIjEEEEEPllNS8_4plusIlEEEE10hipError_tPvRmT1_T2_T3_mT4_P12ihipStream_tbEUlT_E1_NS1_11comp_targetILNS1_3genE9ELNS1_11target_archE1100ELNS1_3gpuE3ELNS1_3repE0EEENS1_30default_config_static_selectorELNS0_4arch9wavefront6targetE1EEEvSW_,"axG",@progbits,_ZN7rocprim17ROCPRIM_400000_NS6detail17trampoline_kernelINS0_14default_configENS1_22reduce_config_selectorIlEEZNS1_11reduce_implILb1ES3_N6thrust23THRUST_200600_302600_NS11hip_rocprim26transform_input_iterator_tIlNS8_12zip_iteratorINS8_5tupleINS8_6detail15normal_iteratorINS8_10device_ptrIjEEEESH_NS8_9null_typeESI_SI_SI_SI_SI_SI_SI_EEEENS9_21zip_adj_not_predicateI22is_equal_div_10_uniqueIjEEEEEPllNS8_4plusIlEEEE10hipError_tPvRmT1_T2_T3_mT4_P12ihipStream_tbEUlT_E1_NS1_11comp_targetILNS1_3genE9ELNS1_11target_archE1100ELNS1_3gpuE3ELNS1_3repE0EEENS1_30default_config_static_selectorELNS0_4arch9wavefront6targetE1EEEvSW_,comdat
.Lfunc_end885:
	.size	_ZN7rocprim17ROCPRIM_400000_NS6detail17trampoline_kernelINS0_14default_configENS1_22reduce_config_selectorIlEEZNS1_11reduce_implILb1ES3_N6thrust23THRUST_200600_302600_NS11hip_rocprim26transform_input_iterator_tIlNS8_12zip_iteratorINS8_5tupleINS8_6detail15normal_iteratorINS8_10device_ptrIjEEEESH_NS8_9null_typeESI_SI_SI_SI_SI_SI_SI_EEEENS9_21zip_adj_not_predicateI22is_equal_div_10_uniqueIjEEEEEPllNS8_4plusIlEEEE10hipError_tPvRmT1_T2_T3_mT4_P12ihipStream_tbEUlT_E1_NS1_11comp_targetILNS1_3genE9ELNS1_11target_archE1100ELNS1_3gpuE3ELNS1_3repE0EEENS1_30default_config_static_selectorELNS0_4arch9wavefront6targetE1EEEvSW_, .Lfunc_end885-_ZN7rocprim17ROCPRIM_400000_NS6detail17trampoline_kernelINS0_14default_configENS1_22reduce_config_selectorIlEEZNS1_11reduce_implILb1ES3_N6thrust23THRUST_200600_302600_NS11hip_rocprim26transform_input_iterator_tIlNS8_12zip_iteratorINS8_5tupleINS8_6detail15normal_iteratorINS8_10device_ptrIjEEEESH_NS8_9null_typeESI_SI_SI_SI_SI_SI_SI_EEEENS9_21zip_adj_not_predicateI22is_equal_div_10_uniqueIjEEEEEPllNS8_4plusIlEEEE10hipError_tPvRmT1_T2_T3_mT4_P12ihipStream_tbEUlT_E1_NS1_11comp_targetILNS1_3genE9ELNS1_11target_archE1100ELNS1_3gpuE3ELNS1_3repE0EEENS1_30default_config_static_selectorELNS0_4arch9wavefront6targetE1EEEvSW_
                                        ; -- End function
	.set _ZN7rocprim17ROCPRIM_400000_NS6detail17trampoline_kernelINS0_14default_configENS1_22reduce_config_selectorIlEEZNS1_11reduce_implILb1ES3_N6thrust23THRUST_200600_302600_NS11hip_rocprim26transform_input_iterator_tIlNS8_12zip_iteratorINS8_5tupleINS8_6detail15normal_iteratorINS8_10device_ptrIjEEEESH_NS8_9null_typeESI_SI_SI_SI_SI_SI_SI_EEEENS9_21zip_adj_not_predicateI22is_equal_div_10_uniqueIjEEEEEPllNS8_4plusIlEEEE10hipError_tPvRmT1_T2_T3_mT4_P12ihipStream_tbEUlT_E1_NS1_11comp_targetILNS1_3genE9ELNS1_11target_archE1100ELNS1_3gpuE3ELNS1_3repE0EEENS1_30default_config_static_selectorELNS0_4arch9wavefront6targetE1EEEvSW_.num_vgpr, 0
	.set _ZN7rocprim17ROCPRIM_400000_NS6detail17trampoline_kernelINS0_14default_configENS1_22reduce_config_selectorIlEEZNS1_11reduce_implILb1ES3_N6thrust23THRUST_200600_302600_NS11hip_rocprim26transform_input_iterator_tIlNS8_12zip_iteratorINS8_5tupleINS8_6detail15normal_iteratorINS8_10device_ptrIjEEEESH_NS8_9null_typeESI_SI_SI_SI_SI_SI_SI_EEEENS9_21zip_adj_not_predicateI22is_equal_div_10_uniqueIjEEEEEPllNS8_4plusIlEEEE10hipError_tPvRmT1_T2_T3_mT4_P12ihipStream_tbEUlT_E1_NS1_11comp_targetILNS1_3genE9ELNS1_11target_archE1100ELNS1_3gpuE3ELNS1_3repE0EEENS1_30default_config_static_selectorELNS0_4arch9wavefront6targetE1EEEvSW_.num_agpr, 0
	.set _ZN7rocprim17ROCPRIM_400000_NS6detail17trampoline_kernelINS0_14default_configENS1_22reduce_config_selectorIlEEZNS1_11reduce_implILb1ES3_N6thrust23THRUST_200600_302600_NS11hip_rocprim26transform_input_iterator_tIlNS8_12zip_iteratorINS8_5tupleINS8_6detail15normal_iteratorINS8_10device_ptrIjEEEESH_NS8_9null_typeESI_SI_SI_SI_SI_SI_SI_EEEENS9_21zip_adj_not_predicateI22is_equal_div_10_uniqueIjEEEEEPllNS8_4plusIlEEEE10hipError_tPvRmT1_T2_T3_mT4_P12ihipStream_tbEUlT_E1_NS1_11comp_targetILNS1_3genE9ELNS1_11target_archE1100ELNS1_3gpuE3ELNS1_3repE0EEENS1_30default_config_static_selectorELNS0_4arch9wavefront6targetE1EEEvSW_.numbered_sgpr, 0
	.set _ZN7rocprim17ROCPRIM_400000_NS6detail17trampoline_kernelINS0_14default_configENS1_22reduce_config_selectorIlEEZNS1_11reduce_implILb1ES3_N6thrust23THRUST_200600_302600_NS11hip_rocprim26transform_input_iterator_tIlNS8_12zip_iteratorINS8_5tupleINS8_6detail15normal_iteratorINS8_10device_ptrIjEEEESH_NS8_9null_typeESI_SI_SI_SI_SI_SI_SI_EEEENS9_21zip_adj_not_predicateI22is_equal_div_10_uniqueIjEEEEEPllNS8_4plusIlEEEE10hipError_tPvRmT1_T2_T3_mT4_P12ihipStream_tbEUlT_E1_NS1_11comp_targetILNS1_3genE9ELNS1_11target_archE1100ELNS1_3gpuE3ELNS1_3repE0EEENS1_30default_config_static_selectorELNS0_4arch9wavefront6targetE1EEEvSW_.num_named_barrier, 0
	.set _ZN7rocprim17ROCPRIM_400000_NS6detail17trampoline_kernelINS0_14default_configENS1_22reduce_config_selectorIlEEZNS1_11reduce_implILb1ES3_N6thrust23THRUST_200600_302600_NS11hip_rocprim26transform_input_iterator_tIlNS8_12zip_iteratorINS8_5tupleINS8_6detail15normal_iteratorINS8_10device_ptrIjEEEESH_NS8_9null_typeESI_SI_SI_SI_SI_SI_SI_EEEENS9_21zip_adj_not_predicateI22is_equal_div_10_uniqueIjEEEEEPllNS8_4plusIlEEEE10hipError_tPvRmT1_T2_T3_mT4_P12ihipStream_tbEUlT_E1_NS1_11comp_targetILNS1_3genE9ELNS1_11target_archE1100ELNS1_3gpuE3ELNS1_3repE0EEENS1_30default_config_static_selectorELNS0_4arch9wavefront6targetE1EEEvSW_.private_seg_size, 0
	.set _ZN7rocprim17ROCPRIM_400000_NS6detail17trampoline_kernelINS0_14default_configENS1_22reduce_config_selectorIlEEZNS1_11reduce_implILb1ES3_N6thrust23THRUST_200600_302600_NS11hip_rocprim26transform_input_iterator_tIlNS8_12zip_iteratorINS8_5tupleINS8_6detail15normal_iteratorINS8_10device_ptrIjEEEESH_NS8_9null_typeESI_SI_SI_SI_SI_SI_SI_EEEENS9_21zip_adj_not_predicateI22is_equal_div_10_uniqueIjEEEEEPllNS8_4plusIlEEEE10hipError_tPvRmT1_T2_T3_mT4_P12ihipStream_tbEUlT_E1_NS1_11comp_targetILNS1_3genE9ELNS1_11target_archE1100ELNS1_3gpuE3ELNS1_3repE0EEENS1_30default_config_static_selectorELNS0_4arch9wavefront6targetE1EEEvSW_.uses_vcc, 0
	.set _ZN7rocprim17ROCPRIM_400000_NS6detail17trampoline_kernelINS0_14default_configENS1_22reduce_config_selectorIlEEZNS1_11reduce_implILb1ES3_N6thrust23THRUST_200600_302600_NS11hip_rocprim26transform_input_iterator_tIlNS8_12zip_iteratorINS8_5tupleINS8_6detail15normal_iteratorINS8_10device_ptrIjEEEESH_NS8_9null_typeESI_SI_SI_SI_SI_SI_SI_EEEENS9_21zip_adj_not_predicateI22is_equal_div_10_uniqueIjEEEEEPllNS8_4plusIlEEEE10hipError_tPvRmT1_T2_T3_mT4_P12ihipStream_tbEUlT_E1_NS1_11comp_targetILNS1_3genE9ELNS1_11target_archE1100ELNS1_3gpuE3ELNS1_3repE0EEENS1_30default_config_static_selectorELNS0_4arch9wavefront6targetE1EEEvSW_.uses_flat_scratch, 0
	.set _ZN7rocprim17ROCPRIM_400000_NS6detail17trampoline_kernelINS0_14default_configENS1_22reduce_config_selectorIlEEZNS1_11reduce_implILb1ES3_N6thrust23THRUST_200600_302600_NS11hip_rocprim26transform_input_iterator_tIlNS8_12zip_iteratorINS8_5tupleINS8_6detail15normal_iteratorINS8_10device_ptrIjEEEESH_NS8_9null_typeESI_SI_SI_SI_SI_SI_SI_EEEENS9_21zip_adj_not_predicateI22is_equal_div_10_uniqueIjEEEEEPllNS8_4plusIlEEEE10hipError_tPvRmT1_T2_T3_mT4_P12ihipStream_tbEUlT_E1_NS1_11comp_targetILNS1_3genE9ELNS1_11target_archE1100ELNS1_3gpuE3ELNS1_3repE0EEENS1_30default_config_static_selectorELNS0_4arch9wavefront6targetE1EEEvSW_.has_dyn_sized_stack, 0
	.set _ZN7rocprim17ROCPRIM_400000_NS6detail17trampoline_kernelINS0_14default_configENS1_22reduce_config_selectorIlEEZNS1_11reduce_implILb1ES3_N6thrust23THRUST_200600_302600_NS11hip_rocprim26transform_input_iterator_tIlNS8_12zip_iteratorINS8_5tupleINS8_6detail15normal_iteratorINS8_10device_ptrIjEEEESH_NS8_9null_typeESI_SI_SI_SI_SI_SI_SI_EEEENS9_21zip_adj_not_predicateI22is_equal_div_10_uniqueIjEEEEEPllNS8_4plusIlEEEE10hipError_tPvRmT1_T2_T3_mT4_P12ihipStream_tbEUlT_E1_NS1_11comp_targetILNS1_3genE9ELNS1_11target_archE1100ELNS1_3gpuE3ELNS1_3repE0EEENS1_30default_config_static_selectorELNS0_4arch9wavefront6targetE1EEEvSW_.has_recursion, 0
	.set _ZN7rocprim17ROCPRIM_400000_NS6detail17trampoline_kernelINS0_14default_configENS1_22reduce_config_selectorIlEEZNS1_11reduce_implILb1ES3_N6thrust23THRUST_200600_302600_NS11hip_rocprim26transform_input_iterator_tIlNS8_12zip_iteratorINS8_5tupleINS8_6detail15normal_iteratorINS8_10device_ptrIjEEEESH_NS8_9null_typeESI_SI_SI_SI_SI_SI_SI_EEEENS9_21zip_adj_not_predicateI22is_equal_div_10_uniqueIjEEEEEPllNS8_4plusIlEEEE10hipError_tPvRmT1_T2_T3_mT4_P12ihipStream_tbEUlT_E1_NS1_11comp_targetILNS1_3genE9ELNS1_11target_archE1100ELNS1_3gpuE3ELNS1_3repE0EEENS1_30default_config_static_selectorELNS0_4arch9wavefront6targetE1EEEvSW_.has_indirect_call, 0
	.section	.AMDGPU.csdata,"",@progbits
; Kernel info:
; codeLenInByte = 0
; TotalNumSgprs: 4
; NumVgprs: 0
; ScratchSize: 0
; MemoryBound: 0
; FloatMode: 240
; IeeeMode: 1
; LDSByteSize: 0 bytes/workgroup (compile time only)
; SGPRBlocks: 0
; VGPRBlocks: 0
; NumSGPRsForWavesPerEU: 4
; NumVGPRsForWavesPerEU: 1
; Occupancy: 10
; WaveLimiterHint : 0
; COMPUTE_PGM_RSRC2:SCRATCH_EN: 0
; COMPUTE_PGM_RSRC2:USER_SGPR: 6
; COMPUTE_PGM_RSRC2:TRAP_HANDLER: 0
; COMPUTE_PGM_RSRC2:TGID_X_EN: 1
; COMPUTE_PGM_RSRC2:TGID_Y_EN: 0
; COMPUTE_PGM_RSRC2:TGID_Z_EN: 0
; COMPUTE_PGM_RSRC2:TIDIG_COMP_CNT: 0
	.section	.text._ZN7rocprim17ROCPRIM_400000_NS6detail17trampoline_kernelINS0_14default_configENS1_22reduce_config_selectorIlEEZNS1_11reduce_implILb1ES3_N6thrust23THRUST_200600_302600_NS11hip_rocprim26transform_input_iterator_tIlNS8_12zip_iteratorINS8_5tupleINS8_6detail15normal_iteratorINS8_10device_ptrIjEEEESH_NS8_9null_typeESI_SI_SI_SI_SI_SI_SI_EEEENS9_21zip_adj_not_predicateI22is_equal_div_10_uniqueIjEEEEEPllNS8_4plusIlEEEE10hipError_tPvRmT1_T2_T3_mT4_P12ihipStream_tbEUlT_E1_NS1_11comp_targetILNS1_3genE8ELNS1_11target_archE1030ELNS1_3gpuE2ELNS1_3repE0EEENS1_30default_config_static_selectorELNS0_4arch9wavefront6targetE1EEEvSW_,"axG",@progbits,_ZN7rocprim17ROCPRIM_400000_NS6detail17trampoline_kernelINS0_14default_configENS1_22reduce_config_selectorIlEEZNS1_11reduce_implILb1ES3_N6thrust23THRUST_200600_302600_NS11hip_rocprim26transform_input_iterator_tIlNS8_12zip_iteratorINS8_5tupleINS8_6detail15normal_iteratorINS8_10device_ptrIjEEEESH_NS8_9null_typeESI_SI_SI_SI_SI_SI_SI_EEEENS9_21zip_adj_not_predicateI22is_equal_div_10_uniqueIjEEEEEPllNS8_4plusIlEEEE10hipError_tPvRmT1_T2_T3_mT4_P12ihipStream_tbEUlT_E1_NS1_11comp_targetILNS1_3genE8ELNS1_11target_archE1030ELNS1_3gpuE2ELNS1_3repE0EEENS1_30default_config_static_selectorELNS0_4arch9wavefront6targetE1EEEvSW_,comdat
	.protected	_ZN7rocprim17ROCPRIM_400000_NS6detail17trampoline_kernelINS0_14default_configENS1_22reduce_config_selectorIlEEZNS1_11reduce_implILb1ES3_N6thrust23THRUST_200600_302600_NS11hip_rocprim26transform_input_iterator_tIlNS8_12zip_iteratorINS8_5tupleINS8_6detail15normal_iteratorINS8_10device_ptrIjEEEESH_NS8_9null_typeESI_SI_SI_SI_SI_SI_SI_EEEENS9_21zip_adj_not_predicateI22is_equal_div_10_uniqueIjEEEEEPllNS8_4plusIlEEEE10hipError_tPvRmT1_T2_T3_mT4_P12ihipStream_tbEUlT_E1_NS1_11comp_targetILNS1_3genE8ELNS1_11target_archE1030ELNS1_3gpuE2ELNS1_3repE0EEENS1_30default_config_static_selectorELNS0_4arch9wavefront6targetE1EEEvSW_ ; -- Begin function _ZN7rocprim17ROCPRIM_400000_NS6detail17trampoline_kernelINS0_14default_configENS1_22reduce_config_selectorIlEEZNS1_11reduce_implILb1ES3_N6thrust23THRUST_200600_302600_NS11hip_rocprim26transform_input_iterator_tIlNS8_12zip_iteratorINS8_5tupleINS8_6detail15normal_iteratorINS8_10device_ptrIjEEEESH_NS8_9null_typeESI_SI_SI_SI_SI_SI_SI_EEEENS9_21zip_adj_not_predicateI22is_equal_div_10_uniqueIjEEEEEPllNS8_4plusIlEEEE10hipError_tPvRmT1_T2_T3_mT4_P12ihipStream_tbEUlT_E1_NS1_11comp_targetILNS1_3genE8ELNS1_11target_archE1030ELNS1_3gpuE2ELNS1_3repE0EEENS1_30default_config_static_selectorELNS0_4arch9wavefront6targetE1EEEvSW_
	.globl	_ZN7rocprim17ROCPRIM_400000_NS6detail17trampoline_kernelINS0_14default_configENS1_22reduce_config_selectorIlEEZNS1_11reduce_implILb1ES3_N6thrust23THRUST_200600_302600_NS11hip_rocprim26transform_input_iterator_tIlNS8_12zip_iteratorINS8_5tupleINS8_6detail15normal_iteratorINS8_10device_ptrIjEEEESH_NS8_9null_typeESI_SI_SI_SI_SI_SI_SI_EEEENS9_21zip_adj_not_predicateI22is_equal_div_10_uniqueIjEEEEEPllNS8_4plusIlEEEE10hipError_tPvRmT1_T2_T3_mT4_P12ihipStream_tbEUlT_E1_NS1_11comp_targetILNS1_3genE8ELNS1_11target_archE1030ELNS1_3gpuE2ELNS1_3repE0EEENS1_30default_config_static_selectorELNS0_4arch9wavefront6targetE1EEEvSW_
	.p2align	8
	.type	_ZN7rocprim17ROCPRIM_400000_NS6detail17trampoline_kernelINS0_14default_configENS1_22reduce_config_selectorIlEEZNS1_11reduce_implILb1ES3_N6thrust23THRUST_200600_302600_NS11hip_rocprim26transform_input_iterator_tIlNS8_12zip_iteratorINS8_5tupleINS8_6detail15normal_iteratorINS8_10device_ptrIjEEEESH_NS8_9null_typeESI_SI_SI_SI_SI_SI_SI_EEEENS9_21zip_adj_not_predicateI22is_equal_div_10_uniqueIjEEEEEPllNS8_4plusIlEEEE10hipError_tPvRmT1_T2_T3_mT4_P12ihipStream_tbEUlT_E1_NS1_11comp_targetILNS1_3genE8ELNS1_11target_archE1030ELNS1_3gpuE2ELNS1_3repE0EEENS1_30default_config_static_selectorELNS0_4arch9wavefront6targetE1EEEvSW_,@function
_ZN7rocprim17ROCPRIM_400000_NS6detail17trampoline_kernelINS0_14default_configENS1_22reduce_config_selectorIlEEZNS1_11reduce_implILb1ES3_N6thrust23THRUST_200600_302600_NS11hip_rocprim26transform_input_iterator_tIlNS8_12zip_iteratorINS8_5tupleINS8_6detail15normal_iteratorINS8_10device_ptrIjEEEESH_NS8_9null_typeESI_SI_SI_SI_SI_SI_SI_EEEENS9_21zip_adj_not_predicateI22is_equal_div_10_uniqueIjEEEEEPllNS8_4plusIlEEEE10hipError_tPvRmT1_T2_T3_mT4_P12ihipStream_tbEUlT_E1_NS1_11comp_targetILNS1_3genE8ELNS1_11target_archE1030ELNS1_3gpuE2ELNS1_3repE0EEENS1_30default_config_static_selectorELNS0_4arch9wavefront6targetE1EEEvSW_: ; @_ZN7rocprim17ROCPRIM_400000_NS6detail17trampoline_kernelINS0_14default_configENS1_22reduce_config_selectorIlEEZNS1_11reduce_implILb1ES3_N6thrust23THRUST_200600_302600_NS11hip_rocprim26transform_input_iterator_tIlNS8_12zip_iteratorINS8_5tupleINS8_6detail15normal_iteratorINS8_10device_ptrIjEEEESH_NS8_9null_typeESI_SI_SI_SI_SI_SI_SI_EEEENS9_21zip_adj_not_predicateI22is_equal_div_10_uniqueIjEEEEEPllNS8_4plusIlEEEE10hipError_tPvRmT1_T2_T3_mT4_P12ihipStream_tbEUlT_E1_NS1_11comp_targetILNS1_3genE8ELNS1_11target_archE1030ELNS1_3gpuE2ELNS1_3repE0EEENS1_30default_config_static_selectorELNS0_4arch9wavefront6targetE1EEEvSW_
; %bb.0:
	.section	.rodata,"a",@progbits
	.p2align	6, 0x0
	.amdhsa_kernel _ZN7rocprim17ROCPRIM_400000_NS6detail17trampoline_kernelINS0_14default_configENS1_22reduce_config_selectorIlEEZNS1_11reduce_implILb1ES3_N6thrust23THRUST_200600_302600_NS11hip_rocprim26transform_input_iterator_tIlNS8_12zip_iteratorINS8_5tupleINS8_6detail15normal_iteratorINS8_10device_ptrIjEEEESH_NS8_9null_typeESI_SI_SI_SI_SI_SI_SI_EEEENS9_21zip_adj_not_predicateI22is_equal_div_10_uniqueIjEEEEEPllNS8_4plusIlEEEE10hipError_tPvRmT1_T2_T3_mT4_P12ihipStream_tbEUlT_E1_NS1_11comp_targetILNS1_3genE8ELNS1_11target_archE1030ELNS1_3gpuE2ELNS1_3repE0EEENS1_30default_config_static_selectorELNS0_4arch9wavefront6targetE1EEEvSW_
		.amdhsa_group_segment_fixed_size 0
		.amdhsa_private_segment_fixed_size 0
		.amdhsa_kernarg_size 64
		.amdhsa_user_sgpr_count 6
		.amdhsa_user_sgpr_private_segment_buffer 1
		.amdhsa_user_sgpr_dispatch_ptr 0
		.amdhsa_user_sgpr_queue_ptr 0
		.amdhsa_user_sgpr_kernarg_segment_ptr 1
		.amdhsa_user_sgpr_dispatch_id 0
		.amdhsa_user_sgpr_flat_scratch_init 0
		.amdhsa_user_sgpr_private_segment_size 0
		.amdhsa_uses_dynamic_stack 0
		.amdhsa_system_sgpr_private_segment_wavefront_offset 0
		.amdhsa_system_sgpr_workgroup_id_x 1
		.amdhsa_system_sgpr_workgroup_id_y 0
		.amdhsa_system_sgpr_workgroup_id_z 0
		.amdhsa_system_sgpr_workgroup_info 0
		.amdhsa_system_vgpr_workitem_id 0
		.amdhsa_next_free_vgpr 1
		.amdhsa_next_free_sgpr 0
		.amdhsa_reserve_vcc 0
		.amdhsa_reserve_flat_scratch 0
		.amdhsa_float_round_mode_32 0
		.amdhsa_float_round_mode_16_64 0
		.amdhsa_float_denorm_mode_32 3
		.amdhsa_float_denorm_mode_16_64 3
		.amdhsa_dx10_clamp 1
		.amdhsa_ieee_mode 1
		.amdhsa_fp16_overflow 0
		.amdhsa_exception_fp_ieee_invalid_op 0
		.amdhsa_exception_fp_denorm_src 0
		.amdhsa_exception_fp_ieee_div_zero 0
		.amdhsa_exception_fp_ieee_overflow 0
		.amdhsa_exception_fp_ieee_underflow 0
		.amdhsa_exception_fp_ieee_inexact 0
		.amdhsa_exception_int_div_zero 0
	.end_amdhsa_kernel
	.section	.text._ZN7rocprim17ROCPRIM_400000_NS6detail17trampoline_kernelINS0_14default_configENS1_22reduce_config_selectorIlEEZNS1_11reduce_implILb1ES3_N6thrust23THRUST_200600_302600_NS11hip_rocprim26transform_input_iterator_tIlNS8_12zip_iteratorINS8_5tupleINS8_6detail15normal_iteratorINS8_10device_ptrIjEEEESH_NS8_9null_typeESI_SI_SI_SI_SI_SI_SI_EEEENS9_21zip_adj_not_predicateI22is_equal_div_10_uniqueIjEEEEEPllNS8_4plusIlEEEE10hipError_tPvRmT1_T2_T3_mT4_P12ihipStream_tbEUlT_E1_NS1_11comp_targetILNS1_3genE8ELNS1_11target_archE1030ELNS1_3gpuE2ELNS1_3repE0EEENS1_30default_config_static_selectorELNS0_4arch9wavefront6targetE1EEEvSW_,"axG",@progbits,_ZN7rocprim17ROCPRIM_400000_NS6detail17trampoline_kernelINS0_14default_configENS1_22reduce_config_selectorIlEEZNS1_11reduce_implILb1ES3_N6thrust23THRUST_200600_302600_NS11hip_rocprim26transform_input_iterator_tIlNS8_12zip_iteratorINS8_5tupleINS8_6detail15normal_iteratorINS8_10device_ptrIjEEEESH_NS8_9null_typeESI_SI_SI_SI_SI_SI_SI_EEEENS9_21zip_adj_not_predicateI22is_equal_div_10_uniqueIjEEEEEPllNS8_4plusIlEEEE10hipError_tPvRmT1_T2_T3_mT4_P12ihipStream_tbEUlT_E1_NS1_11comp_targetILNS1_3genE8ELNS1_11target_archE1030ELNS1_3gpuE2ELNS1_3repE0EEENS1_30default_config_static_selectorELNS0_4arch9wavefront6targetE1EEEvSW_,comdat
.Lfunc_end886:
	.size	_ZN7rocprim17ROCPRIM_400000_NS6detail17trampoline_kernelINS0_14default_configENS1_22reduce_config_selectorIlEEZNS1_11reduce_implILb1ES3_N6thrust23THRUST_200600_302600_NS11hip_rocprim26transform_input_iterator_tIlNS8_12zip_iteratorINS8_5tupleINS8_6detail15normal_iteratorINS8_10device_ptrIjEEEESH_NS8_9null_typeESI_SI_SI_SI_SI_SI_SI_EEEENS9_21zip_adj_not_predicateI22is_equal_div_10_uniqueIjEEEEEPllNS8_4plusIlEEEE10hipError_tPvRmT1_T2_T3_mT4_P12ihipStream_tbEUlT_E1_NS1_11comp_targetILNS1_3genE8ELNS1_11target_archE1030ELNS1_3gpuE2ELNS1_3repE0EEENS1_30default_config_static_selectorELNS0_4arch9wavefront6targetE1EEEvSW_, .Lfunc_end886-_ZN7rocprim17ROCPRIM_400000_NS6detail17trampoline_kernelINS0_14default_configENS1_22reduce_config_selectorIlEEZNS1_11reduce_implILb1ES3_N6thrust23THRUST_200600_302600_NS11hip_rocprim26transform_input_iterator_tIlNS8_12zip_iteratorINS8_5tupleINS8_6detail15normal_iteratorINS8_10device_ptrIjEEEESH_NS8_9null_typeESI_SI_SI_SI_SI_SI_SI_EEEENS9_21zip_adj_not_predicateI22is_equal_div_10_uniqueIjEEEEEPllNS8_4plusIlEEEE10hipError_tPvRmT1_T2_T3_mT4_P12ihipStream_tbEUlT_E1_NS1_11comp_targetILNS1_3genE8ELNS1_11target_archE1030ELNS1_3gpuE2ELNS1_3repE0EEENS1_30default_config_static_selectorELNS0_4arch9wavefront6targetE1EEEvSW_
                                        ; -- End function
	.set _ZN7rocprim17ROCPRIM_400000_NS6detail17trampoline_kernelINS0_14default_configENS1_22reduce_config_selectorIlEEZNS1_11reduce_implILb1ES3_N6thrust23THRUST_200600_302600_NS11hip_rocprim26transform_input_iterator_tIlNS8_12zip_iteratorINS8_5tupleINS8_6detail15normal_iteratorINS8_10device_ptrIjEEEESH_NS8_9null_typeESI_SI_SI_SI_SI_SI_SI_EEEENS9_21zip_adj_not_predicateI22is_equal_div_10_uniqueIjEEEEEPllNS8_4plusIlEEEE10hipError_tPvRmT1_T2_T3_mT4_P12ihipStream_tbEUlT_E1_NS1_11comp_targetILNS1_3genE8ELNS1_11target_archE1030ELNS1_3gpuE2ELNS1_3repE0EEENS1_30default_config_static_selectorELNS0_4arch9wavefront6targetE1EEEvSW_.num_vgpr, 0
	.set _ZN7rocprim17ROCPRIM_400000_NS6detail17trampoline_kernelINS0_14default_configENS1_22reduce_config_selectorIlEEZNS1_11reduce_implILb1ES3_N6thrust23THRUST_200600_302600_NS11hip_rocprim26transform_input_iterator_tIlNS8_12zip_iteratorINS8_5tupleINS8_6detail15normal_iteratorINS8_10device_ptrIjEEEESH_NS8_9null_typeESI_SI_SI_SI_SI_SI_SI_EEEENS9_21zip_adj_not_predicateI22is_equal_div_10_uniqueIjEEEEEPllNS8_4plusIlEEEE10hipError_tPvRmT1_T2_T3_mT4_P12ihipStream_tbEUlT_E1_NS1_11comp_targetILNS1_3genE8ELNS1_11target_archE1030ELNS1_3gpuE2ELNS1_3repE0EEENS1_30default_config_static_selectorELNS0_4arch9wavefront6targetE1EEEvSW_.num_agpr, 0
	.set _ZN7rocprim17ROCPRIM_400000_NS6detail17trampoline_kernelINS0_14default_configENS1_22reduce_config_selectorIlEEZNS1_11reduce_implILb1ES3_N6thrust23THRUST_200600_302600_NS11hip_rocprim26transform_input_iterator_tIlNS8_12zip_iteratorINS8_5tupleINS8_6detail15normal_iteratorINS8_10device_ptrIjEEEESH_NS8_9null_typeESI_SI_SI_SI_SI_SI_SI_EEEENS9_21zip_adj_not_predicateI22is_equal_div_10_uniqueIjEEEEEPllNS8_4plusIlEEEE10hipError_tPvRmT1_T2_T3_mT4_P12ihipStream_tbEUlT_E1_NS1_11comp_targetILNS1_3genE8ELNS1_11target_archE1030ELNS1_3gpuE2ELNS1_3repE0EEENS1_30default_config_static_selectorELNS0_4arch9wavefront6targetE1EEEvSW_.numbered_sgpr, 0
	.set _ZN7rocprim17ROCPRIM_400000_NS6detail17trampoline_kernelINS0_14default_configENS1_22reduce_config_selectorIlEEZNS1_11reduce_implILb1ES3_N6thrust23THRUST_200600_302600_NS11hip_rocprim26transform_input_iterator_tIlNS8_12zip_iteratorINS8_5tupleINS8_6detail15normal_iteratorINS8_10device_ptrIjEEEESH_NS8_9null_typeESI_SI_SI_SI_SI_SI_SI_EEEENS9_21zip_adj_not_predicateI22is_equal_div_10_uniqueIjEEEEEPllNS8_4plusIlEEEE10hipError_tPvRmT1_T2_T3_mT4_P12ihipStream_tbEUlT_E1_NS1_11comp_targetILNS1_3genE8ELNS1_11target_archE1030ELNS1_3gpuE2ELNS1_3repE0EEENS1_30default_config_static_selectorELNS0_4arch9wavefront6targetE1EEEvSW_.num_named_barrier, 0
	.set _ZN7rocprim17ROCPRIM_400000_NS6detail17trampoline_kernelINS0_14default_configENS1_22reduce_config_selectorIlEEZNS1_11reduce_implILb1ES3_N6thrust23THRUST_200600_302600_NS11hip_rocprim26transform_input_iterator_tIlNS8_12zip_iteratorINS8_5tupleINS8_6detail15normal_iteratorINS8_10device_ptrIjEEEESH_NS8_9null_typeESI_SI_SI_SI_SI_SI_SI_EEEENS9_21zip_adj_not_predicateI22is_equal_div_10_uniqueIjEEEEEPllNS8_4plusIlEEEE10hipError_tPvRmT1_T2_T3_mT4_P12ihipStream_tbEUlT_E1_NS1_11comp_targetILNS1_3genE8ELNS1_11target_archE1030ELNS1_3gpuE2ELNS1_3repE0EEENS1_30default_config_static_selectorELNS0_4arch9wavefront6targetE1EEEvSW_.private_seg_size, 0
	.set _ZN7rocprim17ROCPRIM_400000_NS6detail17trampoline_kernelINS0_14default_configENS1_22reduce_config_selectorIlEEZNS1_11reduce_implILb1ES3_N6thrust23THRUST_200600_302600_NS11hip_rocprim26transform_input_iterator_tIlNS8_12zip_iteratorINS8_5tupleINS8_6detail15normal_iteratorINS8_10device_ptrIjEEEESH_NS8_9null_typeESI_SI_SI_SI_SI_SI_SI_EEEENS9_21zip_adj_not_predicateI22is_equal_div_10_uniqueIjEEEEEPllNS8_4plusIlEEEE10hipError_tPvRmT1_T2_T3_mT4_P12ihipStream_tbEUlT_E1_NS1_11comp_targetILNS1_3genE8ELNS1_11target_archE1030ELNS1_3gpuE2ELNS1_3repE0EEENS1_30default_config_static_selectorELNS0_4arch9wavefront6targetE1EEEvSW_.uses_vcc, 0
	.set _ZN7rocprim17ROCPRIM_400000_NS6detail17trampoline_kernelINS0_14default_configENS1_22reduce_config_selectorIlEEZNS1_11reduce_implILb1ES3_N6thrust23THRUST_200600_302600_NS11hip_rocprim26transform_input_iterator_tIlNS8_12zip_iteratorINS8_5tupleINS8_6detail15normal_iteratorINS8_10device_ptrIjEEEESH_NS8_9null_typeESI_SI_SI_SI_SI_SI_SI_EEEENS9_21zip_adj_not_predicateI22is_equal_div_10_uniqueIjEEEEEPllNS8_4plusIlEEEE10hipError_tPvRmT1_T2_T3_mT4_P12ihipStream_tbEUlT_E1_NS1_11comp_targetILNS1_3genE8ELNS1_11target_archE1030ELNS1_3gpuE2ELNS1_3repE0EEENS1_30default_config_static_selectorELNS0_4arch9wavefront6targetE1EEEvSW_.uses_flat_scratch, 0
	.set _ZN7rocprim17ROCPRIM_400000_NS6detail17trampoline_kernelINS0_14default_configENS1_22reduce_config_selectorIlEEZNS1_11reduce_implILb1ES3_N6thrust23THRUST_200600_302600_NS11hip_rocprim26transform_input_iterator_tIlNS8_12zip_iteratorINS8_5tupleINS8_6detail15normal_iteratorINS8_10device_ptrIjEEEESH_NS8_9null_typeESI_SI_SI_SI_SI_SI_SI_EEEENS9_21zip_adj_not_predicateI22is_equal_div_10_uniqueIjEEEEEPllNS8_4plusIlEEEE10hipError_tPvRmT1_T2_T3_mT4_P12ihipStream_tbEUlT_E1_NS1_11comp_targetILNS1_3genE8ELNS1_11target_archE1030ELNS1_3gpuE2ELNS1_3repE0EEENS1_30default_config_static_selectorELNS0_4arch9wavefront6targetE1EEEvSW_.has_dyn_sized_stack, 0
	.set _ZN7rocprim17ROCPRIM_400000_NS6detail17trampoline_kernelINS0_14default_configENS1_22reduce_config_selectorIlEEZNS1_11reduce_implILb1ES3_N6thrust23THRUST_200600_302600_NS11hip_rocprim26transform_input_iterator_tIlNS8_12zip_iteratorINS8_5tupleINS8_6detail15normal_iteratorINS8_10device_ptrIjEEEESH_NS8_9null_typeESI_SI_SI_SI_SI_SI_SI_EEEENS9_21zip_adj_not_predicateI22is_equal_div_10_uniqueIjEEEEEPllNS8_4plusIlEEEE10hipError_tPvRmT1_T2_T3_mT4_P12ihipStream_tbEUlT_E1_NS1_11comp_targetILNS1_3genE8ELNS1_11target_archE1030ELNS1_3gpuE2ELNS1_3repE0EEENS1_30default_config_static_selectorELNS0_4arch9wavefront6targetE1EEEvSW_.has_recursion, 0
	.set _ZN7rocprim17ROCPRIM_400000_NS6detail17trampoline_kernelINS0_14default_configENS1_22reduce_config_selectorIlEEZNS1_11reduce_implILb1ES3_N6thrust23THRUST_200600_302600_NS11hip_rocprim26transform_input_iterator_tIlNS8_12zip_iteratorINS8_5tupleINS8_6detail15normal_iteratorINS8_10device_ptrIjEEEESH_NS8_9null_typeESI_SI_SI_SI_SI_SI_SI_EEEENS9_21zip_adj_not_predicateI22is_equal_div_10_uniqueIjEEEEEPllNS8_4plusIlEEEE10hipError_tPvRmT1_T2_T3_mT4_P12ihipStream_tbEUlT_E1_NS1_11comp_targetILNS1_3genE8ELNS1_11target_archE1030ELNS1_3gpuE2ELNS1_3repE0EEENS1_30default_config_static_selectorELNS0_4arch9wavefront6targetE1EEEvSW_.has_indirect_call, 0
	.section	.AMDGPU.csdata,"",@progbits
; Kernel info:
; codeLenInByte = 0
; TotalNumSgprs: 4
; NumVgprs: 0
; ScratchSize: 0
; MemoryBound: 0
; FloatMode: 240
; IeeeMode: 1
; LDSByteSize: 0 bytes/workgroup (compile time only)
; SGPRBlocks: 0
; VGPRBlocks: 0
; NumSGPRsForWavesPerEU: 4
; NumVGPRsForWavesPerEU: 1
; Occupancy: 10
; WaveLimiterHint : 0
; COMPUTE_PGM_RSRC2:SCRATCH_EN: 0
; COMPUTE_PGM_RSRC2:USER_SGPR: 6
; COMPUTE_PGM_RSRC2:TRAP_HANDLER: 0
; COMPUTE_PGM_RSRC2:TGID_X_EN: 1
; COMPUTE_PGM_RSRC2:TGID_Y_EN: 0
; COMPUTE_PGM_RSRC2:TGID_Z_EN: 0
; COMPUTE_PGM_RSRC2:TIDIG_COMP_CNT: 0
	.section	.text._ZN7rocprim17ROCPRIM_400000_NS6detail17trampoline_kernelINS0_14default_configENS1_22reduce_config_selectorIlEEZNS1_11reduce_implILb1ES3_N6thrust23THRUST_200600_302600_NS11hip_rocprim26transform_input_iterator_tIlNS8_12zip_iteratorINS8_5tupleINS8_6detail15normal_iteratorINS8_10device_ptrItEEEESH_NS8_9null_typeESI_SI_SI_SI_SI_SI_SI_EEEENS9_21zip_adj_not_predicateINS8_8equal_toItEEEEEEPllNS8_4plusIlEEEE10hipError_tPvRmT1_T2_T3_mT4_P12ihipStream_tbEUlT_E0_NS1_11comp_targetILNS1_3genE0ELNS1_11target_archE4294967295ELNS1_3gpuE0ELNS1_3repE0EEENS1_30default_config_static_selectorELNS0_4arch9wavefront6targetE1EEEvSW_,"axG",@progbits,_ZN7rocprim17ROCPRIM_400000_NS6detail17trampoline_kernelINS0_14default_configENS1_22reduce_config_selectorIlEEZNS1_11reduce_implILb1ES3_N6thrust23THRUST_200600_302600_NS11hip_rocprim26transform_input_iterator_tIlNS8_12zip_iteratorINS8_5tupleINS8_6detail15normal_iteratorINS8_10device_ptrItEEEESH_NS8_9null_typeESI_SI_SI_SI_SI_SI_SI_EEEENS9_21zip_adj_not_predicateINS8_8equal_toItEEEEEEPllNS8_4plusIlEEEE10hipError_tPvRmT1_T2_T3_mT4_P12ihipStream_tbEUlT_E0_NS1_11comp_targetILNS1_3genE0ELNS1_11target_archE4294967295ELNS1_3gpuE0ELNS1_3repE0EEENS1_30default_config_static_selectorELNS0_4arch9wavefront6targetE1EEEvSW_,comdat
	.protected	_ZN7rocprim17ROCPRIM_400000_NS6detail17trampoline_kernelINS0_14default_configENS1_22reduce_config_selectorIlEEZNS1_11reduce_implILb1ES3_N6thrust23THRUST_200600_302600_NS11hip_rocprim26transform_input_iterator_tIlNS8_12zip_iteratorINS8_5tupleINS8_6detail15normal_iteratorINS8_10device_ptrItEEEESH_NS8_9null_typeESI_SI_SI_SI_SI_SI_SI_EEEENS9_21zip_adj_not_predicateINS8_8equal_toItEEEEEEPllNS8_4plusIlEEEE10hipError_tPvRmT1_T2_T3_mT4_P12ihipStream_tbEUlT_E0_NS1_11comp_targetILNS1_3genE0ELNS1_11target_archE4294967295ELNS1_3gpuE0ELNS1_3repE0EEENS1_30default_config_static_selectorELNS0_4arch9wavefront6targetE1EEEvSW_ ; -- Begin function _ZN7rocprim17ROCPRIM_400000_NS6detail17trampoline_kernelINS0_14default_configENS1_22reduce_config_selectorIlEEZNS1_11reduce_implILb1ES3_N6thrust23THRUST_200600_302600_NS11hip_rocprim26transform_input_iterator_tIlNS8_12zip_iteratorINS8_5tupleINS8_6detail15normal_iteratorINS8_10device_ptrItEEEESH_NS8_9null_typeESI_SI_SI_SI_SI_SI_SI_EEEENS9_21zip_adj_not_predicateINS8_8equal_toItEEEEEEPllNS8_4plusIlEEEE10hipError_tPvRmT1_T2_T3_mT4_P12ihipStream_tbEUlT_E0_NS1_11comp_targetILNS1_3genE0ELNS1_11target_archE4294967295ELNS1_3gpuE0ELNS1_3repE0EEENS1_30default_config_static_selectorELNS0_4arch9wavefront6targetE1EEEvSW_
	.globl	_ZN7rocprim17ROCPRIM_400000_NS6detail17trampoline_kernelINS0_14default_configENS1_22reduce_config_selectorIlEEZNS1_11reduce_implILb1ES3_N6thrust23THRUST_200600_302600_NS11hip_rocprim26transform_input_iterator_tIlNS8_12zip_iteratorINS8_5tupleINS8_6detail15normal_iteratorINS8_10device_ptrItEEEESH_NS8_9null_typeESI_SI_SI_SI_SI_SI_SI_EEEENS9_21zip_adj_not_predicateINS8_8equal_toItEEEEEEPllNS8_4plusIlEEEE10hipError_tPvRmT1_T2_T3_mT4_P12ihipStream_tbEUlT_E0_NS1_11comp_targetILNS1_3genE0ELNS1_11target_archE4294967295ELNS1_3gpuE0ELNS1_3repE0EEENS1_30default_config_static_selectorELNS0_4arch9wavefront6targetE1EEEvSW_
	.p2align	8
	.type	_ZN7rocprim17ROCPRIM_400000_NS6detail17trampoline_kernelINS0_14default_configENS1_22reduce_config_selectorIlEEZNS1_11reduce_implILb1ES3_N6thrust23THRUST_200600_302600_NS11hip_rocprim26transform_input_iterator_tIlNS8_12zip_iteratorINS8_5tupleINS8_6detail15normal_iteratorINS8_10device_ptrItEEEESH_NS8_9null_typeESI_SI_SI_SI_SI_SI_SI_EEEENS9_21zip_adj_not_predicateINS8_8equal_toItEEEEEEPllNS8_4plusIlEEEE10hipError_tPvRmT1_T2_T3_mT4_P12ihipStream_tbEUlT_E0_NS1_11comp_targetILNS1_3genE0ELNS1_11target_archE4294967295ELNS1_3gpuE0ELNS1_3repE0EEENS1_30default_config_static_selectorELNS0_4arch9wavefront6targetE1EEEvSW_,@function
_ZN7rocprim17ROCPRIM_400000_NS6detail17trampoline_kernelINS0_14default_configENS1_22reduce_config_selectorIlEEZNS1_11reduce_implILb1ES3_N6thrust23THRUST_200600_302600_NS11hip_rocprim26transform_input_iterator_tIlNS8_12zip_iteratorINS8_5tupleINS8_6detail15normal_iteratorINS8_10device_ptrItEEEESH_NS8_9null_typeESI_SI_SI_SI_SI_SI_SI_EEEENS9_21zip_adj_not_predicateINS8_8equal_toItEEEEEEPllNS8_4plusIlEEEE10hipError_tPvRmT1_T2_T3_mT4_P12ihipStream_tbEUlT_E0_NS1_11comp_targetILNS1_3genE0ELNS1_11target_archE4294967295ELNS1_3gpuE0ELNS1_3repE0EEENS1_30default_config_static_selectorELNS0_4arch9wavefront6targetE1EEEvSW_: ; @_ZN7rocprim17ROCPRIM_400000_NS6detail17trampoline_kernelINS0_14default_configENS1_22reduce_config_selectorIlEEZNS1_11reduce_implILb1ES3_N6thrust23THRUST_200600_302600_NS11hip_rocprim26transform_input_iterator_tIlNS8_12zip_iteratorINS8_5tupleINS8_6detail15normal_iteratorINS8_10device_ptrItEEEESH_NS8_9null_typeESI_SI_SI_SI_SI_SI_SI_EEEENS9_21zip_adj_not_predicateINS8_8equal_toItEEEEEEPllNS8_4plusIlEEEE10hipError_tPvRmT1_T2_T3_mT4_P12ihipStream_tbEUlT_E0_NS1_11comp_targetILNS1_3genE0ELNS1_11target_archE4294967295ELNS1_3gpuE0ELNS1_3repE0EEENS1_30default_config_static_selectorELNS0_4arch9wavefront6targetE1EEEvSW_
; %bb.0:
	.section	.rodata,"a",@progbits
	.p2align	6, 0x0
	.amdhsa_kernel _ZN7rocprim17ROCPRIM_400000_NS6detail17trampoline_kernelINS0_14default_configENS1_22reduce_config_selectorIlEEZNS1_11reduce_implILb1ES3_N6thrust23THRUST_200600_302600_NS11hip_rocprim26transform_input_iterator_tIlNS8_12zip_iteratorINS8_5tupleINS8_6detail15normal_iteratorINS8_10device_ptrItEEEESH_NS8_9null_typeESI_SI_SI_SI_SI_SI_SI_EEEENS9_21zip_adj_not_predicateINS8_8equal_toItEEEEEEPllNS8_4plusIlEEEE10hipError_tPvRmT1_T2_T3_mT4_P12ihipStream_tbEUlT_E0_NS1_11comp_targetILNS1_3genE0ELNS1_11target_archE4294967295ELNS1_3gpuE0ELNS1_3repE0EEENS1_30default_config_static_selectorELNS0_4arch9wavefront6targetE1EEEvSW_
		.amdhsa_group_segment_fixed_size 0
		.amdhsa_private_segment_fixed_size 0
		.amdhsa_kernarg_size 80
		.amdhsa_user_sgpr_count 6
		.amdhsa_user_sgpr_private_segment_buffer 1
		.amdhsa_user_sgpr_dispatch_ptr 0
		.amdhsa_user_sgpr_queue_ptr 0
		.amdhsa_user_sgpr_kernarg_segment_ptr 1
		.amdhsa_user_sgpr_dispatch_id 0
		.amdhsa_user_sgpr_flat_scratch_init 0
		.amdhsa_user_sgpr_private_segment_size 0
		.amdhsa_uses_dynamic_stack 0
		.amdhsa_system_sgpr_private_segment_wavefront_offset 0
		.amdhsa_system_sgpr_workgroup_id_x 1
		.amdhsa_system_sgpr_workgroup_id_y 0
		.amdhsa_system_sgpr_workgroup_id_z 0
		.amdhsa_system_sgpr_workgroup_info 0
		.amdhsa_system_vgpr_workitem_id 0
		.amdhsa_next_free_vgpr 1
		.amdhsa_next_free_sgpr 0
		.amdhsa_reserve_vcc 0
		.amdhsa_reserve_flat_scratch 0
		.amdhsa_float_round_mode_32 0
		.amdhsa_float_round_mode_16_64 0
		.amdhsa_float_denorm_mode_32 3
		.amdhsa_float_denorm_mode_16_64 3
		.amdhsa_dx10_clamp 1
		.amdhsa_ieee_mode 1
		.amdhsa_fp16_overflow 0
		.amdhsa_exception_fp_ieee_invalid_op 0
		.amdhsa_exception_fp_denorm_src 0
		.amdhsa_exception_fp_ieee_div_zero 0
		.amdhsa_exception_fp_ieee_overflow 0
		.amdhsa_exception_fp_ieee_underflow 0
		.amdhsa_exception_fp_ieee_inexact 0
		.amdhsa_exception_int_div_zero 0
	.end_amdhsa_kernel
	.section	.text._ZN7rocprim17ROCPRIM_400000_NS6detail17trampoline_kernelINS0_14default_configENS1_22reduce_config_selectorIlEEZNS1_11reduce_implILb1ES3_N6thrust23THRUST_200600_302600_NS11hip_rocprim26transform_input_iterator_tIlNS8_12zip_iteratorINS8_5tupleINS8_6detail15normal_iteratorINS8_10device_ptrItEEEESH_NS8_9null_typeESI_SI_SI_SI_SI_SI_SI_EEEENS9_21zip_adj_not_predicateINS8_8equal_toItEEEEEEPllNS8_4plusIlEEEE10hipError_tPvRmT1_T2_T3_mT4_P12ihipStream_tbEUlT_E0_NS1_11comp_targetILNS1_3genE0ELNS1_11target_archE4294967295ELNS1_3gpuE0ELNS1_3repE0EEENS1_30default_config_static_selectorELNS0_4arch9wavefront6targetE1EEEvSW_,"axG",@progbits,_ZN7rocprim17ROCPRIM_400000_NS6detail17trampoline_kernelINS0_14default_configENS1_22reduce_config_selectorIlEEZNS1_11reduce_implILb1ES3_N6thrust23THRUST_200600_302600_NS11hip_rocprim26transform_input_iterator_tIlNS8_12zip_iteratorINS8_5tupleINS8_6detail15normal_iteratorINS8_10device_ptrItEEEESH_NS8_9null_typeESI_SI_SI_SI_SI_SI_SI_EEEENS9_21zip_adj_not_predicateINS8_8equal_toItEEEEEEPllNS8_4plusIlEEEE10hipError_tPvRmT1_T2_T3_mT4_P12ihipStream_tbEUlT_E0_NS1_11comp_targetILNS1_3genE0ELNS1_11target_archE4294967295ELNS1_3gpuE0ELNS1_3repE0EEENS1_30default_config_static_selectorELNS0_4arch9wavefront6targetE1EEEvSW_,comdat
.Lfunc_end887:
	.size	_ZN7rocprim17ROCPRIM_400000_NS6detail17trampoline_kernelINS0_14default_configENS1_22reduce_config_selectorIlEEZNS1_11reduce_implILb1ES3_N6thrust23THRUST_200600_302600_NS11hip_rocprim26transform_input_iterator_tIlNS8_12zip_iteratorINS8_5tupleINS8_6detail15normal_iteratorINS8_10device_ptrItEEEESH_NS8_9null_typeESI_SI_SI_SI_SI_SI_SI_EEEENS9_21zip_adj_not_predicateINS8_8equal_toItEEEEEEPllNS8_4plusIlEEEE10hipError_tPvRmT1_T2_T3_mT4_P12ihipStream_tbEUlT_E0_NS1_11comp_targetILNS1_3genE0ELNS1_11target_archE4294967295ELNS1_3gpuE0ELNS1_3repE0EEENS1_30default_config_static_selectorELNS0_4arch9wavefront6targetE1EEEvSW_, .Lfunc_end887-_ZN7rocprim17ROCPRIM_400000_NS6detail17trampoline_kernelINS0_14default_configENS1_22reduce_config_selectorIlEEZNS1_11reduce_implILb1ES3_N6thrust23THRUST_200600_302600_NS11hip_rocprim26transform_input_iterator_tIlNS8_12zip_iteratorINS8_5tupleINS8_6detail15normal_iteratorINS8_10device_ptrItEEEESH_NS8_9null_typeESI_SI_SI_SI_SI_SI_SI_EEEENS9_21zip_adj_not_predicateINS8_8equal_toItEEEEEEPllNS8_4plusIlEEEE10hipError_tPvRmT1_T2_T3_mT4_P12ihipStream_tbEUlT_E0_NS1_11comp_targetILNS1_3genE0ELNS1_11target_archE4294967295ELNS1_3gpuE0ELNS1_3repE0EEENS1_30default_config_static_selectorELNS0_4arch9wavefront6targetE1EEEvSW_
                                        ; -- End function
	.set _ZN7rocprim17ROCPRIM_400000_NS6detail17trampoline_kernelINS0_14default_configENS1_22reduce_config_selectorIlEEZNS1_11reduce_implILb1ES3_N6thrust23THRUST_200600_302600_NS11hip_rocprim26transform_input_iterator_tIlNS8_12zip_iteratorINS8_5tupleINS8_6detail15normal_iteratorINS8_10device_ptrItEEEESH_NS8_9null_typeESI_SI_SI_SI_SI_SI_SI_EEEENS9_21zip_adj_not_predicateINS8_8equal_toItEEEEEEPllNS8_4plusIlEEEE10hipError_tPvRmT1_T2_T3_mT4_P12ihipStream_tbEUlT_E0_NS1_11comp_targetILNS1_3genE0ELNS1_11target_archE4294967295ELNS1_3gpuE0ELNS1_3repE0EEENS1_30default_config_static_selectorELNS0_4arch9wavefront6targetE1EEEvSW_.num_vgpr, 0
	.set _ZN7rocprim17ROCPRIM_400000_NS6detail17trampoline_kernelINS0_14default_configENS1_22reduce_config_selectorIlEEZNS1_11reduce_implILb1ES3_N6thrust23THRUST_200600_302600_NS11hip_rocprim26transform_input_iterator_tIlNS8_12zip_iteratorINS8_5tupleINS8_6detail15normal_iteratorINS8_10device_ptrItEEEESH_NS8_9null_typeESI_SI_SI_SI_SI_SI_SI_EEEENS9_21zip_adj_not_predicateINS8_8equal_toItEEEEEEPllNS8_4plusIlEEEE10hipError_tPvRmT1_T2_T3_mT4_P12ihipStream_tbEUlT_E0_NS1_11comp_targetILNS1_3genE0ELNS1_11target_archE4294967295ELNS1_3gpuE0ELNS1_3repE0EEENS1_30default_config_static_selectorELNS0_4arch9wavefront6targetE1EEEvSW_.num_agpr, 0
	.set _ZN7rocprim17ROCPRIM_400000_NS6detail17trampoline_kernelINS0_14default_configENS1_22reduce_config_selectorIlEEZNS1_11reduce_implILb1ES3_N6thrust23THRUST_200600_302600_NS11hip_rocprim26transform_input_iterator_tIlNS8_12zip_iteratorINS8_5tupleINS8_6detail15normal_iteratorINS8_10device_ptrItEEEESH_NS8_9null_typeESI_SI_SI_SI_SI_SI_SI_EEEENS9_21zip_adj_not_predicateINS8_8equal_toItEEEEEEPllNS8_4plusIlEEEE10hipError_tPvRmT1_T2_T3_mT4_P12ihipStream_tbEUlT_E0_NS1_11comp_targetILNS1_3genE0ELNS1_11target_archE4294967295ELNS1_3gpuE0ELNS1_3repE0EEENS1_30default_config_static_selectorELNS0_4arch9wavefront6targetE1EEEvSW_.numbered_sgpr, 0
	.set _ZN7rocprim17ROCPRIM_400000_NS6detail17trampoline_kernelINS0_14default_configENS1_22reduce_config_selectorIlEEZNS1_11reduce_implILb1ES3_N6thrust23THRUST_200600_302600_NS11hip_rocprim26transform_input_iterator_tIlNS8_12zip_iteratorINS8_5tupleINS8_6detail15normal_iteratorINS8_10device_ptrItEEEESH_NS8_9null_typeESI_SI_SI_SI_SI_SI_SI_EEEENS9_21zip_adj_not_predicateINS8_8equal_toItEEEEEEPllNS8_4plusIlEEEE10hipError_tPvRmT1_T2_T3_mT4_P12ihipStream_tbEUlT_E0_NS1_11comp_targetILNS1_3genE0ELNS1_11target_archE4294967295ELNS1_3gpuE0ELNS1_3repE0EEENS1_30default_config_static_selectorELNS0_4arch9wavefront6targetE1EEEvSW_.num_named_barrier, 0
	.set _ZN7rocprim17ROCPRIM_400000_NS6detail17trampoline_kernelINS0_14default_configENS1_22reduce_config_selectorIlEEZNS1_11reduce_implILb1ES3_N6thrust23THRUST_200600_302600_NS11hip_rocprim26transform_input_iterator_tIlNS8_12zip_iteratorINS8_5tupleINS8_6detail15normal_iteratorINS8_10device_ptrItEEEESH_NS8_9null_typeESI_SI_SI_SI_SI_SI_SI_EEEENS9_21zip_adj_not_predicateINS8_8equal_toItEEEEEEPllNS8_4plusIlEEEE10hipError_tPvRmT1_T2_T3_mT4_P12ihipStream_tbEUlT_E0_NS1_11comp_targetILNS1_3genE0ELNS1_11target_archE4294967295ELNS1_3gpuE0ELNS1_3repE0EEENS1_30default_config_static_selectorELNS0_4arch9wavefront6targetE1EEEvSW_.private_seg_size, 0
	.set _ZN7rocprim17ROCPRIM_400000_NS6detail17trampoline_kernelINS0_14default_configENS1_22reduce_config_selectorIlEEZNS1_11reduce_implILb1ES3_N6thrust23THRUST_200600_302600_NS11hip_rocprim26transform_input_iterator_tIlNS8_12zip_iteratorINS8_5tupleINS8_6detail15normal_iteratorINS8_10device_ptrItEEEESH_NS8_9null_typeESI_SI_SI_SI_SI_SI_SI_EEEENS9_21zip_adj_not_predicateINS8_8equal_toItEEEEEEPllNS8_4plusIlEEEE10hipError_tPvRmT1_T2_T3_mT4_P12ihipStream_tbEUlT_E0_NS1_11comp_targetILNS1_3genE0ELNS1_11target_archE4294967295ELNS1_3gpuE0ELNS1_3repE0EEENS1_30default_config_static_selectorELNS0_4arch9wavefront6targetE1EEEvSW_.uses_vcc, 0
	.set _ZN7rocprim17ROCPRIM_400000_NS6detail17trampoline_kernelINS0_14default_configENS1_22reduce_config_selectorIlEEZNS1_11reduce_implILb1ES3_N6thrust23THRUST_200600_302600_NS11hip_rocprim26transform_input_iterator_tIlNS8_12zip_iteratorINS8_5tupleINS8_6detail15normal_iteratorINS8_10device_ptrItEEEESH_NS8_9null_typeESI_SI_SI_SI_SI_SI_SI_EEEENS9_21zip_adj_not_predicateINS8_8equal_toItEEEEEEPllNS8_4plusIlEEEE10hipError_tPvRmT1_T2_T3_mT4_P12ihipStream_tbEUlT_E0_NS1_11comp_targetILNS1_3genE0ELNS1_11target_archE4294967295ELNS1_3gpuE0ELNS1_3repE0EEENS1_30default_config_static_selectorELNS0_4arch9wavefront6targetE1EEEvSW_.uses_flat_scratch, 0
	.set _ZN7rocprim17ROCPRIM_400000_NS6detail17trampoline_kernelINS0_14default_configENS1_22reduce_config_selectorIlEEZNS1_11reduce_implILb1ES3_N6thrust23THRUST_200600_302600_NS11hip_rocprim26transform_input_iterator_tIlNS8_12zip_iteratorINS8_5tupleINS8_6detail15normal_iteratorINS8_10device_ptrItEEEESH_NS8_9null_typeESI_SI_SI_SI_SI_SI_SI_EEEENS9_21zip_adj_not_predicateINS8_8equal_toItEEEEEEPllNS8_4plusIlEEEE10hipError_tPvRmT1_T2_T3_mT4_P12ihipStream_tbEUlT_E0_NS1_11comp_targetILNS1_3genE0ELNS1_11target_archE4294967295ELNS1_3gpuE0ELNS1_3repE0EEENS1_30default_config_static_selectorELNS0_4arch9wavefront6targetE1EEEvSW_.has_dyn_sized_stack, 0
	.set _ZN7rocprim17ROCPRIM_400000_NS6detail17trampoline_kernelINS0_14default_configENS1_22reduce_config_selectorIlEEZNS1_11reduce_implILb1ES3_N6thrust23THRUST_200600_302600_NS11hip_rocprim26transform_input_iterator_tIlNS8_12zip_iteratorINS8_5tupleINS8_6detail15normal_iteratorINS8_10device_ptrItEEEESH_NS8_9null_typeESI_SI_SI_SI_SI_SI_SI_EEEENS9_21zip_adj_not_predicateINS8_8equal_toItEEEEEEPllNS8_4plusIlEEEE10hipError_tPvRmT1_T2_T3_mT4_P12ihipStream_tbEUlT_E0_NS1_11comp_targetILNS1_3genE0ELNS1_11target_archE4294967295ELNS1_3gpuE0ELNS1_3repE0EEENS1_30default_config_static_selectorELNS0_4arch9wavefront6targetE1EEEvSW_.has_recursion, 0
	.set _ZN7rocprim17ROCPRIM_400000_NS6detail17trampoline_kernelINS0_14default_configENS1_22reduce_config_selectorIlEEZNS1_11reduce_implILb1ES3_N6thrust23THRUST_200600_302600_NS11hip_rocprim26transform_input_iterator_tIlNS8_12zip_iteratorINS8_5tupleINS8_6detail15normal_iteratorINS8_10device_ptrItEEEESH_NS8_9null_typeESI_SI_SI_SI_SI_SI_SI_EEEENS9_21zip_adj_not_predicateINS8_8equal_toItEEEEEEPllNS8_4plusIlEEEE10hipError_tPvRmT1_T2_T3_mT4_P12ihipStream_tbEUlT_E0_NS1_11comp_targetILNS1_3genE0ELNS1_11target_archE4294967295ELNS1_3gpuE0ELNS1_3repE0EEENS1_30default_config_static_selectorELNS0_4arch9wavefront6targetE1EEEvSW_.has_indirect_call, 0
	.section	.AMDGPU.csdata,"",@progbits
; Kernel info:
; codeLenInByte = 0
; TotalNumSgprs: 4
; NumVgprs: 0
; ScratchSize: 0
; MemoryBound: 0
; FloatMode: 240
; IeeeMode: 1
; LDSByteSize: 0 bytes/workgroup (compile time only)
; SGPRBlocks: 0
; VGPRBlocks: 0
; NumSGPRsForWavesPerEU: 4
; NumVGPRsForWavesPerEU: 1
; Occupancy: 10
; WaveLimiterHint : 0
; COMPUTE_PGM_RSRC2:SCRATCH_EN: 0
; COMPUTE_PGM_RSRC2:USER_SGPR: 6
; COMPUTE_PGM_RSRC2:TRAP_HANDLER: 0
; COMPUTE_PGM_RSRC2:TGID_X_EN: 1
; COMPUTE_PGM_RSRC2:TGID_Y_EN: 0
; COMPUTE_PGM_RSRC2:TGID_Z_EN: 0
; COMPUTE_PGM_RSRC2:TIDIG_COMP_CNT: 0
	.section	.text._ZN7rocprim17ROCPRIM_400000_NS6detail17trampoline_kernelINS0_14default_configENS1_22reduce_config_selectorIlEEZNS1_11reduce_implILb1ES3_N6thrust23THRUST_200600_302600_NS11hip_rocprim26transform_input_iterator_tIlNS8_12zip_iteratorINS8_5tupleINS8_6detail15normal_iteratorINS8_10device_ptrItEEEESH_NS8_9null_typeESI_SI_SI_SI_SI_SI_SI_EEEENS9_21zip_adj_not_predicateINS8_8equal_toItEEEEEEPllNS8_4plusIlEEEE10hipError_tPvRmT1_T2_T3_mT4_P12ihipStream_tbEUlT_E0_NS1_11comp_targetILNS1_3genE5ELNS1_11target_archE942ELNS1_3gpuE9ELNS1_3repE0EEENS1_30default_config_static_selectorELNS0_4arch9wavefront6targetE1EEEvSW_,"axG",@progbits,_ZN7rocprim17ROCPRIM_400000_NS6detail17trampoline_kernelINS0_14default_configENS1_22reduce_config_selectorIlEEZNS1_11reduce_implILb1ES3_N6thrust23THRUST_200600_302600_NS11hip_rocprim26transform_input_iterator_tIlNS8_12zip_iteratorINS8_5tupleINS8_6detail15normal_iteratorINS8_10device_ptrItEEEESH_NS8_9null_typeESI_SI_SI_SI_SI_SI_SI_EEEENS9_21zip_adj_not_predicateINS8_8equal_toItEEEEEEPllNS8_4plusIlEEEE10hipError_tPvRmT1_T2_T3_mT4_P12ihipStream_tbEUlT_E0_NS1_11comp_targetILNS1_3genE5ELNS1_11target_archE942ELNS1_3gpuE9ELNS1_3repE0EEENS1_30default_config_static_selectorELNS0_4arch9wavefront6targetE1EEEvSW_,comdat
	.protected	_ZN7rocprim17ROCPRIM_400000_NS6detail17trampoline_kernelINS0_14default_configENS1_22reduce_config_selectorIlEEZNS1_11reduce_implILb1ES3_N6thrust23THRUST_200600_302600_NS11hip_rocprim26transform_input_iterator_tIlNS8_12zip_iteratorINS8_5tupleINS8_6detail15normal_iteratorINS8_10device_ptrItEEEESH_NS8_9null_typeESI_SI_SI_SI_SI_SI_SI_EEEENS9_21zip_adj_not_predicateINS8_8equal_toItEEEEEEPllNS8_4plusIlEEEE10hipError_tPvRmT1_T2_T3_mT4_P12ihipStream_tbEUlT_E0_NS1_11comp_targetILNS1_3genE5ELNS1_11target_archE942ELNS1_3gpuE9ELNS1_3repE0EEENS1_30default_config_static_selectorELNS0_4arch9wavefront6targetE1EEEvSW_ ; -- Begin function _ZN7rocprim17ROCPRIM_400000_NS6detail17trampoline_kernelINS0_14default_configENS1_22reduce_config_selectorIlEEZNS1_11reduce_implILb1ES3_N6thrust23THRUST_200600_302600_NS11hip_rocprim26transform_input_iterator_tIlNS8_12zip_iteratorINS8_5tupleINS8_6detail15normal_iteratorINS8_10device_ptrItEEEESH_NS8_9null_typeESI_SI_SI_SI_SI_SI_SI_EEEENS9_21zip_adj_not_predicateINS8_8equal_toItEEEEEEPllNS8_4plusIlEEEE10hipError_tPvRmT1_T2_T3_mT4_P12ihipStream_tbEUlT_E0_NS1_11comp_targetILNS1_3genE5ELNS1_11target_archE942ELNS1_3gpuE9ELNS1_3repE0EEENS1_30default_config_static_selectorELNS0_4arch9wavefront6targetE1EEEvSW_
	.globl	_ZN7rocprim17ROCPRIM_400000_NS6detail17trampoline_kernelINS0_14default_configENS1_22reduce_config_selectorIlEEZNS1_11reduce_implILb1ES3_N6thrust23THRUST_200600_302600_NS11hip_rocprim26transform_input_iterator_tIlNS8_12zip_iteratorINS8_5tupleINS8_6detail15normal_iteratorINS8_10device_ptrItEEEESH_NS8_9null_typeESI_SI_SI_SI_SI_SI_SI_EEEENS9_21zip_adj_not_predicateINS8_8equal_toItEEEEEEPllNS8_4plusIlEEEE10hipError_tPvRmT1_T2_T3_mT4_P12ihipStream_tbEUlT_E0_NS1_11comp_targetILNS1_3genE5ELNS1_11target_archE942ELNS1_3gpuE9ELNS1_3repE0EEENS1_30default_config_static_selectorELNS0_4arch9wavefront6targetE1EEEvSW_
	.p2align	8
	.type	_ZN7rocprim17ROCPRIM_400000_NS6detail17trampoline_kernelINS0_14default_configENS1_22reduce_config_selectorIlEEZNS1_11reduce_implILb1ES3_N6thrust23THRUST_200600_302600_NS11hip_rocprim26transform_input_iterator_tIlNS8_12zip_iteratorINS8_5tupleINS8_6detail15normal_iteratorINS8_10device_ptrItEEEESH_NS8_9null_typeESI_SI_SI_SI_SI_SI_SI_EEEENS9_21zip_adj_not_predicateINS8_8equal_toItEEEEEEPllNS8_4plusIlEEEE10hipError_tPvRmT1_T2_T3_mT4_P12ihipStream_tbEUlT_E0_NS1_11comp_targetILNS1_3genE5ELNS1_11target_archE942ELNS1_3gpuE9ELNS1_3repE0EEENS1_30default_config_static_selectorELNS0_4arch9wavefront6targetE1EEEvSW_,@function
_ZN7rocprim17ROCPRIM_400000_NS6detail17trampoline_kernelINS0_14default_configENS1_22reduce_config_selectorIlEEZNS1_11reduce_implILb1ES3_N6thrust23THRUST_200600_302600_NS11hip_rocprim26transform_input_iterator_tIlNS8_12zip_iteratorINS8_5tupleINS8_6detail15normal_iteratorINS8_10device_ptrItEEEESH_NS8_9null_typeESI_SI_SI_SI_SI_SI_SI_EEEENS9_21zip_adj_not_predicateINS8_8equal_toItEEEEEEPllNS8_4plusIlEEEE10hipError_tPvRmT1_T2_T3_mT4_P12ihipStream_tbEUlT_E0_NS1_11comp_targetILNS1_3genE5ELNS1_11target_archE942ELNS1_3gpuE9ELNS1_3repE0EEENS1_30default_config_static_selectorELNS0_4arch9wavefront6targetE1EEEvSW_: ; @_ZN7rocprim17ROCPRIM_400000_NS6detail17trampoline_kernelINS0_14default_configENS1_22reduce_config_selectorIlEEZNS1_11reduce_implILb1ES3_N6thrust23THRUST_200600_302600_NS11hip_rocprim26transform_input_iterator_tIlNS8_12zip_iteratorINS8_5tupleINS8_6detail15normal_iteratorINS8_10device_ptrItEEEESH_NS8_9null_typeESI_SI_SI_SI_SI_SI_SI_EEEENS9_21zip_adj_not_predicateINS8_8equal_toItEEEEEEPllNS8_4plusIlEEEE10hipError_tPvRmT1_T2_T3_mT4_P12ihipStream_tbEUlT_E0_NS1_11comp_targetILNS1_3genE5ELNS1_11target_archE942ELNS1_3gpuE9ELNS1_3repE0EEENS1_30default_config_static_selectorELNS0_4arch9wavefront6targetE1EEEvSW_
; %bb.0:
	.section	.rodata,"a",@progbits
	.p2align	6, 0x0
	.amdhsa_kernel _ZN7rocprim17ROCPRIM_400000_NS6detail17trampoline_kernelINS0_14default_configENS1_22reduce_config_selectorIlEEZNS1_11reduce_implILb1ES3_N6thrust23THRUST_200600_302600_NS11hip_rocprim26transform_input_iterator_tIlNS8_12zip_iteratorINS8_5tupleINS8_6detail15normal_iteratorINS8_10device_ptrItEEEESH_NS8_9null_typeESI_SI_SI_SI_SI_SI_SI_EEEENS9_21zip_adj_not_predicateINS8_8equal_toItEEEEEEPllNS8_4plusIlEEEE10hipError_tPvRmT1_T2_T3_mT4_P12ihipStream_tbEUlT_E0_NS1_11comp_targetILNS1_3genE5ELNS1_11target_archE942ELNS1_3gpuE9ELNS1_3repE0EEENS1_30default_config_static_selectorELNS0_4arch9wavefront6targetE1EEEvSW_
		.amdhsa_group_segment_fixed_size 0
		.amdhsa_private_segment_fixed_size 0
		.amdhsa_kernarg_size 80
		.amdhsa_user_sgpr_count 6
		.amdhsa_user_sgpr_private_segment_buffer 1
		.amdhsa_user_sgpr_dispatch_ptr 0
		.amdhsa_user_sgpr_queue_ptr 0
		.amdhsa_user_sgpr_kernarg_segment_ptr 1
		.amdhsa_user_sgpr_dispatch_id 0
		.amdhsa_user_sgpr_flat_scratch_init 0
		.amdhsa_user_sgpr_private_segment_size 0
		.amdhsa_uses_dynamic_stack 0
		.amdhsa_system_sgpr_private_segment_wavefront_offset 0
		.amdhsa_system_sgpr_workgroup_id_x 1
		.amdhsa_system_sgpr_workgroup_id_y 0
		.amdhsa_system_sgpr_workgroup_id_z 0
		.amdhsa_system_sgpr_workgroup_info 0
		.amdhsa_system_vgpr_workitem_id 0
		.amdhsa_next_free_vgpr 1
		.amdhsa_next_free_sgpr 0
		.amdhsa_reserve_vcc 0
		.amdhsa_reserve_flat_scratch 0
		.amdhsa_float_round_mode_32 0
		.amdhsa_float_round_mode_16_64 0
		.amdhsa_float_denorm_mode_32 3
		.amdhsa_float_denorm_mode_16_64 3
		.amdhsa_dx10_clamp 1
		.amdhsa_ieee_mode 1
		.amdhsa_fp16_overflow 0
		.amdhsa_exception_fp_ieee_invalid_op 0
		.amdhsa_exception_fp_denorm_src 0
		.amdhsa_exception_fp_ieee_div_zero 0
		.amdhsa_exception_fp_ieee_overflow 0
		.amdhsa_exception_fp_ieee_underflow 0
		.amdhsa_exception_fp_ieee_inexact 0
		.amdhsa_exception_int_div_zero 0
	.end_amdhsa_kernel
	.section	.text._ZN7rocprim17ROCPRIM_400000_NS6detail17trampoline_kernelINS0_14default_configENS1_22reduce_config_selectorIlEEZNS1_11reduce_implILb1ES3_N6thrust23THRUST_200600_302600_NS11hip_rocprim26transform_input_iterator_tIlNS8_12zip_iteratorINS8_5tupleINS8_6detail15normal_iteratorINS8_10device_ptrItEEEESH_NS8_9null_typeESI_SI_SI_SI_SI_SI_SI_EEEENS9_21zip_adj_not_predicateINS8_8equal_toItEEEEEEPllNS8_4plusIlEEEE10hipError_tPvRmT1_T2_T3_mT4_P12ihipStream_tbEUlT_E0_NS1_11comp_targetILNS1_3genE5ELNS1_11target_archE942ELNS1_3gpuE9ELNS1_3repE0EEENS1_30default_config_static_selectorELNS0_4arch9wavefront6targetE1EEEvSW_,"axG",@progbits,_ZN7rocprim17ROCPRIM_400000_NS6detail17trampoline_kernelINS0_14default_configENS1_22reduce_config_selectorIlEEZNS1_11reduce_implILb1ES3_N6thrust23THRUST_200600_302600_NS11hip_rocprim26transform_input_iterator_tIlNS8_12zip_iteratorINS8_5tupleINS8_6detail15normal_iteratorINS8_10device_ptrItEEEESH_NS8_9null_typeESI_SI_SI_SI_SI_SI_SI_EEEENS9_21zip_adj_not_predicateINS8_8equal_toItEEEEEEPllNS8_4plusIlEEEE10hipError_tPvRmT1_T2_T3_mT4_P12ihipStream_tbEUlT_E0_NS1_11comp_targetILNS1_3genE5ELNS1_11target_archE942ELNS1_3gpuE9ELNS1_3repE0EEENS1_30default_config_static_selectorELNS0_4arch9wavefront6targetE1EEEvSW_,comdat
.Lfunc_end888:
	.size	_ZN7rocprim17ROCPRIM_400000_NS6detail17trampoline_kernelINS0_14default_configENS1_22reduce_config_selectorIlEEZNS1_11reduce_implILb1ES3_N6thrust23THRUST_200600_302600_NS11hip_rocprim26transform_input_iterator_tIlNS8_12zip_iteratorINS8_5tupleINS8_6detail15normal_iteratorINS8_10device_ptrItEEEESH_NS8_9null_typeESI_SI_SI_SI_SI_SI_SI_EEEENS9_21zip_adj_not_predicateINS8_8equal_toItEEEEEEPllNS8_4plusIlEEEE10hipError_tPvRmT1_T2_T3_mT4_P12ihipStream_tbEUlT_E0_NS1_11comp_targetILNS1_3genE5ELNS1_11target_archE942ELNS1_3gpuE9ELNS1_3repE0EEENS1_30default_config_static_selectorELNS0_4arch9wavefront6targetE1EEEvSW_, .Lfunc_end888-_ZN7rocprim17ROCPRIM_400000_NS6detail17trampoline_kernelINS0_14default_configENS1_22reduce_config_selectorIlEEZNS1_11reduce_implILb1ES3_N6thrust23THRUST_200600_302600_NS11hip_rocprim26transform_input_iterator_tIlNS8_12zip_iteratorINS8_5tupleINS8_6detail15normal_iteratorINS8_10device_ptrItEEEESH_NS8_9null_typeESI_SI_SI_SI_SI_SI_SI_EEEENS9_21zip_adj_not_predicateINS8_8equal_toItEEEEEEPllNS8_4plusIlEEEE10hipError_tPvRmT1_T2_T3_mT4_P12ihipStream_tbEUlT_E0_NS1_11comp_targetILNS1_3genE5ELNS1_11target_archE942ELNS1_3gpuE9ELNS1_3repE0EEENS1_30default_config_static_selectorELNS0_4arch9wavefront6targetE1EEEvSW_
                                        ; -- End function
	.set _ZN7rocprim17ROCPRIM_400000_NS6detail17trampoline_kernelINS0_14default_configENS1_22reduce_config_selectorIlEEZNS1_11reduce_implILb1ES3_N6thrust23THRUST_200600_302600_NS11hip_rocprim26transform_input_iterator_tIlNS8_12zip_iteratorINS8_5tupleINS8_6detail15normal_iteratorINS8_10device_ptrItEEEESH_NS8_9null_typeESI_SI_SI_SI_SI_SI_SI_EEEENS9_21zip_adj_not_predicateINS8_8equal_toItEEEEEEPllNS8_4plusIlEEEE10hipError_tPvRmT1_T2_T3_mT4_P12ihipStream_tbEUlT_E0_NS1_11comp_targetILNS1_3genE5ELNS1_11target_archE942ELNS1_3gpuE9ELNS1_3repE0EEENS1_30default_config_static_selectorELNS0_4arch9wavefront6targetE1EEEvSW_.num_vgpr, 0
	.set _ZN7rocprim17ROCPRIM_400000_NS6detail17trampoline_kernelINS0_14default_configENS1_22reduce_config_selectorIlEEZNS1_11reduce_implILb1ES3_N6thrust23THRUST_200600_302600_NS11hip_rocprim26transform_input_iterator_tIlNS8_12zip_iteratorINS8_5tupleINS8_6detail15normal_iteratorINS8_10device_ptrItEEEESH_NS8_9null_typeESI_SI_SI_SI_SI_SI_SI_EEEENS9_21zip_adj_not_predicateINS8_8equal_toItEEEEEEPllNS8_4plusIlEEEE10hipError_tPvRmT1_T2_T3_mT4_P12ihipStream_tbEUlT_E0_NS1_11comp_targetILNS1_3genE5ELNS1_11target_archE942ELNS1_3gpuE9ELNS1_3repE0EEENS1_30default_config_static_selectorELNS0_4arch9wavefront6targetE1EEEvSW_.num_agpr, 0
	.set _ZN7rocprim17ROCPRIM_400000_NS6detail17trampoline_kernelINS0_14default_configENS1_22reduce_config_selectorIlEEZNS1_11reduce_implILb1ES3_N6thrust23THRUST_200600_302600_NS11hip_rocprim26transform_input_iterator_tIlNS8_12zip_iteratorINS8_5tupleINS8_6detail15normal_iteratorINS8_10device_ptrItEEEESH_NS8_9null_typeESI_SI_SI_SI_SI_SI_SI_EEEENS9_21zip_adj_not_predicateINS8_8equal_toItEEEEEEPllNS8_4plusIlEEEE10hipError_tPvRmT1_T2_T3_mT4_P12ihipStream_tbEUlT_E0_NS1_11comp_targetILNS1_3genE5ELNS1_11target_archE942ELNS1_3gpuE9ELNS1_3repE0EEENS1_30default_config_static_selectorELNS0_4arch9wavefront6targetE1EEEvSW_.numbered_sgpr, 0
	.set _ZN7rocprim17ROCPRIM_400000_NS6detail17trampoline_kernelINS0_14default_configENS1_22reduce_config_selectorIlEEZNS1_11reduce_implILb1ES3_N6thrust23THRUST_200600_302600_NS11hip_rocprim26transform_input_iterator_tIlNS8_12zip_iteratorINS8_5tupleINS8_6detail15normal_iteratorINS8_10device_ptrItEEEESH_NS8_9null_typeESI_SI_SI_SI_SI_SI_SI_EEEENS9_21zip_adj_not_predicateINS8_8equal_toItEEEEEEPllNS8_4plusIlEEEE10hipError_tPvRmT1_T2_T3_mT4_P12ihipStream_tbEUlT_E0_NS1_11comp_targetILNS1_3genE5ELNS1_11target_archE942ELNS1_3gpuE9ELNS1_3repE0EEENS1_30default_config_static_selectorELNS0_4arch9wavefront6targetE1EEEvSW_.num_named_barrier, 0
	.set _ZN7rocprim17ROCPRIM_400000_NS6detail17trampoline_kernelINS0_14default_configENS1_22reduce_config_selectorIlEEZNS1_11reduce_implILb1ES3_N6thrust23THRUST_200600_302600_NS11hip_rocprim26transform_input_iterator_tIlNS8_12zip_iteratorINS8_5tupleINS8_6detail15normal_iteratorINS8_10device_ptrItEEEESH_NS8_9null_typeESI_SI_SI_SI_SI_SI_SI_EEEENS9_21zip_adj_not_predicateINS8_8equal_toItEEEEEEPllNS8_4plusIlEEEE10hipError_tPvRmT1_T2_T3_mT4_P12ihipStream_tbEUlT_E0_NS1_11comp_targetILNS1_3genE5ELNS1_11target_archE942ELNS1_3gpuE9ELNS1_3repE0EEENS1_30default_config_static_selectorELNS0_4arch9wavefront6targetE1EEEvSW_.private_seg_size, 0
	.set _ZN7rocprim17ROCPRIM_400000_NS6detail17trampoline_kernelINS0_14default_configENS1_22reduce_config_selectorIlEEZNS1_11reduce_implILb1ES3_N6thrust23THRUST_200600_302600_NS11hip_rocprim26transform_input_iterator_tIlNS8_12zip_iteratorINS8_5tupleINS8_6detail15normal_iteratorINS8_10device_ptrItEEEESH_NS8_9null_typeESI_SI_SI_SI_SI_SI_SI_EEEENS9_21zip_adj_not_predicateINS8_8equal_toItEEEEEEPllNS8_4plusIlEEEE10hipError_tPvRmT1_T2_T3_mT4_P12ihipStream_tbEUlT_E0_NS1_11comp_targetILNS1_3genE5ELNS1_11target_archE942ELNS1_3gpuE9ELNS1_3repE0EEENS1_30default_config_static_selectorELNS0_4arch9wavefront6targetE1EEEvSW_.uses_vcc, 0
	.set _ZN7rocprim17ROCPRIM_400000_NS6detail17trampoline_kernelINS0_14default_configENS1_22reduce_config_selectorIlEEZNS1_11reduce_implILb1ES3_N6thrust23THRUST_200600_302600_NS11hip_rocprim26transform_input_iterator_tIlNS8_12zip_iteratorINS8_5tupleINS8_6detail15normal_iteratorINS8_10device_ptrItEEEESH_NS8_9null_typeESI_SI_SI_SI_SI_SI_SI_EEEENS9_21zip_adj_not_predicateINS8_8equal_toItEEEEEEPllNS8_4plusIlEEEE10hipError_tPvRmT1_T2_T3_mT4_P12ihipStream_tbEUlT_E0_NS1_11comp_targetILNS1_3genE5ELNS1_11target_archE942ELNS1_3gpuE9ELNS1_3repE0EEENS1_30default_config_static_selectorELNS0_4arch9wavefront6targetE1EEEvSW_.uses_flat_scratch, 0
	.set _ZN7rocprim17ROCPRIM_400000_NS6detail17trampoline_kernelINS0_14default_configENS1_22reduce_config_selectorIlEEZNS1_11reduce_implILb1ES3_N6thrust23THRUST_200600_302600_NS11hip_rocprim26transform_input_iterator_tIlNS8_12zip_iteratorINS8_5tupleINS8_6detail15normal_iteratorINS8_10device_ptrItEEEESH_NS8_9null_typeESI_SI_SI_SI_SI_SI_SI_EEEENS9_21zip_adj_not_predicateINS8_8equal_toItEEEEEEPllNS8_4plusIlEEEE10hipError_tPvRmT1_T2_T3_mT4_P12ihipStream_tbEUlT_E0_NS1_11comp_targetILNS1_3genE5ELNS1_11target_archE942ELNS1_3gpuE9ELNS1_3repE0EEENS1_30default_config_static_selectorELNS0_4arch9wavefront6targetE1EEEvSW_.has_dyn_sized_stack, 0
	.set _ZN7rocprim17ROCPRIM_400000_NS6detail17trampoline_kernelINS0_14default_configENS1_22reduce_config_selectorIlEEZNS1_11reduce_implILb1ES3_N6thrust23THRUST_200600_302600_NS11hip_rocprim26transform_input_iterator_tIlNS8_12zip_iteratorINS8_5tupleINS8_6detail15normal_iteratorINS8_10device_ptrItEEEESH_NS8_9null_typeESI_SI_SI_SI_SI_SI_SI_EEEENS9_21zip_adj_not_predicateINS8_8equal_toItEEEEEEPllNS8_4plusIlEEEE10hipError_tPvRmT1_T2_T3_mT4_P12ihipStream_tbEUlT_E0_NS1_11comp_targetILNS1_3genE5ELNS1_11target_archE942ELNS1_3gpuE9ELNS1_3repE0EEENS1_30default_config_static_selectorELNS0_4arch9wavefront6targetE1EEEvSW_.has_recursion, 0
	.set _ZN7rocprim17ROCPRIM_400000_NS6detail17trampoline_kernelINS0_14default_configENS1_22reduce_config_selectorIlEEZNS1_11reduce_implILb1ES3_N6thrust23THRUST_200600_302600_NS11hip_rocprim26transform_input_iterator_tIlNS8_12zip_iteratorINS8_5tupleINS8_6detail15normal_iteratorINS8_10device_ptrItEEEESH_NS8_9null_typeESI_SI_SI_SI_SI_SI_SI_EEEENS9_21zip_adj_not_predicateINS8_8equal_toItEEEEEEPllNS8_4plusIlEEEE10hipError_tPvRmT1_T2_T3_mT4_P12ihipStream_tbEUlT_E0_NS1_11comp_targetILNS1_3genE5ELNS1_11target_archE942ELNS1_3gpuE9ELNS1_3repE0EEENS1_30default_config_static_selectorELNS0_4arch9wavefront6targetE1EEEvSW_.has_indirect_call, 0
	.section	.AMDGPU.csdata,"",@progbits
; Kernel info:
; codeLenInByte = 0
; TotalNumSgprs: 4
; NumVgprs: 0
; ScratchSize: 0
; MemoryBound: 0
; FloatMode: 240
; IeeeMode: 1
; LDSByteSize: 0 bytes/workgroup (compile time only)
; SGPRBlocks: 0
; VGPRBlocks: 0
; NumSGPRsForWavesPerEU: 4
; NumVGPRsForWavesPerEU: 1
; Occupancy: 10
; WaveLimiterHint : 0
; COMPUTE_PGM_RSRC2:SCRATCH_EN: 0
; COMPUTE_PGM_RSRC2:USER_SGPR: 6
; COMPUTE_PGM_RSRC2:TRAP_HANDLER: 0
; COMPUTE_PGM_RSRC2:TGID_X_EN: 1
; COMPUTE_PGM_RSRC2:TGID_Y_EN: 0
; COMPUTE_PGM_RSRC2:TGID_Z_EN: 0
; COMPUTE_PGM_RSRC2:TIDIG_COMP_CNT: 0
	.section	.text._ZN7rocprim17ROCPRIM_400000_NS6detail17trampoline_kernelINS0_14default_configENS1_22reduce_config_selectorIlEEZNS1_11reduce_implILb1ES3_N6thrust23THRUST_200600_302600_NS11hip_rocprim26transform_input_iterator_tIlNS8_12zip_iteratorINS8_5tupleINS8_6detail15normal_iteratorINS8_10device_ptrItEEEESH_NS8_9null_typeESI_SI_SI_SI_SI_SI_SI_EEEENS9_21zip_adj_not_predicateINS8_8equal_toItEEEEEEPllNS8_4plusIlEEEE10hipError_tPvRmT1_T2_T3_mT4_P12ihipStream_tbEUlT_E0_NS1_11comp_targetILNS1_3genE4ELNS1_11target_archE910ELNS1_3gpuE8ELNS1_3repE0EEENS1_30default_config_static_selectorELNS0_4arch9wavefront6targetE1EEEvSW_,"axG",@progbits,_ZN7rocprim17ROCPRIM_400000_NS6detail17trampoline_kernelINS0_14default_configENS1_22reduce_config_selectorIlEEZNS1_11reduce_implILb1ES3_N6thrust23THRUST_200600_302600_NS11hip_rocprim26transform_input_iterator_tIlNS8_12zip_iteratorINS8_5tupleINS8_6detail15normal_iteratorINS8_10device_ptrItEEEESH_NS8_9null_typeESI_SI_SI_SI_SI_SI_SI_EEEENS9_21zip_adj_not_predicateINS8_8equal_toItEEEEEEPllNS8_4plusIlEEEE10hipError_tPvRmT1_T2_T3_mT4_P12ihipStream_tbEUlT_E0_NS1_11comp_targetILNS1_3genE4ELNS1_11target_archE910ELNS1_3gpuE8ELNS1_3repE0EEENS1_30default_config_static_selectorELNS0_4arch9wavefront6targetE1EEEvSW_,comdat
	.protected	_ZN7rocprim17ROCPRIM_400000_NS6detail17trampoline_kernelINS0_14default_configENS1_22reduce_config_selectorIlEEZNS1_11reduce_implILb1ES3_N6thrust23THRUST_200600_302600_NS11hip_rocprim26transform_input_iterator_tIlNS8_12zip_iteratorINS8_5tupleINS8_6detail15normal_iteratorINS8_10device_ptrItEEEESH_NS8_9null_typeESI_SI_SI_SI_SI_SI_SI_EEEENS9_21zip_adj_not_predicateINS8_8equal_toItEEEEEEPllNS8_4plusIlEEEE10hipError_tPvRmT1_T2_T3_mT4_P12ihipStream_tbEUlT_E0_NS1_11comp_targetILNS1_3genE4ELNS1_11target_archE910ELNS1_3gpuE8ELNS1_3repE0EEENS1_30default_config_static_selectorELNS0_4arch9wavefront6targetE1EEEvSW_ ; -- Begin function _ZN7rocprim17ROCPRIM_400000_NS6detail17trampoline_kernelINS0_14default_configENS1_22reduce_config_selectorIlEEZNS1_11reduce_implILb1ES3_N6thrust23THRUST_200600_302600_NS11hip_rocprim26transform_input_iterator_tIlNS8_12zip_iteratorINS8_5tupleINS8_6detail15normal_iteratorINS8_10device_ptrItEEEESH_NS8_9null_typeESI_SI_SI_SI_SI_SI_SI_EEEENS9_21zip_adj_not_predicateINS8_8equal_toItEEEEEEPllNS8_4plusIlEEEE10hipError_tPvRmT1_T2_T3_mT4_P12ihipStream_tbEUlT_E0_NS1_11comp_targetILNS1_3genE4ELNS1_11target_archE910ELNS1_3gpuE8ELNS1_3repE0EEENS1_30default_config_static_selectorELNS0_4arch9wavefront6targetE1EEEvSW_
	.globl	_ZN7rocprim17ROCPRIM_400000_NS6detail17trampoline_kernelINS0_14default_configENS1_22reduce_config_selectorIlEEZNS1_11reduce_implILb1ES3_N6thrust23THRUST_200600_302600_NS11hip_rocprim26transform_input_iterator_tIlNS8_12zip_iteratorINS8_5tupleINS8_6detail15normal_iteratorINS8_10device_ptrItEEEESH_NS8_9null_typeESI_SI_SI_SI_SI_SI_SI_EEEENS9_21zip_adj_not_predicateINS8_8equal_toItEEEEEEPllNS8_4plusIlEEEE10hipError_tPvRmT1_T2_T3_mT4_P12ihipStream_tbEUlT_E0_NS1_11comp_targetILNS1_3genE4ELNS1_11target_archE910ELNS1_3gpuE8ELNS1_3repE0EEENS1_30default_config_static_selectorELNS0_4arch9wavefront6targetE1EEEvSW_
	.p2align	8
	.type	_ZN7rocprim17ROCPRIM_400000_NS6detail17trampoline_kernelINS0_14default_configENS1_22reduce_config_selectorIlEEZNS1_11reduce_implILb1ES3_N6thrust23THRUST_200600_302600_NS11hip_rocprim26transform_input_iterator_tIlNS8_12zip_iteratorINS8_5tupleINS8_6detail15normal_iteratorINS8_10device_ptrItEEEESH_NS8_9null_typeESI_SI_SI_SI_SI_SI_SI_EEEENS9_21zip_adj_not_predicateINS8_8equal_toItEEEEEEPllNS8_4plusIlEEEE10hipError_tPvRmT1_T2_T3_mT4_P12ihipStream_tbEUlT_E0_NS1_11comp_targetILNS1_3genE4ELNS1_11target_archE910ELNS1_3gpuE8ELNS1_3repE0EEENS1_30default_config_static_selectorELNS0_4arch9wavefront6targetE1EEEvSW_,@function
_ZN7rocprim17ROCPRIM_400000_NS6detail17trampoline_kernelINS0_14default_configENS1_22reduce_config_selectorIlEEZNS1_11reduce_implILb1ES3_N6thrust23THRUST_200600_302600_NS11hip_rocprim26transform_input_iterator_tIlNS8_12zip_iteratorINS8_5tupleINS8_6detail15normal_iteratorINS8_10device_ptrItEEEESH_NS8_9null_typeESI_SI_SI_SI_SI_SI_SI_EEEENS9_21zip_adj_not_predicateINS8_8equal_toItEEEEEEPllNS8_4plusIlEEEE10hipError_tPvRmT1_T2_T3_mT4_P12ihipStream_tbEUlT_E0_NS1_11comp_targetILNS1_3genE4ELNS1_11target_archE910ELNS1_3gpuE8ELNS1_3repE0EEENS1_30default_config_static_selectorELNS0_4arch9wavefront6targetE1EEEvSW_: ; @_ZN7rocprim17ROCPRIM_400000_NS6detail17trampoline_kernelINS0_14default_configENS1_22reduce_config_selectorIlEEZNS1_11reduce_implILb1ES3_N6thrust23THRUST_200600_302600_NS11hip_rocprim26transform_input_iterator_tIlNS8_12zip_iteratorINS8_5tupleINS8_6detail15normal_iteratorINS8_10device_ptrItEEEESH_NS8_9null_typeESI_SI_SI_SI_SI_SI_SI_EEEENS9_21zip_adj_not_predicateINS8_8equal_toItEEEEEEPllNS8_4plusIlEEEE10hipError_tPvRmT1_T2_T3_mT4_P12ihipStream_tbEUlT_E0_NS1_11comp_targetILNS1_3genE4ELNS1_11target_archE910ELNS1_3gpuE8ELNS1_3repE0EEENS1_30default_config_static_selectorELNS0_4arch9wavefront6targetE1EEEvSW_
; %bb.0:
	.section	.rodata,"a",@progbits
	.p2align	6, 0x0
	.amdhsa_kernel _ZN7rocprim17ROCPRIM_400000_NS6detail17trampoline_kernelINS0_14default_configENS1_22reduce_config_selectorIlEEZNS1_11reduce_implILb1ES3_N6thrust23THRUST_200600_302600_NS11hip_rocprim26transform_input_iterator_tIlNS8_12zip_iteratorINS8_5tupleINS8_6detail15normal_iteratorINS8_10device_ptrItEEEESH_NS8_9null_typeESI_SI_SI_SI_SI_SI_SI_EEEENS9_21zip_adj_not_predicateINS8_8equal_toItEEEEEEPllNS8_4plusIlEEEE10hipError_tPvRmT1_T2_T3_mT4_P12ihipStream_tbEUlT_E0_NS1_11comp_targetILNS1_3genE4ELNS1_11target_archE910ELNS1_3gpuE8ELNS1_3repE0EEENS1_30default_config_static_selectorELNS0_4arch9wavefront6targetE1EEEvSW_
		.amdhsa_group_segment_fixed_size 0
		.amdhsa_private_segment_fixed_size 0
		.amdhsa_kernarg_size 80
		.amdhsa_user_sgpr_count 6
		.amdhsa_user_sgpr_private_segment_buffer 1
		.amdhsa_user_sgpr_dispatch_ptr 0
		.amdhsa_user_sgpr_queue_ptr 0
		.amdhsa_user_sgpr_kernarg_segment_ptr 1
		.amdhsa_user_sgpr_dispatch_id 0
		.amdhsa_user_sgpr_flat_scratch_init 0
		.amdhsa_user_sgpr_private_segment_size 0
		.amdhsa_uses_dynamic_stack 0
		.amdhsa_system_sgpr_private_segment_wavefront_offset 0
		.amdhsa_system_sgpr_workgroup_id_x 1
		.amdhsa_system_sgpr_workgroup_id_y 0
		.amdhsa_system_sgpr_workgroup_id_z 0
		.amdhsa_system_sgpr_workgroup_info 0
		.amdhsa_system_vgpr_workitem_id 0
		.amdhsa_next_free_vgpr 1
		.amdhsa_next_free_sgpr 0
		.amdhsa_reserve_vcc 0
		.amdhsa_reserve_flat_scratch 0
		.amdhsa_float_round_mode_32 0
		.amdhsa_float_round_mode_16_64 0
		.amdhsa_float_denorm_mode_32 3
		.amdhsa_float_denorm_mode_16_64 3
		.amdhsa_dx10_clamp 1
		.amdhsa_ieee_mode 1
		.amdhsa_fp16_overflow 0
		.amdhsa_exception_fp_ieee_invalid_op 0
		.amdhsa_exception_fp_denorm_src 0
		.amdhsa_exception_fp_ieee_div_zero 0
		.amdhsa_exception_fp_ieee_overflow 0
		.amdhsa_exception_fp_ieee_underflow 0
		.amdhsa_exception_fp_ieee_inexact 0
		.amdhsa_exception_int_div_zero 0
	.end_amdhsa_kernel
	.section	.text._ZN7rocprim17ROCPRIM_400000_NS6detail17trampoline_kernelINS0_14default_configENS1_22reduce_config_selectorIlEEZNS1_11reduce_implILb1ES3_N6thrust23THRUST_200600_302600_NS11hip_rocprim26transform_input_iterator_tIlNS8_12zip_iteratorINS8_5tupleINS8_6detail15normal_iteratorINS8_10device_ptrItEEEESH_NS8_9null_typeESI_SI_SI_SI_SI_SI_SI_EEEENS9_21zip_adj_not_predicateINS8_8equal_toItEEEEEEPllNS8_4plusIlEEEE10hipError_tPvRmT1_T2_T3_mT4_P12ihipStream_tbEUlT_E0_NS1_11comp_targetILNS1_3genE4ELNS1_11target_archE910ELNS1_3gpuE8ELNS1_3repE0EEENS1_30default_config_static_selectorELNS0_4arch9wavefront6targetE1EEEvSW_,"axG",@progbits,_ZN7rocprim17ROCPRIM_400000_NS6detail17trampoline_kernelINS0_14default_configENS1_22reduce_config_selectorIlEEZNS1_11reduce_implILb1ES3_N6thrust23THRUST_200600_302600_NS11hip_rocprim26transform_input_iterator_tIlNS8_12zip_iteratorINS8_5tupleINS8_6detail15normal_iteratorINS8_10device_ptrItEEEESH_NS8_9null_typeESI_SI_SI_SI_SI_SI_SI_EEEENS9_21zip_adj_not_predicateINS8_8equal_toItEEEEEEPllNS8_4plusIlEEEE10hipError_tPvRmT1_T2_T3_mT4_P12ihipStream_tbEUlT_E0_NS1_11comp_targetILNS1_3genE4ELNS1_11target_archE910ELNS1_3gpuE8ELNS1_3repE0EEENS1_30default_config_static_selectorELNS0_4arch9wavefront6targetE1EEEvSW_,comdat
.Lfunc_end889:
	.size	_ZN7rocprim17ROCPRIM_400000_NS6detail17trampoline_kernelINS0_14default_configENS1_22reduce_config_selectorIlEEZNS1_11reduce_implILb1ES3_N6thrust23THRUST_200600_302600_NS11hip_rocprim26transform_input_iterator_tIlNS8_12zip_iteratorINS8_5tupleINS8_6detail15normal_iteratorINS8_10device_ptrItEEEESH_NS8_9null_typeESI_SI_SI_SI_SI_SI_SI_EEEENS9_21zip_adj_not_predicateINS8_8equal_toItEEEEEEPllNS8_4plusIlEEEE10hipError_tPvRmT1_T2_T3_mT4_P12ihipStream_tbEUlT_E0_NS1_11comp_targetILNS1_3genE4ELNS1_11target_archE910ELNS1_3gpuE8ELNS1_3repE0EEENS1_30default_config_static_selectorELNS0_4arch9wavefront6targetE1EEEvSW_, .Lfunc_end889-_ZN7rocprim17ROCPRIM_400000_NS6detail17trampoline_kernelINS0_14default_configENS1_22reduce_config_selectorIlEEZNS1_11reduce_implILb1ES3_N6thrust23THRUST_200600_302600_NS11hip_rocprim26transform_input_iterator_tIlNS8_12zip_iteratorINS8_5tupleINS8_6detail15normal_iteratorINS8_10device_ptrItEEEESH_NS8_9null_typeESI_SI_SI_SI_SI_SI_SI_EEEENS9_21zip_adj_not_predicateINS8_8equal_toItEEEEEEPllNS8_4plusIlEEEE10hipError_tPvRmT1_T2_T3_mT4_P12ihipStream_tbEUlT_E0_NS1_11comp_targetILNS1_3genE4ELNS1_11target_archE910ELNS1_3gpuE8ELNS1_3repE0EEENS1_30default_config_static_selectorELNS0_4arch9wavefront6targetE1EEEvSW_
                                        ; -- End function
	.set _ZN7rocprim17ROCPRIM_400000_NS6detail17trampoline_kernelINS0_14default_configENS1_22reduce_config_selectorIlEEZNS1_11reduce_implILb1ES3_N6thrust23THRUST_200600_302600_NS11hip_rocprim26transform_input_iterator_tIlNS8_12zip_iteratorINS8_5tupleINS8_6detail15normal_iteratorINS8_10device_ptrItEEEESH_NS8_9null_typeESI_SI_SI_SI_SI_SI_SI_EEEENS9_21zip_adj_not_predicateINS8_8equal_toItEEEEEEPllNS8_4plusIlEEEE10hipError_tPvRmT1_T2_T3_mT4_P12ihipStream_tbEUlT_E0_NS1_11comp_targetILNS1_3genE4ELNS1_11target_archE910ELNS1_3gpuE8ELNS1_3repE0EEENS1_30default_config_static_selectorELNS0_4arch9wavefront6targetE1EEEvSW_.num_vgpr, 0
	.set _ZN7rocprim17ROCPRIM_400000_NS6detail17trampoline_kernelINS0_14default_configENS1_22reduce_config_selectorIlEEZNS1_11reduce_implILb1ES3_N6thrust23THRUST_200600_302600_NS11hip_rocprim26transform_input_iterator_tIlNS8_12zip_iteratorINS8_5tupleINS8_6detail15normal_iteratorINS8_10device_ptrItEEEESH_NS8_9null_typeESI_SI_SI_SI_SI_SI_SI_EEEENS9_21zip_adj_not_predicateINS8_8equal_toItEEEEEEPllNS8_4plusIlEEEE10hipError_tPvRmT1_T2_T3_mT4_P12ihipStream_tbEUlT_E0_NS1_11comp_targetILNS1_3genE4ELNS1_11target_archE910ELNS1_3gpuE8ELNS1_3repE0EEENS1_30default_config_static_selectorELNS0_4arch9wavefront6targetE1EEEvSW_.num_agpr, 0
	.set _ZN7rocprim17ROCPRIM_400000_NS6detail17trampoline_kernelINS0_14default_configENS1_22reduce_config_selectorIlEEZNS1_11reduce_implILb1ES3_N6thrust23THRUST_200600_302600_NS11hip_rocprim26transform_input_iterator_tIlNS8_12zip_iteratorINS8_5tupleINS8_6detail15normal_iteratorINS8_10device_ptrItEEEESH_NS8_9null_typeESI_SI_SI_SI_SI_SI_SI_EEEENS9_21zip_adj_not_predicateINS8_8equal_toItEEEEEEPllNS8_4plusIlEEEE10hipError_tPvRmT1_T2_T3_mT4_P12ihipStream_tbEUlT_E0_NS1_11comp_targetILNS1_3genE4ELNS1_11target_archE910ELNS1_3gpuE8ELNS1_3repE0EEENS1_30default_config_static_selectorELNS0_4arch9wavefront6targetE1EEEvSW_.numbered_sgpr, 0
	.set _ZN7rocprim17ROCPRIM_400000_NS6detail17trampoline_kernelINS0_14default_configENS1_22reduce_config_selectorIlEEZNS1_11reduce_implILb1ES3_N6thrust23THRUST_200600_302600_NS11hip_rocprim26transform_input_iterator_tIlNS8_12zip_iteratorINS8_5tupleINS8_6detail15normal_iteratorINS8_10device_ptrItEEEESH_NS8_9null_typeESI_SI_SI_SI_SI_SI_SI_EEEENS9_21zip_adj_not_predicateINS8_8equal_toItEEEEEEPllNS8_4plusIlEEEE10hipError_tPvRmT1_T2_T3_mT4_P12ihipStream_tbEUlT_E0_NS1_11comp_targetILNS1_3genE4ELNS1_11target_archE910ELNS1_3gpuE8ELNS1_3repE0EEENS1_30default_config_static_selectorELNS0_4arch9wavefront6targetE1EEEvSW_.num_named_barrier, 0
	.set _ZN7rocprim17ROCPRIM_400000_NS6detail17trampoline_kernelINS0_14default_configENS1_22reduce_config_selectorIlEEZNS1_11reduce_implILb1ES3_N6thrust23THRUST_200600_302600_NS11hip_rocprim26transform_input_iterator_tIlNS8_12zip_iteratorINS8_5tupleINS8_6detail15normal_iteratorINS8_10device_ptrItEEEESH_NS8_9null_typeESI_SI_SI_SI_SI_SI_SI_EEEENS9_21zip_adj_not_predicateINS8_8equal_toItEEEEEEPllNS8_4plusIlEEEE10hipError_tPvRmT1_T2_T3_mT4_P12ihipStream_tbEUlT_E0_NS1_11comp_targetILNS1_3genE4ELNS1_11target_archE910ELNS1_3gpuE8ELNS1_3repE0EEENS1_30default_config_static_selectorELNS0_4arch9wavefront6targetE1EEEvSW_.private_seg_size, 0
	.set _ZN7rocprim17ROCPRIM_400000_NS6detail17trampoline_kernelINS0_14default_configENS1_22reduce_config_selectorIlEEZNS1_11reduce_implILb1ES3_N6thrust23THRUST_200600_302600_NS11hip_rocprim26transform_input_iterator_tIlNS8_12zip_iteratorINS8_5tupleINS8_6detail15normal_iteratorINS8_10device_ptrItEEEESH_NS8_9null_typeESI_SI_SI_SI_SI_SI_SI_EEEENS9_21zip_adj_not_predicateINS8_8equal_toItEEEEEEPllNS8_4plusIlEEEE10hipError_tPvRmT1_T2_T3_mT4_P12ihipStream_tbEUlT_E0_NS1_11comp_targetILNS1_3genE4ELNS1_11target_archE910ELNS1_3gpuE8ELNS1_3repE0EEENS1_30default_config_static_selectorELNS0_4arch9wavefront6targetE1EEEvSW_.uses_vcc, 0
	.set _ZN7rocprim17ROCPRIM_400000_NS6detail17trampoline_kernelINS0_14default_configENS1_22reduce_config_selectorIlEEZNS1_11reduce_implILb1ES3_N6thrust23THRUST_200600_302600_NS11hip_rocprim26transform_input_iterator_tIlNS8_12zip_iteratorINS8_5tupleINS8_6detail15normal_iteratorINS8_10device_ptrItEEEESH_NS8_9null_typeESI_SI_SI_SI_SI_SI_SI_EEEENS9_21zip_adj_not_predicateINS8_8equal_toItEEEEEEPllNS8_4plusIlEEEE10hipError_tPvRmT1_T2_T3_mT4_P12ihipStream_tbEUlT_E0_NS1_11comp_targetILNS1_3genE4ELNS1_11target_archE910ELNS1_3gpuE8ELNS1_3repE0EEENS1_30default_config_static_selectorELNS0_4arch9wavefront6targetE1EEEvSW_.uses_flat_scratch, 0
	.set _ZN7rocprim17ROCPRIM_400000_NS6detail17trampoline_kernelINS0_14default_configENS1_22reduce_config_selectorIlEEZNS1_11reduce_implILb1ES3_N6thrust23THRUST_200600_302600_NS11hip_rocprim26transform_input_iterator_tIlNS8_12zip_iteratorINS8_5tupleINS8_6detail15normal_iteratorINS8_10device_ptrItEEEESH_NS8_9null_typeESI_SI_SI_SI_SI_SI_SI_EEEENS9_21zip_adj_not_predicateINS8_8equal_toItEEEEEEPllNS8_4plusIlEEEE10hipError_tPvRmT1_T2_T3_mT4_P12ihipStream_tbEUlT_E0_NS1_11comp_targetILNS1_3genE4ELNS1_11target_archE910ELNS1_3gpuE8ELNS1_3repE0EEENS1_30default_config_static_selectorELNS0_4arch9wavefront6targetE1EEEvSW_.has_dyn_sized_stack, 0
	.set _ZN7rocprim17ROCPRIM_400000_NS6detail17trampoline_kernelINS0_14default_configENS1_22reduce_config_selectorIlEEZNS1_11reduce_implILb1ES3_N6thrust23THRUST_200600_302600_NS11hip_rocprim26transform_input_iterator_tIlNS8_12zip_iteratorINS8_5tupleINS8_6detail15normal_iteratorINS8_10device_ptrItEEEESH_NS8_9null_typeESI_SI_SI_SI_SI_SI_SI_EEEENS9_21zip_adj_not_predicateINS8_8equal_toItEEEEEEPllNS8_4plusIlEEEE10hipError_tPvRmT1_T2_T3_mT4_P12ihipStream_tbEUlT_E0_NS1_11comp_targetILNS1_3genE4ELNS1_11target_archE910ELNS1_3gpuE8ELNS1_3repE0EEENS1_30default_config_static_selectorELNS0_4arch9wavefront6targetE1EEEvSW_.has_recursion, 0
	.set _ZN7rocprim17ROCPRIM_400000_NS6detail17trampoline_kernelINS0_14default_configENS1_22reduce_config_selectorIlEEZNS1_11reduce_implILb1ES3_N6thrust23THRUST_200600_302600_NS11hip_rocprim26transform_input_iterator_tIlNS8_12zip_iteratorINS8_5tupleINS8_6detail15normal_iteratorINS8_10device_ptrItEEEESH_NS8_9null_typeESI_SI_SI_SI_SI_SI_SI_EEEENS9_21zip_adj_not_predicateINS8_8equal_toItEEEEEEPllNS8_4plusIlEEEE10hipError_tPvRmT1_T2_T3_mT4_P12ihipStream_tbEUlT_E0_NS1_11comp_targetILNS1_3genE4ELNS1_11target_archE910ELNS1_3gpuE8ELNS1_3repE0EEENS1_30default_config_static_selectorELNS0_4arch9wavefront6targetE1EEEvSW_.has_indirect_call, 0
	.section	.AMDGPU.csdata,"",@progbits
; Kernel info:
; codeLenInByte = 0
; TotalNumSgprs: 4
; NumVgprs: 0
; ScratchSize: 0
; MemoryBound: 0
; FloatMode: 240
; IeeeMode: 1
; LDSByteSize: 0 bytes/workgroup (compile time only)
; SGPRBlocks: 0
; VGPRBlocks: 0
; NumSGPRsForWavesPerEU: 4
; NumVGPRsForWavesPerEU: 1
; Occupancy: 10
; WaveLimiterHint : 0
; COMPUTE_PGM_RSRC2:SCRATCH_EN: 0
; COMPUTE_PGM_RSRC2:USER_SGPR: 6
; COMPUTE_PGM_RSRC2:TRAP_HANDLER: 0
; COMPUTE_PGM_RSRC2:TGID_X_EN: 1
; COMPUTE_PGM_RSRC2:TGID_Y_EN: 0
; COMPUTE_PGM_RSRC2:TGID_Z_EN: 0
; COMPUTE_PGM_RSRC2:TIDIG_COMP_CNT: 0
	.section	.text._ZN7rocprim17ROCPRIM_400000_NS6detail17trampoline_kernelINS0_14default_configENS1_22reduce_config_selectorIlEEZNS1_11reduce_implILb1ES3_N6thrust23THRUST_200600_302600_NS11hip_rocprim26transform_input_iterator_tIlNS8_12zip_iteratorINS8_5tupleINS8_6detail15normal_iteratorINS8_10device_ptrItEEEESH_NS8_9null_typeESI_SI_SI_SI_SI_SI_SI_EEEENS9_21zip_adj_not_predicateINS8_8equal_toItEEEEEEPllNS8_4plusIlEEEE10hipError_tPvRmT1_T2_T3_mT4_P12ihipStream_tbEUlT_E0_NS1_11comp_targetILNS1_3genE3ELNS1_11target_archE908ELNS1_3gpuE7ELNS1_3repE0EEENS1_30default_config_static_selectorELNS0_4arch9wavefront6targetE1EEEvSW_,"axG",@progbits,_ZN7rocprim17ROCPRIM_400000_NS6detail17trampoline_kernelINS0_14default_configENS1_22reduce_config_selectorIlEEZNS1_11reduce_implILb1ES3_N6thrust23THRUST_200600_302600_NS11hip_rocprim26transform_input_iterator_tIlNS8_12zip_iteratorINS8_5tupleINS8_6detail15normal_iteratorINS8_10device_ptrItEEEESH_NS8_9null_typeESI_SI_SI_SI_SI_SI_SI_EEEENS9_21zip_adj_not_predicateINS8_8equal_toItEEEEEEPllNS8_4plusIlEEEE10hipError_tPvRmT1_T2_T3_mT4_P12ihipStream_tbEUlT_E0_NS1_11comp_targetILNS1_3genE3ELNS1_11target_archE908ELNS1_3gpuE7ELNS1_3repE0EEENS1_30default_config_static_selectorELNS0_4arch9wavefront6targetE1EEEvSW_,comdat
	.protected	_ZN7rocprim17ROCPRIM_400000_NS6detail17trampoline_kernelINS0_14default_configENS1_22reduce_config_selectorIlEEZNS1_11reduce_implILb1ES3_N6thrust23THRUST_200600_302600_NS11hip_rocprim26transform_input_iterator_tIlNS8_12zip_iteratorINS8_5tupleINS8_6detail15normal_iteratorINS8_10device_ptrItEEEESH_NS8_9null_typeESI_SI_SI_SI_SI_SI_SI_EEEENS9_21zip_adj_not_predicateINS8_8equal_toItEEEEEEPllNS8_4plusIlEEEE10hipError_tPvRmT1_T2_T3_mT4_P12ihipStream_tbEUlT_E0_NS1_11comp_targetILNS1_3genE3ELNS1_11target_archE908ELNS1_3gpuE7ELNS1_3repE0EEENS1_30default_config_static_selectorELNS0_4arch9wavefront6targetE1EEEvSW_ ; -- Begin function _ZN7rocprim17ROCPRIM_400000_NS6detail17trampoline_kernelINS0_14default_configENS1_22reduce_config_selectorIlEEZNS1_11reduce_implILb1ES3_N6thrust23THRUST_200600_302600_NS11hip_rocprim26transform_input_iterator_tIlNS8_12zip_iteratorINS8_5tupleINS8_6detail15normal_iteratorINS8_10device_ptrItEEEESH_NS8_9null_typeESI_SI_SI_SI_SI_SI_SI_EEEENS9_21zip_adj_not_predicateINS8_8equal_toItEEEEEEPllNS8_4plusIlEEEE10hipError_tPvRmT1_T2_T3_mT4_P12ihipStream_tbEUlT_E0_NS1_11comp_targetILNS1_3genE3ELNS1_11target_archE908ELNS1_3gpuE7ELNS1_3repE0EEENS1_30default_config_static_selectorELNS0_4arch9wavefront6targetE1EEEvSW_
	.globl	_ZN7rocprim17ROCPRIM_400000_NS6detail17trampoline_kernelINS0_14default_configENS1_22reduce_config_selectorIlEEZNS1_11reduce_implILb1ES3_N6thrust23THRUST_200600_302600_NS11hip_rocprim26transform_input_iterator_tIlNS8_12zip_iteratorINS8_5tupleINS8_6detail15normal_iteratorINS8_10device_ptrItEEEESH_NS8_9null_typeESI_SI_SI_SI_SI_SI_SI_EEEENS9_21zip_adj_not_predicateINS8_8equal_toItEEEEEEPllNS8_4plusIlEEEE10hipError_tPvRmT1_T2_T3_mT4_P12ihipStream_tbEUlT_E0_NS1_11comp_targetILNS1_3genE3ELNS1_11target_archE908ELNS1_3gpuE7ELNS1_3repE0EEENS1_30default_config_static_selectorELNS0_4arch9wavefront6targetE1EEEvSW_
	.p2align	8
	.type	_ZN7rocprim17ROCPRIM_400000_NS6detail17trampoline_kernelINS0_14default_configENS1_22reduce_config_selectorIlEEZNS1_11reduce_implILb1ES3_N6thrust23THRUST_200600_302600_NS11hip_rocprim26transform_input_iterator_tIlNS8_12zip_iteratorINS8_5tupleINS8_6detail15normal_iteratorINS8_10device_ptrItEEEESH_NS8_9null_typeESI_SI_SI_SI_SI_SI_SI_EEEENS9_21zip_adj_not_predicateINS8_8equal_toItEEEEEEPllNS8_4plusIlEEEE10hipError_tPvRmT1_T2_T3_mT4_P12ihipStream_tbEUlT_E0_NS1_11comp_targetILNS1_3genE3ELNS1_11target_archE908ELNS1_3gpuE7ELNS1_3repE0EEENS1_30default_config_static_selectorELNS0_4arch9wavefront6targetE1EEEvSW_,@function
_ZN7rocprim17ROCPRIM_400000_NS6detail17trampoline_kernelINS0_14default_configENS1_22reduce_config_selectorIlEEZNS1_11reduce_implILb1ES3_N6thrust23THRUST_200600_302600_NS11hip_rocprim26transform_input_iterator_tIlNS8_12zip_iteratorINS8_5tupleINS8_6detail15normal_iteratorINS8_10device_ptrItEEEESH_NS8_9null_typeESI_SI_SI_SI_SI_SI_SI_EEEENS9_21zip_adj_not_predicateINS8_8equal_toItEEEEEEPllNS8_4plusIlEEEE10hipError_tPvRmT1_T2_T3_mT4_P12ihipStream_tbEUlT_E0_NS1_11comp_targetILNS1_3genE3ELNS1_11target_archE908ELNS1_3gpuE7ELNS1_3repE0EEENS1_30default_config_static_selectorELNS0_4arch9wavefront6targetE1EEEvSW_: ; @_ZN7rocprim17ROCPRIM_400000_NS6detail17trampoline_kernelINS0_14default_configENS1_22reduce_config_selectorIlEEZNS1_11reduce_implILb1ES3_N6thrust23THRUST_200600_302600_NS11hip_rocprim26transform_input_iterator_tIlNS8_12zip_iteratorINS8_5tupleINS8_6detail15normal_iteratorINS8_10device_ptrItEEEESH_NS8_9null_typeESI_SI_SI_SI_SI_SI_SI_EEEENS9_21zip_adj_not_predicateINS8_8equal_toItEEEEEEPllNS8_4plusIlEEEE10hipError_tPvRmT1_T2_T3_mT4_P12ihipStream_tbEUlT_E0_NS1_11comp_targetILNS1_3genE3ELNS1_11target_archE908ELNS1_3gpuE7ELNS1_3repE0EEENS1_30default_config_static_selectorELNS0_4arch9wavefront6targetE1EEEvSW_
; %bb.0:
	.section	.rodata,"a",@progbits
	.p2align	6, 0x0
	.amdhsa_kernel _ZN7rocprim17ROCPRIM_400000_NS6detail17trampoline_kernelINS0_14default_configENS1_22reduce_config_selectorIlEEZNS1_11reduce_implILb1ES3_N6thrust23THRUST_200600_302600_NS11hip_rocprim26transform_input_iterator_tIlNS8_12zip_iteratorINS8_5tupleINS8_6detail15normal_iteratorINS8_10device_ptrItEEEESH_NS8_9null_typeESI_SI_SI_SI_SI_SI_SI_EEEENS9_21zip_adj_not_predicateINS8_8equal_toItEEEEEEPllNS8_4plusIlEEEE10hipError_tPvRmT1_T2_T3_mT4_P12ihipStream_tbEUlT_E0_NS1_11comp_targetILNS1_3genE3ELNS1_11target_archE908ELNS1_3gpuE7ELNS1_3repE0EEENS1_30default_config_static_selectorELNS0_4arch9wavefront6targetE1EEEvSW_
		.amdhsa_group_segment_fixed_size 0
		.amdhsa_private_segment_fixed_size 0
		.amdhsa_kernarg_size 80
		.amdhsa_user_sgpr_count 6
		.amdhsa_user_sgpr_private_segment_buffer 1
		.amdhsa_user_sgpr_dispatch_ptr 0
		.amdhsa_user_sgpr_queue_ptr 0
		.amdhsa_user_sgpr_kernarg_segment_ptr 1
		.amdhsa_user_sgpr_dispatch_id 0
		.amdhsa_user_sgpr_flat_scratch_init 0
		.amdhsa_user_sgpr_private_segment_size 0
		.amdhsa_uses_dynamic_stack 0
		.amdhsa_system_sgpr_private_segment_wavefront_offset 0
		.amdhsa_system_sgpr_workgroup_id_x 1
		.amdhsa_system_sgpr_workgroup_id_y 0
		.amdhsa_system_sgpr_workgroup_id_z 0
		.amdhsa_system_sgpr_workgroup_info 0
		.amdhsa_system_vgpr_workitem_id 0
		.amdhsa_next_free_vgpr 1
		.amdhsa_next_free_sgpr 0
		.amdhsa_reserve_vcc 0
		.amdhsa_reserve_flat_scratch 0
		.amdhsa_float_round_mode_32 0
		.amdhsa_float_round_mode_16_64 0
		.amdhsa_float_denorm_mode_32 3
		.amdhsa_float_denorm_mode_16_64 3
		.amdhsa_dx10_clamp 1
		.amdhsa_ieee_mode 1
		.amdhsa_fp16_overflow 0
		.amdhsa_exception_fp_ieee_invalid_op 0
		.amdhsa_exception_fp_denorm_src 0
		.amdhsa_exception_fp_ieee_div_zero 0
		.amdhsa_exception_fp_ieee_overflow 0
		.amdhsa_exception_fp_ieee_underflow 0
		.amdhsa_exception_fp_ieee_inexact 0
		.amdhsa_exception_int_div_zero 0
	.end_amdhsa_kernel
	.section	.text._ZN7rocprim17ROCPRIM_400000_NS6detail17trampoline_kernelINS0_14default_configENS1_22reduce_config_selectorIlEEZNS1_11reduce_implILb1ES3_N6thrust23THRUST_200600_302600_NS11hip_rocprim26transform_input_iterator_tIlNS8_12zip_iteratorINS8_5tupleINS8_6detail15normal_iteratorINS8_10device_ptrItEEEESH_NS8_9null_typeESI_SI_SI_SI_SI_SI_SI_EEEENS9_21zip_adj_not_predicateINS8_8equal_toItEEEEEEPllNS8_4plusIlEEEE10hipError_tPvRmT1_T2_T3_mT4_P12ihipStream_tbEUlT_E0_NS1_11comp_targetILNS1_3genE3ELNS1_11target_archE908ELNS1_3gpuE7ELNS1_3repE0EEENS1_30default_config_static_selectorELNS0_4arch9wavefront6targetE1EEEvSW_,"axG",@progbits,_ZN7rocprim17ROCPRIM_400000_NS6detail17trampoline_kernelINS0_14default_configENS1_22reduce_config_selectorIlEEZNS1_11reduce_implILb1ES3_N6thrust23THRUST_200600_302600_NS11hip_rocprim26transform_input_iterator_tIlNS8_12zip_iteratorINS8_5tupleINS8_6detail15normal_iteratorINS8_10device_ptrItEEEESH_NS8_9null_typeESI_SI_SI_SI_SI_SI_SI_EEEENS9_21zip_adj_not_predicateINS8_8equal_toItEEEEEEPllNS8_4plusIlEEEE10hipError_tPvRmT1_T2_T3_mT4_P12ihipStream_tbEUlT_E0_NS1_11comp_targetILNS1_3genE3ELNS1_11target_archE908ELNS1_3gpuE7ELNS1_3repE0EEENS1_30default_config_static_selectorELNS0_4arch9wavefront6targetE1EEEvSW_,comdat
.Lfunc_end890:
	.size	_ZN7rocprim17ROCPRIM_400000_NS6detail17trampoline_kernelINS0_14default_configENS1_22reduce_config_selectorIlEEZNS1_11reduce_implILb1ES3_N6thrust23THRUST_200600_302600_NS11hip_rocprim26transform_input_iterator_tIlNS8_12zip_iteratorINS8_5tupleINS8_6detail15normal_iteratorINS8_10device_ptrItEEEESH_NS8_9null_typeESI_SI_SI_SI_SI_SI_SI_EEEENS9_21zip_adj_not_predicateINS8_8equal_toItEEEEEEPllNS8_4plusIlEEEE10hipError_tPvRmT1_T2_T3_mT4_P12ihipStream_tbEUlT_E0_NS1_11comp_targetILNS1_3genE3ELNS1_11target_archE908ELNS1_3gpuE7ELNS1_3repE0EEENS1_30default_config_static_selectorELNS0_4arch9wavefront6targetE1EEEvSW_, .Lfunc_end890-_ZN7rocprim17ROCPRIM_400000_NS6detail17trampoline_kernelINS0_14default_configENS1_22reduce_config_selectorIlEEZNS1_11reduce_implILb1ES3_N6thrust23THRUST_200600_302600_NS11hip_rocprim26transform_input_iterator_tIlNS8_12zip_iteratorINS8_5tupleINS8_6detail15normal_iteratorINS8_10device_ptrItEEEESH_NS8_9null_typeESI_SI_SI_SI_SI_SI_SI_EEEENS9_21zip_adj_not_predicateINS8_8equal_toItEEEEEEPllNS8_4plusIlEEEE10hipError_tPvRmT1_T2_T3_mT4_P12ihipStream_tbEUlT_E0_NS1_11comp_targetILNS1_3genE3ELNS1_11target_archE908ELNS1_3gpuE7ELNS1_3repE0EEENS1_30default_config_static_selectorELNS0_4arch9wavefront6targetE1EEEvSW_
                                        ; -- End function
	.set _ZN7rocprim17ROCPRIM_400000_NS6detail17trampoline_kernelINS0_14default_configENS1_22reduce_config_selectorIlEEZNS1_11reduce_implILb1ES3_N6thrust23THRUST_200600_302600_NS11hip_rocprim26transform_input_iterator_tIlNS8_12zip_iteratorINS8_5tupleINS8_6detail15normal_iteratorINS8_10device_ptrItEEEESH_NS8_9null_typeESI_SI_SI_SI_SI_SI_SI_EEEENS9_21zip_adj_not_predicateINS8_8equal_toItEEEEEEPllNS8_4plusIlEEEE10hipError_tPvRmT1_T2_T3_mT4_P12ihipStream_tbEUlT_E0_NS1_11comp_targetILNS1_3genE3ELNS1_11target_archE908ELNS1_3gpuE7ELNS1_3repE0EEENS1_30default_config_static_selectorELNS0_4arch9wavefront6targetE1EEEvSW_.num_vgpr, 0
	.set _ZN7rocprim17ROCPRIM_400000_NS6detail17trampoline_kernelINS0_14default_configENS1_22reduce_config_selectorIlEEZNS1_11reduce_implILb1ES3_N6thrust23THRUST_200600_302600_NS11hip_rocprim26transform_input_iterator_tIlNS8_12zip_iteratorINS8_5tupleINS8_6detail15normal_iteratorINS8_10device_ptrItEEEESH_NS8_9null_typeESI_SI_SI_SI_SI_SI_SI_EEEENS9_21zip_adj_not_predicateINS8_8equal_toItEEEEEEPllNS8_4plusIlEEEE10hipError_tPvRmT1_T2_T3_mT4_P12ihipStream_tbEUlT_E0_NS1_11comp_targetILNS1_3genE3ELNS1_11target_archE908ELNS1_3gpuE7ELNS1_3repE0EEENS1_30default_config_static_selectorELNS0_4arch9wavefront6targetE1EEEvSW_.num_agpr, 0
	.set _ZN7rocprim17ROCPRIM_400000_NS6detail17trampoline_kernelINS0_14default_configENS1_22reduce_config_selectorIlEEZNS1_11reduce_implILb1ES3_N6thrust23THRUST_200600_302600_NS11hip_rocprim26transform_input_iterator_tIlNS8_12zip_iteratorINS8_5tupleINS8_6detail15normal_iteratorINS8_10device_ptrItEEEESH_NS8_9null_typeESI_SI_SI_SI_SI_SI_SI_EEEENS9_21zip_adj_not_predicateINS8_8equal_toItEEEEEEPllNS8_4plusIlEEEE10hipError_tPvRmT1_T2_T3_mT4_P12ihipStream_tbEUlT_E0_NS1_11comp_targetILNS1_3genE3ELNS1_11target_archE908ELNS1_3gpuE7ELNS1_3repE0EEENS1_30default_config_static_selectorELNS0_4arch9wavefront6targetE1EEEvSW_.numbered_sgpr, 0
	.set _ZN7rocprim17ROCPRIM_400000_NS6detail17trampoline_kernelINS0_14default_configENS1_22reduce_config_selectorIlEEZNS1_11reduce_implILb1ES3_N6thrust23THRUST_200600_302600_NS11hip_rocprim26transform_input_iterator_tIlNS8_12zip_iteratorINS8_5tupleINS8_6detail15normal_iteratorINS8_10device_ptrItEEEESH_NS8_9null_typeESI_SI_SI_SI_SI_SI_SI_EEEENS9_21zip_adj_not_predicateINS8_8equal_toItEEEEEEPllNS8_4plusIlEEEE10hipError_tPvRmT1_T2_T3_mT4_P12ihipStream_tbEUlT_E0_NS1_11comp_targetILNS1_3genE3ELNS1_11target_archE908ELNS1_3gpuE7ELNS1_3repE0EEENS1_30default_config_static_selectorELNS0_4arch9wavefront6targetE1EEEvSW_.num_named_barrier, 0
	.set _ZN7rocprim17ROCPRIM_400000_NS6detail17trampoline_kernelINS0_14default_configENS1_22reduce_config_selectorIlEEZNS1_11reduce_implILb1ES3_N6thrust23THRUST_200600_302600_NS11hip_rocprim26transform_input_iterator_tIlNS8_12zip_iteratorINS8_5tupleINS8_6detail15normal_iteratorINS8_10device_ptrItEEEESH_NS8_9null_typeESI_SI_SI_SI_SI_SI_SI_EEEENS9_21zip_adj_not_predicateINS8_8equal_toItEEEEEEPllNS8_4plusIlEEEE10hipError_tPvRmT1_T2_T3_mT4_P12ihipStream_tbEUlT_E0_NS1_11comp_targetILNS1_3genE3ELNS1_11target_archE908ELNS1_3gpuE7ELNS1_3repE0EEENS1_30default_config_static_selectorELNS0_4arch9wavefront6targetE1EEEvSW_.private_seg_size, 0
	.set _ZN7rocprim17ROCPRIM_400000_NS6detail17trampoline_kernelINS0_14default_configENS1_22reduce_config_selectorIlEEZNS1_11reduce_implILb1ES3_N6thrust23THRUST_200600_302600_NS11hip_rocprim26transform_input_iterator_tIlNS8_12zip_iteratorINS8_5tupleINS8_6detail15normal_iteratorINS8_10device_ptrItEEEESH_NS8_9null_typeESI_SI_SI_SI_SI_SI_SI_EEEENS9_21zip_adj_not_predicateINS8_8equal_toItEEEEEEPllNS8_4plusIlEEEE10hipError_tPvRmT1_T2_T3_mT4_P12ihipStream_tbEUlT_E0_NS1_11comp_targetILNS1_3genE3ELNS1_11target_archE908ELNS1_3gpuE7ELNS1_3repE0EEENS1_30default_config_static_selectorELNS0_4arch9wavefront6targetE1EEEvSW_.uses_vcc, 0
	.set _ZN7rocprim17ROCPRIM_400000_NS6detail17trampoline_kernelINS0_14default_configENS1_22reduce_config_selectorIlEEZNS1_11reduce_implILb1ES3_N6thrust23THRUST_200600_302600_NS11hip_rocprim26transform_input_iterator_tIlNS8_12zip_iteratorINS8_5tupleINS8_6detail15normal_iteratorINS8_10device_ptrItEEEESH_NS8_9null_typeESI_SI_SI_SI_SI_SI_SI_EEEENS9_21zip_adj_not_predicateINS8_8equal_toItEEEEEEPllNS8_4plusIlEEEE10hipError_tPvRmT1_T2_T3_mT4_P12ihipStream_tbEUlT_E0_NS1_11comp_targetILNS1_3genE3ELNS1_11target_archE908ELNS1_3gpuE7ELNS1_3repE0EEENS1_30default_config_static_selectorELNS0_4arch9wavefront6targetE1EEEvSW_.uses_flat_scratch, 0
	.set _ZN7rocprim17ROCPRIM_400000_NS6detail17trampoline_kernelINS0_14default_configENS1_22reduce_config_selectorIlEEZNS1_11reduce_implILb1ES3_N6thrust23THRUST_200600_302600_NS11hip_rocprim26transform_input_iterator_tIlNS8_12zip_iteratorINS8_5tupleINS8_6detail15normal_iteratorINS8_10device_ptrItEEEESH_NS8_9null_typeESI_SI_SI_SI_SI_SI_SI_EEEENS9_21zip_adj_not_predicateINS8_8equal_toItEEEEEEPllNS8_4plusIlEEEE10hipError_tPvRmT1_T2_T3_mT4_P12ihipStream_tbEUlT_E0_NS1_11comp_targetILNS1_3genE3ELNS1_11target_archE908ELNS1_3gpuE7ELNS1_3repE0EEENS1_30default_config_static_selectorELNS0_4arch9wavefront6targetE1EEEvSW_.has_dyn_sized_stack, 0
	.set _ZN7rocprim17ROCPRIM_400000_NS6detail17trampoline_kernelINS0_14default_configENS1_22reduce_config_selectorIlEEZNS1_11reduce_implILb1ES3_N6thrust23THRUST_200600_302600_NS11hip_rocprim26transform_input_iterator_tIlNS8_12zip_iteratorINS8_5tupleINS8_6detail15normal_iteratorINS8_10device_ptrItEEEESH_NS8_9null_typeESI_SI_SI_SI_SI_SI_SI_EEEENS9_21zip_adj_not_predicateINS8_8equal_toItEEEEEEPllNS8_4plusIlEEEE10hipError_tPvRmT1_T2_T3_mT4_P12ihipStream_tbEUlT_E0_NS1_11comp_targetILNS1_3genE3ELNS1_11target_archE908ELNS1_3gpuE7ELNS1_3repE0EEENS1_30default_config_static_selectorELNS0_4arch9wavefront6targetE1EEEvSW_.has_recursion, 0
	.set _ZN7rocprim17ROCPRIM_400000_NS6detail17trampoline_kernelINS0_14default_configENS1_22reduce_config_selectorIlEEZNS1_11reduce_implILb1ES3_N6thrust23THRUST_200600_302600_NS11hip_rocprim26transform_input_iterator_tIlNS8_12zip_iteratorINS8_5tupleINS8_6detail15normal_iteratorINS8_10device_ptrItEEEESH_NS8_9null_typeESI_SI_SI_SI_SI_SI_SI_EEEENS9_21zip_adj_not_predicateINS8_8equal_toItEEEEEEPllNS8_4plusIlEEEE10hipError_tPvRmT1_T2_T3_mT4_P12ihipStream_tbEUlT_E0_NS1_11comp_targetILNS1_3genE3ELNS1_11target_archE908ELNS1_3gpuE7ELNS1_3repE0EEENS1_30default_config_static_selectorELNS0_4arch9wavefront6targetE1EEEvSW_.has_indirect_call, 0
	.section	.AMDGPU.csdata,"",@progbits
; Kernel info:
; codeLenInByte = 0
; TotalNumSgprs: 4
; NumVgprs: 0
; ScratchSize: 0
; MemoryBound: 0
; FloatMode: 240
; IeeeMode: 1
; LDSByteSize: 0 bytes/workgroup (compile time only)
; SGPRBlocks: 0
; VGPRBlocks: 0
; NumSGPRsForWavesPerEU: 4
; NumVGPRsForWavesPerEU: 1
; Occupancy: 10
; WaveLimiterHint : 0
; COMPUTE_PGM_RSRC2:SCRATCH_EN: 0
; COMPUTE_PGM_RSRC2:USER_SGPR: 6
; COMPUTE_PGM_RSRC2:TRAP_HANDLER: 0
; COMPUTE_PGM_RSRC2:TGID_X_EN: 1
; COMPUTE_PGM_RSRC2:TGID_Y_EN: 0
; COMPUTE_PGM_RSRC2:TGID_Z_EN: 0
; COMPUTE_PGM_RSRC2:TIDIG_COMP_CNT: 0
	.section	.text._ZN7rocprim17ROCPRIM_400000_NS6detail17trampoline_kernelINS0_14default_configENS1_22reduce_config_selectorIlEEZNS1_11reduce_implILb1ES3_N6thrust23THRUST_200600_302600_NS11hip_rocprim26transform_input_iterator_tIlNS8_12zip_iteratorINS8_5tupleINS8_6detail15normal_iteratorINS8_10device_ptrItEEEESH_NS8_9null_typeESI_SI_SI_SI_SI_SI_SI_EEEENS9_21zip_adj_not_predicateINS8_8equal_toItEEEEEEPllNS8_4plusIlEEEE10hipError_tPvRmT1_T2_T3_mT4_P12ihipStream_tbEUlT_E0_NS1_11comp_targetILNS1_3genE2ELNS1_11target_archE906ELNS1_3gpuE6ELNS1_3repE0EEENS1_30default_config_static_selectorELNS0_4arch9wavefront6targetE1EEEvSW_,"axG",@progbits,_ZN7rocprim17ROCPRIM_400000_NS6detail17trampoline_kernelINS0_14default_configENS1_22reduce_config_selectorIlEEZNS1_11reduce_implILb1ES3_N6thrust23THRUST_200600_302600_NS11hip_rocprim26transform_input_iterator_tIlNS8_12zip_iteratorINS8_5tupleINS8_6detail15normal_iteratorINS8_10device_ptrItEEEESH_NS8_9null_typeESI_SI_SI_SI_SI_SI_SI_EEEENS9_21zip_adj_not_predicateINS8_8equal_toItEEEEEEPllNS8_4plusIlEEEE10hipError_tPvRmT1_T2_T3_mT4_P12ihipStream_tbEUlT_E0_NS1_11comp_targetILNS1_3genE2ELNS1_11target_archE906ELNS1_3gpuE6ELNS1_3repE0EEENS1_30default_config_static_selectorELNS0_4arch9wavefront6targetE1EEEvSW_,comdat
	.protected	_ZN7rocprim17ROCPRIM_400000_NS6detail17trampoline_kernelINS0_14default_configENS1_22reduce_config_selectorIlEEZNS1_11reduce_implILb1ES3_N6thrust23THRUST_200600_302600_NS11hip_rocprim26transform_input_iterator_tIlNS8_12zip_iteratorINS8_5tupleINS8_6detail15normal_iteratorINS8_10device_ptrItEEEESH_NS8_9null_typeESI_SI_SI_SI_SI_SI_SI_EEEENS9_21zip_adj_not_predicateINS8_8equal_toItEEEEEEPllNS8_4plusIlEEEE10hipError_tPvRmT1_T2_T3_mT4_P12ihipStream_tbEUlT_E0_NS1_11comp_targetILNS1_3genE2ELNS1_11target_archE906ELNS1_3gpuE6ELNS1_3repE0EEENS1_30default_config_static_selectorELNS0_4arch9wavefront6targetE1EEEvSW_ ; -- Begin function _ZN7rocprim17ROCPRIM_400000_NS6detail17trampoline_kernelINS0_14default_configENS1_22reduce_config_selectorIlEEZNS1_11reduce_implILb1ES3_N6thrust23THRUST_200600_302600_NS11hip_rocprim26transform_input_iterator_tIlNS8_12zip_iteratorINS8_5tupleINS8_6detail15normal_iteratorINS8_10device_ptrItEEEESH_NS8_9null_typeESI_SI_SI_SI_SI_SI_SI_EEEENS9_21zip_adj_not_predicateINS8_8equal_toItEEEEEEPllNS8_4plusIlEEEE10hipError_tPvRmT1_T2_T3_mT4_P12ihipStream_tbEUlT_E0_NS1_11comp_targetILNS1_3genE2ELNS1_11target_archE906ELNS1_3gpuE6ELNS1_3repE0EEENS1_30default_config_static_selectorELNS0_4arch9wavefront6targetE1EEEvSW_
	.globl	_ZN7rocprim17ROCPRIM_400000_NS6detail17trampoline_kernelINS0_14default_configENS1_22reduce_config_selectorIlEEZNS1_11reduce_implILb1ES3_N6thrust23THRUST_200600_302600_NS11hip_rocprim26transform_input_iterator_tIlNS8_12zip_iteratorINS8_5tupleINS8_6detail15normal_iteratorINS8_10device_ptrItEEEESH_NS8_9null_typeESI_SI_SI_SI_SI_SI_SI_EEEENS9_21zip_adj_not_predicateINS8_8equal_toItEEEEEEPllNS8_4plusIlEEEE10hipError_tPvRmT1_T2_T3_mT4_P12ihipStream_tbEUlT_E0_NS1_11comp_targetILNS1_3genE2ELNS1_11target_archE906ELNS1_3gpuE6ELNS1_3repE0EEENS1_30default_config_static_selectorELNS0_4arch9wavefront6targetE1EEEvSW_
	.p2align	8
	.type	_ZN7rocprim17ROCPRIM_400000_NS6detail17trampoline_kernelINS0_14default_configENS1_22reduce_config_selectorIlEEZNS1_11reduce_implILb1ES3_N6thrust23THRUST_200600_302600_NS11hip_rocprim26transform_input_iterator_tIlNS8_12zip_iteratorINS8_5tupleINS8_6detail15normal_iteratorINS8_10device_ptrItEEEESH_NS8_9null_typeESI_SI_SI_SI_SI_SI_SI_EEEENS9_21zip_adj_not_predicateINS8_8equal_toItEEEEEEPllNS8_4plusIlEEEE10hipError_tPvRmT1_T2_T3_mT4_P12ihipStream_tbEUlT_E0_NS1_11comp_targetILNS1_3genE2ELNS1_11target_archE906ELNS1_3gpuE6ELNS1_3repE0EEENS1_30default_config_static_selectorELNS0_4arch9wavefront6targetE1EEEvSW_,@function
_ZN7rocprim17ROCPRIM_400000_NS6detail17trampoline_kernelINS0_14default_configENS1_22reduce_config_selectorIlEEZNS1_11reduce_implILb1ES3_N6thrust23THRUST_200600_302600_NS11hip_rocprim26transform_input_iterator_tIlNS8_12zip_iteratorINS8_5tupleINS8_6detail15normal_iteratorINS8_10device_ptrItEEEESH_NS8_9null_typeESI_SI_SI_SI_SI_SI_SI_EEEENS9_21zip_adj_not_predicateINS8_8equal_toItEEEEEEPllNS8_4plusIlEEEE10hipError_tPvRmT1_T2_T3_mT4_P12ihipStream_tbEUlT_E0_NS1_11comp_targetILNS1_3genE2ELNS1_11target_archE906ELNS1_3gpuE6ELNS1_3repE0EEENS1_30default_config_static_selectorELNS0_4arch9wavefront6targetE1EEEvSW_: ; @_ZN7rocprim17ROCPRIM_400000_NS6detail17trampoline_kernelINS0_14default_configENS1_22reduce_config_selectorIlEEZNS1_11reduce_implILb1ES3_N6thrust23THRUST_200600_302600_NS11hip_rocprim26transform_input_iterator_tIlNS8_12zip_iteratorINS8_5tupleINS8_6detail15normal_iteratorINS8_10device_ptrItEEEESH_NS8_9null_typeESI_SI_SI_SI_SI_SI_SI_EEEENS9_21zip_adj_not_predicateINS8_8equal_toItEEEEEEPllNS8_4plusIlEEEE10hipError_tPvRmT1_T2_T3_mT4_P12ihipStream_tbEUlT_E0_NS1_11comp_targetILNS1_3genE2ELNS1_11target_archE906ELNS1_3gpuE6ELNS1_3repE0EEENS1_30default_config_static_selectorELNS0_4arch9wavefront6targetE1EEEvSW_
; %bb.0:
	s_load_dwordx8 s[8:15], s[4:5], 0x18
	s_load_dwordx4 s[0:3], s[4:5], 0x0
	s_load_dwordx4 s[16:19], s[4:5], 0x38
	v_lshlrev_b32_e32 v6, 1, v0
	v_mbcnt_lo_u32_b32 v5, -1, 0
	s_waitcnt lgkmcnt(0)
	s_lshl_b64 s[4:5], s[8:9], 1
	s_add_u32 s0, s0, s4
	s_addc_u32 s1, s1, s5
	s_add_u32 s20, s2, s4
	s_addc_u32 s21, s3, s5
	s_lshl_b32 s4, s6, 9
	s_mov_b32 s5, 0
	s_lshr_b64 s[8:9], s[10:11], 9
	s_lshl_b64 s[2:3], s[4:5], 1
	s_add_u32 s0, s0, s2
	s_addc_u32 s1, s1, s3
	s_add_u32 s2, s20, s2
	s_mov_b32 s7, s5
	s_addc_u32 s3, s21, s3
	s_cmp_lg_u64 s[8:9], s[6:7]
	s_cbranch_scc0 .LBB891_6
; %bb.1:
	global_load_ushort v1, v6, s[0:1]
	global_load_ushort v2, v6, s[2:3]
	global_load_ushort v7, v6, s[2:3] offset:512
	global_load_ushort v8, v6, s[0:1] offset:512
	v_mov_b32_e32 v4, 0
	v_mbcnt_hi_u32_b32 v3, -1, v5
	s_waitcnt vmcnt(2)
	v_cmp_ne_u16_e32 vcc, v1, v2
	v_cndmask_b32_e64 v1, 0, 1, vcc
	s_waitcnt vmcnt(0)
	v_cmp_ne_u16_e32 vcc, v8, v7
	v_addc_co_u32_e32 v1, vcc, 0, v1, vcc
	v_mov_b32_dpp v9, v4 quad_perm:[1,0,3,2] row_mask:0xf bank_mask:0xf bound_ctrl:1
	s_nop 0
	v_mov_b32_dpp v2, v1 quad_perm:[1,0,3,2] row_mask:0xf bank_mask:0xf bound_ctrl:1
	v_add_co_u32_e32 v1, vcc, v1, v2
	v_addc_co_u32_e64 v2, s[8:9], 0, 0, vcc
	v_add_co_u32_e32 v7, vcc, 0, v1
	v_addc_co_u32_e32 v2, vcc, v9, v2, vcc
	v_mov_b32_dpp v1, v1 quad_perm:[2,3,0,1] row_mask:0xf bank_mask:0xf bound_ctrl:1
	v_add_co_u32_e32 v1, vcc, v7, v1
	v_mov_b32_dpp v8, v2 quad_perm:[2,3,0,1] row_mask:0xf bank_mask:0xf bound_ctrl:1
	v_addc_co_u32_e32 v2, vcc, 0, v2, vcc
	v_add_co_u32_e32 v7, vcc, 0, v1
	v_addc_co_u32_e32 v2, vcc, v2, v8, vcc
	v_mov_b32_dpp v1, v1 row_ror:4 row_mask:0xf bank_mask:0xf bound_ctrl:1
	v_add_co_u32_e32 v1, vcc, v7, v1
	v_mov_b32_dpp v8, v2 row_ror:4 row_mask:0xf bank_mask:0xf bound_ctrl:1
	v_addc_co_u32_e32 v2, vcc, 0, v2, vcc
	v_add_co_u32_e32 v7, vcc, 0, v1
	v_addc_co_u32_e32 v2, vcc, v2, v8, vcc
	v_mov_b32_dpp v1, v1 row_ror:8 row_mask:0xf bank_mask:0xf bound_ctrl:1
	v_add_co_u32_e32 v1, vcc, v7, v1
	v_mov_b32_dpp v8, v2 row_ror:8 row_mask:0xf bank_mask:0xf bound_ctrl:1
	v_addc_co_u32_e32 v2, vcc, 0, v2, vcc
	v_add_co_u32_e32 v7, vcc, 0, v1
	v_addc_co_u32_e32 v2, vcc, v2, v8, vcc
	v_mov_b32_dpp v1, v1 row_bcast:15 row_mask:0xf bank_mask:0xf bound_ctrl:1
	v_add_co_u32_e32 v1, vcc, v7, v1
	v_mov_b32_dpp v8, v2 row_bcast:15 row_mask:0xf bank_mask:0xf bound_ctrl:1
	v_addc_co_u32_e32 v2, vcc, 0, v2, vcc
	v_add_co_u32_e32 v7, vcc, 0, v1
	v_addc_co_u32_e32 v2, vcc, v2, v8, vcc
	v_mov_b32_dpp v1, v1 row_bcast:31 row_mask:0xf bank_mask:0xf bound_ctrl:1
	v_add_co_u32_e32 v1, vcc, v7, v1
	v_lshlrev_b32_e32 v4, 2, v3
	v_addc_co_u32_e32 v7, vcc, 0, v2, vcc
	v_or_b32_e32 v10, 0xfc, v4
	s_nop 0
	v_add_u32_dpp v2, v2, v7 row_bcast:31 row_mask:0xf bank_mask:0xf bound_ctrl:1
	ds_bpermute_b32 v1, v10, v1
	ds_bpermute_b32 v2, v10, v2
	v_cmp_eq_u32_e32 vcc, 0, v3
	s_and_saveexec_b64 s[8:9], vcc
	s_cbranch_execz .LBB891_3
; %bb.2:
	v_lshrrev_b32_e32 v7, 3, v0
	v_and_b32_e32 v7, 24, v7
	s_waitcnt lgkmcnt(0)
	ds_write_b64 v7, v[1:2]
.LBB891_3:
	s_or_b64 exec, exec, s[8:9]
	v_cmp_gt_u32_e32 vcc, 64, v0
	s_waitcnt lgkmcnt(0)
	s_barrier
	s_and_saveexec_b64 s[8:9], vcc
	s_cbranch_execz .LBB891_5
; %bb.4:
	v_and_b32_e32 v7, 3, v3
	v_lshlrev_b32_e32 v1, 3, v7
	ds_read_b64 v[1:2], v1
	v_cmp_ne_u32_e32 vcc, 3, v7
	v_addc_co_u32_e32 v3, vcc, 0, v3, vcc
	v_lshlrev_b32_e32 v3, 2, v3
	s_waitcnt lgkmcnt(0)
	ds_bpermute_b32 v7, v3, v1
	ds_bpermute_b32 v3, v3, v2
	v_or_b32_e32 v4, 8, v4
	s_waitcnt lgkmcnt(1)
	v_add_co_u32_e32 v1, vcc, v1, v7
	v_addc_co_u32_e32 v2, vcc, 0, v2, vcc
	ds_bpermute_b32 v7, v4, v1
	v_add_co_u32_e32 v1, vcc, 0, v1
	s_waitcnt lgkmcnt(1)
	v_addc_co_u32_e32 v2, vcc, v3, v2, vcc
	ds_bpermute_b32 v3, v4, v2
	s_waitcnt lgkmcnt(1)
	v_add_co_u32_e32 v1, vcc, v1, v7
	v_addc_co_u32_e32 v2, vcc, 0, v2, vcc
	v_add_co_u32_e32 v1, vcc, 0, v1
	s_waitcnt lgkmcnt(0)
	v_addc_co_u32_e32 v2, vcc, v2, v3, vcc
.LBB891_5:
	s_or_b64 exec, exec, s[8:9]
	s_branch .LBB891_28
.LBB891_6:
                                        ; implicit-def: $vgpr1_vgpr2
	s_cbranch_execz .LBB891_28
; %bb.7:
	s_sub_i32 s8, s10, s4
	v_mov_b32_e32 v1, 0
	v_cmp_gt_u32_e32 vcc, s8, v0
	v_mov_b32_e32 v2, v1
	v_mov_b32_e32 v3, v1
	;; [unrolled: 1-line block ×3, first 2 shown]
	s_and_saveexec_b64 s[4:5], vcc
	s_cbranch_execz .LBB891_9
; %bb.8:
	global_load_ushort v2, v6, s[0:1]
	global_load_ushort v3, v6, s[2:3]
	v_mov_b32_e32 v8, v1
	v_mov_b32_e32 v9, v1
	;; [unrolled: 1-line block ×3, first 2 shown]
	s_waitcnt vmcnt(0)
	v_cmp_ne_u16_e32 vcc, v2, v3
	v_cndmask_b32_e64 v2, 0, 1, vcc
	v_and_b32_e32 v7, 0xffff, v2
	v_mov_b32_e32 v1, v7
	v_mov_b32_e32 v2, v8
	;; [unrolled: 1-line block ×4, first 2 shown]
.LBB891_9:
	s_or_b64 exec, exec, s[4:5]
	v_or_b32_e32 v7, 0x100, v0
	v_cmp_gt_u32_e32 vcc, s8, v7
	s_and_saveexec_b64 s[4:5], vcc
	s_cbranch_execz .LBB891_11
; %bb.10:
	global_load_ushort v3, v6, s[0:1] offset:512
	global_load_ushort v4, v6, s[2:3] offset:512
	s_mov_b32 s2, 0
	s_waitcnt vmcnt(0)
	v_cmp_ne_u16_e64 s[0:1], v3, v4
	v_cndmask_b32_e64 v3, 0, 1, s[0:1]
	v_mov_b32_e32 v4, s2
.LBB891_11:
	s_or_b64 exec, exec, s[4:5]
	v_cndmask_b32_e32 v3, 0, v3, vcc
	v_cndmask_b32_e32 v4, 0, v4, vcc
	v_add_co_u32_e32 v1, vcc, v3, v1
	v_mbcnt_hi_u32_b32 v3, -1, v5
	v_addc_co_u32_e32 v2, vcc, v4, v2, vcc
	v_and_b32_e32 v4, 63, v3
	v_cmp_ne_u32_e32 vcc, 63, v4
	v_addc_co_u32_e32 v6, vcc, 0, v3, vcc
	v_lshlrev_b32_e32 v6, 2, v6
	ds_bpermute_b32 v8, v6, v1
	ds_bpermute_b32 v7, v6, v2
	s_min_u32 s2, s8, 0x100
	v_and_b32_e32 v5, 0xc0, v0
	v_sub_u32_e64 v5, s2, v5 clamp
	v_add_u32_e32 v6, 1, v4
	v_cmp_lt_u32_e32 vcc, v6, v5
	v_mov_b32_e32 v6, v1
	s_and_saveexec_b64 s[0:1], vcc
	s_cbranch_execz .LBB891_13
; %bb.12:
	s_waitcnt lgkmcnt(1)
	v_add_co_u32_e32 v6, vcc, v1, v8
	v_addc_co_u32_e32 v2, vcc, 0, v2, vcc
	v_add_co_u32_e32 v1, vcc, 0, v6
	s_waitcnt lgkmcnt(0)
	v_addc_co_u32_e32 v2, vcc, v7, v2, vcc
.LBB891_13:
	s_or_b64 exec, exec, s[0:1]
	v_cmp_gt_u32_e32 vcc, 62, v4
	s_waitcnt lgkmcnt(0)
	v_cndmask_b32_e64 v7, 0, 2, vcc
	v_add_lshl_u32 v7, v7, v3, 2
	ds_bpermute_b32 v8, v7, v6
	ds_bpermute_b32 v7, v7, v2
	v_add_u32_e32 v9, 2, v4
	v_cmp_lt_u32_e32 vcc, v9, v5
	s_and_saveexec_b64 s[0:1], vcc
	s_cbranch_execz .LBB891_15
; %bb.14:
	s_waitcnt lgkmcnt(1)
	v_add_co_u32_e32 v6, vcc, v1, v8
	v_addc_co_u32_e32 v2, vcc, 0, v2, vcc
	v_add_co_u32_e32 v1, vcc, 0, v6
	s_waitcnt lgkmcnt(0)
	v_addc_co_u32_e32 v2, vcc, v7, v2, vcc
.LBB891_15:
	s_or_b64 exec, exec, s[0:1]
	v_cmp_gt_u32_e32 vcc, 60, v4
	s_waitcnt lgkmcnt(0)
	v_cndmask_b32_e64 v7, 0, 4, vcc
	v_add_lshl_u32 v7, v7, v3, 2
	ds_bpermute_b32 v8, v7, v6
	ds_bpermute_b32 v7, v7, v2
	v_add_u32_e32 v9, 4, v4
	v_cmp_lt_u32_e32 vcc, v9, v5
	;; [unrolled: 19-line block ×4, first 2 shown]
	s_and_saveexec_b64 s[0:1], vcc
	s_cbranch_execz .LBB891_21
; %bb.20:
	s_waitcnt lgkmcnt(1)
	v_add_co_u32_e32 v6, vcc, v1, v8
	v_addc_co_u32_e32 v2, vcc, 0, v2, vcc
	v_add_co_u32_e32 v1, vcc, 0, v6
	s_waitcnt lgkmcnt(0)
	v_addc_co_u32_e32 v2, vcc, v7, v2, vcc
.LBB891_21:
	s_or_b64 exec, exec, s[0:1]
	s_waitcnt lgkmcnt(0)
	v_lshlrev_b32_e32 v7, 2, v3
	v_or_b32_e32 v8, 0x80, v7
	ds_bpermute_b32 v6, v8, v6
	ds_bpermute_b32 v8, v8, v2
	v_add_u32_e32 v4, 32, v4
	s_waitcnt lgkmcnt(1)
	v_add_co_u32_e32 v6, vcc, v1, v6
	v_addc_co_u32_e32 v9, vcc, 0, v2, vcc
	v_add_co_u32_e32 v6, vcc, 0, v6
	s_waitcnt lgkmcnt(0)
	v_addc_co_u32_e32 v8, vcc, v9, v8, vcc
	v_cmp_lt_u32_e32 vcc, v4, v5
	v_cndmask_b32_e32 v2, v2, v8, vcc
	v_cndmask_b32_e32 v1, v1, v6, vcc
	v_cmp_eq_u32_e32 vcc, 0, v3
	s_and_saveexec_b64 s[0:1], vcc
; %bb.22:
	v_lshrrev_b32_e32 v4, 3, v0
	v_and_b32_e32 v4, 24, v4
	ds_write_b64 v4, v[1:2] offset:32
; %bb.23:
	s_or_b64 exec, exec, s[0:1]
	v_cmp_gt_u32_e32 vcc, 4, v0
	s_waitcnt lgkmcnt(0)
	s_barrier
	s_and_saveexec_b64 s[0:1], vcc
	s_cbranch_execz .LBB891_27
; %bb.24:
	v_lshlrev_b32_e32 v1, 3, v3
	ds_read_b64 v[1:2], v1 offset:32
	v_and_b32_e32 v4, 3, v3
	v_cmp_ne_u32_e32 vcc, 3, v4
	v_addc_co_u32_e32 v3, vcc, 0, v3, vcc
	v_lshlrev_b32_e32 v3, 2, v3
	s_waitcnt lgkmcnt(0)
	ds_bpermute_b32 v6, v3, v1
	ds_bpermute_b32 v5, v3, v2
	s_add_i32 s2, s2, 63
	s_lshr_b32 s4, s2, 6
	v_add_u32_e32 v3, 1, v4
	v_cmp_gt_u32_e32 vcc, s4, v3
	v_mov_b32_e32 v3, v1
	s_and_saveexec_b64 s[2:3], vcc
	s_cbranch_execz .LBB891_26
; %bb.25:
	s_waitcnt lgkmcnt(1)
	v_add_co_u32_e32 v3, vcc, v1, v6
	v_addc_co_u32_e32 v2, vcc, 0, v2, vcc
	v_add_co_u32_e32 v1, vcc, 0, v3
	s_waitcnt lgkmcnt(0)
	v_addc_co_u32_e32 v2, vcc, v5, v2, vcc
.LBB891_26:
	s_or_b64 exec, exec, s[2:3]
	s_waitcnt lgkmcnt(0)
	v_or_b32_e32 v5, 8, v7
	ds_bpermute_b32 v3, v5, v3
	ds_bpermute_b32 v5, v5, v2
	v_add_u32_e32 v4, 2, v4
	s_waitcnt lgkmcnt(1)
	v_add_co_u32_e32 v3, vcc, v1, v3
	v_addc_co_u32_e32 v6, vcc, 0, v2, vcc
	v_add_co_u32_e32 v3, vcc, 0, v3
	s_waitcnt lgkmcnt(0)
	v_addc_co_u32_e32 v5, vcc, v6, v5, vcc
	v_cmp_gt_u32_e32 vcc, s4, v4
	v_cndmask_b32_e32 v2, v2, v5, vcc
	v_cndmask_b32_e32 v1, v1, v3, vcc
.LBB891_27:
	s_or_b64 exec, exec, s[0:1]
.LBB891_28:
	v_cmp_eq_u32_e32 vcc, 0, v0
	s_and_saveexec_b64 s[0:1], vcc
	s_cbranch_execnz .LBB891_30
; %bb.29:
	s_endpgm
.LBB891_30:
	s_mul_i32 s0, s16, s15
	s_mul_hi_u32 s1, s16, s14
	s_add_i32 s0, s1, s0
	s_mul_i32 s1, s17, s14
	s_add_i32 s1, s0, s1
	s_mul_i32 s0, s16, s14
	s_lshl_b64 s[0:1], s[0:1], 3
	s_add_u32 s2, s12, s0
	s_addc_u32 s3, s13, s1
	s_cmp_eq_u64 s[10:11], 0
	v_mov_b32_e32 v0, s19
	s_cselect_b64 vcc, -1, 0
	s_lshl_b64 s[0:1], s[6:7], 3
	v_cndmask_b32_e32 v2, v2, v0, vcc
	v_mov_b32_e32 v0, s18
	s_add_u32 s0, s2, s0
	v_cndmask_b32_e32 v1, v1, v0, vcc
	s_addc_u32 s1, s3, s1
	v_mov_b32_e32 v0, 0
	global_store_dwordx2 v0, v[1:2], s[0:1]
	s_endpgm
	.section	.rodata,"a",@progbits
	.p2align	6, 0x0
	.amdhsa_kernel _ZN7rocprim17ROCPRIM_400000_NS6detail17trampoline_kernelINS0_14default_configENS1_22reduce_config_selectorIlEEZNS1_11reduce_implILb1ES3_N6thrust23THRUST_200600_302600_NS11hip_rocprim26transform_input_iterator_tIlNS8_12zip_iteratorINS8_5tupleINS8_6detail15normal_iteratorINS8_10device_ptrItEEEESH_NS8_9null_typeESI_SI_SI_SI_SI_SI_SI_EEEENS9_21zip_adj_not_predicateINS8_8equal_toItEEEEEEPllNS8_4plusIlEEEE10hipError_tPvRmT1_T2_T3_mT4_P12ihipStream_tbEUlT_E0_NS1_11comp_targetILNS1_3genE2ELNS1_11target_archE906ELNS1_3gpuE6ELNS1_3repE0EEENS1_30default_config_static_selectorELNS0_4arch9wavefront6targetE1EEEvSW_
		.amdhsa_group_segment_fixed_size 64
		.amdhsa_private_segment_fixed_size 0
		.amdhsa_kernarg_size 80
		.amdhsa_user_sgpr_count 6
		.amdhsa_user_sgpr_private_segment_buffer 1
		.amdhsa_user_sgpr_dispatch_ptr 0
		.amdhsa_user_sgpr_queue_ptr 0
		.amdhsa_user_sgpr_kernarg_segment_ptr 1
		.amdhsa_user_sgpr_dispatch_id 0
		.amdhsa_user_sgpr_flat_scratch_init 0
		.amdhsa_user_sgpr_private_segment_size 0
		.amdhsa_uses_dynamic_stack 0
		.amdhsa_system_sgpr_private_segment_wavefront_offset 0
		.amdhsa_system_sgpr_workgroup_id_x 1
		.amdhsa_system_sgpr_workgroup_id_y 0
		.amdhsa_system_sgpr_workgroup_id_z 0
		.amdhsa_system_sgpr_workgroup_info 0
		.amdhsa_system_vgpr_workitem_id 0
		.amdhsa_next_free_vgpr 11
		.amdhsa_next_free_sgpr 22
		.amdhsa_reserve_vcc 1
		.amdhsa_reserve_flat_scratch 0
		.amdhsa_float_round_mode_32 0
		.amdhsa_float_round_mode_16_64 0
		.amdhsa_float_denorm_mode_32 3
		.amdhsa_float_denorm_mode_16_64 3
		.amdhsa_dx10_clamp 1
		.amdhsa_ieee_mode 1
		.amdhsa_fp16_overflow 0
		.amdhsa_exception_fp_ieee_invalid_op 0
		.amdhsa_exception_fp_denorm_src 0
		.amdhsa_exception_fp_ieee_div_zero 0
		.amdhsa_exception_fp_ieee_overflow 0
		.amdhsa_exception_fp_ieee_underflow 0
		.amdhsa_exception_fp_ieee_inexact 0
		.amdhsa_exception_int_div_zero 0
	.end_amdhsa_kernel
	.section	.text._ZN7rocprim17ROCPRIM_400000_NS6detail17trampoline_kernelINS0_14default_configENS1_22reduce_config_selectorIlEEZNS1_11reduce_implILb1ES3_N6thrust23THRUST_200600_302600_NS11hip_rocprim26transform_input_iterator_tIlNS8_12zip_iteratorINS8_5tupleINS8_6detail15normal_iteratorINS8_10device_ptrItEEEESH_NS8_9null_typeESI_SI_SI_SI_SI_SI_SI_EEEENS9_21zip_adj_not_predicateINS8_8equal_toItEEEEEEPllNS8_4plusIlEEEE10hipError_tPvRmT1_T2_T3_mT4_P12ihipStream_tbEUlT_E0_NS1_11comp_targetILNS1_3genE2ELNS1_11target_archE906ELNS1_3gpuE6ELNS1_3repE0EEENS1_30default_config_static_selectorELNS0_4arch9wavefront6targetE1EEEvSW_,"axG",@progbits,_ZN7rocprim17ROCPRIM_400000_NS6detail17trampoline_kernelINS0_14default_configENS1_22reduce_config_selectorIlEEZNS1_11reduce_implILb1ES3_N6thrust23THRUST_200600_302600_NS11hip_rocprim26transform_input_iterator_tIlNS8_12zip_iteratorINS8_5tupleINS8_6detail15normal_iteratorINS8_10device_ptrItEEEESH_NS8_9null_typeESI_SI_SI_SI_SI_SI_SI_EEEENS9_21zip_adj_not_predicateINS8_8equal_toItEEEEEEPllNS8_4plusIlEEEE10hipError_tPvRmT1_T2_T3_mT4_P12ihipStream_tbEUlT_E0_NS1_11comp_targetILNS1_3genE2ELNS1_11target_archE906ELNS1_3gpuE6ELNS1_3repE0EEENS1_30default_config_static_selectorELNS0_4arch9wavefront6targetE1EEEvSW_,comdat
.Lfunc_end891:
	.size	_ZN7rocprim17ROCPRIM_400000_NS6detail17trampoline_kernelINS0_14default_configENS1_22reduce_config_selectorIlEEZNS1_11reduce_implILb1ES3_N6thrust23THRUST_200600_302600_NS11hip_rocprim26transform_input_iterator_tIlNS8_12zip_iteratorINS8_5tupleINS8_6detail15normal_iteratorINS8_10device_ptrItEEEESH_NS8_9null_typeESI_SI_SI_SI_SI_SI_SI_EEEENS9_21zip_adj_not_predicateINS8_8equal_toItEEEEEEPllNS8_4plusIlEEEE10hipError_tPvRmT1_T2_T3_mT4_P12ihipStream_tbEUlT_E0_NS1_11comp_targetILNS1_3genE2ELNS1_11target_archE906ELNS1_3gpuE6ELNS1_3repE0EEENS1_30default_config_static_selectorELNS0_4arch9wavefront6targetE1EEEvSW_, .Lfunc_end891-_ZN7rocprim17ROCPRIM_400000_NS6detail17trampoline_kernelINS0_14default_configENS1_22reduce_config_selectorIlEEZNS1_11reduce_implILb1ES3_N6thrust23THRUST_200600_302600_NS11hip_rocprim26transform_input_iterator_tIlNS8_12zip_iteratorINS8_5tupleINS8_6detail15normal_iteratorINS8_10device_ptrItEEEESH_NS8_9null_typeESI_SI_SI_SI_SI_SI_SI_EEEENS9_21zip_adj_not_predicateINS8_8equal_toItEEEEEEPllNS8_4plusIlEEEE10hipError_tPvRmT1_T2_T3_mT4_P12ihipStream_tbEUlT_E0_NS1_11comp_targetILNS1_3genE2ELNS1_11target_archE906ELNS1_3gpuE6ELNS1_3repE0EEENS1_30default_config_static_selectorELNS0_4arch9wavefront6targetE1EEEvSW_
                                        ; -- End function
	.set _ZN7rocprim17ROCPRIM_400000_NS6detail17trampoline_kernelINS0_14default_configENS1_22reduce_config_selectorIlEEZNS1_11reduce_implILb1ES3_N6thrust23THRUST_200600_302600_NS11hip_rocprim26transform_input_iterator_tIlNS8_12zip_iteratorINS8_5tupleINS8_6detail15normal_iteratorINS8_10device_ptrItEEEESH_NS8_9null_typeESI_SI_SI_SI_SI_SI_SI_EEEENS9_21zip_adj_not_predicateINS8_8equal_toItEEEEEEPllNS8_4plusIlEEEE10hipError_tPvRmT1_T2_T3_mT4_P12ihipStream_tbEUlT_E0_NS1_11comp_targetILNS1_3genE2ELNS1_11target_archE906ELNS1_3gpuE6ELNS1_3repE0EEENS1_30default_config_static_selectorELNS0_4arch9wavefront6targetE1EEEvSW_.num_vgpr, 11
	.set _ZN7rocprim17ROCPRIM_400000_NS6detail17trampoline_kernelINS0_14default_configENS1_22reduce_config_selectorIlEEZNS1_11reduce_implILb1ES3_N6thrust23THRUST_200600_302600_NS11hip_rocprim26transform_input_iterator_tIlNS8_12zip_iteratorINS8_5tupleINS8_6detail15normal_iteratorINS8_10device_ptrItEEEESH_NS8_9null_typeESI_SI_SI_SI_SI_SI_SI_EEEENS9_21zip_adj_not_predicateINS8_8equal_toItEEEEEEPllNS8_4plusIlEEEE10hipError_tPvRmT1_T2_T3_mT4_P12ihipStream_tbEUlT_E0_NS1_11comp_targetILNS1_3genE2ELNS1_11target_archE906ELNS1_3gpuE6ELNS1_3repE0EEENS1_30default_config_static_selectorELNS0_4arch9wavefront6targetE1EEEvSW_.num_agpr, 0
	.set _ZN7rocprim17ROCPRIM_400000_NS6detail17trampoline_kernelINS0_14default_configENS1_22reduce_config_selectorIlEEZNS1_11reduce_implILb1ES3_N6thrust23THRUST_200600_302600_NS11hip_rocprim26transform_input_iterator_tIlNS8_12zip_iteratorINS8_5tupleINS8_6detail15normal_iteratorINS8_10device_ptrItEEEESH_NS8_9null_typeESI_SI_SI_SI_SI_SI_SI_EEEENS9_21zip_adj_not_predicateINS8_8equal_toItEEEEEEPllNS8_4plusIlEEEE10hipError_tPvRmT1_T2_T3_mT4_P12ihipStream_tbEUlT_E0_NS1_11comp_targetILNS1_3genE2ELNS1_11target_archE906ELNS1_3gpuE6ELNS1_3repE0EEENS1_30default_config_static_selectorELNS0_4arch9wavefront6targetE1EEEvSW_.numbered_sgpr, 22
	.set _ZN7rocprim17ROCPRIM_400000_NS6detail17trampoline_kernelINS0_14default_configENS1_22reduce_config_selectorIlEEZNS1_11reduce_implILb1ES3_N6thrust23THRUST_200600_302600_NS11hip_rocprim26transform_input_iterator_tIlNS8_12zip_iteratorINS8_5tupleINS8_6detail15normal_iteratorINS8_10device_ptrItEEEESH_NS8_9null_typeESI_SI_SI_SI_SI_SI_SI_EEEENS9_21zip_adj_not_predicateINS8_8equal_toItEEEEEEPllNS8_4plusIlEEEE10hipError_tPvRmT1_T2_T3_mT4_P12ihipStream_tbEUlT_E0_NS1_11comp_targetILNS1_3genE2ELNS1_11target_archE906ELNS1_3gpuE6ELNS1_3repE0EEENS1_30default_config_static_selectorELNS0_4arch9wavefront6targetE1EEEvSW_.num_named_barrier, 0
	.set _ZN7rocprim17ROCPRIM_400000_NS6detail17trampoline_kernelINS0_14default_configENS1_22reduce_config_selectorIlEEZNS1_11reduce_implILb1ES3_N6thrust23THRUST_200600_302600_NS11hip_rocprim26transform_input_iterator_tIlNS8_12zip_iteratorINS8_5tupleINS8_6detail15normal_iteratorINS8_10device_ptrItEEEESH_NS8_9null_typeESI_SI_SI_SI_SI_SI_SI_EEEENS9_21zip_adj_not_predicateINS8_8equal_toItEEEEEEPllNS8_4plusIlEEEE10hipError_tPvRmT1_T2_T3_mT4_P12ihipStream_tbEUlT_E0_NS1_11comp_targetILNS1_3genE2ELNS1_11target_archE906ELNS1_3gpuE6ELNS1_3repE0EEENS1_30default_config_static_selectorELNS0_4arch9wavefront6targetE1EEEvSW_.private_seg_size, 0
	.set _ZN7rocprim17ROCPRIM_400000_NS6detail17trampoline_kernelINS0_14default_configENS1_22reduce_config_selectorIlEEZNS1_11reduce_implILb1ES3_N6thrust23THRUST_200600_302600_NS11hip_rocprim26transform_input_iterator_tIlNS8_12zip_iteratorINS8_5tupleINS8_6detail15normal_iteratorINS8_10device_ptrItEEEESH_NS8_9null_typeESI_SI_SI_SI_SI_SI_SI_EEEENS9_21zip_adj_not_predicateINS8_8equal_toItEEEEEEPllNS8_4plusIlEEEE10hipError_tPvRmT1_T2_T3_mT4_P12ihipStream_tbEUlT_E0_NS1_11comp_targetILNS1_3genE2ELNS1_11target_archE906ELNS1_3gpuE6ELNS1_3repE0EEENS1_30default_config_static_selectorELNS0_4arch9wavefront6targetE1EEEvSW_.uses_vcc, 1
	.set _ZN7rocprim17ROCPRIM_400000_NS6detail17trampoline_kernelINS0_14default_configENS1_22reduce_config_selectorIlEEZNS1_11reduce_implILb1ES3_N6thrust23THRUST_200600_302600_NS11hip_rocprim26transform_input_iterator_tIlNS8_12zip_iteratorINS8_5tupleINS8_6detail15normal_iteratorINS8_10device_ptrItEEEESH_NS8_9null_typeESI_SI_SI_SI_SI_SI_SI_EEEENS9_21zip_adj_not_predicateINS8_8equal_toItEEEEEEPllNS8_4plusIlEEEE10hipError_tPvRmT1_T2_T3_mT4_P12ihipStream_tbEUlT_E0_NS1_11comp_targetILNS1_3genE2ELNS1_11target_archE906ELNS1_3gpuE6ELNS1_3repE0EEENS1_30default_config_static_selectorELNS0_4arch9wavefront6targetE1EEEvSW_.uses_flat_scratch, 0
	.set _ZN7rocprim17ROCPRIM_400000_NS6detail17trampoline_kernelINS0_14default_configENS1_22reduce_config_selectorIlEEZNS1_11reduce_implILb1ES3_N6thrust23THRUST_200600_302600_NS11hip_rocprim26transform_input_iterator_tIlNS8_12zip_iteratorINS8_5tupleINS8_6detail15normal_iteratorINS8_10device_ptrItEEEESH_NS8_9null_typeESI_SI_SI_SI_SI_SI_SI_EEEENS9_21zip_adj_not_predicateINS8_8equal_toItEEEEEEPllNS8_4plusIlEEEE10hipError_tPvRmT1_T2_T3_mT4_P12ihipStream_tbEUlT_E0_NS1_11comp_targetILNS1_3genE2ELNS1_11target_archE906ELNS1_3gpuE6ELNS1_3repE0EEENS1_30default_config_static_selectorELNS0_4arch9wavefront6targetE1EEEvSW_.has_dyn_sized_stack, 0
	.set _ZN7rocprim17ROCPRIM_400000_NS6detail17trampoline_kernelINS0_14default_configENS1_22reduce_config_selectorIlEEZNS1_11reduce_implILb1ES3_N6thrust23THRUST_200600_302600_NS11hip_rocprim26transform_input_iterator_tIlNS8_12zip_iteratorINS8_5tupleINS8_6detail15normal_iteratorINS8_10device_ptrItEEEESH_NS8_9null_typeESI_SI_SI_SI_SI_SI_SI_EEEENS9_21zip_adj_not_predicateINS8_8equal_toItEEEEEEPllNS8_4plusIlEEEE10hipError_tPvRmT1_T2_T3_mT4_P12ihipStream_tbEUlT_E0_NS1_11comp_targetILNS1_3genE2ELNS1_11target_archE906ELNS1_3gpuE6ELNS1_3repE0EEENS1_30default_config_static_selectorELNS0_4arch9wavefront6targetE1EEEvSW_.has_recursion, 0
	.set _ZN7rocprim17ROCPRIM_400000_NS6detail17trampoline_kernelINS0_14default_configENS1_22reduce_config_selectorIlEEZNS1_11reduce_implILb1ES3_N6thrust23THRUST_200600_302600_NS11hip_rocprim26transform_input_iterator_tIlNS8_12zip_iteratorINS8_5tupleINS8_6detail15normal_iteratorINS8_10device_ptrItEEEESH_NS8_9null_typeESI_SI_SI_SI_SI_SI_SI_EEEENS9_21zip_adj_not_predicateINS8_8equal_toItEEEEEEPllNS8_4plusIlEEEE10hipError_tPvRmT1_T2_T3_mT4_P12ihipStream_tbEUlT_E0_NS1_11comp_targetILNS1_3genE2ELNS1_11target_archE906ELNS1_3gpuE6ELNS1_3repE0EEENS1_30default_config_static_selectorELNS0_4arch9wavefront6targetE1EEEvSW_.has_indirect_call, 0
	.section	.AMDGPU.csdata,"",@progbits
; Kernel info:
; codeLenInByte = 1616
; TotalNumSgprs: 26
; NumVgprs: 11
; ScratchSize: 0
; MemoryBound: 0
; FloatMode: 240
; IeeeMode: 1
; LDSByteSize: 64 bytes/workgroup (compile time only)
; SGPRBlocks: 3
; VGPRBlocks: 2
; NumSGPRsForWavesPerEU: 26
; NumVGPRsForWavesPerEU: 11
; Occupancy: 10
; WaveLimiterHint : 0
; COMPUTE_PGM_RSRC2:SCRATCH_EN: 0
; COMPUTE_PGM_RSRC2:USER_SGPR: 6
; COMPUTE_PGM_RSRC2:TRAP_HANDLER: 0
; COMPUTE_PGM_RSRC2:TGID_X_EN: 1
; COMPUTE_PGM_RSRC2:TGID_Y_EN: 0
; COMPUTE_PGM_RSRC2:TGID_Z_EN: 0
; COMPUTE_PGM_RSRC2:TIDIG_COMP_CNT: 0
	.section	.text._ZN7rocprim17ROCPRIM_400000_NS6detail17trampoline_kernelINS0_14default_configENS1_22reduce_config_selectorIlEEZNS1_11reduce_implILb1ES3_N6thrust23THRUST_200600_302600_NS11hip_rocprim26transform_input_iterator_tIlNS8_12zip_iteratorINS8_5tupleINS8_6detail15normal_iteratorINS8_10device_ptrItEEEESH_NS8_9null_typeESI_SI_SI_SI_SI_SI_SI_EEEENS9_21zip_adj_not_predicateINS8_8equal_toItEEEEEEPllNS8_4plusIlEEEE10hipError_tPvRmT1_T2_T3_mT4_P12ihipStream_tbEUlT_E0_NS1_11comp_targetILNS1_3genE10ELNS1_11target_archE1201ELNS1_3gpuE5ELNS1_3repE0EEENS1_30default_config_static_selectorELNS0_4arch9wavefront6targetE1EEEvSW_,"axG",@progbits,_ZN7rocprim17ROCPRIM_400000_NS6detail17trampoline_kernelINS0_14default_configENS1_22reduce_config_selectorIlEEZNS1_11reduce_implILb1ES3_N6thrust23THRUST_200600_302600_NS11hip_rocprim26transform_input_iterator_tIlNS8_12zip_iteratorINS8_5tupleINS8_6detail15normal_iteratorINS8_10device_ptrItEEEESH_NS8_9null_typeESI_SI_SI_SI_SI_SI_SI_EEEENS9_21zip_adj_not_predicateINS8_8equal_toItEEEEEEPllNS8_4plusIlEEEE10hipError_tPvRmT1_T2_T3_mT4_P12ihipStream_tbEUlT_E0_NS1_11comp_targetILNS1_3genE10ELNS1_11target_archE1201ELNS1_3gpuE5ELNS1_3repE0EEENS1_30default_config_static_selectorELNS0_4arch9wavefront6targetE1EEEvSW_,comdat
	.protected	_ZN7rocprim17ROCPRIM_400000_NS6detail17trampoline_kernelINS0_14default_configENS1_22reduce_config_selectorIlEEZNS1_11reduce_implILb1ES3_N6thrust23THRUST_200600_302600_NS11hip_rocprim26transform_input_iterator_tIlNS8_12zip_iteratorINS8_5tupleINS8_6detail15normal_iteratorINS8_10device_ptrItEEEESH_NS8_9null_typeESI_SI_SI_SI_SI_SI_SI_EEEENS9_21zip_adj_not_predicateINS8_8equal_toItEEEEEEPllNS8_4plusIlEEEE10hipError_tPvRmT1_T2_T3_mT4_P12ihipStream_tbEUlT_E0_NS1_11comp_targetILNS1_3genE10ELNS1_11target_archE1201ELNS1_3gpuE5ELNS1_3repE0EEENS1_30default_config_static_selectorELNS0_4arch9wavefront6targetE1EEEvSW_ ; -- Begin function _ZN7rocprim17ROCPRIM_400000_NS6detail17trampoline_kernelINS0_14default_configENS1_22reduce_config_selectorIlEEZNS1_11reduce_implILb1ES3_N6thrust23THRUST_200600_302600_NS11hip_rocprim26transform_input_iterator_tIlNS8_12zip_iteratorINS8_5tupleINS8_6detail15normal_iteratorINS8_10device_ptrItEEEESH_NS8_9null_typeESI_SI_SI_SI_SI_SI_SI_EEEENS9_21zip_adj_not_predicateINS8_8equal_toItEEEEEEPllNS8_4plusIlEEEE10hipError_tPvRmT1_T2_T3_mT4_P12ihipStream_tbEUlT_E0_NS1_11comp_targetILNS1_3genE10ELNS1_11target_archE1201ELNS1_3gpuE5ELNS1_3repE0EEENS1_30default_config_static_selectorELNS0_4arch9wavefront6targetE1EEEvSW_
	.globl	_ZN7rocprim17ROCPRIM_400000_NS6detail17trampoline_kernelINS0_14default_configENS1_22reduce_config_selectorIlEEZNS1_11reduce_implILb1ES3_N6thrust23THRUST_200600_302600_NS11hip_rocprim26transform_input_iterator_tIlNS8_12zip_iteratorINS8_5tupleINS8_6detail15normal_iteratorINS8_10device_ptrItEEEESH_NS8_9null_typeESI_SI_SI_SI_SI_SI_SI_EEEENS9_21zip_adj_not_predicateINS8_8equal_toItEEEEEEPllNS8_4plusIlEEEE10hipError_tPvRmT1_T2_T3_mT4_P12ihipStream_tbEUlT_E0_NS1_11comp_targetILNS1_3genE10ELNS1_11target_archE1201ELNS1_3gpuE5ELNS1_3repE0EEENS1_30default_config_static_selectorELNS0_4arch9wavefront6targetE1EEEvSW_
	.p2align	8
	.type	_ZN7rocprim17ROCPRIM_400000_NS6detail17trampoline_kernelINS0_14default_configENS1_22reduce_config_selectorIlEEZNS1_11reduce_implILb1ES3_N6thrust23THRUST_200600_302600_NS11hip_rocprim26transform_input_iterator_tIlNS8_12zip_iteratorINS8_5tupleINS8_6detail15normal_iteratorINS8_10device_ptrItEEEESH_NS8_9null_typeESI_SI_SI_SI_SI_SI_SI_EEEENS9_21zip_adj_not_predicateINS8_8equal_toItEEEEEEPllNS8_4plusIlEEEE10hipError_tPvRmT1_T2_T3_mT4_P12ihipStream_tbEUlT_E0_NS1_11comp_targetILNS1_3genE10ELNS1_11target_archE1201ELNS1_3gpuE5ELNS1_3repE0EEENS1_30default_config_static_selectorELNS0_4arch9wavefront6targetE1EEEvSW_,@function
_ZN7rocprim17ROCPRIM_400000_NS6detail17trampoline_kernelINS0_14default_configENS1_22reduce_config_selectorIlEEZNS1_11reduce_implILb1ES3_N6thrust23THRUST_200600_302600_NS11hip_rocprim26transform_input_iterator_tIlNS8_12zip_iteratorINS8_5tupleINS8_6detail15normal_iteratorINS8_10device_ptrItEEEESH_NS8_9null_typeESI_SI_SI_SI_SI_SI_SI_EEEENS9_21zip_adj_not_predicateINS8_8equal_toItEEEEEEPllNS8_4plusIlEEEE10hipError_tPvRmT1_T2_T3_mT4_P12ihipStream_tbEUlT_E0_NS1_11comp_targetILNS1_3genE10ELNS1_11target_archE1201ELNS1_3gpuE5ELNS1_3repE0EEENS1_30default_config_static_selectorELNS0_4arch9wavefront6targetE1EEEvSW_: ; @_ZN7rocprim17ROCPRIM_400000_NS6detail17trampoline_kernelINS0_14default_configENS1_22reduce_config_selectorIlEEZNS1_11reduce_implILb1ES3_N6thrust23THRUST_200600_302600_NS11hip_rocprim26transform_input_iterator_tIlNS8_12zip_iteratorINS8_5tupleINS8_6detail15normal_iteratorINS8_10device_ptrItEEEESH_NS8_9null_typeESI_SI_SI_SI_SI_SI_SI_EEEENS9_21zip_adj_not_predicateINS8_8equal_toItEEEEEEPllNS8_4plusIlEEEE10hipError_tPvRmT1_T2_T3_mT4_P12ihipStream_tbEUlT_E0_NS1_11comp_targetILNS1_3genE10ELNS1_11target_archE1201ELNS1_3gpuE5ELNS1_3repE0EEENS1_30default_config_static_selectorELNS0_4arch9wavefront6targetE1EEEvSW_
; %bb.0:
	.section	.rodata,"a",@progbits
	.p2align	6, 0x0
	.amdhsa_kernel _ZN7rocprim17ROCPRIM_400000_NS6detail17trampoline_kernelINS0_14default_configENS1_22reduce_config_selectorIlEEZNS1_11reduce_implILb1ES3_N6thrust23THRUST_200600_302600_NS11hip_rocprim26transform_input_iterator_tIlNS8_12zip_iteratorINS8_5tupleINS8_6detail15normal_iteratorINS8_10device_ptrItEEEESH_NS8_9null_typeESI_SI_SI_SI_SI_SI_SI_EEEENS9_21zip_adj_not_predicateINS8_8equal_toItEEEEEEPllNS8_4plusIlEEEE10hipError_tPvRmT1_T2_T3_mT4_P12ihipStream_tbEUlT_E0_NS1_11comp_targetILNS1_3genE10ELNS1_11target_archE1201ELNS1_3gpuE5ELNS1_3repE0EEENS1_30default_config_static_selectorELNS0_4arch9wavefront6targetE1EEEvSW_
		.amdhsa_group_segment_fixed_size 0
		.amdhsa_private_segment_fixed_size 0
		.amdhsa_kernarg_size 80
		.amdhsa_user_sgpr_count 6
		.amdhsa_user_sgpr_private_segment_buffer 1
		.amdhsa_user_sgpr_dispatch_ptr 0
		.amdhsa_user_sgpr_queue_ptr 0
		.amdhsa_user_sgpr_kernarg_segment_ptr 1
		.amdhsa_user_sgpr_dispatch_id 0
		.amdhsa_user_sgpr_flat_scratch_init 0
		.amdhsa_user_sgpr_private_segment_size 0
		.amdhsa_uses_dynamic_stack 0
		.amdhsa_system_sgpr_private_segment_wavefront_offset 0
		.amdhsa_system_sgpr_workgroup_id_x 1
		.amdhsa_system_sgpr_workgroup_id_y 0
		.amdhsa_system_sgpr_workgroup_id_z 0
		.amdhsa_system_sgpr_workgroup_info 0
		.amdhsa_system_vgpr_workitem_id 0
		.amdhsa_next_free_vgpr 1
		.amdhsa_next_free_sgpr 0
		.amdhsa_reserve_vcc 0
		.amdhsa_reserve_flat_scratch 0
		.amdhsa_float_round_mode_32 0
		.amdhsa_float_round_mode_16_64 0
		.amdhsa_float_denorm_mode_32 3
		.amdhsa_float_denorm_mode_16_64 3
		.amdhsa_dx10_clamp 1
		.amdhsa_ieee_mode 1
		.amdhsa_fp16_overflow 0
		.amdhsa_exception_fp_ieee_invalid_op 0
		.amdhsa_exception_fp_denorm_src 0
		.amdhsa_exception_fp_ieee_div_zero 0
		.amdhsa_exception_fp_ieee_overflow 0
		.amdhsa_exception_fp_ieee_underflow 0
		.amdhsa_exception_fp_ieee_inexact 0
		.amdhsa_exception_int_div_zero 0
	.end_amdhsa_kernel
	.section	.text._ZN7rocprim17ROCPRIM_400000_NS6detail17trampoline_kernelINS0_14default_configENS1_22reduce_config_selectorIlEEZNS1_11reduce_implILb1ES3_N6thrust23THRUST_200600_302600_NS11hip_rocprim26transform_input_iterator_tIlNS8_12zip_iteratorINS8_5tupleINS8_6detail15normal_iteratorINS8_10device_ptrItEEEESH_NS8_9null_typeESI_SI_SI_SI_SI_SI_SI_EEEENS9_21zip_adj_not_predicateINS8_8equal_toItEEEEEEPllNS8_4plusIlEEEE10hipError_tPvRmT1_T2_T3_mT4_P12ihipStream_tbEUlT_E0_NS1_11comp_targetILNS1_3genE10ELNS1_11target_archE1201ELNS1_3gpuE5ELNS1_3repE0EEENS1_30default_config_static_selectorELNS0_4arch9wavefront6targetE1EEEvSW_,"axG",@progbits,_ZN7rocprim17ROCPRIM_400000_NS6detail17trampoline_kernelINS0_14default_configENS1_22reduce_config_selectorIlEEZNS1_11reduce_implILb1ES3_N6thrust23THRUST_200600_302600_NS11hip_rocprim26transform_input_iterator_tIlNS8_12zip_iteratorINS8_5tupleINS8_6detail15normal_iteratorINS8_10device_ptrItEEEESH_NS8_9null_typeESI_SI_SI_SI_SI_SI_SI_EEEENS9_21zip_adj_not_predicateINS8_8equal_toItEEEEEEPllNS8_4plusIlEEEE10hipError_tPvRmT1_T2_T3_mT4_P12ihipStream_tbEUlT_E0_NS1_11comp_targetILNS1_3genE10ELNS1_11target_archE1201ELNS1_3gpuE5ELNS1_3repE0EEENS1_30default_config_static_selectorELNS0_4arch9wavefront6targetE1EEEvSW_,comdat
.Lfunc_end892:
	.size	_ZN7rocprim17ROCPRIM_400000_NS6detail17trampoline_kernelINS0_14default_configENS1_22reduce_config_selectorIlEEZNS1_11reduce_implILb1ES3_N6thrust23THRUST_200600_302600_NS11hip_rocprim26transform_input_iterator_tIlNS8_12zip_iteratorINS8_5tupleINS8_6detail15normal_iteratorINS8_10device_ptrItEEEESH_NS8_9null_typeESI_SI_SI_SI_SI_SI_SI_EEEENS9_21zip_adj_not_predicateINS8_8equal_toItEEEEEEPllNS8_4plusIlEEEE10hipError_tPvRmT1_T2_T3_mT4_P12ihipStream_tbEUlT_E0_NS1_11comp_targetILNS1_3genE10ELNS1_11target_archE1201ELNS1_3gpuE5ELNS1_3repE0EEENS1_30default_config_static_selectorELNS0_4arch9wavefront6targetE1EEEvSW_, .Lfunc_end892-_ZN7rocprim17ROCPRIM_400000_NS6detail17trampoline_kernelINS0_14default_configENS1_22reduce_config_selectorIlEEZNS1_11reduce_implILb1ES3_N6thrust23THRUST_200600_302600_NS11hip_rocprim26transform_input_iterator_tIlNS8_12zip_iteratorINS8_5tupleINS8_6detail15normal_iteratorINS8_10device_ptrItEEEESH_NS8_9null_typeESI_SI_SI_SI_SI_SI_SI_EEEENS9_21zip_adj_not_predicateINS8_8equal_toItEEEEEEPllNS8_4plusIlEEEE10hipError_tPvRmT1_T2_T3_mT4_P12ihipStream_tbEUlT_E0_NS1_11comp_targetILNS1_3genE10ELNS1_11target_archE1201ELNS1_3gpuE5ELNS1_3repE0EEENS1_30default_config_static_selectorELNS0_4arch9wavefront6targetE1EEEvSW_
                                        ; -- End function
	.set _ZN7rocprim17ROCPRIM_400000_NS6detail17trampoline_kernelINS0_14default_configENS1_22reduce_config_selectorIlEEZNS1_11reduce_implILb1ES3_N6thrust23THRUST_200600_302600_NS11hip_rocprim26transform_input_iterator_tIlNS8_12zip_iteratorINS8_5tupleINS8_6detail15normal_iteratorINS8_10device_ptrItEEEESH_NS8_9null_typeESI_SI_SI_SI_SI_SI_SI_EEEENS9_21zip_adj_not_predicateINS8_8equal_toItEEEEEEPllNS8_4plusIlEEEE10hipError_tPvRmT1_T2_T3_mT4_P12ihipStream_tbEUlT_E0_NS1_11comp_targetILNS1_3genE10ELNS1_11target_archE1201ELNS1_3gpuE5ELNS1_3repE0EEENS1_30default_config_static_selectorELNS0_4arch9wavefront6targetE1EEEvSW_.num_vgpr, 0
	.set _ZN7rocprim17ROCPRIM_400000_NS6detail17trampoline_kernelINS0_14default_configENS1_22reduce_config_selectorIlEEZNS1_11reduce_implILb1ES3_N6thrust23THRUST_200600_302600_NS11hip_rocprim26transform_input_iterator_tIlNS8_12zip_iteratorINS8_5tupleINS8_6detail15normal_iteratorINS8_10device_ptrItEEEESH_NS8_9null_typeESI_SI_SI_SI_SI_SI_SI_EEEENS9_21zip_adj_not_predicateINS8_8equal_toItEEEEEEPllNS8_4plusIlEEEE10hipError_tPvRmT1_T2_T3_mT4_P12ihipStream_tbEUlT_E0_NS1_11comp_targetILNS1_3genE10ELNS1_11target_archE1201ELNS1_3gpuE5ELNS1_3repE0EEENS1_30default_config_static_selectorELNS0_4arch9wavefront6targetE1EEEvSW_.num_agpr, 0
	.set _ZN7rocprim17ROCPRIM_400000_NS6detail17trampoline_kernelINS0_14default_configENS1_22reduce_config_selectorIlEEZNS1_11reduce_implILb1ES3_N6thrust23THRUST_200600_302600_NS11hip_rocprim26transform_input_iterator_tIlNS8_12zip_iteratorINS8_5tupleINS8_6detail15normal_iteratorINS8_10device_ptrItEEEESH_NS8_9null_typeESI_SI_SI_SI_SI_SI_SI_EEEENS9_21zip_adj_not_predicateINS8_8equal_toItEEEEEEPllNS8_4plusIlEEEE10hipError_tPvRmT1_T2_T3_mT4_P12ihipStream_tbEUlT_E0_NS1_11comp_targetILNS1_3genE10ELNS1_11target_archE1201ELNS1_3gpuE5ELNS1_3repE0EEENS1_30default_config_static_selectorELNS0_4arch9wavefront6targetE1EEEvSW_.numbered_sgpr, 0
	.set _ZN7rocprim17ROCPRIM_400000_NS6detail17trampoline_kernelINS0_14default_configENS1_22reduce_config_selectorIlEEZNS1_11reduce_implILb1ES3_N6thrust23THRUST_200600_302600_NS11hip_rocprim26transform_input_iterator_tIlNS8_12zip_iteratorINS8_5tupleINS8_6detail15normal_iteratorINS8_10device_ptrItEEEESH_NS8_9null_typeESI_SI_SI_SI_SI_SI_SI_EEEENS9_21zip_adj_not_predicateINS8_8equal_toItEEEEEEPllNS8_4plusIlEEEE10hipError_tPvRmT1_T2_T3_mT4_P12ihipStream_tbEUlT_E0_NS1_11comp_targetILNS1_3genE10ELNS1_11target_archE1201ELNS1_3gpuE5ELNS1_3repE0EEENS1_30default_config_static_selectorELNS0_4arch9wavefront6targetE1EEEvSW_.num_named_barrier, 0
	.set _ZN7rocprim17ROCPRIM_400000_NS6detail17trampoline_kernelINS0_14default_configENS1_22reduce_config_selectorIlEEZNS1_11reduce_implILb1ES3_N6thrust23THRUST_200600_302600_NS11hip_rocprim26transform_input_iterator_tIlNS8_12zip_iteratorINS8_5tupleINS8_6detail15normal_iteratorINS8_10device_ptrItEEEESH_NS8_9null_typeESI_SI_SI_SI_SI_SI_SI_EEEENS9_21zip_adj_not_predicateINS8_8equal_toItEEEEEEPllNS8_4plusIlEEEE10hipError_tPvRmT1_T2_T3_mT4_P12ihipStream_tbEUlT_E0_NS1_11comp_targetILNS1_3genE10ELNS1_11target_archE1201ELNS1_3gpuE5ELNS1_3repE0EEENS1_30default_config_static_selectorELNS0_4arch9wavefront6targetE1EEEvSW_.private_seg_size, 0
	.set _ZN7rocprim17ROCPRIM_400000_NS6detail17trampoline_kernelINS0_14default_configENS1_22reduce_config_selectorIlEEZNS1_11reduce_implILb1ES3_N6thrust23THRUST_200600_302600_NS11hip_rocprim26transform_input_iterator_tIlNS8_12zip_iteratorINS8_5tupleINS8_6detail15normal_iteratorINS8_10device_ptrItEEEESH_NS8_9null_typeESI_SI_SI_SI_SI_SI_SI_EEEENS9_21zip_adj_not_predicateINS8_8equal_toItEEEEEEPllNS8_4plusIlEEEE10hipError_tPvRmT1_T2_T3_mT4_P12ihipStream_tbEUlT_E0_NS1_11comp_targetILNS1_3genE10ELNS1_11target_archE1201ELNS1_3gpuE5ELNS1_3repE0EEENS1_30default_config_static_selectorELNS0_4arch9wavefront6targetE1EEEvSW_.uses_vcc, 0
	.set _ZN7rocprim17ROCPRIM_400000_NS6detail17trampoline_kernelINS0_14default_configENS1_22reduce_config_selectorIlEEZNS1_11reduce_implILb1ES3_N6thrust23THRUST_200600_302600_NS11hip_rocprim26transform_input_iterator_tIlNS8_12zip_iteratorINS8_5tupleINS8_6detail15normal_iteratorINS8_10device_ptrItEEEESH_NS8_9null_typeESI_SI_SI_SI_SI_SI_SI_EEEENS9_21zip_adj_not_predicateINS8_8equal_toItEEEEEEPllNS8_4plusIlEEEE10hipError_tPvRmT1_T2_T3_mT4_P12ihipStream_tbEUlT_E0_NS1_11comp_targetILNS1_3genE10ELNS1_11target_archE1201ELNS1_3gpuE5ELNS1_3repE0EEENS1_30default_config_static_selectorELNS0_4arch9wavefront6targetE1EEEvSW_.uses_flat_scratch, 0
	.set _ZN7rocprim17ROCPRIM_400000_NS6detail17trampoline_kernelINS0_14default_configENS1_22reduce_config_selectorIlEEZNS1_11reduce_implILb1ES3_N6thrust23THRUST_200600_302600_NS11hip_rocprim26transform_input_iterator_tIlNS8_12zip_iteratorINS8_5tupleINS8_6detail15normal_iteratorINS8_10device_ptrItEEEESH_NS8_9null_typeESI_SI_SI_SI_SI_SI_SI_EEEENS9_21zip_adj_not_predicateINS8_8equal_toItEEEEEEPllNS8_4plusIlEEEE10hipError_tPvRmT1_T2_T3_mT4_P12ihipStream_tbEUlT_E0_NS1_11comp_targetILNS1_3genE10ELNS1_11target_archE1201ELNS1_3gpuE5ELNS1_3repE0EEENS1_30default_config_static_selectorELNS0_4arch9wavefront6targetE1EEEvSW_.has_dyn_sized_stack, 0
	.set _ZN7rocprim17ROCPRIM_400000_NS6detail17trampoline_kernelINS0_14default_configENS1_22reduce_config_selectorIlEEZNS1_11reduce_implILb1ES3_N6thrust23THRUST_200600_302600_NS11hip_rocprim26transform_input_iterator_tIlNS8_12zip_iteratorINS8_5tupleINS8_6detail15normal_iteratorINS8_10device_ptrItEEEESH_NS8_9null_typeESI_SI_SI_SI_SI_SI_SI_EEEENS9_21zip_adj_not_predicateINS8_8equal_toItEEEEEEPllNS8_4plusIlEEEE10hipError_tPvRmT1_T2_T3_mT4_P12ihipStream_tbEUlT_E0_NS1_11comp_targetILNS1_3genE10ELNS1_11target_archE1201ELNS1_3gpuE5ELNS1_3repE0EEENS1_30default_config_static_selectorELNS0_4arch9wavefront6targetE1EEEvSW_.has_recursion, 0
	.set _ZN7rocprim17ROCPRIM_400000_NS6detail17trampoline_kernelINS0_14default_configENS1_22reduce_config_selectorIlEEZNS1_11reduce_implILb1ES3_N6thrust23THRUST_200600_302600_NS11hip_rocprim26transform_input_iterator_tIlNS8_12zip_iteratorINS8_5tupleINS8_6detail15normal_iteratorINS8_10device_ptrItEEEESH_NS8_9null_typeESI_SI_SI_SI_SI_SI_SI_EEEENS9_21zip_adj_not_predicateINS8_8equal_toItEEEEEEPllNS8_4plusIlEEEE10hipError_tPvRmT1_T2_T3_mT4_P12ihipStream_tbEUlT_E0_NS1_11comp_targetILNS1_3genE10ELNS1_11target_archE1201ELNS1_3gpuE5ELNS1_3repE0EEENS1_30default_config_static_selectorELNS0_4arch9wavefront6targetE1EEEvSW_.has_indirect_call, 0
	.section	.AMDGPU.csdata,"",@progbits
; Kernel info:
; codeLenInByte = 0
; TotalNumSgprs: 4
; NumVgprs: 0
; ScratchSize: 0
; MemoryBound: 0
; FloatMode: 240
; IeeeMode: 1
; LDSByteSize: 0 bytes/workgroup (compile time only)
; SGPRBlocks: 0
; VGPRBlocks: 0
; NumSGPRsForWavesPerEU: 4
; NumVGPRsForWavesPerEU: 1
; Occupancy: 10
; WaveLimiterHint : 0
; COMPUTE_PGM_RSRC2:SCRATCH_EN: 0
; COMPUTE_PGM_RSRC2:USER_SGPR: 6
; COMPUTE_PGM_RSRC2:TRAP_HANDLER: 0
; COMPUTE_PGM_RSRC2:TGID_X_EN: 1
; COMPUTE_PGM_RSRC2:TGID_Y_EN: 0
; COMPUTE_PGM_RSRC2:TGID_Z_EN: 0
; COMPUTE_PGM_RSRC2:TIDIG_COMP_CNT: 0
	.section	.text._ZN7rocprim17ROCPRIM_400000_NS6detail17trampoline_kernelINS0_14default_configENS1_22reduce_config_selectorIlEEZNS1_11reduce_implILb1ES3_N6thrust23THRUST_200600_302600_NS11hip_rocprim26transform_input_iterator_tIlNS8_12zip_iteratorINS8_5tupleINS8_6detail15normal_iteratorINS8_10device_ptrItEEEESH_NS8_9null_typeESI_SI_SI_SI_SI_SI_SI_EEEENS9_21zip_adj_not_predicateINS8_8equal_toItEEEEEEPllNS8_4plusIlEEEE10hipError_tPvRmT1_T2_T3_mT4_P12ihipStream_tbEUlT_E0_NS1_11comp_targetILNS1_3genE10ELNS1_11target_archE1200ELNS1_3gpuE4ELNS1_3repE0EEENS1_30default_config_static_selectorELNS0_4arch9wavefront6targetE1EEEvSW_,"axG",@progbits,_ZN7rocprim17ROCPRIM_400000_NS6detail17trampoline_kernelINS0_14default_configENS1_22reduce_config_selectorIlEEZNS1_11reduce_implILb1ES3_N6thrust23THRUST_200600_302600_NS11hip_rocprim26transform_input_iterator_tIlNS8_12zip_iteratorINS8_5tupleINS8_6detail15normal_iteratorINS8_10device_ptrItEEEESH_NS8_9null_typeESI_SI_SI_SI_SI_SI_SI_EEEENS9_21zip_adj_not_predicateINS8_8equal_toItEEEEEEPllNS8_4plusIlEEEE10hipError_tPvRmT1_T2_T3_mT4_P12ihipStream_tbEUlT_E0_NS1_11comp_targetILNS1_3genE10ELNS1_11target_archE1200ELNS1_3gpuE4ELNS1_3repE0EEENS1_30default_config_static_selectorELNS0_4arch9wavefront6targetE1EEEvSW_,comdat
	.protected	_ZN7rocprim17ROCPRIM_400000_NS6detail17trampoline_kernelINS0_14default_configENS1_22reduce_config_selectorIlEEZNS1_11reduce_implILb1ES3_N6thrust23THRUST_200600_302600_NS11hip_rocprim26transform_input_iterator_tIlNS8_12zip_iteratorINS8_5tupleINS8_6detail15normal_iteratorINS8_10device_ptrItEEEESH_NS8_9null_typeESI_SI_SI_SI_SI_SI_SI_EEEENS9_21zip_adj_not_predicateINS8_8equal_toItEEEEEEPllNS8_4plusIlEEEE10hipError_tPvRmT1_T2_T3_mT4_P12ihipStream_tbEUlT_E0_NS1_11comp_targetILNS1_3genE10ELNS1_11target_archE1200ELNS1_3gpuE4ELNS1_3repE0EEENS1_30default_config_static_selectorELNS0_4arch9wavefront6targetE1EEEvSW_ ; -- Begin function _ZN7rocprim17ROCPRIM_400000_NS6detail17trampoline_kernelINS0_14default_configENS1_22reduce_config_selectorIlEEZNS1_11reduce_implILb1ES3_N6thrust23THRUST_200600_302600_NS11hip_rocprim26transform_input_iterator_tIlNS8_12zip_iteratorINS8_5tupleINS8_6detail15normal_iteratorINS8_10device_ptrItEEEESH_NS8_9null_typeESI_SI_SI_SI_SI_SI_SI_EEEENS9_21zip_adj_not_predicateINS8_8equal_toItEEEEEEPllNS8_4plusIlEEEE10hipError_tPvRmT1_T2_T3_mT4_P12ihipStream_tbEUlT_E0_NS1_11comp_targetILNS1_3genE10ELNS1_11target_archE1200ELNS1_3gpuE4ELNS1_3repE0EEENS1_30default_config_static_selectorELNS0_4arch9wavefront6targetE1EEEvSW_
	.globl	_ZN7rocprim17ROCPRIM_400000_NS6detail17trampoline_kernelINS0_14default_configENS1_22reduce_config_selectorIlEEZNS1_11reduce_implILb1ES3_N6thrust23THRUST_200600_302600_NS11hip_rocprim26transform_input_iterator_tIlNS8_12zip_iteratorINS8_5tupleINS8_6detail15normal_iteratorINS8_10device_ptrItEEEESH_NS8_9null_typeESI_SI_SI_SI_SI_SI_SI_EEEENS9_21zip_adj_not_predicateINS8_8equal_toItEEEEEEPllNS8_4plusIlEEEE10hipError_tPvRmT1_T2_T3_mT4_P12ihipStream_tbEUlT_E0_NS1_11comp_targetILNS1_3genE10ELNS1_11target_archE1200ELNS1_3gpuE4ELNS1_3repE0EEENS1_30default_config_static_selectorELNS0_4arch9wavefront6targetE1EEEvSW_
	.p2align	8
	.type	_ZN7rocprim17ROCPRIM_400000_NS6detail17trampoline_kernelINS0_14default_configENS1_22reduce_config_selectorIlEEZNS1_11reduce_implILb1ES3_N6thrust23THRUST_200600_302600_NS11hip_rocprim26transform_input_iterator_tIlNS8_12zip_iteratorINS8_5tupleINS8_6detail15normal_iteratorINS8_10device_ptrItEEEESH_NS8_9null_typeESI_SI_SI_SI_SI_SI_SI_EEEENS9_21zip_adj_not_predicateINS8_8equal_toItEEEEEEPllNS8_4plusIlEEEE10hipError_tPvRmT1_T2_T3_mT4_P12ihipStream_tbEUlT_E0_NS1_11comp_targetILNS1_3genE10ELNS1_11target_archE1200ELNS1_3gpuE4ELNS1_3repE0EEENS1_30default_config_static_selectorELNS0_4arch9wavefront6targetE1EEEvSW_,@function
_ZN7rocprim17ROCPRIM_400000_NS6detail17trampoline_kernelINS0_14default_configENS1_22reduce_config_selectorIlEEZNS1_11reduce_implILb1ES3_N6thrust23THRUST_200600_302600_NS11hip_rocprim26transform_input_iterator_tIlNS8_12zip_iteratorINS8_5tupleINS8_6detail15normal_iteratorINS8_10device_ptrItEEEESH_NS8_9null_typeESI_SI_SI_SI_SI_SI_SI_EEEENS9_21zip_adj_not_predicateINS8_8equal_toItEEEEEEPllNS8_4plusIlEEEE10hipError_tPvRmT1_T2_T3_mT4_P12ihipStream_tbEUlT_E0_NS1_11comp_targetILNS1_3genE10ELNS1_11target_archE1200ELNS1_3gpuE4ELNS1_3repE0EEENS1_30default_config_static_selectorELNS0_4arch9wavefront6targetE1EEEvSW_: ; @_ZN7rocprim17ROCPRIM_400000_NS6detail17trampoline_kernelINS0_14default_configENS1_22reduce_config_selectorIlEEZNS1_11reduce_implILb1ES3_N6thrust23THRUST_200600_302600_NS11hip_rocprim26transform_input_iterator_tIlNS8_12zip_iteratorINS8_5tupleINS8_6detail15normal_iteratorINS8_10device_ptrItEEEESH_NS8_9null_typeESI_SI_SI_SI_SI_SI_SI_EEEENS9_21zip_adj_not_predicateINS8_8equal_toItEEEEEEPllNS8_4plusIlEEEE10hipError_tPvRmT1_T2_T3_mT4_P12ihipStream_tbEUlT_E0_NS1_11comp_targetILNS1_3genE10ELNS1_11target_archE1200ELNS1_3gpuE4ELNS1_3repE0EEENS1_30default_config_static_selectorELNS0_4arch9wavefront6targetE1EEEvSW_
; %bb.0:
	.section	.rodata,"a",@progbits
	.p2align	6, 0x0
	.amdhsa_kernel _ZN7rocprim17ROCPRIM_400000_NS6detail17trampoline_kernelINS0_14default_configENS1_22reduce_config_selectorIlEEZNS1_11reduce_implILb1ES3_N6thrust23THRUST_200600_302600_NS11hip_rocprim26transform_input_iterator_tIlNS8_12zip_iteratorINS8_5tupleINS8_6detail15normal_iteratorINS8_10device_ptrItEEEESH_NS8_9null_typeESI_SI_SI_SI_SI_SI_SI_EEEENS9_21zip_adj_not_predicateINS8_8equal_toItEEEEEEPllNS8_4plusIlEEEE10hipError_tPvRmT1_T2_T3_mT4_P12ihipStream_tbEUlT_E0_NS1_11comp_targetILNS1_3genE10ELNS1_11target_archE1200ELNS1_3gpuE4ELNS1_3repE0EEENS1_30default_config_static_selectorELNS0_4arch9wavefront6targetE1EEEvSW_
		.amdhsa_group_segment_fixed_size 0
		.amdhsa_private_segment_fixed_size 0
		.amdhsa_kernarg_size 80
		.amdhsa_user_sgpr_count 6
		.amdhsa_user_sgpr_private_segment_buffer 1
		.amdhsa_user_sgpr_dispatch_ptr 0
		.amdhsa_user_sgpr_queue_ptr 0
		.amdhsa_user_sgpr_kernarg_segment_ptr 1
		.amdhsa_user_sgpr_dispatch_id 0
		.amdhsa_user_sgpr_flat_scratch_init 0
		.amdhsa_user_sgpr_private_segment_size 0
		.amdhsa_uses_dynamic_stack 0
		.amdhsa_system_sgpr_private_segment_wavefront_offset 0
		.amdhsa_system_sgpr_workgroup_id_x 1
		.amdhsa_system_sgpr_workgroup_id_y 0
		.amdhsa_system_sgpr_workgroup_id_z 0
		.amdhsa_system_sgpr_workgroup_info 0
		.amdhsa_system_vgpr_workitem_id 0
		.amdhsa_next_free_vgpr 1
		.amdhsa_next_free_sgpr 0
		.amdhsa_reserve_vcc 0
		.amdhsa_reserve_flat_scratch 0
		.amdhsa_float_round_mode_32 0
		.amdhsa_float_round_mode_16_64 0
		.amdhsa_float_denorm_mode_32 3
		.amdhsa_float_denorm_mode_16_64 3
		.amdhsa_dx10_clamp 1
		.amdhsa_ieee_mode 1
		.amdhsa_fp16_overflow 0
		.amdhsa_exception_fp_ieee_invalid_op 0
		.amdhsa_exception_fp_denorm_src 0
		.amdhsa_exception_fp_ieee_div_zero 0
		.amdhsa_exception_fp_ieee_overflow 0
		.amdhsa_exception_fp_ieee_underflow 0
		.amdhsa_exception_fp_ieee_inexact 0
		.amdhsa_exception_int_div_zero 0
	.end_amdhsa_kernel
	.section	.text._ZN7rocprim17ROCPRIM_400000_NS6detail17trampoline_kernelINS0_14default_configENS1_22reduce_config_selectorIlEEZNS1_11reduce_implILb1ES3_N6thrust23THRUST_200600_302600_NS11hip_rocprim26transform_input_iterator_tIlNS8_12zip_iteratorINS8_5tupleINS8_6detail15normal_iteratorINS8_10device_ptrItEEEESH_NS8_9null_typeESI_SI_SI_SI_SI_SI_SI_EEEENS9_21zip_adj_not_predicateINS8_8equal_toItEEEEEEPllNS8_4plusIlEEEE10hipError_tPvRmT1_T2_T3_mT4_P12ihipStream_tbEUlT_E0_NS1_11comp_targetILNS1_3genE10ELNS1_11target_archE1200ELNS1_3gpuE4ELNS1_3repE0EEENS1_30default_config_static_selectorELNS0_4arch9wavefront6targetE1EEEvSW_,"axG",@progbits,_ZN7rocprim17ROCPRIM_400000_NS6detail17trampoline_kernelINS0_14default_configENS1_22reduce_config_selectorIlEEZNS1_11reduce_implILb1ES3_N6thrust23THRUST_200600_302600_NS11hip_rocprim26transform_input_iterator_tIlNS8_12zip_iteratorINS8_5tupleINS8_6detail15normal_iteratorINS8_10device_ptrItEEEESH_NS8_9null_typeESI_SI_SI_SI_SI_SI_SI_EEEENS9_21zip_adj_not_predicateINS8_8equal_toItEEEEEEPllNS8_4plusIlEEEE10hipError_tPvRmT1_T2_T3_mT4_P12ihipStream_tbEUlT_E0_NS1_11comp_targetILNS1_3genE10ELNS1_11target_archE1200ELNS1_3gpuE4ELNS1_3repE0EEENS1_30default_config_static_selectorELNS0_4arch9wavefront6targetE1EEEvSW_,comdat
.Lfunc_end893:
	.size	_ZN7rocprim17ROCPRIM_400000_NS6detail17trampoline_kernelINS0_14default_configENS1_22reduce_config_selectorIlEEZNS1_11reduce_implILb1ES3_N6thrust23THRUST_200600_302600_NS11hip_rocprim26transform_input_iterator_tIlNS8_12zip_iteratorINS8_5tupleINS8_6detail15normal_iteratorINS8_10device_ptrItEEEESH_NS8_9null_typeESI_SI_SI_SI_SI_SI_SI_EEEENS9_21zip_adj_not_predicateINS8_8equal_toItEEEEEEPllNS8_4plusIlEEEE10hipError_tPvRmT1_T2_T3_mT4_P12ihipStream_tbEUlT_E0_NS1_11comp_targetILNS1_3genE10ELNS1_11target_archE1200ELNS1_3gpuE4ELNS1_3repE0EEENS1_30default_config_static_selectorELNS0_4arch9wavefront6targetE1EEEvSW_, .Lfunc_end893-_ZN7rocprim17ROCPRIM_400000_NS6detail17trampoline_kernelINS0_14default_configENS1_22reduce_config_selectorIlEEZNS1_11reduce_implILb1ES3_N6thrust23THRUST_200600_302600_NS11hip_rocprim26transform_input_iterator_tIlNS8_12zip_iteratorINS8_5tupleINS8_6detail15normal_iteratorINS8_10device_ptrItEEEESH_NS8_9null_typeESI_SI_SI_SI_SI_SI_SI_EEEENS9_21zip_adj_not_predicateINS8_8equal_toItEEEEEEPllNS8_4plusIlEEEE10hipError_tPvRmT1_T2_T3_mT4_P12ihipStream_tbEUlT_E0_NS1_11comp_targetILNS1_3genE10ELNS1_11target_archE1200ELNS1_3gpuE4ELNS1_3repE0EEENS1_30default_config_static_selectorELNS0_4arch9wavefront6targetE1EEEvSW_
                                        ; -- End function
	.set _ZN7rocprim17ROCPRIM_400000_NS6detail17trampoline_kernelINS0_14default_configENS1_22reduce_config_selectorIlEEZNS1_11reduce_implILb1ES3_N6thrust23THRUST_200600_302600_NS11hip_rocprim26transform_input_iterator_tIlNS8_12zip_iteratorINS8_5tupleINS8_6detail15normal_iteratorINS8_10device_ptrItEEEESH_NS8_9null_typeESI_SI_SI_SI_SI_SI_SI_EEEENS9_21zip_adj_not_predicateINS8_8equal_toItEEEEEEPllNS8_4plusIlEEEE10hipError_tPvRmT1_T2_T3_mT4_P12ihipStream_tbEUlT_E0_NS1_11comp_targetILNS1_3genE10ELNS1_11target_archE1200ELNS1_3gpuE4ELNS1_3repE0EEENS1_30default_config_static_selectorELNS0_4arch9wavefront6targetE1EEEvSW_.num_vgpr, 0
	.set _ZN7rocprim17ROCPRIM_400000_NS6detail17trampoline_kernelINS0_14default_configENS1_22reduce_config_selectorIlEEZNS1_11reduce_implILb1ES3_N6thrust23THRUST_200600_302600_NS11hip_rocprim26transform_input_iterator_tIlNS8_12zip_iteratorINS8_5tupleINS8_6detail15normal_iteratorINS8_10device_ptrItEEEESH_NS8_9null_typeESI_SI_SI_SI_SI_SI_SI_EEEENS9_21zip_adj_not_predicateINS8_8equal_toItEEEEEEPllNS8_4plusIlEEEE10hipError_tPvRmT1_T2_T3_mT4_P12ihipStream_tbEUlT_E0_NS1_11comp_targetILNS1_3genE10ELNS1_11target_archE1200ELNS1_3gpuE4ELNS1_3repE0EEENS1_30default_config_static_selectorELNS0_4arch9wavefront6targetE1EEEvSW_.num_agpr, 0
	.set _ZN7rocprim17ROCPRIM_400000_NS6detail17trampoline_kernelINS0_14default_configENS1_22reduce_config_selectorIlEEZNS1_11reduce_implILb1ES3_N6thrust23THRUST_200600_302600_NS11hip_rocprim26transform_input_iterator_tIlNS8_12zip_iteratorINS8_5tupleINS8_6detail15normal_iteratorINS8_10device_ptrItEEEESH_NS8_9null_typeESI_SI_SI_SI_SI_SI_SI_EEEENS9_21zip_adj_not_predicateINS8_8equal_toItEEEEEEPllNS8_4plusIlEEEE10hipError_tPvRmT1_T2_T3_mT4_P12ihipStream_tbEUlT_E0_NS1_11comp_targetILNS1_3genE10ELNS1_11target_archE1200ELNS1_3gpuE4ELNS1_3repE0EEENS1_30default_config_static_selectorELNS0_4arch9wavefront6targetE1EEEvSW_.numbered_sgpr, 0
	.set _ZN7rocprim17ROCPRIM_400000_NS6detail17trampoline_kernelINS0_14default_configENS1_22reduce_config_selectorIlEEZNS1_11reduce_implILb1ES3_N6thrust23THRUST_200600_302600_NS11hip_rocprim26transform_input_iterator_tIlNS8_12zip_iteratorINS8_5tupleINS8_6detail15normal_iteratorINS8_10device_ptrItEEEESH_NS8_9null_typeESI_SI_SI_SI_SI_SI_SI_EEEENS9_21zip_adj_not_predicateINS8_8equal_toItEEEEEEPllNS8_4plusIlEEEE10hipError_tPvRmT1_T2_T3_mT4_P12ihipStream_tbEUlT_E0_NS1_11comp_targetILNS1_3genE10ELNS1_11target_archE1200ELNS1_3gpuE4ELNS1_3repE0EEENS1_30default_config_static_selectorELNS0_4arch9wavefront6targetE1EEEvSW_.num_named_barrier, 0
	.set _ZN7rocprim17ROCPRIM_400000_NS6detail17trampoline_kernelINS0_14default_configENS1_22reduce_config_selectorIlEEZNS1_11reduce_implILb1ES3_N6thrust23THRUST_200600_302600_NS11hip_rocprim26transform_input_iterator_tIlNS8_12zip_iteratorINS8_5tupleINS8_6detail15normal_iteratorINS8_10device_ptrItEEEESH_NS8_9null_typeESI_SI_SI_SI_SI_SI_SI_EEEENS9_21zip_adj_not_predicateINS8_8equal_toItEEEEEEPllNS8_4plusIlEEEE10hipError_tPvRmT1_T2_T3_mT4_P12ihipStream_tbEUlT_E0_NS1_11comp_targetILNS1_3genE10ELNS1_11target_archE1200ELNS1_3gpuE4ELNS1_3repE0EEENS1_30default_config_static_selectorELNS0_4arch9wavefront6targetE1EEEvSW_.private_seg_size, 0
	.set _ZN7rocprim17ROCPRIM_400000_NS6detail17trampoline_kernelINS0_14default_configENS1_22reduce_config_selectorIlEEZNS1_11reduce_implILb1ES3_N6thrust23THRUST_200600_302600_NS11hip_rocprim26transform_input_iterator_tIlNS8_12zip_iteratorINS8_5tupleINS8_6detail15normal_iteratorINS8_10device_ptrItEEEESH_NS8_9null_typeESI_SI_SI_SI_SI_SI_SI_EEEENS9_21zip_adj_not_predicateINS8_8equal_toItEEEEEEPllNS8_4plusIlEEEE10hipError_tPvRmT1_T2_T3_mT4_P12ihipStream_tbEUlT_E0_NS1_11comp_targetILNS1_3genE10ELNS1_11target_archE1200ELNS1_3gpuE4ELNS1_3repE0EEENS1_30default_config_static_selectorELNS0_4arch9wavefront6targetE1EEEvSW_.uses_vcc, 0
	.set _ZN7rocprim17ROCPRIM_400000_NS6detail17trampoline_kernelINS0_14default_configENS1_22reduce_config_selectorIlEEZNS1_11reduce_implILb1ES3_N6thrust23THRUST_200600_302600_NS11hip_rocprim26transform_input_iterator_tIlNS8_12zip_iteratorINS8_5tupleINS8_6detail15normal_iteratorINS8_10device_ptrItEEEESH_NS8_9null_typeESI_SI_SI_SI_SI_SI_SI_EEEENS9_21zip_adj_not_predicateINS8_8equal_toItEEEEEEPllNS8_4plusIlEEEE10hipError_tPvRmT1_T2_T3_mT4_P12ihipStream_tbEUlT_E0_NS1_11comp_targetILNS1_3genE10ELNS1_11target_archE1200ELNS1_3gpuE4ELNS1_3repE0EEENS1_30default_config_static_selectorELNS0_4arch9wavefront6targetE1EEEvSW_.uses_flat_scratch, 0
	.set _ZN7rocprim17ROCPRIM_400000_NS6detail17trampoline_kernelINS0_14default_configENS1_22reduce_config_selectorIlEEZNS1_11reduce_implILb1ES3_N6thrust23THRUST_200600_302600_NS11hip_rocprim26transform_input_iterator_tIlNS8_12zip_iteratorINS8_5tupleINS8_6detail15normal_iteratorINS8_10device_ptrItEEEESH_NS8_9null_typeESI_SI_SI_SI_SI_SI_SI_EEEENS9_21zip_adj_not_predicateINS8_8equal_toItEEEEEEPllNS8_4plusIlEEEE10hipError_tPvRmT1_T2_T3_mT4_P12ihipStream_tbEUlT_E0_NS1_11comp_targetILNS1_3genE10ELNS1_11target_archE1200ELNS1_3gpuE4ELNS1_3repE0EEENS1_30default_config_static_selectorELNS0_4arch9wavefront6targetE1EEEvSW_.has_dyn_sized_stack, 0
	.set _ZN7rocprim17ROCPRIM_400000_NS6detail17trampoline_kernelINS0_14default_configENS1_22reduce_config_selectorIlEEZNS1_11reduce_implILb1ES3_N6thrust23THRUST_200600_302600_NS11hip_rocprim26transform_input_iterator_tIlNS8_12zip_iteratorINS8_5tupleINS8_6detail15normal_iteratorINS8_10device_ptrItEEEESH_NS8_9null_typeESI_SI_SI_SI_SI_SI_SI_EEEENS9_21zip_adj_not_predicateINS8_8equal_toItEEEEEEPllNS8_4plusIlEEEE10hipError_tPvRmT1_T2_T3_mT4_P12ihipStream_tbEUlT_E0_NS1_11comp_targetILNS1_3genE10ELNS1_11target_archE1200ELNS1_3gpuE4ELNS1_3repE0EEENS1_30default_config_static_selectorELNS0_4arch9wavefront6targetE1EEEvSW_.has_recursion, 0
	.set _ZN7rocprim17ROCPRIM_400000_NS6detail17trampoline_kernelINS0_14default_configENS1_22reduce_config_selectorIlEEZNS1_11reduce_implILb1ES3_N6thrust23THRUST_200600_302600_NS11hip_rocprim26transform_input_iterator_tIlNS8_12zip_iteratorINS8_5tupleINS8_6detail15normal_iteratorINS8_10device_ptrItEEEESH_NS8_9null_typeESI_SI_SI_SI_SI_SI_SI_EEEENS9_21zip_adj_not_predicateINS8_8equal_toItEEEEEEPllNS8_4plusIlEEEE10hipError_tPvRmT1_T2_T3_mT4_P12ihipStream_tbEUlT_E0_NS1_11comp_targetILNS1_3genE10ELNS1_11target_archE1200ELNS1_3gpuE4ELNS1_3repE0EEENS1_30default_config_static_selectorELNS0_4arch9wavefront6targetE1EEEvSW_.has_indirect_call, 0
	.section	.AMDGPU.csdata,"",@progbits
; Kernel info:
; codeLenInByte = 0
; TotalNumSgprs: 4
; NumVgprs: 0
; ScratchSize: 0
; MemoryBound: 0
; FloatMode: 240
; IeeeMode: 1
; LDSByteSize: 0 bytes/workgroup (compile time only)
; SGPRBlocks: 0
; VGPRBlocks: 0
; NumSGPRsForWavesPerEU: 4
; NumVGPRsForWavesPerEU: 1
; Occupancy: 10
; WaveLimiterHint : 0
; COMPUTE_PGM_RSRC2:SCRATCH_EN: 0
; COMPUTE_PGM_RSRC2:USER_SGPR: 6
; COMPUTE_PGM_RSRC2:TRAP_HANDLER: 0
; COMPUTE_PGM_RSRC2:TGID_X_EN: 1
; COMPUTE_PGM_RSRC2:TGID_Y_EN: 0
; COMPUTE_PGM_RSRC2:TGID_Z_EN: 0
; COMPUTE_PGM_RSRC2:TIDIG_COMP_CNT: 0
	.section	.text._ZN7rocprim17ROCPRIM_400000_NS6detail17trampoline_kernelINS0_14default_configENS1_22reduce_config_selectorIlEEZNS1_11reduce_implILb1ES3_N6thrust23THRUST_200600_302600_NS11hip_rocprim26transform_input_iterator_tIlNS8_12zip_iteratorINS8_5tupleINS8_6detail15normal_iteratorINS8_10device_ptrItEEEESH_NS8_9null_typeESI_SI_SI_SI_SI_SI_SI_EEEENS9_21zip_adj_not_predicateINS8_8equal_toItEEEEEEPllNS8_4plusIlEEEE10hipError_tPvRmT1_T2_T3_mT4_P12ihipStream_tbEUlT_E0_NS1_11comp_targetILNS1_3genE9ELNS1_11target_archE1100ELNS1_3gpuE3ELNS1_3repE0EEENS1_30default_config_static_selectorELNS0_4arch9wavefront6targetE1EEEvSW_,"axG",@progbits,_ZN7rocprim17ROCPRIM_400000_NS6detail17trampoline_kernelINS0_14default_configENS1_22reduce_config_selectorIlEEZNS1_11reduce_implILb1ES3_N6thrust23THRUST_200600_302600_NS11hip_rocprim26transform_input_iterator_tIlNS8_12zip_iteratorINS8_5tupleINS8_6detail15normal_iteratorINS8_10device_ptrItEEEESH_NS8_9null_typeESI_SI_SI_SI_SI_SI_SI_EEEENS9_21zip_adj_not_predicateINS8_8equal_toItEEEEEEPllNS8_4plusIlEEEE10hipError_tPvRmT1_T2_T3_mT4_P12ihipStream_tbEUlT_E0_NS1_11comp_targetILNS1_3genE9ELNS1_11target_archE1100ELNS1_3gpuE3ELNS1_3repE0EEENS1_30default_config_static_selectorELNS0_4arch9wavefront6targetE1EEEvSW_,comdat
	.protected	_ZN7rocprim17ROCPRIM_400000_NS6detail17trampoline_kernelINS0_14default_configENS1_22reduce_config_selectorIlEEZNS1_11reduce_implILb1ES3_N6thrust23THRUST_200600_302600_NS11hip_rocprim26transform_input_iterator_tIlNS8_12zip_iteratorINS8_5tupleINS8_6detail15normal_iteratorINS8_10device_ptrItEEEESH_NS8_9null_typeESI_SI_SI_SI_SI_SI_SI_EEEENS9_21zip_adj_not_predicateINS8_8equal_toItEEEEEEPllNS8_4plusIlEEEE10hipError_tPvRmT1_T2_T3_mT4_P12ihipStream_tbEUlT_E0_NS1_11comp_targetILNS1_3genE9ELNS1_11target_archE1100ELNS1_3gpuE3ELNS1_3repE0EEENS1_30default_config_static_selectorELNS0_4arch9wavefront6targetE1EEEvSW_ ; -- Begin function _ZN7rocprim17ROCPRIM_400000_NS6detail17trampoline_kernelINS0_14default_configENS1_22reduce_config_selectorIlEEZNS1_11reduce_implILb1ES3_N6thrust23THRUST_200600_302600_NS11hip_rocprim26transform_input_iterator_tIlNS8_12zip_iteratorINS8_5tupleINS8_6detail15normal_iteratorINS8_10device_ptrItEEEESH_NS8_9null_typeESI_SI_SI_SI_SI_SI_SI_EEEENS9_21zip_adj_not_predicateINS8_8equal_toItEEEEEEPllNS8_4plusIlEEEE10hipError_tPvRmT1_T2_T3_mT4_P12ihipStream_tbEUlT_E0_NS1_11comp_targetILNS1_3genE9ELNS1_11target_archE1100ELNS1_3gpuE3ELNS1_3repE0EEENS1_30default_config_static_selectorELNS0_4arch9wavefront6targetE1EEEvSW_
	.globl	_ZN7rocprim17ROCPRIM_400000_NS6detail17trampoline_kernelINS0_14default_configENS1_22reduce_config_selectorIlEEZNS1_11reduce_implILb1ES3_N6thrust23THRUST_200600_302600_NS11hip_rocprim26transform_input_iterator_tIlNS8_12zip_iteratorINS8_5tupleINS8_6detail15normal_iteratorINS8_10device_ptrItEEEESH_NS8_9null_typeESI_SI_SI_SI_SI_SI_SI_EEEENS9_21zip_adj_not_predicateINS8_8equal_toItEEEEEEPllNS8_4plusIlEEEE10hipError_tPvRmT1_T2_T3_mT4_P12ihipStream_tbEUlT_E0_NS1_11comp_targetILNS1_3genE9ELNS1_11target_archE1100ELNS1_3gpuE3ELNS1_3repE0EEENS1_30default_config_static_selectorELNS0_4arch9wavefront6targetE1EEEvSW_
	.p2align	8
	.type	_ZN7rocprim17ROCPRIM_400000_NS6detail17trampoline_kernelINS0_14default_configENS1_22reduce_config_selectorIlEEZNS1_11reduce_implILb1ES3_N6thrust23THRUST_200600_302600_NS11hip_rocprim26transform_input_iterator_tIlNS8_12zip_iteratorINS8_5tupleINS8_6detail15normal_iteratorINS8_10device_ptrItEEEESH_NS8_9null_typeESI_SI_SI_SI_SI_SI_SI_EEEENS9_21zip_adj_not_predicateINS8_8equal_toItEEEEEEPllNS8_4plusIlEEEE10hipError_tPvRmT1_T2_T3_mT4_P12ihipStream_tbEUlT_E0_NS1_11comp_targetILNS1_3genE9ELNS1_11target_archE1100ELNS1_3gpuE3ELNS1_3repE0EEENS1_30default_config_static_selectorELNS0_4arch9wavefront6targetE1EEEvSW_,@function
_ZN7rocprim17ROCPRIM_400000_NS6detail17trampoline_kernelINS0_14default_configENS1_22reduce_config_selectorIlEEZNS1_11reduce_implILb1ES3_N6thrust23THRUST_200600_302600_NS11hip_rocprim26transform_input_iterator_tIlNS8_12zip_iteratorINS8_5tupleINS8_6detail15normal_iteratorINS8_10device_ptrItEEEESH_NS8_9null_typeESI_SI_SI_SI_SI_SI_SI_EEEENS9_21zip_adj_not_predicateINS8_8equal_toItEEEEEEPllNS8_4plusIlEEEE10hipError_tPvRmT1_T2_T3_mT4_P12ihipStream_tbEUlT_E0_NS1_11comp_targetILNS1_3genE9ELNS1_11target_archE1100ELNS1_3gpuE3ELNS1_3repE0EEENS1_30default_config_static_selectorELNS0_4arch9wavefront6targetE1EEEvSW_: ; @_ZN7rocprim17ROCPRIM_400000_NS6detail17trampoline_kernelINS0_14default_configENS1_22reduce_config_selectorIlEEZNS1_11reduce_implILb1ES3_N6thrust23THRUST_200600_302600_NS11hip_rocprim26transform_input_iterator_tIlNS8_12zip_iteratorINS8_5tupleINS8_6detail15normal_iteratorINS8_10device_ptrItEEEESH_NS8_9null_typeESI_SI_SI_SI_SI_SI_SI_EEEENS9_21zip_adj_not_predicateINS8_8equal_toItEEEEEEPllNS8_4plusIlEEEE10hipError_tPvRmT1_T2_T3_mT4_P12ihipStream_tbEUlT_E0_NS1_11comp_targetILNS1_3genE9ELNS1_11target_archE1100ELNS1_3gpuE3ELNS1_3repE0EEENS1_30default_config_static_selectorELNS0_4arch9wavefront6targetE1EEEvSW_
; %bb.0:
	.section	.rodata,"a",@progbits
	.p2align	6, 0x0
	.amdhsa_kernel _ZN7rocprim17ROCPRIM_400000_NS6detail17trampoline_kernelINS0_14default_configENS1_22reduce_config_selectorIlEEZNS1_11reduce_implILb1ES3_N6thrust23THRUST_200600_302600_NS11hip_rocprim26transform_input_iterator_tIlNS8_12zip_iteratorINS8_5tupleINS8_6detail15normal_iteratorINS8_10device_ptrItEEEESH_NS8_9null_typeESI_SI_SI_SI_SI_SI_SI_EEEENS9_21zip_adj_not_predicateINS8_8equal_toItEEEEEEPllNS8_4plusIlEEEE10hipError_tPvRmT1_T2_T3_mT4_P12ihipStream_tbEUlT_E0_NS1_11comp_targetILNS1_3genE9ELNS1_11target_archE1100ELNS1_3gpuE3ELNS1_3repE0EEENS1_30default_config_static_selectorELNS0_4arch9wavefront6targetE1EEEvSW_
		.amdhsa_group_segment_fixed_size 0
		.amdhsa_private_segment_fixed_size 0
		.amdhsa_kernarg_size 80
		.amdhsa_user_sgpr_count 6
		.amdhsa_user_sgpr_private_segment_buffer 1
		.amdhsa_user_sgpr_dispatch_ptr 0
		.amdhsa_user_sgpr_queue_ptr 0
		.amdhsa_user_sgpr_kernarg_segment_ptr 1
		.amdhsa_user_sgpr_dispatch_id 0
		.amdhsa_user_sgpr_flat_scratch_init 0
		.amdhsa_user_sgpr_private_segment_size 0
		.amdhsa_uses_dynamic_stack 0
		.amdhsa_system_sgpr_private_segment_wavefront_offset 0
		.amdhsa_system_sgpr_workgroup_id_x 1
		.amdhsa_system_sgpr_workgroup_id_y 0
		.amdhsa_system_sgpr_workgroup_id_z 0
		.amdhsa_system_sgpr_workgroup_info 0
		.amdhsa_system_vgpr_workitem_id 0
		.amdhsa_next_free_vgpr 1
		.amdhsa_next_free_sgpr 0
		.amdhsa_reserve_vcc 0
		.amdhsa_reserve_flat_scratch 0
		.amdhsa_float_round_mode_32 0
		.amdhsa_float_round_mode_16_64 0
		.amdhsa_float_denorm_mode_32 3
		.amdhsa_float_denorm_mode_16_64 3
		.amdhsa_dx10_clamp 1
		.amdhsa_ieee_mode 1
		.amdhsa_fp16_overflow 0
		.amdhsa_exception_fp_ieee_invalid_op 0
		.amdhsa_exception_fp_denorm_src 0
		.amdhsa_exception_fp_ieee_div_zero 0
		.amdhsa_exception_fp_ieee_overflow 0
		.amdhsa_exception_fp_ieee_underflow 0
		.amdhsa_exception_fp_ieee_inexact 0
		.amdhsa_exception_int_div_zero 0
	.end_amdhsa_kernel
	.section	.text._ZN7rocprim17ROCPRIM_400000_NS6detail17trampoline_kernelINS0_14default_configENS1_22reduce_config_selectorIlEEZNS1_11reduce_implILb1ES3_N6thrust23THRUST_200600_302600_NS11hip_rocprim26transform_input_iterator_tIlNS8_12zip_iteratorINS8_5tupleINS8_6detail15normal_iteratorINS8_10device_ptrItEEEESH_NS8_9null_typeESI_SI_SI_SI_SI_SI_SI_EEEENS9_21zip_adj_not_predicateINS8_8equal_toItEEEEEEPllNS8_4plusIlEEEE10hipError_tPvRmT1_T2_T3_mT4_P12ihipStream_tbEUlT_E0_NS1_11comp_targetILNS1_3genE9ELNS1_11target_archE1100ELNS1_3gpuE3ELNS1_3repE0EEENS1_30default_config_static_selectorELNS0_4arch9wavefront6targetE1EEEvSW_,"axG",@progbits,_ZN7rocprim17ROCPRIM_400000_NS6detail17trampoline_kernelINS0_14default_configENS1_22reduce_config_selectorIlEEZNS1_11reduce_implILb1ES3_N6thrust23THRUST_200600_302600_NS11hip_rocprim26transform_input_iterator_tIlNS8_12zip_iteratorINS8_5tupleINS8_6detail15normal_iteratorINS8_10device_ptrItEEEESH_NS8_9null_typeESI_SI_SI_SI_SI_SI_SI_EEEENS9_21zip_adj_not_predicateINS8_8equal_toItEEEEEEPllNS8_4plusIlEEEE10hipError_tPvRmT1_T2_T3_mT4_P12ihipStream_tbEUlT_E0_NS1_11comp_targetILNS1_3genE9ELNS1_11target_archE1100ELNS1_3gpuE3ELNS1_3repE0EEENS1_30default_config_static_selectorELNS0_4arch9wavefront6targetE1EEEvSW_,comdat
.Lfunc_end894:
	.size	_ZN7rocprim17ROCPRIM_400000_NS6detail17trampoline_kernelINS0_14default_configENS1_22reduce_config_selectorIlEEZNS1_11reduce_implILb1ES3_N6thrust23THRUST_200600_302600_NS11hip_rocprim26transform_input_iterator_tIlNS8_12zip_iteratorINS8_5tupleINS8_6detail15normal_iteratorINS8_10device_ptrItEEEESH_NS8_9null_typeESI_SI_SI_SI_SI_SI_SI_EEEENS9_21zip_adj_not_predicateINS8_8equal_toItEEEEEEPllNS8_4plusIlEEEE10hipError_tPvRmT1_T2_T3_mT4_P12ihipStream_tbEUlT_E0_NS1_11comp_targetILNS1_3genE9ELNS1_11target_archE1100ELNS1_3gpuE3ELNS1_3repE0EEENS1_30default_config_static_selectorELNS0_4arch9wavefront6targetE1EEEvSW_, .Lfunc_end894-_ZN7rocprim17ROCPRIM_400000_NS6detail17trampoline_kernelINS0_14default_configENS1_22reduce_config_selectorIlEEZNS1_11reduce_implILb1ES3_N6thrust23THRUST_200600_302600_NS11hip_rocprim26transform_input_iterator_tIlNS8_12zip_iteratorINS8_5tupleINS8_6detail15normal_iteratorINS8_10device_ptrItEEEESH_NS8_9null_typeESI_SI_SI_SI_SI_SI_SI_EEEENS9_21zip_adj_not_predicateINS8_8equal_toItEEEEEEPllNS8_4plusIlEEEE10hipError_tPvRmT1_T2_T3_mT4_P12ihipStream_tbEUlT_E0_NS1_11comp_targetILNS1_3genE9ELNS1_11target_archE1100ELNS1_3gpuE3ELNS1_3repE0EEENS1_30default_config_static_selectorELNS0_4arch9wavefront6targetE1EEEvSW_
                                        ; -- End function
	.set _ZN7rocprim17ROCPRIM_400000_NS6detail17trampoline_kernelINS0_14default_configENS1_22reduce_config_selectorIlEEZNS1_11reduce_implILb1ES3_N6thrust23THRUST_200600_302600_NS11hip_rocprim26transform_input_iterator_tIlNS8_12zip_iteratorINS8_5tupleINS8_6detail15normal_iteratorINS8_10device_ptrItEEEESH_NS8_9null_typeESI_SI_SI_SI_SI_SI_SI_EEEENS9_21zip_adj_not_predicateINS8_8equal_toItEEEEEEPllNS8_4plusIlEEEE10hipError_tPvRmT1_T2_T3_mT4_P12ihipStream_tbEUlT_E0_NS1_11comp_targetILNS1_3genE9ELNS1_11target_archE1100ELNS1_3gpuE3ELNS1_3repE0EEENS1_30default_config_static_selectorELNS0_4arch9wavefront6targetE1EEEvSW_.num_vgpr, 0
	.set _ZN7rocprim17ROCPRIM_400000_NS6detail17trampoline_kernelINS0_14default_configENS1_22reduce_config_selectorIlEEZNS1_11reduce_implILb1ES3_N6thrust23THRUST_200600_302600_NS11hip_rocprim26transform_input_iterator_tIlNS8_12zip_iteratorINS8_5tupleINS8_6detail15normal_iteratorINS8_10device_ptrItEEEESH_NS8_9null_typeESI_SI_SI_SI_SI_SI_SI_EEEENS9_21zip_adj_not_predicateINS8_8equal_toItEEEEEEPllNS8_4plusIlEEEE10hipError_tPvRmT1_T2_T3_mT4_P12ihipStream_tbEUlT_E0_NS1_11comp_targetILNS1_3genE9ELNS1_11target_archE1100ELNS1_3gpuE3ELNS1_3repE0EEENS1_30default_config_static_selectorELNS0_4arch9wavefront6targetE1EEEvSW_.num_agpr, 0
	.set _ZN7rocprim17ROCPRIM_400000_NS6detail17trampoline_kernelINS0_14default_configENS1_22reduce_config_selectorIlEEZNS1_11reduce_implILb1ES3_N6thrust23THRUST_200600_302600_NS11hip_rocprim26transform_input_iterator_tIlNS8_12zip_iteratorINS8_5tupleINS8_6detail15normal_iteratorINS8_10device_ptrItEEEESH_NS8_9null_typeESI_SI_SI_SI_SI_SI_SI_EEEENS9_21zip_adj_not_predicateINS8_8equal_toItEEEEEEPllNS8_4plusIlEEEE10hipError_tPvRmT1_T2_T3_mT4_P12ihipStream_tbEUlT_E0_NS1_11comp_targetILNS1_3genE9ELNS1_11target_archE1100ELNS1_3gpuE3ELNS1_3repE0EEENS1_30default_config_static_selectorELNS0_4arch9wavefront6targetE1EEEvSW_.numbered_sgpr, 0
	.set _ZN7rocprim17ROCPRIM_400000_NS6detail17trampoline_kernelINS0_14default_configENS1_22reduce_config_selectorIlEEZNS1_11reduce_implILb1ES3_N6thrust23THRUST_200600_302600_NS11hip_rocprim26transform_input_iterator_tIlNS8_12zip_iteratorINS8_5tupleINS8_6detail15normal_iteratorINS8_10device_ptrItEEEESH_NS8_9null_typeESI_SI_SI_SI_SI_SI_SI_EEEENS9_21zip_adj_not_predicateINS8_8equal_toItEEEEEEPllNS8_4plusIlEEEE10hipError_tPvRmT1_T2_T3_mT4_P12ihipStream_tbEUlT_E0_NS1_11comp_targetILNS1_3genE9ELNS1_11target_archE1100ELNS1_3gpuE3ELNS1_3repE0EEENS1_30default_config_static_selectorELNS0_4arch9wavefront6targetE1EEEvSW_.num_named_barrier, 0
	.set _ZN7rocprim17ROCPRIM_400000_NS6detail17trampoline_kernelINS0_14default_configENS1_22reduce_config_selectorIlEEZNS1_11reduce_implILb1ES3_N6thrust23THRUST_200600_302600_NS11hip_rocprim26transform_input_iterator_tIlNS8_12zip_iteratorINS8_5tupleINS8_6detail15normal_iteratorINS8_10device_ptrItEEEESH_NS8_9null_typeESI_SI_SI_SI_SI_SI_SI_EEEENS9_21zip_adj_not_predicateINS8_8equal_toItEEEEEEPllNS8_4plusIlEEEE10hipError_tPvRmT1_T2_T3_mT4_P12ihipStream_tbEUlT_E0_NS1_11comp_targetILNS1_3genE9ELNS1_11target_archE1100ELNS1_3gpuE3ELNS1_3repE0EEENS1_30default_config_static_selectorELNS0_4arch9wavefront6targetE1EEEvSW_.private_seg_size, 0
	.set _ZN7rocprim17ROCPRIM_400000_NS6detail17trampoline_kernelINS0_14default_configENS1_22reduce_config_selectorIlEEZNS1_11reduce_implILb1ES3_N6thrust23THRUST_200600_302600_NS11hip_rocprim26transform_input_iterator_tIlNS8_12zip_iteratorINS8_5tupleINS8_6detail15normal_iteratorINS8_10device_ptrItEEEESH_NS8_9null_typeESI_SI_SI_SI_SI_SI_SI_EEEENS9_21zip_adj_not_predicateINS8_8equal_toItEEEEEEPllNS8_4plusIlEEEE10hipError_tPvRmT1_T2_T3_mT4_P12ihipStream_tbEUlT_E0_NS1_11comp_targetILNS1_3genE9ELNS1_11target_archE1100ELNS1_3gpuE3ELNS1_3repE0EEENS1_30default_config_static_selectorELNS0_4arch9wavefront6targetE1EEEvSW_.uses_vcc, 0
	.set _ZN7rocprim17ROCPRIM_400000_NS6detail17trampoline_kernelINS0_14default_configENS1_22reduce_config_selectorIlEEZNS1_11reduce_implILb1ES3_N6thrust23THRUST_200600_302600_NS11hip_rocprim26transform_input_iterator_tIlNS8_12zip_iteratorINS8_5tupleINS8_6detail15normal_iteratorINS8_10device_ptrItEEEESH_NS8_9null_typeESI_SI_SI_SI_SI_SI_SI_EEEENS9_21zip_adj_not_predicateINS8_8equal_toItEEEEEEPllNS8_4plusIlEEEE10hipError_tPvRmT1_T2_T3_mT4_P12ihipStream_tbEUlT_E0_NS1_11comp_targetILNS1_3genE9ELNS1_11target_archE1100ELNS1_3gpuE3ELNS1_3repE0EEENS1_30default_config_static_selectorELNS0_4arch9wavefront6targetE1EEEvSW_.uses_flat_scratch, 0
	.set _ZN7rocprim17ROCPRIM_400000_NS6detail17trampoline_kernelINS0_14default_configENS1_22reduce_config_selectorIlEEZNS1_11reduce_implILb1ES3_N6thrust23THRUST_200600_302600_NS11hip_rocprim26transform_input_iterator_tIlNS8_12zip_iteratorINS8_5tupleINS8_6detail15normal_iteratorINS8_10device_ptrItEEEESH_NS8_9null_typeESI_SI_SI_SI_SI_SI_SI_EEEENS9_21zip_adj_not_predicateINS8_8equal_toItEEEEEEPllNS8_4plusIlEEEE10hipError_tPvRmT1_T2_T3_mT4_P12ihipStream_tbEUlT_E0_NS1_11comp_targetILNS1_3genE9ELNS1_11target_archE1100ELNS1_3gpuE3ELNS1_3repE0EEENS1_30default_config_static_selectorELNS0_4arch9wavefront6targetE1EEEvSW_.has_dyn_sized_stack, 0
	.set _ZN7rocprim17ROCPRIM_400000_NS6detail17trampoline_kernelINS0_14default_configENS1_22reduce_config_selectorIlEEZNS1_11reduce_implILb1ES3_N6thrust23THRUST_200600_302600_NS11hip_rocprim26transform_input_iterator_tIlNS8_12zip_iteratorINS8_5tupleINS8_6detail15normal_iteratorINS8_10device_ptrItEEEESH_NS8_9null_typeESI_SI_SI_SI_SI_SI_SI_EEEENS9_21zip_adj_not_predicateINS8_8equal_toItEEEEEEPllNS8_4plusIlEEEE10hipError_tPvRmT1_T2_T3_mT4_P12ihipStream_tbEUlT_E0_NS1_11comp_targetILNS1_3genE9ELNS1_11target_archE1100ELNS1_3gpuE3ELNS1_3repE0EEENS1_30default_config_static_selectorELNS0_4arch9wavefront6targetE1EEEvSW_.has_recursion, 0
	.set _ZN7rocprim17ROCPRIM_400000_NS6detail17trampoline_kernelINS0_14default_configENS1_22reduce_config_selectorIlEEZNS1_11reduce_implILb1ES3_N6thrust23THRUST_200600_302600_NS11hip_rocprim26transform_input_iterator_tIlNS8_12zip_iteratorINS8_5tupleINS8_6detail15normal_iteratorINS8_10device_ptrItEEEESH_NS8_9null_typeESI_SI_SI_SI_SI_SI_SI_EEEENS9_21zip_adj_not_predicateINS8_8equal_toItEEEEEEPllNS8_4plusIlEEEE10hipError_tPvRmT1_T2_T3_mT4_P12ihipStream_tbEUlT_E0_NS1_11comp_targetILNS1_3genE9ELNS1_11target_archE1100ELNS1_3gpuE3ELNS1_3repE0EEENS1_30default_config_static_selectorELNS0_4arch9wavefront6targetE1EEEvSW_.has_indirect_call, 0
	.section	.AMDGPU.csdata,"",@progbits
; Kernel info:
; codeLenInByte = 0
; TotalNumSgprs: 4
; NumVgprs: 0
; ScratchSize: 0
; MemoryBound: 0
; FloatMode: 240
; IeeeMode: 1
; LDSByteSize: 0 bytes/workgroup (compile time only)
; SGPRBlocks: 0
; VGPRBlocks: 0
; NumSGPRsForWavesPerEU: 4
; NumVGPRsForWavesPerEU: 1
; Occupancy: 10
; WaveLimiterHint : 0
; COMPUTE_PGM_RSRC2:SCRATCH_EN: 0
; COMPUTE_PGM_RSRC2:USER_SGPR: 6
; COMPUTE_PGM_RSRC2:TRAP_HANDLER: 0
; COMPUTE_PGM_RSRC2:TGID_X_EN: 1
; COMPUTE_PGM_RSRC2:TGID_Y_EN: 0
; COMPUTE_PGM_RSRC2:TGID_Z_EN: 0
; COMPUTE_PGM_RSRC2:TIDIG_COMP_CNT: 0
	.section	.text._ZN7rocprim17ROCPRIM_400000_NS6detail17trampoline_kernelINS0_14default_configENS1_22reduce_config_selectorIlEEZNS1_11reduce_implILb1ES3_N6thrust23THRUST_200600_302600_NS11hip_rocprim26transform_input_iterator_tIlNS8_12zip_iteratorINS8_5tupleINS8_6detail15normal_iteratorINS8_10device_ptrItEEEESH_NS8_9null_typeESI_SI_SI_SI_SI_SI_SI_EEEENS9_21zip_adj_not_predicateINS8_8equal_toItEEEEEEPllNS8_4plusIlEEEE10hipError_tPvRmT1_T2_T3_mT4_P12ihipStream_tbEUlT_E0_NS1_11comp_targetILNS1_3genE8ELNS1_11target_archE1030ELNS1_3gpuE2ELNS1_3repE0EEENS1_30default_config_static_selectorELNS0_4arch9wavefront6targetE1EEEvSW_,"axG",@progbits,_ZN7rocprim17ROCPRIM_400000_NS6detail17trampoline_kernelINS0_14default_configENS1_22reduce_config_selectorIlEEZNS1_11reduce_implILb1ES3_N6thrust23THRUST_200600_302600_NS11hip_rocprim26transform_input_iterator_tIlNS8_12zip_iteratorINS8_5tupleINS8_6detail15normal_iteratorINS8_10device_ptrItEEEESH_NS8_9null_typeESI_SI_SI_SI_SI_SI_SI_EEEENS9_21zip_adj_not_predicateINS8_8equal_toItEEEEEEPllNS8_4plusIlEEEE10hipError_tPvRmT1_T2_T3_mT4_P12ihipStream_tbEUlT_E0_NS1_11comp_targetILNS1_3genE8ELNS1_11target_archE1030ELNS1_3gpuE2ELNS1_3repE0EEENS1_30default_config_static_selectorELNS0_4arch9wavefront6targetE1EEEvSW_,comdat
	.protected	_ZN7rocprim17ROCPRIM_400000_NS6detail17trampoline_kernelINS0_14default_configENS1_22reduce_config_selectorIlEEZNS1_11reduce_implILb1ES3_N6thrust23THRUST_200600_302600_NS11hip_rocprim26transform_input_iterator_tIlNS8_12zip_iteratorINS8_5tupleINS8_6detail15normal_iteratorINS8_10device_ptrItEEEESH_NS8_9null_typeESI_SI_SI_SI_SI_SI_SI_EEEENS9_21zip_adj_not_predicateINS8_8equal_toItEEEEEEPllNS8_4plusIlEEEE10hipError_tPvRmT1_T2_T3_mT4_P12ihipStream_tbEUlT_E0_NS1_11comp_targetILNS1_3genE8ELNS1_11target_archE1030ELNS1_3gpuE2ELNS1_3repE0EEENS1_30default_config_static_selectorELNS0_4arch9wavefront6targetE1EEEvSW_ ; -- Begin function _ZN7rocprim17ROCPRIM_400000_NS6detail17trampoline_kernelINS0_14default_configENS1_22reduce_config_selectorIlEEZNS1_11reduce_implILb1ES3_N6thrust23THRUST_200600_302600_NS11hip_rocprim26transform_input_iterator_tIlNS8_12zip_iteratorINS8_5tupleINS8_6detail15normal_iteratorINS8_10device_ptrItEEEESH_NS8_9null_typeESI_SI_SI_SI_SI_SI_SI_EEEENS9_21zip_adj_not_predicateINS8_8equal_toItEEEEEEPllNS8_4plusIlEEEE10hipError_tPvRmT1_T2_T3_mT4_P12ihipStream_tbEUlT_E0_NS1_11comp_targetILNS1_3genE8ELNS1_11target_archE1030ELNS1_3gpuE2ELNS1_3repE0EEENS1_30default_config_static_selectorELNS0_4arch9wavefront6targetE1EEEvSW_
	.globl	_ZN7rocprim17ROCPRIM_400000_NS6detail17trampoline_kernelINS0_14default_configENS1_22reduce_config_selectorIlEEZNS1_11reduce_implILb1ES3_N6thrust23THRUST_200600_302600_NS11hip_rocprim26transform_input_iterator_tIlNS8_12zip_iteratorINS8_5tupleINS8_6detail15normal_iteratorINS8_10device_ptrItEEEESH_NS8_9null_typeESI_SI_SI_SI_SI_SI_SI_EEEENS9_21zip_adj_not_predicateINS8_8equal_toItEEEEEEPllNS8_4plusIlEEEE10hipError_tPvRmT1_T2_T3_mT4_P12ihipStream_tbEUlT_E0_NS1_11comp_targetILNS1_3genE8ELNS1_11target_archE1030ELNS1_3gpuE2ELNS1_3repE0EEENS1_30default_config_static_selectorELNS0_4arch9wavefront6targetE1EEEvSW_
	.p2align	8
	.type	_ZN7rocprim17ROCPRIM_400000_NS6detail17trampoline_kernelINS0_14default_configENS1_22reduce_config_selectorIlEEZNS1_11reduce_implILb1ES3_N6thrust23THRUST_200600_302600_NS11hip_rocprim26transform_input_iterator_tIlNS8_12zip_iteratorINS8_5tupleINS8_6detail15normal_iteratorINS8_10device_ptrItEEEESH_NS8_9null_typeESI_SI_SI_SI_SI_SI_SI_EEEENS9_21zip_adj_not_predicateINS8_8equal_toItEEEEEEPllNS8_4plusIlEEEE10hipError_tPvRmT1_T2_T3_mT4_P12ihipStream_tbEUlT_E0_NS1_11comp_targetILNS1_3genE8ELNS1_11target_archE1030ELNS1_3gpuE2ELNS1_3repE0EEENS1_30default_config_static_selectorELNS0_4arch9wavefront6targetE1EEEvSW_,@function
_ZN7rocprim17ROCPRIM_400000_NS6detail17trampoline_kernelINS0_14default_configENS1_22reduce_config_selectorIlEEZNS1_11reduce_implILb1ES3_N6thrust23THRUST_200600_302600_NS11hip_rocprim26transform_input_iterator_tIlNS8_12zip_iteratorINS8_5tupleINS8_6detail15normal_iteratorINS8_10device_ptrItEEEESH_NS8_9null_typeESI_SI_SI_SI_SI_SI_SI_EEEENS9_21zip_adj_not_predicateINS8_8equal_toItEEEEEEPllNS8_4plusIlEEEE10hipError_tPvRmT1_T2_T3_mT4_P12ihipStream_tbEUlT_E0_NS1_11comp_targetILNS1_3genE8ELNS1_11target_archE1030ELNS1_3gpuE2ELNS1_3repE0EEENS1_30default_config_static_selectorELNS0_4arch9wavefront6targetE1EEEvSW_: ; @_ZN7rocprim17ROCPRIM_400000_NS6detail17trampoline_kernelINS0_14default_configENS1_22reduce_config_selectorIlEEZNS1_11reduce_implILb1ES3_N6thrust23THRUST_200600_302600_NS11hip_rocprim26transform_input_iterator_tIlNS8_12zip_iteratorINS8_5tupleINS8_6detail15normal_iteratorINS8_10device_ptrItEEEESH_NS8_9null_typeESI_SI_SI_SI_SI_SI_SI_EEEENS9_21zip_adj_not_predicateINS8_8equal_toItEEEEEEPllNS8_4plusIlEEEE10hipError_tPvRmT1_T2_T3_mT4_P12ihipStream_tbEUlT_E0_NS1_11comp_targetILNS1_3genE8ELNS1_11target_archE1030ELNS1_3gpuE2ELNS1_3repE0EEENS1_30default_config_static_selectorELNS0_4arch9wavefront6targetE1EEEvSW_
; %bb.0:
	.section	.rodata,"a",@progbits
	.p2align	6, 0x0
	.amdhsa_kernel _ZN7rocprim17ROCPRIM_400000_NS6detail17trampoline_kernelINS0_14default_configENS1_22reduce_config_selectorIlEEZNS1_11reduce_implILb1ES3_N6thrust23THRUST_200600_302600_NS11hip_rocprim26transform_input_iterator_tIlNS8_12zip_iteratorINS8_5tupleINS8_6detail15normal_iteratorINS8_10device_ptrItEEEESH_NS8_9null_typeESI_SI_SI_SI_SI_SI_SI_EEEENS9_21zip_adj_not_predicateINS8_8equal_toItEEEEEEPllNS8_4plusIlEEEE10hipError_tPvRmT1_T2_T3_mT4_P12ihipStream_tbEUlT_E0_NS1_11comp_targetILNS1_3genE8ELNS1_11target_archE1030ELNS1_3gpuE2ELNS1_3repE0EEENS1_30default_config_static_selectorELNS0_4arch9wavefront6targetE1EEEvSW_
		.amdhsa_group_segment_fixed_size 0
		.amdhsa_private_segment_fixed_size 0
		.amdhsa_kernarg_size 80
		.amdhsa_user_sgpr_count 6
		.amdhsa_user_sgpr_private_segment_buffer 1
		.amdhsa_user_sgpr_dispatch_ptr 0
		.amdhsa_user_sgpr_queue_ptr 0
		.amdhsa_user_sgpr_kernarg_segment_ptr 1
		.amdhsa_user_sgpr_dispatch_id 0
		.amdhsa_user_sgpr_flat_scratch_init 0
		.amdhsa_user_sgpr_private_segment_size 0
		.amdhsa_uses_dynamic_stack 0
		.amdhsa_system_sgpr_private_segment_wavefront_offset 0
		.amdhsa_system_sgpr_workgroup_id_x 1
		.amdhsa_system_sgpr_workgroup_id_y 0
		.amdhsa_system_sgpr_workgroup_id_z 0
		.amdhsa_system_sgpr_workgroup_info 0
		.amdhsa_system_vgpr_workitem_id 0
		.amdhsa_next_free_vgpr 1
		.amdhsa_next_free_sgpr 0
		.amdhsa_reserve_vcc 0
		.amdhsa_reserve_flat_scratch 0
		.amdhsa_float_round_mode_32 0
		.amdhsa_float_round_mode_16_64 0
		.amdhsa_float_denorm_mode_32 3
		.amdhsa_float_denorm_mode_16_64 3
		.amdhsa_dx10_clamp 1
		.amdhsa_ieee_mode 1
		.amdhsa_fp16_overflow 0
		.amdhsa_exception_fp_ieee_invalid_op 0
		.amdhsa_exception_fp_denorm_src 0
		.amdhsa_exception_fp_ieee_div_zero 0
		.amdhsa_exception_fp_ieee_overflow 0
		.amdhsa_exception_fp_ieee_underflow 0
		.amdhsa_exception_fp_ieee_inexact 0
		.amdhsa_exception_int_div_zero 0
	.end_amdhsa_kernel
	.section	.text._ZN7rocprim17ROCPRIM_400000_NS6detail17trampoline_kernelINS0_14default_configENS1_22reduce_config_selectorIlEEZNS1_11reduce_implILb1ES3_N6thrust23THRUST_200600_302600_NS11hip_rocprim26transform_input_iterator_tIlNS8_12zip_iteratorINS8_5tupleINS8_6detail15normal_iteratorINS8_10device_ptrItEEEESH_NS8_9null_typeESI_SI_SI_SI_SI_SI_SI_EEEENS9_21zip_adj_not_predicateINS8_8equal_toItEEEEEEPllNS8_4plusIlEEEE10hipError_tPvRmT1_T2_T3_mT4_P12ihipStream_tbEUlT_E0_NS1_11comp_targetILNS1_3genE8ELNS1_11target_archE1030ELNS1_3gpuE2ELNS1_3repE0EEENS1_30default_config_static_selectorELNS0_4arch9wavefront6targetE1EEEvSW_,"axG",@progbits,_ZN7rocprim17ROCPRIM_400000_NS6detail17trampoline_kernelINS0_14default_configENS1_22reduce_config_selectorIlEEZNS1_11reduce_implILb1ES3_N6thrust23THRUST_200600_302600_NS11hip_rocprim26transform_input_iterator_tIlNS8_12zip_iteratorINS8_5tupleINS8_6detail15normal_iteratorINS8_10device_ptrItEEEESH_NS8_9null_typeESI_SI_SI_SI_SI_SI_SI_EEEENS9_21zip_adj_not_predicateINS8_8equal_toItEEEEEEPllNS8_4plusIlEEEE10hipError_tPvRmT1_T2_T3_mT4_P12ihipStream_tbEUlT_E0_NS1_11comp_targetILNS1_3genE8ELNS1_11target_archE1030ELNS1_3gpuE2ELNS1_3repE0EEENS1_30default_config_static_selectorELNS0_4arch9wavefront6targetE1EEEvSW_,comdat
.Lfunc_end895:
	.size	_ZN7rocprim17ROCPRIM_400000_NS6detail17trampoline_kernelINS0_14default_configENS1_22reduce_config_selectorIlEEZNS1_11reduce_implILb1ES3_N6thrust23THRUST_200600_302600_NS11hip_rocprim26transform_input_iterator_tIlNS8_12zip_iteratorINS8_5tupleINS8_6detail15normal_iteratorINS8_10device_ptrItEEEESH_NS8_9null_typeESI_SI_SI_SI_SI_SI_SI_EEEENS9_21zip_adj_not_predicateINS8_8equal_toItEEEEEEPllNS8_4plusIlEEEE10hipError_tPvRmT1_T2_T3_mT4_P12ihipStream_tbEUlT_E0_NS1_11comp_targetILNS1_3genE8ELNS1_11target_archE1030ELNS1_3gpuE2ELNS1_3repE0EEENS1_30default_config_static_selectorELNS0_4arch9wavefront6targetE1EEEvSW_, .Lfunc_end895-_ZN7rocprim17ROCPRIM_400000_NS6detail17trampoline_kernelINS0_14default_configENS1_22reduce_config_selectorIlEEZNS1_11reduce_implILb1ES3_N6thrust23THRUST_200600_302600_NS11hip_rocprim26transform_input_iterator_tIlNS8_12zip_iteratorINS8_5tupleINS8_6detail15normal_iteratorINS8_10device_ptrItEEEESH_NS8_9null_typeESI_SI_SI_SI_SI_SI_SI_EEEENS9_21zip_adj_not_predicateINS8_8equal_toItEEEEEEPllNS8_4plusIlEEEE10hipError_tPvRmT1_T2_T3_mT4_P12ihipStream_tbEUlT_E0_NS1_11comp_targetILNS1_3genE8ELNS1_11target_archE1030ELNS1_3gpuE2ELNS1_3repE0EEENS1_30default_config_static_selectorELNS0_4arch9wavefront6targetE1EEEvSW_
                                        ; -- End function
	.set _ZN7rocprim17ROCPRIM_400000_NS6detail17trampoline_kernelINS0_14default_configENS1_22reduce_config_selectorIlEEZNS1_11reduce_implILb1ES3_N6thrust23THRUST_200600_302600_NS11hip_rocprim26transform_input_iterator_tIlNS8_12zip_iteratorINS8_5tupleINS8_6detail15normal_iteratorINS8_10device_ptrItEEEESH_NS8_9null_typeESI_SI_SI_SI_SI_SI_SI_EEEENS9_21zip_adj_not_predicateINS8_8equal_toItEEEEEEPllNS8_4plusIlEEEE10hipError_tPvRmT1_T2_T3_mT4_P12ihipStream_tbEUlT_E0_NS1_11comp_targetILNS1_3genE8ELNS1_11target_archE1030ELNS1_3gpuE2ELNS1_3repE0EEENS1_30default_config_static_selectorELNS0_4arch9wavefront6targetE1EEEvSW_.num_vgpr, 0
	.set _ZN7rocprim17ROCPRIM_400000_NS6detail17trampoline_kernelINS0_14default_configENS1_22reduce_config_selectorIlEEZNS1_11reduce_implILb1ES3_N6thrust23THRUST_200600_302600_NS11hip_rocprim26transform_input_iterator_tIlNS8_12zip_iteratorINS8_5tupleINS8_6detail15normal_iteratorINS8_10device_ptrItEEEESH_NS8_9null_typeESI_SI_SI_SI_SI_SI_SI_EEEENS9_21zip_adj_not_predicateINS8_8equal_toItEEEEEEPllNS8_4plusIlEEEE10hipError_tPvRmT1_T2_T3_mT4_P12ihipStream_tbEUlT_E0_NS1_11comp_targetILNS1_3genE8ELNS1_11target_archE1030ELNS1_3gpuE2ELNS1_3repE0EEENS1_30default_config_static_selectorELNS0_4arch9wavefront6targetE1EEEvSW_.num_agpr, 0
	.set _ZN7rocprim17ROCPRIM_400000_NS6detail17trampoline_kernelINS0_14default_configENS1_22reduce_config_selectorIlEEZNS1_11reduce_implILb1ES3_N6thrust23THRUST_200600_302600_NS11hip_rocprim26transform_input_iterator_tIlNS8_12zip_iteratorINS8_5tupleINS8_6detail15normal_iteratorINS8_10device_ptrItEEEESH_NS8_9null_typeESI_SI_SI_SI_SI_SI_SI_EEEENS9_21zip_adj_not_predicateINS8_8equal_toItEEEEEEPllNS8_4plusIlEEEE10hipError_tPvRmT1_T2_T3_mT4_P12ihipStream_tbEUlT_E0_NS1_11comp_targetILNS1_3genE8ELNS1_11target_archE1030ELNS1_3gpuE2ELNS1_3repE0EEENS1_30default_config_static_selectorELNS0_4arch9wavefront6targetE1EEEvSW_.numbered_sgpr, 0
	.set _ZN7rocprim17ROCPRIM_400000_NS6detail17trampoline_kernelINS0_14default_configENS1_22reduce_config_selectorIlEEZNS1_11reduce_implILb1ES3_N6thrust23THRUST_200600_302600_NS11hip_rocprim26transform_input_iterator_tIlNS8_12zip_iteratorINS8_5tupleINS8_6detail15normal_iteratorINS8_10device_ptrItEEEESH_NS8_9null_typeESI_SI_SI_SI_SI_SI_SI_EEEENS9_21zip_adj_not_predicateINS8_8equal_toItEEEEEEPllNS8_4plusIlEEEE10hipError_tPvRmT1_T2_T3_mT4_P12ihipStream_tbEUlT_E0_NS1_11comp_targetILNS1_3genE8ELNS1_11target_archE1030ELNS1_3gpuE2ELNS1_3repE0EEENS1_30default_config_static_selectorELNS0_4arch9wavefront6targetE1EEEvSW_.num_named_barrier, 0
	.set _ZN7rocprim17ROCPRIM_400000_NS6detail17trampoline_kernelINS0_14default_configENS1_22reduce_config_selectorIlEEZNS1_11reduce_implILb1ES3_N6thrust23THRUST_200600_302600_NS11hip_rocprim26transform_input_iterator_tIlNS8_12zip_iteratorINS8_5tupleINS8_6detail15normal_iteratorINS8_10device_ptrItEEEESH_NS8_9null_typeESI_SI_SI_SI_SI_SI_SI_EEEENS9_21zip_adj_not_predicateINS8_8equal_toItEEEEEEPllNS8_4plusIlEEEE10hipError_tPvRmT1_T2_T3_mT4_P12ihipStream_tbEUlT_E0_NS1_11comp_targetILNS1_3genE8ELNS1_11target_archE1030ELNS1_3gpuE2ELNS1_3repE0EEENS1_30default_config_static_selectorELNS0_4arch9wavefront6targetE1EEEvSW_.private_seg_size, 0
	.set _ZN7rocprim17ROCPRIM_400000_NS6detail17trampoline_kernelINS0_14default_configENS1_22reduce_config_selectorIlEEZNS1_11reduce_implILb1ES3_N6thrust23THRUST_200600_302600_NS11hip_rocprim26transform_input_iterator_tIlNS8_12zip_iteratorINS8_5tupleINS8_6detail15normal_iteratorINS8_10device_ptrItEEEESH_NS8_9null_typeESI_SI_SI_SI_SI_SI_SI_EEEENS9_21zip_adj_not_predicateINS8_8equal_toItEEEEEEPllNS8_4plusIlEEEE10hipError_tPvRmT1_T2_T3_mT4_P12ihipStream_tbEUlT_E0_NS1_11comp_targetILNS1_3genE8ELNS1_11target_archE1030ELNS1_3gpuE2ELNS1_3repE0EEENS1_30default_config_static_selectorELNS0_4arch9wavefront6targetE1EEEvSW_.uses_vcc, 0
	.set _ZN7rocprim17ROCPRIM_400000_NS6detail17trampoline_kernelINS0_14default_configENS1_22reduce_config_selectorIlEEZNS1_11reduce_implILb1ES3_N6thrust23THRUST_200600_302600_NS11hip_rocprim26transform_input_iterator_tIlNS8_12zip_iteratorINS8_5tupleINS8_6detail15normal_iteratorINS8_10device_ptrItEEEESH_NS8_9null_typeESI_SI_SI_SI_SI_SI_SI_EEEENS9_21zip_adj_not_predicateINS8_8equal_toItEEEEEEPllNS8_4plusIlEEEE10hipError_tPvRmT1_T2_T3_mT4_P12ihipStream_tbEUlT_E0_NS1_11comp_targetILNS1_3genE8ELNS1_11target_archE1030ELNS1_3gpuE2ELNS1_3repE0EEENS1_30default_config_static_selectorELNS0_4arch9wavefront6targetE1EEEvSW_.uses_flat_scratch, 0
	.set _ZN7rocprim17ROCPRIM_400000_NS6detail17trampoline_kernelINS0_14default_configENS1_22reduce_config_selectorIlEEZNS1_11reduce_implILb1ES3_N6thrust23THRUST_200600_302600_NS11hip_rocprim26transform_input_iterator_tIlNS8_12zip_iteratorINS8_5tupleINS8_6detail15normal_iteratorINS8_10device_ptrItEEEESH_NS8_9null_typeESI_SI_SI_SI_SI_SI_SI_EEEENS9_21zip_adj_not_predicateINS8_8equal_toItEEEEEEPllNS8_4plusIlEEEE10hipError_tPvRmT1_T2_T3_mT4_P12ihipStream_tbEUlT_E0_NS1_11comp_targetILNS1_3genE8ELNS1_11target_archE1030ELNS1_3gpuE2ELNS1_3repE0EEENS1_30default_config_static_selectorELNS0_4arch9wavefront6targetE1EEEvSW_.has_dyn_sized_stack, 0
	.set _ZN7rocprim17ROCPRIM_400000_NS6detail17trampoline_kernelINS0_14default_configENS1_22reduce_config_selectorIlEEZNS1_11reduce_implILb1ES3_N6thrust23THRUST_200600_302600_NS11hip_rocprim26transform_input_iterator_tIlNS8_12zip_iteratorINS8_5tupleINS8_6detail15normal_iteratorINS8_10device_ptrItEEEESH_NS8_9null_typeESI_SI_SI_SI_SI_SI_SI_EEEENS9_21zip_adj_not_predicateINS8_8equal_toItEEEEEEPllNS8_4plusIlEEEE10hipError_tPvRmT1_T2_T3_mT4_P12ihipStream_tbEUlT_E0_NS1_11comp_targetILNS1_3genE8ELNS1_11target_archE1030ELNS1_3gpuE2ELNS1_3repE0EEENS1_30default_config_static_selectorELNS0_4arch9wavefront6targetE1EEEvSW_.has_recursion, 0
	.set _ZN7rocprim17ROCPRIM_400000_NS6detail17trampoline_kernelINS0_14default_configENS1_22reduce_config_selectorIlEEZNS1_11reduce_implILb1ES3_N6thrust23THRUST_200600_302600_NS11hip_rocprim26transform_input_iterator_tIlNS8_12zip_iteratorINS8_5tupleINS8_6detail15normal_iteratorINS8_10device_ptrItEEEESH_NS8_9null_typeESI_SI_SI_SI_SI_SI_SI_EEEENS9_21zip_adj_not_predicateINS8_8equal_toItEEEEEEPllNS8_4plusIlEEEE10hipError_tPvRmT1_T2_T3_mT4_P12ihipStream_tbEUlT_E0_NS1_11comp_targetILNS1_3genE8ELNS1_11target_archE1030ELNS1_3gpuE2ELNS1_3repE0EEENS1_30default_config_static_selectorELNS0_4arch9wavefront6targetE1EEEvSW_.has_indirect_call, 0
	.section	.AMDGPU.csdata,"",@progbits
; Kernel info:
; codeLenInByte = 0
; TotalNumSgprs: 4
; NumVgprs: 0
; ScratchSize: 0
; MemoryBound: 0
; FloatMode: 240
; IeeeMode: 1
; LDSByteSize: 0 bytes/workgroup (compile time only)
; SGPRBlocks: 0
; VGPRBlocks: 0
; NumSGPRsForWavesPerEU: 4
; NumVGPRsForWavesPerEU: 1
; Occupancy: 10
; WaveLimiterHint : 0
; COMPUTE_PGM_RSRC2:SCRATCH_EN: 0
; COMPUTE_PGM_RSRC2:USER_SGPR: 6
; COMPUTE_PGM_RSRC2:TRAP_HANDLER: 0
; COMPUTE_PGM_RSRC2:TGID_X_EN: 1
; COMPUTE_PGM_RSRC2:TGID_Y_EN: 0
; COMPUTE_PGM_RSRC2:TGID_Z_EN: 0
; COMPUTE_PGM_RSRC2:TIDIG_COMP_CNT: 0
	.section	.text._ZN7rocprim17ROCPRIM_400000_NS6detail17trampoline_kernelINS0_14default_configENS1_22reduce_config_selectorIlEEZNS1_11reduce_implILb1ES3_N6thrust23THRUST_200600_302600_NS11hip_rocprim26transform_input_iterator_tIlNS8_12zip_iteratorINS8_5tupleINS8_6detail15normal_iteratorINS8_10device_ptrItEEEESH_NS8_9null_typeESI_SI_SI_SI_SI_SI_SI_EEEENS9_21zip_adj_not_predicateINS8_8equal_toItEEEEEEPllNS8_4plusIlEEEE10hipError_tPvRmT1_T2_T3_mT4_P12ihipStream_tbEUlT_E1_NS1_11comp_targetILNS1_3genE0ELNS1_11target_archE4294967295ELNS1_3gpuE0ELNS1_3repE0EEENS1_30default_config_static_selectorELNS0_4arch9wavefront6targetE1EEEvSW_,"axG",@progbits,_ZN7rocprim17ROCPRIM_400000_NS6detail17trampoline_kernelINS0_14default_configENS1_22reduce_config_selectorIlEEZNS1_11reduce_implILb1ES3_N6thrust23THRUST_200600_302600_NS11hip_rocprim26transform_input_iterator_tIlNS8_12zip_iteratorINS8_5tupleINS8_6detail15normal_iteratorINS8_10device_ptrItEEEESH_NS8_9null_typeESI_SI_SI_SI_SI_SI_SI_EEEENS9_21zip_adj_not_predicateINS8_8equal_toItEEEEEEPllNS8_4plusIlEEEE10hipError_tPvRmT1_T2_T3_mT4_P12ihipStream_tbEUlT_E1_NS1_11comp_targetILNS1_3genE0ELNS1_11target_archE4294967295ELNS1_3gpuE0ELNS1_3repE0EEENS1_30default_config_static_selectorELNS0_4arch9wavefront6targetE1EEEvSW_,comdat
	.protected	_ZN7rocprim17ROCPRIM_400000_NS6detail17trampoline_kernelINS0_14default_configENS1_22reduce_config_selectorIlEEZNS1_11reduce_implILb1ES3_N6thrust23THRUST_200600_302600_NS11hip_rocprim26transform_input_iterator_tIlNS8_12zip_iteratorINS8_5tupleINS8_6detail15normal_iteratorINS8_10device_ptrItEEEESH_NS8_9null_typeESI_SI_SI_SI_SI_SI_SI_EEEENS9_21zip_adj_not_predicateINS8_8equal_toItEEEEEEPllNS8_4plusIlEEEE10hipError_tPvRmT1_T2_T3_mT4_P12ihipStream_tbEUlT_E1_NS1_11comp_targetILNS1_3genE0ELNS1_11target_archE4294967295ELNS1_3gpuE0ELNS1_3repE0EEENS1_30default_config_static_selectorELNS0_4arch9wavefront6targetE1EEEvSW_ ; -- Begin function _ZN7rocprim17ROCPRIM_400000_NS6detail17trampoline_kernelINS0_14default_configENS1_22reduce_config_selectorIlEEZNS1_11reduce_implILb1ES3_N6thrust23THRUST_200600_302600_NS11hip_rocprim26transform_input_iterator_tIlNS8_12zip_iteratorINS8_5tupleINS8_6detail15normal_iteratorINS8_10device_ptrItEEEESH_NS8_9null_typeESI_SI_SI_SI_SI_SI_SI_EEEENS9_21zip_adj_not_predicateINS8_8equal_toItEEEEEEPllNS8_4plusIlEEEE10hipError_tPvRmT1_T2_T3_mT4_P12ihipStream_tbEUlT_E1_NS1_11comp_targetILNS1_3genE0ELNS1_11target_archE4294967295ELNS1_3gpuE0ELNS1_3repE0EEENS1_30default_config_static_selectorELNS0_4arch9wavefront6targetE1EEEvSW_
	.globl	_ZN7rocprim17ROCPRIM_400000_NS6detail17trampoline_kernelINS0_14default_configENS1_22reduce_config_selectorIlEEZNS1_11reduce_implILb1ES3_N6thrust23THRUST_200600_302600_NS11hip_rocprim26transform_input_iterator_tIlNS8_12zip_iteratorINS8_5tupleINS8_6detail15normal_iteratorINS8_10device_ptrItEEEESH_NS8_9null_typeESI_SI_SI_SI_SI_SI_SI_EEEENS9_21zip_adj_not_predicateINS8_8equal_toItEEEEEEPllNS8_4plusIlEEEE10hipError_tPvRmT1_T2_T3_mT4_P12ihipStream_tbEUlT_E1_NS1_11comp_targetILNS1_3genE0ELNS1_11target_archE4294967295ELNS1_3gpuE0ELNS1_3repE0EEENS1_30default_config_static_selectorELNS0_4arch9wavefront6targetE1EEEvSW_
	.p2align	8
	.type	_ZN7rocprim17ROCPRIM_400000_NS6detail17trampoline_kernelINS0_14default_configENS1_22reduce_config_selectorIlEEZNS1_11reduce_implILb1ES3_N6thrust23THRUST_200600_302600_NS11hip_rocprim26transform_input_iterator_tIlNS8_12zip_iteratorINS8_5tupleINS8_6detail15normal_iteratorINS8_10device_ptrItEEEESH_NS8_9null_typeESI_SI_SI_SI_SI_SI_SI_EEEENS9_21zip_adj_not_predicateINS8_8equal_toItEEEEEEPllNS8_4plusIlEEEE10hipError_tPvRmT1_T2_T3_mT4_P12ihipStream_tbEUlT_E1_NS1_11comp_targetILNS1_3genE0ELNS1_11target_archE4294967295ELNS1_3gpuE0ELNS1_3repE0EEENS1_30default_config_static_selectorELNS0_4arch9wavefront6targetE1EEEvSW_,@function
_ZN7rocprim17ROCPRIM_400000_NS6detail17trampoline_kernelINS0_14default_configENS1_22reduce_config_selectorIlEEZNS1_11reduce_implILb1ES3_N6thrust23THRUST_200600_302600_NS11hip_rocprim26transform_input_iterator_tIlNS8_12zip_iteratorINS8_5tupleINS8_6detail15normal_iteratorINS8_10device_ptrItEEEESH_NS8_9null_typeESI_SI_SI_SI_SI_SI_SI_EEEENS9_21zip_adj_not_predicateINS8_8equal_toItEEEEEEPllNS8_4plusIlEEEE10hipError_tPvRmT1_T2_T3_mT4_P12ihipStream_tbEUlT_E1_NS1_11comp_targetILNS1_3genE0ELNS1_11target_archE4294967295ELNS1_3gpuE0ELNS1_3repE0EEENS1_30default_config_static_selectorELNS0_4arch9wavefront6targetE1EEEvSW_: ; @_ZN7rocprim17ROCPRIM_400000_NS6detail17trampoline_kernelINS0_14default_configENS1_22reduce_config_selectorIlEEZNS1_11reduce_implILb1ES3_N6thrust23THRUST_200600_302600_NS11hip_rocprim26transform_input_iterator_tIlNS8_12zip_iteratorINS8_5tupleINS8_6detail15normal_iteratorINS8_10device_ptrItEEEESH_NS8_9null_typeESI_SI_SI_SI_SI_SI_SI_EEEENS9_21zip_adj_not_predicateINS8_8equal_toItEEEEEEPllNS8_4plusIlEEEE10hipError_tPvRmT1_T2_T3_mT4_P12ihipStream_tbEUlT_E1_NS1_11comp_targetILNS1_3genE0ELNS1_11target_archE4294967295ELNS1_3gpuE0ELNS1_3repE0EEENS1_30default_config_static_selectorELNS0_4arch9wavefront6targetE1EEEvSW_
; %bb.0:
	.section	.rodata,"a",@progbits
	.p2align	6, 0x0
	.amdhsa_kernel _ZN7rocprim17ROCPRIM_400000_NS6detail17trampoline_kernelINS0_14default_configENS1_22reduce_config_selectorIlEEZNS1_11reduce_implILb1ES3_N6thrust23THRUST_200600_302600_NS11hip_rocprim26transform_input_iterator_tIlNS8_12zip_iteratorINS8_5tupleINS8_6detail15normal_iteratorINS8_10device_ptrItEEEESH_NS8_9null_typeESI_SI_SI_SI_SI_SI_SI_EEEENS9_21zip_adj_not_predicateINS8_8equal_toItEEEEEEPllNS8_4plusIlEEEE10hipError_tPvRmT1_T2_T3_mT4_P12ihipStream_tbEUlT_E1_NS1_11comp_targetILNS1_3genE0ELNS1_11target_archE4294967295ELNS1_3gpuE0ELNS1_3repE0EEENS1_30default_config_static_selectorELNS0_4arch9wavefront6targetE1EEEvSW_
		.amdhsa_group_segment_fixed_size 0
		.amdhsa_private_segment_fixed_size 0
		.amdhsa_kernarg_size 64
		.amdhsa_user_sgpr_count 6
		.amdhsa_user_sgpr_private_segment_buffer 1
		.amdhsa_user_sgpr_dispatch_ptr 0
		.amdhsa_user_sgpr_queue_ptr 0
		.amdhsa_user_sgpr_kernarg_segment_ptr 1
		.amdhsa_user_sgpr_dispatch_id 0
		.amdhsa_user_sgpr_flat_scratch_init 0
		.amdhsa_user_sgpr_private_segment_size 0
		.amdhsa_uses_dynamic_stack 0
		.amdhsa_system_sgpr_private_segment_wavefront_offset 0
		.amdhsa_system_sgpr_workgroup_id_x 1
		.amdhsa_system_sgpr_workgroup_id_y 0
		.amdhsa_system_sgpr_workgroup_id_z 0
		.amdhsa_system_sgpr_workgroup_info 0
		.amdhsa_system_vgpr_workitem_id 0
		.amdhsa_next_free_vgpr 1
		.amdhsa_next_free_sgpr 0
		.amdhsa_reserve_vcc 0
		.amdhsa_reserve_flat_scratch 0
		.amdhsa_float_round_mode_32 0
		.amdhsa_float_round_mode_16_64 0
		.amdhsa_float_denorm_mode_32 3
		.amdhsa_float_denorm_mode_16_64 3
		.amdhsa_dx10_clamp 1
		.amdhsa_ieee_mode 1
		.amdhsa_fp16_overflow 0
		.amdhsa_exception_fp_ieee_invalid_op 0
		.amdhsa_exception_fp_denorm_src 0
		.amdhsa_exception_fp_ieee_div_zero 0
		.amdhsa_exception_fp_ieee_overflow 0
		.amdhsa_exception_fp_ieee_underflow 0
		.amdhsa_exception_fp_ieee_inexact 0
		.amdhsa_exception_int_div_zero 0
	.end_amdhsa_kernel
	.section	.text._ZN7rocprim17ROCPRIM_400000_NS6detail17trampoline_kernelINS0_14default_configENS1_22reduce_config_selectorIlEEZNS1_11reduce_implILb1ES3_N6thrust23THRUST_200600_302600_NS11hip_rocprim26transform_input_iterator_tIlNS8_12zip_iteratorINS8_5tupleINS8_6detail15normal_iteratorINS8_10device_ptrItEEEESH_NS8_9null_typeESI_SI_SI_SI_SI_SI_SI_EEEENS9_21zip_adj_not_predicateINS8_8equal_toItEEEEEEPllNS8_4plusIlEEEE10hipError_tPvRmT1_T2_T3_mT4_P12ihipStream_tbEUlT_E1_NS1_11comp_targetILNS1_3genE0ELNS1_11target_archE4294967295ELNS1_3gpuE0ELNS1_3repE0EEENS1_30default_config_static_selectorELNS0_4arch9wavefront6targetE1EEEvSW_,"axG",@progbits,_ZN7rocprim17ROCPRIM_400000_NS6detail17trampoline_kernelINS0_14default_configENS1_22reduce_config_selectorIlEEZNS1_11reduce_implILb1ES3_N6thrust23THRUST_200600_302600_NS11hip_rocprim26transform_input_iterator_tIlNS8_12zip_iteratorINS8_5tupleINS8_6detail15normal_iteratorINS8_10device_ptrItEEEESH_NS8_9null_typeESI_SI_SI_SI_SI_SI_SI_EEEENS9_21zip_adj_not_predicateINS8_8equal_toItEEEEEEPllNS8_4plusIlEEEE10hipError_tPvRmT1_T2_T3_mT4_P12ihipStream_tbEUlT_E1_NS1_11comp_targetILNS1_3genE0ELNS1_11target_archE4294967295ELNS1_3gpuE0ELNS1_3repE0EEENS1_30default_config_static_selectorELNS0_4arch9wavefront6targetE1EEEvSW_,comdat
.Lfunc_end896:
	.size	_ZN7rocprim17ROCPRIM_400000_NS6detail17trampoline_kernelINS0_14default_configENS1_22reduce_config_selectorIlEEZNS1_11reduce_implILb1ES3_N6thrust23THRUST_200600_302600_NS11hip_rocprim26transform_input_iterator_tIlNS8_12zip_iteratorINS8_5tupleINS8_6detail15normal_iteratorINS8_10device_ptrItEEEESH_NS8_9null_typeESI_SI_SI_SI_SI_SI_SI_EEEENS9_21zip_adj_not_predicateINS8_8equal_toItEEEEEEPllNS8_4plusIlEEEE10hipError_tPvRmT1_T2_T3_mT4_P12ihipStream_tbEUlT_E1_NS1_11comp_targetILNS1_3genE0ELNS1_11target_archE4294967295ELNS1_3gpuE0ELNS1_3repE0EEENS1_30default_config_static_selectorELNS0_4arch9wavefront6targetE1EEEvSW_, .Lfunc_end896-_ZN7rocprim17ROCPRIM_400000_NS6detail17trampoline_kernelINS0_14default_configENS1_22reduce_config_selectorIlEEZNS1_11reduce_implILb1ES3_N6thrust23THRUST_200600_302600_NS11hip_rocprim26transform_input_iterator_tIlNS8_12zip_iteratorINS8_5tupleINS8_6detail15normal_iteratorINS8_10device_ptrItEEEESH_NS8_9null_typeESI_SI_SI_SI_SI_SI_SI_EEEENS9_21zip_adj_not_predicateINS8_8equal_toItEEEEEEPllNS8_4plusIlEEEE10hipError_tPvRmT1_T2_T3_mT4_P12ihipStream_tbEUlT_E1_NS1_11comp_targetILNS1_3genE0ELNS1_11target_archE4294967295ELNS1_3gpuE0ELNS1_3repE0EEENS1_30default_config_static_selectorELNS0_4arch9wavefront6targetE1EEEvSW_
                                        ; -- End function
	.set _ZN7rocprim17ROCPRIM_400000_NS6detail17trampoline_kernelINS0_14default_configENS1_22reduce_config_selectorIlEEZNS1_11reduce_implILb1ES3_N6thrust23THRUST_200600_302600_NS11hip_rocprim26transform_input_iterator_tIlNS8_12zip_iteratorINS8_5tupleINS8_6detail15normal_iteratorINS8_10device_ptrItEEEESH_NS8_9null_typeESI_SI_SI_SI_SI_SI_SI_EEEENS9_21zip_adj_not_predicateINS8_8equal_toItEEEEEEPllNS8_4plusIlEEEE10hipError_tPvRmT1_T2_T3_mT4_P12ihipStream_tbEUlT_E1_NS1_11comp_targetILNS1_3genE0ELNS1_11target_archE4294967295ELNS1_3gpuE0ELNS1_3repE0EEENS1_30default_config_static_selectorELNS0_4arch9wavefront6targetE1EEEvSW_.num_vgpr, 0
	.set _ZN7rocprim17ROCPRIM_400000_NS6detail17trampoline_kernelINS0_14default_configENS1_22reduce_config_selectorIlEEZNS1_11reduce_implILb1ES3_N6thrust23THRUST_200600_302600_NS11hip_rocprim26transform_input_iterator_tIlNS8_12zip_iteratorINS8_5tupleINS8_6detail15normal_iteratorINS8_10device_ptrItEEEESH_NS8_9null_typeESI_SI_SI_SI_SI_SI_SI_EEEENS9_21zip_adj_not_predicateINS8_8equal_toItEEEEEEPllNS8_4plusIlEEEE10hipError_tPvRmT1_T2_T3_mT4_P12ihipStream_tbEUlT_E1_NS1_11comp_targetILNS1_3genE0ELNS1_11target_archE4294967295ELNS1_3gpuE0ELNS1_3repE0EEENS1_30default_config_static_selectorELNS0_4arch9wavefront6targetE1EEEvSW_.num_agpr, 0
	.set _ZN7rocprim17ROCPRIM_400000_NS6detail17trampoline_kernelINS0_14default_configENS1_22reduce_config_selectorIlEEZNS1_11reduce_implILb1ES3_N6thrust23THRUST_200600_302600_NS11hip_rocprim26transform_input_iterator_tIlNS8_12zip_iteratorINS8_5tupleINS8_6detail15normal_iteratorINS8_10device_ptrItEEEESH_NS8_9null_typeESI_SI_SI_SI_SI_SI_SI_EEEENS9_21zip_adj_not_predicateINS8_8equal_toItEEEEEEPllNS8_4plusIlEEEE10hipError_tPvRmT1_T2_T3_mT4_P12ihipStream_tbEUlT_E1_NS1_11comp_targetILNS1_3genE0ELNS1_11target_archE4294967295ELNS1_3gpuE0ELNS1_3repE0EEENS1_30default_config_static_selectorELNS0_4arch9wavefront6targetE1EEEvSW_.numbered_sgpr, 0
	.set _ZN7rocprim17ROCPRIM_400000_NS6detail17trampoline_kernelINS0_14default_configENS1_22reduce_config_selectorIlEEZNS1_11reduce_implILb1ES3_N6thrust23THRUST_200600_302600_NS11hip_rocprim26transform_input_iterator_tIlNS8_12zip_iteratorINS8_5tupleINS8_6detail15normal_iteratorINS8_10device_ptrItEEEESH_NS8_9null_typeESI_SI_SI_SI_SI_SI_SI_EEEENS9_21zip_adj_not_predicateINS8_8equal_toItEEEEEEPllNS8_4plusIlEEEE10hipError_tPvRmT1_T2_T3_mT4_P12ihipStream_tbEUlT_E1_NS1_11comp_targetILNS1_3genE0ELNS1_11target_archE4294967295ELNS1_3gpuE0ELNS1_3repE0EEENS1_30default_config_static_selectorELNS0_4arch9wavefront6targetE1EEEvSW_.num_named_barrier, 0
	.set _ZN7rocprim17ROCPRIM_400000_NS6detail17trampoline_kernelINS0_14default_configENS1_22reduce_config_selectorIlEEZNS1_11reduce_implILb1ES3_N6thrust23THRUST_200600_302600_NS11hip_rocprim26transform_input_iterator_tIlNS8_12zip_iteratorINS8_5tupleINS8_6detail15normal_iteratorINS8_10device_ptrItEEEESH_NS8_9null_typeESI_SI_SI_SI_SI_SI_SI_EEEENS9_21zip_adj_not_predicateINS8_8equal_toItEEEEEEPllNS8_4plusIlEEEE10hipError_tPvRmT1_T2_T3_mT4_P12ihipStream_tbEUlT_E1_NS1_11comp_targetILNS1_3genE0ELNS1_11target_archE4294967295ELNS1_3gpuE0ELNS1_3repE0EEENS1_30default_config_static_selectorELNS0_4arch9wavefront6targetE1EEEvSW_.private_seg_size, 0
	.set _ZN7rocprim17ROCPRIM_400000_NS6detail17trampoline_kernelINS0_14default_configENS1_22reduce_config_selectorIlEEZNS1_11reduce_implILb1ES3_N6thrust23THRUST_200600_302600_NS11hip_rocprim26transform_input_iterator_tIlNS8_12zip_iteratorINS8_5tupleINS8_6detail15normal_iteratorINS8_10device_ptrItEEEESH_NS8_9null_typeESI_SI_SI_SI_SI_SI_SI_EEEENS9_21zip_adj_not_predicateINS8_8equal_toItEEEEEEPllNS8_4plusIlEEEE10hipError_tPvRmT1_T2_T3_mT4_P12ihipStream_tbEUlT_E1_NS1_11comp_targetILNS1_3genE0ELNS1_11target_archE4294967295ELNS1_3gpuE0ELNS1_3repE0EEENS1_30default_config_static_selectorELNS0_4arch9wavefront6targetE1EEEvSW_.uses_vcc, 0
	.set _ZN7rocprim17ROCPRIM_400000_NS6detail17trampoline_kernelINS0_14default_configENS1_22reduce_config_selectorIlEEZNS1_11reduce_implILb1ES3_N6thrust23THRUST_200600_302600_NS11hip_rocprim26transform_input_iterator_tIlNS8_12zip_iteratorINS8_5tupleINS8_6detail15normal_iteratorINS8_10device_ptrItEEEESH_NS8_9null_typeESI_SI_SI_SI_SI_SI_SI_EEEENS9_21zip_adj_not_predicateINS8_8equal_toItEEEEEEPllNS8_4plusIlEEEE10hipError_tPvRmT1_T2_T3_mT4_P12ihipStream_tbEUlT_E1_NS1_11comp_targetILNS1_3genE0ELNS1_11target_archE4294967295ELNS1_3gpuE0ELNS1_3repE0EEENS1_30default_config_static_selectorELNS0_4arch9wavefront6targetE1EEEvSW_.uses_flat_scratch, 0
	.set _ZN7rocprim17ROCPRIM_400000_NS6detail17trampoline_kernelINS0_14default_configENS1_22reduce_config_selectorIlEEZNS1_11reduce_implILb1ES3_N6thrust23THRUST_200600_302600_NS11hip_rocprim26transform_input_iterator_tIlNS8_12zip_iteratorINS8_5tupleINS8_6detail15normal_iteratorINS8_10device_ptrItEEEESH_NS8_9null_typeESI_SI_SI_SI_SI_SI_SI_EEEENS9_21zip_adj_not_predicateINS8_8equal_toItEEEEEEPllNS8_4plusIlEEEE10hipError_tPvRmT1_T2_T3_mT4_P12ihipStream_tbEUlT_E1_NS1_11comp_targetILNS1_3genE0ELNS1_11target_archE4294967295ELNS1_3gpuE0ELNS1_3repE0EEENS1_30default_config_static_selectorELNS0_4arch9wavefront6targetE1EEEvSW_.has_dyn_sized_stack, 0
	.set _ZN7rocprim17ROCPRIM_400000_NS6detail17trampoline_kernelINS0_14default_configENS1_22reduce_config_selectorIlEEZNS1_11reduce_implILb1ES3_N6thrust23THRUST_200600_302600_NS11hip_rocprim26transform_input_iterator_tIlNS8_12zip_iteratorINS8_5tupleINS8_6detail15normal_iteratorINS8_10device_ptrItEEEESH_NS8_9null_typeESI_SI_SI_SI_SI_SI_SI_EEEENS9_21zip_adj_not_predicateINS8_8equal_toItEEEEEEPllNS8_4plusIlEEEE10hipError_tPvRmT1_T2_T3_mT4_P12ihipStream_tbEUlT_E1_NS1_11comp_targetILNS1_3genE0ELNS1_11target_archE4294967295ELNS1_3gpuE0ELNS1_3repE0EEENS1_30default_config_static_selectorELNS0_4arch9wavefront6targetE1EEEvSW_.has_recursion, 0
	.set _ZN7rocprim17ROCPRIM_400000_NS6detail17trampoline_kernelINS0_14default_configENS1_22reduce_config_selectorIlEEZNS1_11reduce_implILb1ES3_N6thrust23THRUST_200600_302600_NS11hip_rocprim26transform_input_iterator_tIlNS8_12zip_iteratorINS8_5tupleINS8_6detail15normal_iteratorINS8_10device_ptrItEEEESH_NS8_9null_typeESI_SI_SI_SI_SI_SI_SI_EEEENS9_21zip_adj_not_predicateINS8_8equal_toItEEEEEEPllNS8_4plusIlEEEE10hipError_tPvRmT1_T2_T3_mT4_P12ihipStream_tbEUlT_E1_NS1_11comp_targetILNS1_3genE0ELNS1_11target_archE4294967295ELNS1_3gpuE0ELNS1_3repE0EEENS1_30default_config_static_selectorELNS0_4arch9wavefront6targetE1EEEvSW_.has_indirect_call, 0
	.section	.AMDGPU.csdata,"",@progbits
; Kernel info:
; codeLenInByte = 0
; TotalNumSgprs: 4
; NumVgprs: 0
; ScratchSize: 0
; MemoryBound: 0
; FloatMode: 240
; IeeeMode: 1
; LDSByteSize: 0 bytes/workgroup (compile time only)
; SGPRBlocks: 0
; VGPRBlocks: 0
; NumSGPRsForWavesPerEU: 4
; NumVGPRsForWavesPerEU: 1
; Occupancy: 10
; WaveLimiterHint : 0
; COMPUTE_PGM_RSRC2:SCRATCH_EN: 0
; COMPUTE_PGM_RSRC2:USER_SGPR: 6
; COMPUTE_PGM_RSRC2:TRAP_HANDLER: 0
; COMPUTE_PGM_RSRC2:TGID_X_EN: 1
; COMPUTE_PGM_RSRC2:TGID_Y_EN: 0
; COMPUTE_PGM_RSRC2:TGID_Z_EN: 0
; COMPUTE_PGM_RSRC2:TIDIG_COMP_CNT: 0
	.section	.text._ZN7rocprim17ROCPRIM_400000_NS6detail17trampoline_kernelINS0_14default_configENS1_22reduce_config_selectorIlEEZNS1_11reduce_implILb1ES3_N6thrust23THRUST_200600_302600_NS11hip_rocprim26transform_input_iterator_tIlNS8_12zip_iteratorINS8_5tupleINS8_6detail15normal_iteratorINS8_10device_ptrItEEEESH_NS8_9null_typeESI_SI_SI_SI_SI_SI_SI_EEEENS9_21zip_adj_not_predicateINS8_8equal_toItEEEEEEPllNS8_4plusIlEEEE10hipError_tPvRmT1_T2_T3_mT4_P12ihipStream_tbEUlT_E1_NS1_11comp_targetILNS1_3genE5ELNS1_11target_archE942ELNS1_3gpuE9ELNS1_3repE0EEENS1_30default_config_static_selectorELNS0_4arch9wavefront6targetE1EEEvSW_,"axG",@progbits,_ZN7rocprim17ROCPRIM_400000_NS6detail17trampoline_kernelINS0_14default_configENS1_22reduce_config_selectorIlEEZNS1_11reduce_implILb1ES3_N6thrust23THRUST_200600_302600_NS11hip_rocprim26transform_input_iterator_tIlNS8_12zip_iteratorINS8_5tupleINS8_6detail15normal_iteratorINS8_10device_ptrItEEEESH_NS8_9null_typeESI_SI_SI_SI_SI_SI_SI_EEEENS9_21zip_adj_not_predicateINS8_8equal_toItEEEEEEPllNS8_4plusIlEEEE10hipError_tPvRmT1_T2_T3_mT4_P12ihipStream_tbEUlT_E1_NS1_11comp_targetILNS1_3genE5ELNS1_11target_archE942ELNS1_3gpuE9ELNS1_3repE0EEENS1_30default_config_static_selectorELNS0_4arch9wavefront6targetE1EEEvSW_,comdat
	.protected	_ZN7rocprim17ROCPRIM_400000_NS6detail17trampoline_kernelINS0_14default_configENS1_22reduce_config_selectorIlEEZNS1_11reduce_implILb1ES3_N6thrust23THRUST_200600_302600_NS11hip_rocprim26transform_input_iterator_tIlNS8_12zip_iteratorINS8_5tupleINS8_6detail15normal_iteratorINS8_10device_ptrItEEEESH_NS8_9null_typeESI_SI_SI_SI_SI_SI_SI_EEEENS9_21zip_adj_not_predicateINS8_8equal_toItEEEEEEPllNS8_4plusIlEEEE10hipError_tPvRmT1_T2_T3_mT4_P12ihipStream_tbEUlT_E1_NS1_11comp_targetILNS1_3genE5ELNS1_11target_archE942ELNS1_3gpuE9ELNS1_3repE0EEENS1_30default_config_static_selectorELNS0_4arch9wavefront6targetE1EEEvSW_ ; -- Begin function _ZN7rocprim17ROCPRIM_400000_NS6detail17trampoline_kernelINS0_14default_configENS1_22reduce_config_selectorIlEEZNS1_11reduce_implILb1ES3_N6thrust23THRUST_200600_302600_NS11hip_rocprim26transform_input_iterator_tIlNS8_12zip_iteratorINS8_5tupleINS8_6detail15normal_iteratorINS8_10device_ptrItEEEESH_NS8_9null_typeESI_SI_SI_SI_SI_SI_SI_EEEENS9_21zip_adj_not_predicateINS8_8equal_toItEEEEEEPllNS8_4plusIlEEEE10hipError_tPvRmT1_T2_T3_mT4_P12ihipStream_tbEUlT_E1_NS1_11comp_targetILNS1_3genE5ELNS1_11target_archE942ELNS1_3gpuE9ELNS1_3repE0EEENS1_30default_config_static_selectorELNS0_4arch9wavefront6targetE1EEEvSW_
	.globl	_ZN7rocprim17ROCPRIM_400000_NS6detail17trampoline_kernelINS0_14default_configENS1_22reduce_config_selectorIlEEZNS1_11reduce_implILb1ES3_N6thrust23THRUST_200600_302600_NS11hip_rocprim26transform_input_iterator_tIlNS8_12zip_iteratorINS8_5tupleINS8_6detail15normal_iteratorINS8_10device_ptrItEEEESH_NS8_9null_typeESI_SI_SI_SI_SI_SI_SI_EEEENS9_21zip_adj_not_predicateINS8_8equal_toItEEEEEEPllNS8_4plusIlEEEE10hipError_tPvRmT1_T2_T3_mT4_P12ihipStream_tbEUlT_E1_NS1_11comp_targetILNS1_3genE5ELNS1_11target_archE942ELNS1_3gpuE9ELNS1_3repE0EEENS1_30default_config_static_selectorELNS0_4arch9wavefront6targetE1EEEvSW_
	.p2align	8
	.type	_ZN7rocprim17ROCPRIM_400000_NS6detail17trampoline_kernelINS0_14default_configENS1_22reduce_config_selectorIlEEZNS1_11reduce_implILb1ES3_N6thrust23THRUST_200600_302600_NS11hip_rocprim26transform_input_iterator_tIlNS8_12zip_iteratorINS8_5tupleINS8_6detail15normal_iteratorINS8_10device_ptrItEEEESH_NS8_9null_typeESI_SI_SI_SI_SI_SI_SI_EEEENS9_21zip_adj_not_predicateINS8_8equal_toItEEEEEEPllNS8_4plusIlEEEE10hipError_tPvRmT1_T2_T3_mT4_P12ihipStream_tbEUlT_E1_NS1_11comp_targetILNS1_3genE5ELNS1_11target_archE942ELNS1_3gpuE9ELNS1_3repE0EEENS1_30default_config_static_selectorELNS0_4arch9wavefront6targetE1EEEvSW_,@function
_ZN7rocprim17ROCPRIM_400000_NS6detail17trampoline_kernelINS0_14default_configENS1_22reduce_config_selectorIlEEZNS1_11reduce_implILb1ES3_N6thrust23THRUST_200600_302600_NS11hip_rocprim26transform_input_iterator_tIlNS8_12zip_iteratorINS8_5tupleINS8_6detail15normal_iteratorINS8_10device_ptrItEEEESH_NS8_9null_typeESI_SI_SI_SI_SI_SI_SI_EEEENS9_21zip_adj_not_predicateINS8_8equal_toItEEEEEEPllNS8_4plusIlEEEE10hipError_tPvRmT1_T2_T3_mT4_P12ihipStream_tbEUlT_E1_NS1_11comp_targetILNS1_3genE5ELNS1_11target_archE942ELNS1_3gpuE9ELNS1_3repE0EEENS1_30default_config_static_selectorELNS0_4arch9wavefront6targetE1EEEvSW_: ; @_ZN7rocprim17ROCPRIM_400000_NS6detail17trampoline_kernelINS0_14default_configENS1_22reduce_config_selectorIlEEZNS1_11reduce_implILb1ES3_N6thrust23THRUST_200600_302600_NS11hip_rocprim26transform_input_iterator_tIlNS8_12zip_iteratorINS8_5tupleINS8_6detail15normal_iteratorINS8_10device_ptrItEEEESH_NS8_9null_typeESI_SI_SI_SI_SI_SI_SI_EEEENS9_21zip_adj_not_predicateINS8_8equal_toItEEEEEEPllNS8_4plusIlEEEE10hipError_tPvRmT1_T2_T3_mT4_P12ihipStream_tbEUlT_E1_NS1_11comp_targetILNS1_3genE5ELNS1_11target_archE942ELNS1_3gpuE9ELNS1_3repE0EEENS1_30default_config_static_selectorELNS0_4arch9wavefront6targetE1EEEvSW_
; %bb.0:
	.section	.rodata,"a",@progbits
	.p2align	6, 0x0
	.amdhsa_kernel _ZN7rocprim17ROCPRIM_400000_NS6detail17trampoline_kernelINS0_14default_configENS1_22reduce_config_selectorIlEEZNS1_11reduce_implILb1ES3_N6thrust23THRUST_200600_302600_NS11hip_rocprim26transform_input_iterator_tIlNS8_12zip_iteratorINS8_5tupleINS8_6detail15normal_iteratorINS8_10device_ptrItEEEESH_NS8_9null_typeESI_SI_SI_SI_SI_SI_SI_EEEENS9_21zip_adj_not_predicateINS8_8equal_toItEEEEEEPllNS8_4plusIlEEEE10hipError_tPvRmT1_T2_T3_mT4_P12ihipStream_tbEUlT_E1_NS1_11comp_targetILNS1_3genE5ELNS1_11target_archE942ELNS1_3gpuE9ELNS1_3repE0EEENS1_30default_config_static_selectorELNS0_4arch9wavefront6targetE1EEEvSW_
		.amdhsa_group_segment_fixed_size 0
		.amdhsa_private_segment_fixed_size 0
		.amdhsa_kernarg_size 64
		.amdhsa_user_sgpr_count 6
		.amdhsa_user_sgpr_private_segment_buffer 1
		.amdhsa_user_sgpr_dispatch_ptr 0
		.amdhsa_user_sgpr_queue_ptr 0
		.amdhsa_user_sgpr_kernarg_segment_ptr 1
		.amdhsa_user_sgpr_dispatch_id 0
		.amdhsa_user_sgpr_flat_scratch_init 0
		.amdhsa_user_sgpr_private_segment_size 0
		.amdhsa_uses_dynamic_stack 0
		.amdhsa_system_sgpr_private_segment_wavefront_offset 0
		.amdhsa_system_sgpr_workgroup_id_x 1
		.amdhsa_system_sgpr_workgroup_id_y 0
		.amdhsa_system_sgpr_workgroup_id_z 0
		.amdhsa_system_sgpr_workgroup_info 0
		.amdhsa_system_vgpr_workitem_id 0
		.amdhsa_next_free_vgpr 1
		.amdhsa_next_free_sgpr 0
		.amdhsa_reserve_vcc 0
		.amdhsa_reserve_flat_scratch 0
		.amdhsa_float_round_mode_32 0
		.amdhsa_float_round_mode_16_64 0
		.amdhsa_float_denorm_mode_32 3
		.amdhsa_float_denorm_mode_16_64 3
		.amdhsa_dx10_clamp 1
		.amdhsa_ieee_mode 1
		.amdhsa_fp16_overflow 0
		.amdhsa_exception_fp_ieee_invalid_op 0
		.amdhsa_exception_fp_denorm_src 0
		.amdhsa_exception_fp_ieee_div_zero 0
		.amdhsa_exception_fp_ieee_overflow 0
		.amdhsa_exception_fp_ieee_underflow 0
		.amdhsa_exception_fp_ieee_inexact 0
		.amdhsa_exception_int_div_zero 0
	.end_amdhsa_kernel
	.section	.text._ZN7rocprim17ROCPRIM_400000_NS6detail17trampoline_kernelINS0_14default_configENS1_22reduce_config_selectorIlEEZNS1_11reduce_implILb1ES3_N6thrust23THRUST_200600_302600_NS11hip_rocprim26transform_input_iterator_tIlNS8_12zip_iteratorINS8_5tupleINS8_6detail15normal_iteratorINS8_10device_ptrItEEEESH_NS8_9null_typeESI_SI_SI_SI_SI_SI_SI_EEEENS9_21zip_adj_not_predicateINS8_8equal_toItEEEEEEPllNS8_4plusIlEEEE10hipError_tPvRmT1_T2_T3_mT4_P12ihipStream_tbEUlT_E1_NS1_11comp_targetILNS1_3genE5ELNS1_11target_archE942ELNS1_3gpuE9ELNS1_3repE0EEENS1_30default_config_static_selectorELNS0_4arch9wavefront6targetE1EEEvSW_,"axG",@progbits,_ZN7rocprim17ROCPRIM_400000_NS6detail17trampoline_kernelINS0_14default_configENS1_22reduce_config_selectorIlEEZNS1_11reduce_implILb1ES3_N6thrust23THRUST_200600_302600_NS11hip_rocprim26transform_input_iterator_tIlNS8_12zip_iteratorINS8_5tupleINS8_6detail15normal_iteratorINS8_10device_ptrItEEEESH_NS8_9null_typeESI_SI_SI_SI_SI_SI_SI_EEEENS9_21zip_adj_not_predicateINS8_8equal_toItEEEEEEPllNS8_4plusIlEEEE10hipError_tPvRmT1_T2_T3_mT4_P12ihipStream_tbEUlT_E1_NS1_11comp_targetILNS1_3genE5ELNS1_11target_archE942ELNS1_3gpuE9ELNS1_3repE0EEENS1_30default_config_static_selectorELNS0_4arch9wavefront6targetE1EEEvSW_,comdat
.Lfunc_end897:
	.size	_ZN7rocprim17ROCPRIM_400000_NS6detail17trampoline_kernelINS0_14default_configENS1_22reduce_config_selectorIlEEZNS1_11reduce_implILb1ES3_N6thrust23THRUST_200600_302600_NS11hip_rocprim26transform_input_iterator_tIlNS8_12zip_iteratorINS8_5tupleINS8_6detail15normal_iteratorINS8_10device_ptrItEEEESH_NS8_9null_typeESI_SI_SI_SI_SI_SI_SI_EEEENS9_21zip_adj_not_predicateINS8_8equal_toItEEEEEEPllNS8_4plusIlEEEE10hipError_tPvRmT1_T2_T3_mT4_P12ihipStream_tbEUlT_E1_NS1_11comp_targetILNS1_3genE5ELNS1_11target_archE942ELNS1_3gpuE9ELNS1_3repE0EEENS1_30default_config_static_selectorELNS0_4arch9wavefront6targetE1EEEvSW_, .Lfunc_end897-_ZN7rocprim17ROCPRIM_400000_NS6detail17trampoline_kernelINS0_14default_configENS1_22reduce_config_selectorIlEEZNS1_11reduce_implILb1ES3_N6thrust23THRUST_200600_302600_NS11hip_rocprim26transform_input_iterator_tIlNS8_12zip_iteratorINS8_5tupleINS8_6detail15normal_iteratorINS8_10device_ptrItEEEESH_NS8_9null_typeESI_SI_SI_SI_SI_SI_SI_EEEENS9_21zip_adj_not_predicateINS8_8equal_toItEEEEEEPllNS8_4plusIlEEEE10hipError_tPvRmT1_T2_T3_mT4_P12ihipStream_tbEUlT_E1_NS1_11comp_targetILNS1_3genE5ELNS1_11target_archE942ELNS1_3gpuE9ELNS1_3repE0EEENS1_30default_config_static_selectorELNS0_4arch9wavefront6targetE1EEEvSW_
                                        ; -- End function
	.set _ZN7rocprim17ROCPRIM_400000_NS6detail17trampoline_kernelINS0_14default_configENS1_22reduce_config_selectorIlEEZNS1_11reduce_implILb1ES3_N6thrust23THRUST_200600_302600_NS11hip_rocprim26transform_input_iterator_tIlNS8_12zip_iteratorINS8_5tupleINS8_6detail15normal_iteratorINS8_10device_ptrItEEEESH_NS8_9null_typeESI_SI_SI_SI_SI_SI_SI_EEEENS9_21zip_adj_not_predicateINS8_8equal_toItEEEEEEPllNS8_4plusIlEEEE10hipError_tPvRmT1_T2_T3_mT4_P12ihipStream_tbEUlT_E1_NS1_11comp_targetILNS1_3genE5ELNS1_11target_archE942ELNS1_3gpuE9ELNS1_3repE0EEENS1_30default_config_static_selectorELNS0_4arch9wavefront6targetE1EEEvSW_.num_vgpr, 0
	.set _ZN7rocprim17ROCPRIM_400000_NS6detail17trampoline_kernelINS0_14default_configENS1_22reduce_config_selectorIlEEZNS1_11reduce_implILb1ES3_N6thrust23THRUST_200600_302600_NS11hip_rocprim26transform_input_iterator_tIlNS8_12zip_iteratorINS8_5tupleINS8_6detail15normal_iteratorINS8_10device_ptrItEEEESH_NS8_9null_typeESI_SI_SI_SI_SI_SI_SI_EEEENS9_21zip_adj_not_predicateINS8_8equal_toItEEEEEEPllNS8_4plusIlEEEE10hipError_tPvRmT1_T2_T3_mT4_P12ihipStream_tbEUlT_E1_NS1_11comp_targetILNS1_3genE5ELNS1_11target_archE942ELNS1_3gpuE9ELNS1_3repE0EEENS1_30default_config_static_selectorELNS0_4arch9wavefront6targetE1EEEvSW_.num_agpr, 0
	.set _ZN7rocprim17ROCPRIM_400000_NS6detail17trampoline_kernelINS0_14default_configENS1_22reduce_config_selectorIlEEZNS1_11reduce_implILb1ES3_N6thrust23THRUST_200600_302600_NS11hip_rocprim26transform_input_iterator_tIlNS8_12zip_iteratorINS8_5tupleINS8_6detail15normal_iteratorINS8_10device_ptrItEEEESH_NS8_9null_typeESI_SI_SI_SI_SI_SI_SI_EEEENS9_21zip_adj_not_predicateINS8_8equal_toItEEEEEEPllNS8_4plusIlEEEE10hipError_tPvRmT1_T2_T3_mT4_P12ihipStream_tbEUlT_E1_NS1_11comp_targetILNS1_3genE5ELNS1_11target_archE942ELNS1_3gpuE9ELNS1_3repE0EEENS1_30default_config_static_selectorELNS0_4arch9wavefront6targetE1EEEvSW_.numbered_sgpr, 0
	.set _ZN7rocprim17ROCPRIM_400000_NS6detail17trampoline_kernelINS0_14default_configENS1_22reduce_config_selectorIlEEZNS1_11reduce_implILb1ES3_N6thrust23THRUST_200600_302600_NS11hip_rocprim26transform_input_iterator_tIlNS8_12zip_iteratorINS8_5tupleINS8_6detail15normal_iteratorINS8_10device_ptrItEEEESH_NS8_9null_typeESI_SI_SI_SI_SI_SI_SI_EEEENS9_21zip_adj_not_predicateINS8_8equal_toItEEEEEEPllNS8_4plusIlEEEE10hipError_tPvRmT1_T2_T3_mT4_P12ihipStream_tbEUlT_E1_NS1_11comp_targetILNS1_3genE5ELNS1_11target_archE942ELNS1_3gpuE9ELNS1_3repE0EEENS1_30default_config_static_selectorELNS0_4arch9wavefront6targetE1EEEvSW_.num_named_barrier, 0
	.set _ZN7rocprim17ROCPRIM_400000_NS6detail17trampoline_kernelINS0_14default_configENS1_22reduce_config_selectorIlEEZNS1_11reduce_implILb1ES3_N6thrust23THRUST_200600_302600_NS11hip_rocprim26transform_input_iterator_tIlNS8_12zip_iteratorINS8_5tupleINS8_6detail15normal_iteratorINS8_10device_ptrItEEEESH_NS8_9null_typeESI_SI_SI_SI_SI_SI_SI_EEEENS9_21zip_adj_not_predicateINS8_8equal_toItEEEEEEPllNS8_4plusIlEEEE10hipError_tPvRmT1_T2_T3_mT4_P12ihipStream_tbEUlT_E1_NS1_11comp_targetILNS1_3genE5ELNS1_11target_archE942ELNS1_3gpuE9ELNS1_3repE0EEENS1_30default_config_static_selectorELNS0_4arch9wavefront6targetE1EEEvSW_.private_seg_size, 0
	.set _ZN7rocprim17ROCPRIM_400000_NS6detail17trampoline_kernelINS0_14default_configENS1_22reduce_config_selectorIlEEZNS1_11reduce_implILb1ES3_N6thrust23THRUST_200600_302600_NS11hip_rocprim26transform_input_iterator_tIlNS8_12zip_iteratorINS8_5tupleINS8_6detail15normal_iteratorINS8_10device_ptrItEEEESH_NS8_9null_typeESI_SI_SI_SI_SI_SI_SI_EEEENS9_21zip_adj_not_predicateINS8_8equal_toItEEEEEEPllNS8_4plusIlEEEE10hipError_tPvRmT1_T2_T3_mT4_P12ihipStream_tbEUlT_E1_NS1_11comp_targetILNS1_3genE5ELNS1_11target_archE942ELNS1_3gpuE9ELNS1_3repE0EEENS1_30default_config_static_selectorELNS0_4arch9wavefront6targetE1EEEvSW_.uses_vcc, 0
	.set _ZN7rocprim17ROCPRIM_400000_NS6detail17trampoline_kernelINS0_14default_configENS1_22reduce_config_selectorIlEEZNS1_11reduce_implILb1ES3_N6thrust23THRUST_200600_302600_NS11hip_rocprim26transform_input_iterator_tIlNS8_12zip_iteratorINS8_5tupleINS8_6detail15normal_iteratorINS8_10device_ptrItEEEESH_NS8_9null_typeESI_SI_SI_SI_SI_SI_SI_EEEENS9_21zip_adj_not_predicateINS8_8equal_toItEEEEEEPllNS8_4plusIlEEEE10hipError_tPvRmT1_T2_T3_mT4_P12ihipStream_tbEUlT_E1_NS1_11comp_targetILNS1_3genE5ELNS1_11target_archE942ELNS1_3gpuE9ELNS1_3repE0EEENS1_30default_config_static_selectorELNS0_4arch9wavefront6targetE1EEEvSW_.uses_flat_scratch, 0
	.set _ZN7rocprim17ROCPRIM_400000_NS6detail17trampoline_kernelINS0_14default_configENS1_22reduce_config_selectorIlEEZNS1_11reduce_implILb1ES3_N6thrust23THRUST_200600_302600_NS11hip_rocprim26transform_input_iterator_tIlNS8_12zip_iteratorINS8_5tupleINS8_6detail15normal_iteratorINS8_10device_ptrItEEEESH_NS8_9null_typeESI_SI_SI_SI_SI_SI_SI_EEEENS9_21zip_adj_not_predicateINS8_8equal_toItEEEEEEPllNS8_4plusIlEEEE10hipError_tPvRmT1_T2_T3_mT4_P12ihipStream_tbEUlT_E1_NS1_11comp_targetILNS1_3genE5ELNS1_11target_archE942ELNS1_3gpuE9ELNS1_3repE0EEENS1_30default_config_static_selectorELNS0_4arch9wavefront6targetE1EEEvSW_.has_dyn_sized_stack, 0
	.set _ZN7rocprim17ROCPRIM_400000_NS6detail17trampoline_kernelINS0_14default_configENS1_22reduce_config_selectorIlEEZNS1_11reduce_implILb1ES3_N6thrust23THRUST_200600_302600_NS11hip_rocprim26transform_input_iterator_tIlNS8_12zip_iteratorINS8_5tupleINS8_6detail15normal_iteratorINS8_10device_ptrItEEEESH_NS8_9null_typeESI_SI_SI_SI_SI_SI_SI_EEEENS9_21zip_adj_not_predicateINS8_8equal_toItEEEEEEPllNS8_4plusIlEEEE10hipError_tPvRmT1_T2_T3_mT4_P12ihipStream_tbEUlT_E1_NS1_11comp_targetILNS1_3genE5ELNS1_11target_archE942ELNS1_3gpuE9ELNS1_3repE0EEENS1_30default_config_static_selectorELNS0_4arch9wavefront6targetE1EEEvSW_.has_recursion, 0
	.set _ZN7rocprim17ROCPRIM_400000_NS6detail17trampoline_kernelINS0_14default_configENS1_22reduce_config_selectorIlEEZNS1_11reduce_implILb1ES3_N6thrust23THRUST_200600_302600_NS11hip_rocprim26transform_input_iterator_tIlNS8_12zip_iteratorINS8_5tupleINS8_6detail15normal_iteratorINS8_10device_ptrItEEEESH_NS8_9null_typeESI_SI_SI_SI_SI_SI_SI_EEEENS9_21zip_adj_not_predicateINS8_8equal_toItEEEEEEPllNS8_4plusIlEEEE10hipError_tPvRmT1_T2_T3_mT4_P12ihipStream_tbEUlT_E1_NS1_11comp_targetILNS1_3genE5ELNS1_11target_archE942ELNS1_3gpuE9ELNS1_3repE0EEENS1_30default_config_static_selectorELNS0_4arch9wavefront6targetE1EEEvSW_.has_indirect_call, 0
	.section	.AMDGPU.csdata,"",@progbits
; Kernel info:
; codeLenInByte = 0
; TotalNumSgprs: 4
; NumVgprs: 0
; ScratchSize: 0
; MemoryBound: 0
; FloatMode: 240
; IeeeMode: 1
; LDSByteSize: 0 bytes/workgroup (compile time only)
; SGPRBlocks: 0
; VGPRBlocks: 0
; NumSGPRsForWavesPerEU: 4
; NumVGPRsForWavesPerEU: 1
; Occupancy: 10
; WaveLimiterHint : 0
; COMPUTE_PGM_RSRC2:SCRATCH_EN: 0
; COMPUTE_PGM_RSRC2:USER_SGPR: 6
; COMPUTE_PGM_RSRC2:TRAP_HANDLER: 0
; COMPUTE_PGM_RSRC2:TGID_X_EN: 1
; COMPUTE_PGM_RSRC2:TGID_Y_EN: 0
; COMPUTE_PGM_RSRC2:TGID_Z_EN: 0
; COMPUTE_PGM_RSRC2:TIDIG_COMP_CNT: 0
	.section	.text._ZN7rocprim17ROCPRIM_400000_NS6detail17trampoline_kernelINS0_14default_configENS1_22reduce_config_selectorIlEEZNS1_11reduce_implILb1ES3_N6thrust23THRUST_200600_302600_NS11hip_rocprim26transform_input_iterator_tIlNS8_12zip_iteratorINS8_5tupleINS8_6detail15normal_iteratorINS8_10device_ptrItEEEESH_NS8_9null_typeESI_SI_SI_SI_SI_SI_SI_EEEENS9_21zip_adj_not_predicateINS8_8equal_toItEEEEEEPllNS8_4plusIlEEEE10hipError_tPvRmT1_T2_T3_mT4_P12ihipStream_tbEUlT_E1_NS1_11comp_targetILNS1_3genE4ELNS1_11target_archE910ELNS1_3gpuE8ELNS1_3repE0EEENS1_30default_config_static_selectorELNS0_4arch9wavefront6targetE1EEEvSW_,"axG",@progbits,_ZN7rocprim17ROCPRIM_400000_NS6detail17trampoline_kernelINS0_14default_configENS1_22reduce_config_selectorIlEEZNS1_11reduce_implILb1ES3_N6thrust23THRUST_200600_302600_NS11hip_rocprim26transform_input_iterator_tIlNS8_12zip_iteratorINS8_5tupleINS8_6detail15normal_iteratorINS8_10device_ptrItEEEESH_NS8_9null_typeESI_SI_SI_SI_SI_SI_SI_EEEENS9_21zip_adj_not_predicateINS8_8equal_toItEEEEEEPllNS8_4plusIlEEEE10hipError_tPvRmT1_T2_T3_mT4_P12ihipStream_tbEUlT_E1_NS1_11comp_targetILNS1_3genE4ELNS1_11target_archE910ELNS1_3gpuE8ELNS1_3repE0EEENS1_30default_config_static_selectorELNS0_4arch9wavefront6targetE1EEEvSW_,comdat
	.protected	_ZN7rocprim17ROCPRIM_400000_NS6detail17trampoline_kernelINS0_14default_configENS1_22reduce_config_selectorIlEEZNS1_11reduce_implILb1ES3_N6thrust23THRUST_200600_302600_NS11hip_rocprim26transform_input_iterator_tIlNS8_12zip_iteratorINS8_5tupleINS8_6detail15normal_iteratorINS8_10device_ptrItEEEESH_NS8_9null_typeESI_SI_SI_SI_SI_SI_SI_EEEENS9_21zip_adj_not_predicateINS8_8equal_toItEEEEEEPllNS8_4plusIlEEEE10hipError_tPvRmT1_T2_T3_mT4_P12ihipStream_tbEUlT_E1_NS1_11comp_targetILNS1_3genE4ELNS1_11target_archE910ELNS1_3gpuE8ELNS1_3repE0EEENS1_30default_config_static_selectorELNS0_4arch9wavefront6targetE1EEEvSW_ ; -- Begin function _ZN7rocprim17ROCPRIM_400000_NS6detail17trampoline_kernelINS0_14default_configENS1_22reduce_config_selectorIlEEZNS1_11reduce_implILb1ES3_N6thrust23THRUST_200600_302600_NS11hip_rocprim26transform_input_iterator_tIlNS8_12zip_iteratorINS8_5tupleINS8_6detail15normal_iteratorINS8_10device_ptrItEEEESH_NS8_9null_typeESI_SI_SI_SI_SI_SI_SI_EEEENS9_21zip_adj_not_predicateINS8_8equal_toItEEEEEEPllNS8_4plusIlEEEE10hipError_tPvRmT1_T2_T3_mT4_P12ihipStream_tbEUlT_E1_NS1_11comp_targetILNS1_3genE4ELNS1_11target_archE910ELNS1_3gpuE8ELNS1_3repE0EEENS1_30default_config_static_selectorELNS0_4arch9wavefront6targetE1EEEvSW_
	.globl	_ZN7rocprim17ROCPRIM_400000_NS6detail17trampoline_kernelINS0_14default_configENS1_22reduce_config_selectorIlEEZNS1_11reduce_implILb1ES3_N6thrust23THRUST_200600_302600_NS11hip_rocprim26transform_input_iterator_tIlNS8_12zip_iteratorINS8_5tupleINS8_6detail15normal_iteratorINS8_10device_ptrItEEEESH_NS8_9null_typeESI_SI_SI_SI_SI_SI_SI_EEEENS9_21zip_adj_not_predicateINS8_8equal_toItEEEEEEPllNS8_4plusIlEEEE10hipError_tPvRmT1_T2_T3_mT4_P12ihipStream_tbEUlT_E1_NS1_11comp_targetILNS1_3genE4ELNS1_11target_archE910ELNS1_3gpuE8ELNS1_3repE0EEENS1_30default_config_static_selectorELNS0_4arch9wavefront6targetE1EEEvSW_
	.p2align	8
	.type	_ZN7rocprim17ROCPRIM_400000_NS6detail17trampoline_kernelINS0_14default_configENS1_22reduce_config_selectorIlEEZNS1_11reduce_implILb1ES3_N6thrust23THRUST_200600_302600_NS11hip_rocprim26transform_input_iterator_tIlNS8_12zip_iteratorINS8_5tupleINS8_6detail15normal_iteratorINS8_10device_ptrItEEEESH_NS8_9null_typeESI_SI_SI_SI_SI_SI_SI_EEEENS9_21zip_adj_not_predicateINS8_8equal_toItEEEEEEPllNS8_4plusIlEEEE10hipError_tPvRmT1_T2_T3_mT4_P12ihipStream_tbEUlT_E1_NS1_11comp_targetILNS1_3genE4ELNS1_11target_archE910ELNS1_3gpuE8ELNS1_3repE0EEENS1_30default_config_static_selectorELNS0_4arch9wavefront6targetE1EEEvSW_,@function
_ZN7rocprim17ROCPRIM_400000_NS6detail17trampoline_kernelINS0_14default_configENS1_22reduce_config_selectorIlEEZNS1_11reduce_implILb1ES3_N6thrust23THRUST_200600_302600_NS11hip_rocprim26transform_input_iterator_tIlNS8_12zip_iteratorINS8_5tupleINS8_6detail15normal_iteratorINS8_10device_ptrItEEEESH_NS8_9null_typeESI_SI_SI_SI_SI_SI_SI_EEEENS9_21zip_adj_not_predicateINS8_8equal_toItEEEEEEPllNS8_4plusIlEEEE10hipError_tPvRmT1_T2_T3_mT4_P12ihipStream_tbEUlT_E1_NS1_11comp_targetILNS1_3genE4ELNS1_11target_archE910ELNS1_3gpuE8ELNS1_3repE0EEENS1_30default_config_static_selectorELNS0_4arch9wavefront6targetE1EEEvSW_: ; @_ZN7rocprim17ROCPRIM_400000_NS6detail17trampoline_kernelINS0_14default_configENS1_22reduce_config_selectorIlEEZNS1_11reduce_implILb1ES3_N6thrust23THRUST_200600_302600_NS11hip_rocprim26transform_input_iterator_tIlNS8_12zip_iteratorINS8_5tupleINS8_6detail15normal_iteratorINS8_10device_ptrItEEEESH_NS8_9null_typeESI_SI_SI_SI_SI_SI_SI_EEEENS9_21zip_adj_not_predicateINS8_8equal_toItEEEEEEPllNS8_4plusIlEEEE10hipError_tPvRmT1_T2_T3_mT4_P12ihipStream_tbEUlT_E1_NS1_11comp_targetILNS1_3genE4ELNS1_11target_archE910ELNS1_3gpuE8ELNS1_3repE0EEENS1_30default_config_static_selectorELNS0_4arch9wavefront6targetE1EEEvSW_
; %bb.0:
	.section	.rodata,"a",@progbits
	.p2align	6, 0x0
	.amdhsa_kernel _ZN7rocprim17ROCPRIM_400000_NS6detail17trampoline_kernelINS0_14default_configENS1_22reduce_config_selectorIlEEZNS1_11reduce_implILb1ES3_N6thrust23THRUST_200600_302600_NS11hip_rocprim26transform_input_iterator_tIlNS8_12zip_iteratorINS8_5tupleINS8_6detail15normal_iteratorINS8_10device_ptrItEEEESH_NS8_9null_typeESI_SI_SI_SI_SI_SI_SI_EEEENS9_21zip_adj_not_predicateINS8_8equal_toItEEEEEEPllNS8_4plusIlEEEE10hipError_tPvRmT1_T2_T3_mT4_P12ihipStream_tbEUlT_E1_NS1_11comp_targetILNS1_3genE4ELNS1_11target_archE910ELNS1_3gpuE8ELNS1_3repE0EEENS1_30default_config_static_selectorELNS0_4arch9wavefront6targetE1EEEvSW_
		.amdhsa_group_segment_fixed_size 0
		.amdhsa_private_segment_fixed_size 0
		.amdhsa_kernarg_size 64
		.amdhsa_user_sgpr_count 6
		.amdhsa_user_sgpr_private_segment_buffer 1
		.amdhsa_user_sgpr_dispatch_ptr 0
		.amdhsa_user_sgpr_queue_ptr 0
		.amdhsa_user_sgpr_kernarg_segment_ptr 1
		.amdhsa_user_sgpr_dispatch_id 0
		.amdhsa_user_sgpr_flat_scratch_init 0
		.amdhsa_user_sgpr_private_segment_size 0
		.amdhsa_uses_dynamic_stack 0
		.amdhsa_system_sgpr_private_segment_wavefront_offset 0
		.amdhsa_system_sgpr_workgroup_id_x 1
		.amdhsa_system_sgpr_workgroup_id_y 0
		.amdhsa_system_sgpr_workgroup_id_z 0
		.amdhsa_system_sgpr_workgroup_info 0
		.amdhsa_system_vgpr_workitem_id 0
		.amdhsa_next_free_vgpr 1
		.amdhsa_next_free_sgpr 0
		.amdhsa_reserve_vcc 0
		.amdhsa_reserve_flat_scratch 0
		.amdhsa_float_round_mode_32 0
		.amdhsa_float_round_mode_16_64 0
		.amdhsa_float_denorm_mode_32 3
		.amdhsa_float_denorm_mode_16_64 3
		.amdhsa_dx10_clamp 1
		.amdhsa_ieee_mode 1
		.amdhsa_fp16_overflow 0
		.amdhsa_exception_fp_ieee_invalid_op 0
		.amdhsa_exception_fp_denorm_src 0
		.amdhsa_exception_fp_ieee_div_zero 0
		.amdhsa_exception_fp_ieee_overflow 0
		.amdhsa_exception_fp_ieee_underflow 0
		.amdhsa_exception_fp_ieee_inexact 0
		.amdhsa_exception_int_div_zero 0
	.end_amdhsa_kernel
	.section	.text._ZN7rocprim17ROCPRIM_400000_NS6detail17trampoline_kernelINS0_14default_configENS1_22reduce_config_selectorIlEEZNS1_11reduce_implILb1ES3_N6thrust23THRUST_200600_302600_NS11hip_rocprim26transform_input_iterator_tIlNS8_12zip_iteratorINS8_5tupleINS8_6detail15normal_iteratorINS8_10device_ptrItEEEESH_NS8_9null_typeESI_SI_SI_SI_SI_SI_SI_EEEENS9_21zip_adj_not_predicateINS8_8equal_toItEEEEEEPllNS8_4plusIlEEEE10hipError_tPvRmT1_T2_T3_mT4_P12ihipStream_tbEUlT_E1_NS1_11comp_targetILNS1_3genE4ELNS1_11target_archE910ELNS1_3gpuE8ELNS1_3repE0EEENS1_30default_config_static_selectorELNS0_4arch9wavefront6targetE1EEEvSW_,"axG",@progbits,_ZN7rocprim17ROCPRIM_400000_NS6detail17trampoline_kernelINS0_14default_configENS1_22reduce_config_selectorIlEEZNS1_11reduce_implILb1ES3_N6thrust23THRUST_200600_302600_NS11hip_rocprim26transform_input_iterator_tIlNS8_12zip_iteratorINS8_5tupleINS8_6detail15normal_iteratorINS8_10device_ptrItEEEESH_NS8_9null_typeESI_SI_SI_SI_SI_SI_SI_EEEENS9_21zip_adj_not_predicateINS8_8equal_toItEEEEEEPllNS8_4plusIlEEEE10hipError_tPvRmT1_T2_T3_mT4_P12ihipStream_tbEUlT_E1_NS1_11comp_targetILNS1_3genE4ELNS1_11target_archE910ELNS1_3gpuE8ELNS1_3repE0EEENS1_30default_config_static_selectorELNS0_4arch9wavefront6targetE1EEEvSW_,comdat
.Lfunc_end898:
	.size	_ZN7rocprim17ROCPRIM_400000_NS6detail17trampoline_kernelINS0_14default_configENS1_22reduce_config_selectorIlEEZNS1_11reduce_implILb1ES3_N6thrust23THRUST_200600_302600_NS11hip_rocprim26transform_input_iterator_tIlNS8_12zip_iteratorINS8_5tupleINS8_6detail15normal_iteratorINS8_10device_ptrItEEEESH_NS8_9null_typeESI_SI_SI_SI_SI_SI_SI_EEEENS9_21zip_adj_not_predicateINS8_8equal_toItEEEEEEPllNS8_4plusIlEEEE10hipError_tPvRmT1_T2_T3_mT4_P12ihipStream_tbEUlT_E1_NS1_11comp_targetILNS1_3genE4ELNS1_11target_archE910ELNS1_3gpuE8ELNS1_3repE0EEENS1_30default_config_static_selectorELNS0_4arch9wavefront6targetE1EEEvSW_, .Lfunc_end898-_ZN7rocprim17ROCPRIM_400000_NS6detail17trampoline_kernelINS0_14default_configENS1_22reduce_config_selectorIlEEZNS1_11reduce_implILb1ES3_N6thrust23THRUST_200600_302600_NS11hip_rocprim26transform_input_iterator_tIlNS8_12zip_iteratorINS8_5tupleINS8_6detail15normal_iteratorINS8_10device_ptrItEEEESH_NS8_9null_typeESI_SI_SI_SI_SI_SI_SI_EEEENS9_21zip_adj_not_predicateINS8_8equal_toItEEEEEEPllNS8_4plusIlEEEE10hipError_tPvRmT1_T2_T3_mT4_P12ihipStream_tbEUlT_E1_NS1_11comp_targetILNS1_3genE4ELNS1_11target_archE910ELNS1_3gpuE8ELNS1_3repE0EEENS1_30default_config_static_selectorELNS0_4arch9wavefront6targetE1EEEvSW_
                                        ; -- End function
	.set _ZN7rocprim17ROCPRIM_400000_NS6detail17trampoline_kernelINS0_14default_configENS1_22reduce_config_selectorIlEEZNS1_11reduce_implILb1ES3_N6thrust23THRUST_200600_302600_NS11hip_rocprim26transform_input_iterator_tIlNS8_12zip_iteratorINS8_5tupleINS8_6detail15normal_iteratorINS8_10device_ptrItEEEESH_NS8_9null_typeESI_SI_SI_SI_SI_SI_SI_EEEENS9_21zip_adj_not_predicateINS8_8equal_toItEEEEEEPllNS8_4plusIlEEEE10hipError_tPvRmT1_T2_T3_mT4_P12ihipStream_tbEUlT_E1_NS1_11comp_targetILNS1_3genE4ELNS1_11target_archE910ELNS1_3gpuE8ELNS1_3repE0EEENS1_30default_config_static_selectorELNS0_4arch9wavefront6targetE1EEEvSW_.num_vgpr, 0
	.set _ZN7rocprim17ROCPRIM_400000_NS6detail17trampoline_kernelINS0_14default_configENS1_22reduce_config_selectorIlEEZNS1_11reduce_implILb1ES3_N6thrust23THRUST_200600_302600_NS11hip_rocprim26transform_input_iterator_tIlNS8_12zip_iteratorINS8_5tupleINS8_6detail15normal_iteratorINS8_10device_ptrItEEEESH_NS8_9null_typeESI_SI_SI_SI_SI_SI_SI_EEEENS9_21zip_adj_not_predicateINS8_8equal_toItEEEEEEPllNS8_4plusIlEEEE10hipError_tPvRmT1_T2_T3_mT4_P12ihipStream_tbEUlT_E1_NS1_11comp_targetILNS1_3genE4ELNS1_11target_archE910ELNS1_3gpuE8ELNS1_3repE0EEENS1_30default_config_static_selectorELNS0_4arch9wavefront6targetE1EEEvSW_.num_agpr, 0
	.set _ZN7rocprim17ROCPRIM_400000_NS6detail17trampoline_kernelINS0_14default_configENS1_22reduce_config_selectorIlEEZNS1_11reduce_implILb1ES3_N6thrust23THRUST_200600_302600_NS11hip_rocprim26transform_input_iterator_tIlNS8_12zip_iteratorINS8_5tupleINS8_6detail15normal_iteratorINS8_10device_ptrItEEEESH_NS8_9null_typeESI_SI_SI_SI_SI_SI_SI_EEEENS9_21zip_adj_not_predicateINS8_8equal_toItEEEEEEPllNS8_4plusIlEEEE10hipError_tPvRmT1_T2_T3_mT4_P12ihipStream_tbEUlT_E1_NS1_11comp_targetILNS1_3genE4ELNS1_11target_archE910ELNS1_3gpuE8ELNS1_3repE0EEENS1_30default_config_static_selectorELNS0_4arch9wavefront6targetE1EEEvSW_.numbered_sgpr, 0
	.set _ZN7rocprim17ROCPRIM_400000_NS6detail17trampoline_kernelINS0_14default_configENS1_22reduce_config_selectorIlEEZNS1_11reduce_implILb1ES3_N6thrust23THRUST_200600_302600_NS11hip_rocprim26transform_input_iterator_tIlNS8_12zip_iteratorINS8_5tupleINS8_6detail15normal_iteratorINS8_10device_ptrItEEEESH_NS8_9null_typeESI_SI_SI_SI_SI_SI_SI_EEEENS9_21zip_adj_not_predicateINS8_8equal_toItEEEEEEPllNS8_4plusIlEEEE10hipError_tPvRmT1_T2_T3_mT4_P12ihipStream_tbEUlT_E1_NS1_11comp_targetILNS1_3genE4ELNS1_11target_archE910ELNS1_3gpuE8ELNS1_3repE0EEENS1_30default_config_static_selectorELNS0_4arch9wavefront6targetE1EEEvSW_.num_named_barrier, 0
	.set _ZN7rocprim17ROCPRIM_400000_NS6detail17trampoline_kernelINS0_14default_configENS1_22reduce_config_selectorIlEEZNS1_11reduce_implILb1ES3_N6thrust23THRUST_200600_302600_NS11hip_rocprim26transform_input_iterator_tIlNS8_12zip_iteratorINS8_5tupleINS8_6detail15normal_iteratorINS8_10device_ptrItEEEESH_NS8_9null_typeESI_SI_SI_SI_SI_SI_SI_EEEENS9_21zip_adj_not_predicateINS8_8equal_toItEEEEEEPllNS8_4plusIlEEEE10hipError_tPvRmT1_T2_T3_mT4_P12ihipStream_tbEUlT_E1_NS1_11comp_targetILNS1_3genE4ELNS1_11target_archE910ELNS1_3gpuE8ELNS1_3repE0EEENS1_30default_config_static_selectorELNS0_4arch9wavefront6targetE1EEEvSW_.private_seg_size, 0
	.set _ZN7rocprim17ROCPRIM_400000_NS6detail17trampoline_kernelINS0_14default_configENS1_22reduce_config_selectorIlEEZNS1_11reduce_implILb1ES3_N6thrust23THRUST_200600_302600_NS11hip_rocprim26transform_input_iterator_tIlNS8_12zip_iteratorINS8_5tupleINS8_6detail15normal_iteratorINS8_10device_ptrItEEEESH_NS8_9null_typeESI_SI_SI_SI_SI_SI_SI_EEEENS9_21zip_adj_not_predicateINS8_8equal_toItEEEEEEPllNS8_4plusIlEEEE10hipError_tPvRmT1_T2_T3_mT4_P12ihipStream_tbEUlT_E1_NS1_11comp_targetILNS1_3genE4ELNS1_11target_archE910ELNS1_3gpuE8ELNS1_3repE0EEENS1_30default_config_static_selectorELNS0_4arch9wavefront6targetE1EEEvSW_.uses_vcc, 0
	.set _ZN7rocprim17ROCPRIM_400000_NS6detail17trampoline_kernelINS0_14default_configENS1_22reduce_config_selectorIlEEZNS1_11reduce_implILb1ES3_N6thrust23THRUST_200600_302600_NS11hip_rocprim26transform_input_iterator_tIlNS8_12zip_iteratorINS8_5tupleINS8_6detail15normal_iteratorINS8_10device_ptrItEEEESH_NS8_9null_typeESI_SI_SI_SI_SI_SI_SI_EEEENS9_21zip_adj_not_predicateINS8_8equal_toItEEEEEEPllNS8_4plusIlEEEE10hipError_tPvRmT1_T2_T3_mT4_P12ihipStream_tbEUlT_E1_NS1_11comp_targetILNS1_3genE4ELNS1_11target_archE910ELNS1_3gpuE8ELNS1_3repE0EEENS1_30default_config_static_selectorELNS0_4arch9wavefront6targetE1EEEvSW_.uses_flat_scratch, 0
	.set _ZN7rocprim17ROCPRIM_400000_NS6detail17trampoline_kernelINS0_14default_configENS1_22reduce_config_selectorIlEEZNS1_11reduce_implILb1ES3_N6thrust23THRUST_200600_302600_NS11hip_rocprim26transform_input_iterator_tIlNS8_12zip_iteratorINS8_5tupleINS8_6detail15normal_iteratorINS8_10device_ptrItEEEESH_NS8_9null_typeESI_SI_SI_SI_SI_SI_SI_EEEENS9_21zip_adj_not_predicateINS8_8equal_toItEEEEEEPllNS8_4plusIlEEEE10hipError_tPvRmT1_T2_T3_mT4_P12ihipStream_tbEUlT_E1_NS1_11comp_targetILNS1_3genE4ELNS1_11target_archE910ELNS1_3gpuE8ELNS1_3repE0EEENS1_30default_config_static_selectorELNS0_4arch9wavefront6targetE1EEEvSW_.has_dyn_sized_stack, 0
	.set _ZN7rocprim17ROCPRIM_400000_NS6detail17trampoline_kernelINS0_14default_configENS1_22reduce_config_selectorIlEEZNS1_11reduce_implILb1ES3_N6thrust23THRUST_200600_302600_NS11hip_rocprim26transform_input_iterator_tIlNS8_12zip_iteratorINS8_5tupleINS8_6detail15normal_iteratorINS8_10device_ptrItEEEESH_NS8_9null_typeESI_SI_SI_SI_SI_SI_SI_EEEENS9_21zip_adj_not_predicateINS8_8equal_toItEEEEEEPllNS8_4plusIlEEEE10hipError_tPvRmT1_T2_T3_mT4_P12ihipStream_tbEUlT_E1_NS1_11comp_targetILNS1_3genE4ELNS1_11target_archE910ELNS1_3gpuE8ELNS1_3repE0EEENS1_30default_config_static_selectorELNS0_4arch9wavefront6targetE1EEEvSW_.has_recursion, 0
	.set _ZN7rocprim17ROCPRIM_400000_NS6detail17trampoline_kernelINS0_14default_configENS1_22reduce_config_selectorIlEEZNS1_11reduce_implILb1ES3_N6thrust23THRUST_200600_302600_NS11hip_rocprim26transform_input_iterator_tIlNS8_12zip_iteratorINS8_5tupleINS8_6detail15normal_iteratorINS8_10device_ptrItEEEESH_NS8_9null_typeESI_SI_SI_SI_SI_SI_SI_EEEENS9_21zip_adj_not_predicateINS8_8equal_toItEEEEEEPllNS8_4plusIlEEEE10hipError_tPvRmT1_T2_T3_mT4_P12ihipStream_tbEUlT_E1_NS1_11comp_targetILNS1_3genE4ELNS1_11target_archE910ELNS1_3gpuE8ELNS1_3repE0EEENS1_30default_config_static_selectorELNS0_4arch9wavefront6targetE1EEEvSW_.has_indirect_call, 0
	.section	.AMDGPU.csdata,"",@progbits
; Kernel info:
; codeLenInByte = 0
; TotalNumSgprs: 4
; NumVgprs: 0
; ScratchSize: 0
; MemoryBound: 0
; FloatMode: 240
; IeeeMode: 1
; LDSByteSize: 0 bytes/workgroup (compile time only)
; SGPRBlocks: 0
; VGPRBlocks: 0
; NumSGPRsForWavesPerEU: 4
; NumVGPRsForWavesPerEU: 1
; Occupancy: 10
; WaveLimiterHint : 0
; COMPUTE_PGM_RSRC2:SCRATCH_EN: 0
; COMPUTE_PGM_RSRC2:USER_SGPR: 6
; COMPUTE_PGM_RSRC2:TRAP_HANDLER: 0
; COMPUTE_PGM_RSRC2:TGID_X_EN: 1
; COMPUTE_PGM_RSRC2:TGID_Y_EN: 0
; COMPUTE_PGM_RSRC2:TGID_Z_EN: 0
; COMPUTE_PGM_RSRC2:TIDIG_COMP_CNT: 0
	.section	.text._ZN7rocprim17ROCPRIM_400000_NS6detail17trampoline_kernelINS0_14default_configENS1_22reduce_config_selectorIlEEZNS1_11reduce_implILb1ES3_N6thrust23THRUST_200600_302600_NS11hip_rocprim26transform_input_iterator_tIlNS8_12zip_iteratorINS8_5tupleINS8_6detail15normal_iteratorINS8_10device_ptrItEEEESH_NS8_9null_typeESI_SI_SI_SI_SI_SI_SI_EEEENS9_21zip_adj_not_predicateINS8_8equal_toItEEEEEEPllNS8_4plusIlEEEE10hipError_tPvRmT1_T2_T3_mT4_P12ihipStream_tbEUlT_E1_NS1_11comp_targetILNS1_3genE3ELNS1_11target_archE908ELNS1_3gpuE7ELNS1_3repE0EEENS1_30default_config_static_selectorELNS0_4arch9wavefront6targetE1EEEvSW_,"axG",@progbits,_ZN7rocprim17ROCPRIM_400000_NS6detail17trampoline_kernelINS0_14default_configENS1_22reduce_config_selectorIlEEZNS1_11reduce_implILb1ES3_N6thrust23THRUST_200600_302600_NS11hip_rocprim26transform_input_iterator_tIlNS8_12zip_iteratorINS8_5tupleINS8_6detail15normal_iteratorINS8_10device_ptrItEEEESH_NS8_9null_typeESI_SI_SI_SI_SI_SI_SI_EEEENS9_21zip_adj_not_predicateINS8_8equal_toItEEEEEEPllNS8_4plusIlEEEE10hipError_tPvRmT1_T2_T3_mT4_P12ihipStream_tbEUlT_E1_NS1_11comp_targetILNS1_3genE3ELNS1_11target_archE908ELNS1_3gpuE7ELNS1_3repE0EEENS1_30default_config_static_selectorELNS0_4arch9wavefront6targetE1EEEvSW_,comdat
	.protected	_ZN7rocprim17ROCPRIM_400000_NS6detail17trampoline_kernelINS0_14default_configENS1_22reduce_config_selectorIlEEZNS1_11reduce_implILb1ES3_N6thrust23THRUST_200600_302600_NS11hip_rocprim26transform_input_iterator_tIlNS8_12zip_iteratorINS8_5tupleINS8_6detail15normal_iteratorINS8_10device_ptrItEEEESH_NS8_9null_typeESI_SI_SI_SI_SI_SI_SI_EEEENS9_21zip_adj_not_predicateINS8_8equal_toItEEEEEEPllNS8_4plusIlEEEE10hipError_tPvRmT1_T2_T3_mT4_P12ihipStream_tbEUlT_E1_NS1_11comp_targetILNS1_3genE3ELNS1_11target_archE908ELNS1_3gpuE7ELNS1_3repE0EEENS1_30default_config_static_selectorELNS0_4arch9wavefront6targetE1EEEvSW_ ; -- Begin function _ZN7rocprim17ROCPRIM_400000_NS6detail17trampoline_kernelINS0_14default_configENS1_22reduce_config_selectorIlEEZNS1_11reduce_implILb1ES3_N6thrust23THRUST_200600_302600_NS11hip_rocprim26transform_input_iterator_tIlNS8_12zip_iteratorINS8_5tupleINS8_6detail15normal_iteratorINS8_10device_ptrItEEEESH_NS8_9null_typeESI_SI_SI_SI_SI_SI_SI_EEEENS9_21zip_adj_not_predicateINS8_8equal_toItEEEEEEPllNS8_4plusIlEEEE10hipError_tPvRmT1_T2_T3_mT4_P12ihipStream_tbEUlT_E1_NS1_11comp_targetILNS1_3genE3ELNS1_11target_archE908ELNS1_3gpuE7ELNS1_3repE0EEENS1_30default_config_static_selectorELNS0_4arch9wavefront6targetE1EEEvSW_
	.globl	_ZN7rocprim17ROCPRIM_400000_NS6detail17trampoline_kernelINS0_14default_configENS1_22reduce_config_selectorIlEEZNS1_11reduce_implILb1ES3_N6thrust23THRUST_200600_302600_NS11hip_rocprim26transform_input_iterator_tIlNS8_12zip_iteratorINS8_5tupleINS8_6detail15normal_iteratorINS8_10device_ptrItEEEESH_NS8_9null_typeESI_SI_SI_SI_SI_SI_SI_EEEENS9_21zip_adj_not_predicateINS8_8equal_toItEEEEEEPllNS8_4plusIlEEEE10hipError_tPvRmT1_T2_T3_mT4_P12ihipStream_tbEUlT_E1_NS1_11comp_targetILNS1_3genE3ELNS1_11target_archE908ELNS1_3gpuE7ELNS1_3repE0EEENS1_30default_config_static_selectorELNS0_4arch9wavefront6targetE1EEEvSW_
	.p2align	8
	.type	_ZN7rocprim17ROCPRIM_400000_NS6detail17trampoline_kernelINS0_14default_configENS1_22reduce_config_selectorIlEEZNS1_11reduce_implILb1ES3_N6thrust23THRUST_200600_302600_NS11hip_rocprim26transform_input_iterator_tIlNS8_12zip_iteratorINS8_5tupleINS8_6detail15normal_iteratorINS8_10device_ptrItEEEESH_NS8_9null_typeESI_SI_SI_SI_SI_SI_SI_EEEENS9_21zip_adj_not_predicateINS8_8equal_toItEEEEEEPllNS8_4plusIlEEEE10hipError_tPvRmT1_T2_T3_mT4_P12ihipStream_tbEUlT_E1_NS1_11comp_targetILNS1_3genE3ELNS1_11target_archE908ELNS1_3gpuE7ELNS1_3repE0EEENS1_30default_config_static_selectorELNS0_4arch9wavefront6targetE1EEEvSW_,@function
_ZN7rocprim17ROCPRIM_400000_NS6detail17trampoline_kernelINS0_14default_configENS1_22reduce_config_selectorIlEEZNS1_11reduce_implILb1ES3_N6thrust23THRUST_200600_302600_NS11hip_rocprim26transform_input_iterator_tIlNS8_12zip_iteratorINS8_5tupleINS8_6detail15normal_iteratorINS8_10device_ptrItEEEESH_NS8_9null_typeESI_SI_SI_SI_SI_SI_SI_EEEENS9_21zip_adj_not_predicateINS8_8equal_toItEEEEEEPllNS8_4plusIlEEEE10hipError_tPvRmT1_T2_T3_mT4_P12ihipStream_tbEUlT_E1_NS1_11comp_targetILNS1_3genE3ELNS1_11target_archE908ELNS1_3gpuE7ELNS1_3repE0EEENS1_30default_config_static_selectorELNS0_4arch9wavefront6targetE1EEEvSW_: ; @_ZN7rocprim17ROCPRIM_400000_NS6detail17trampoline_kernelINS0_14default_configENS1_22reduce_config_selectorIlEEZNS1_11reduce_implILb1ES3_N6thrust23THRUST_200600_302600_NS11hip_rocprim26transform_input_iterator_tIlNS8_12zip_iteratorINS8_5tupleINS8_6detail15normal_iteratorINS8_10device_ptrItEEEESH_NS8_9null_typeESI_SI_SI_SI_SI_SI_SI_EEEENS9_21zip_adj_not_predicateINS8_8equal_toItEEEEEEPllNS8_4plusIlEEEE10hipError_tPvRmT1_T2_T3_mT4_P12ihipStream_tbEUlT_E1_NS1_11comp_targetILNS1_3genE3ELNS1_11target_archE908ELNS1_3gpuE7ELNS1_3repE0EEENS1_30default_config_static_selectorELNS0_4arch9wavefront6targetE1EEEvSW_
; %bb.0:
	.section	.rodata,"a",@progbits
	.p2align	6, 0x0
	.amdhsa_kernel _ZN7rocprim17ROCPRIM_400000_NS6detail17trampoline_kernelINS0_14default_configENS1_22reduce_config_selectorIlEEZNS1_11reduce_implILb1ES3_N6thrust23THRUST_200600_302600_NS11hip_rocprim26transform_input_iterator_tIlNS8_12zip_iteratorINS8_5tupleINS8_6detail15normal_iteratorINS8_10device_ptrItEEEESH_NS8_9null_typeESI_SI_SI_SI_SI_SI_SI_EEEENS9_21zip_adj_not_predicateINS8_8equal_toItEEEEEEPllNS8_4plusIlEEEE10hipError_tPvRmT1_T2_T3_mT4_P12ihipStream_tbEUlT_E1_NS1_11comp_targetILNS1_3genE3ELNS1_11target_archE908ELNS1_3gpuE7ELNS1_3repE0EEENS1_30default_config_static_selectorELNS0_4arch9wavefront6targetE1EEEvSW_
		.amdhsa_group_segment_fixed_size 0
		.amdhsa_private_segment_fixed_size 0
		.amdhsa_kernarg_size 64
		.amdhsa_user_sgpr_count 6
		.amdhsa_user_sgpr_private_segment_buffer 1
		.amdhsa_user_sgpr_dispatch_ptr 0
		.amdhsa_user_sgpr_queue_ptr 0
		.amdhsa_user_sgpr_kernarg_segment_ptr 1
		.amdhsa_user_sgpr_dispatch_id 0
		.amdhsa_user_sgpr_flat_scratch_init 0
		.amdhsa_user_sgpr_private_segment_size 0
		.amdhsa_uses_dynamic_stack 0
		.amdhsa_system_sgpr_private_segment_wavefront_offset 0
		.amdhsa_system_sgpr_workgroup_id_x 1
		.amdhsa_system_sgpr_workgroup_id_y 0
		.amdhsa_system_sgpr_workgroup_id_z 0
		.amdhsa_system_sgpr_workgroup_info 0
		.amdhsa_system_vgpr_workitem_id 0
		.amdhsa_next_free_vgpr 1
		.amdhsa_next_free_sgpr 0
		.amdhsa_reserve_vcc 0
		.amdhsa_reserve_flat_scratch 0
		.amdhsa_float_round_mode_32 0
		.amdhsa_float_round_mode_16_64 0
		.amdhsa_float_denorm_mode_32 3
		.amdhsa_float_denorm_mode_16_64 3
		.amdhsa_dx10_clamp 1
		.amdhsa_ieee_mode 1
		.amdhsa_fp16_overflow 0
		.amdhsa_exception_fp_ieee_invalid_op 0
		.amdhsa_exception_fp_denorm_src 0
		.amdhsa_exception_fp_ieee_div_zero 0
		.amdhsa_exception_fp_ieee_overflow 0
		.amdhsa_exception_fp_ieee_underflow 0
		.amdhsa_exception_fp_ieee_inexact 0
		.amdhsa_exception_int_div_zero 0
	.end_amdhsa_kernel
	.section	.text._ZN7rocprim17ROCPRIM_400000_NS6detail17trampoline_kernelINS0_14default_configENS1_22reduce_config_selectorIlEEZNS1_11reduce_implILb1ES3_N6thrust23THRUST_200600_302600_NS11hip_rocprim26transform_input_iterator_tIlNS8_12zip_iteratorINS8_5tupleINS8_6detail15normal_iteratorINS8_10device_ptrItEEEESH_NS8_9null_typeESI_SI_SI_SI_SI_SI_SI_EEEENS9_21zip_adj_not_predicateINS8_8equal_toItEEEEEEPllNS8_4plusIlEEEE10hipError_tPvRmT1_T2_T3_mT4_P12ihipStream_tbEUlT_E1_NS1_11comp_targetILNS1_3genE3ELNS1_11target_archE908ELNS1_3gpuE7ELNS1_3repE0EEENS1_30default_config_static_selectorELNS0_4arch9wavefront6targetE1EEEvSW_,"axG",@progbits,_ZN7rocprim17ROCPRIM_400000_NS6detail17trampoline_kernelINS0_14default_configENS1_22reduce_config_selectorIlEEZNS1_11reduce_implILb1ES3_N6thrust23THRUST_200600_302600_NS11hip_rocprim26transform_input_iterator_tIlNS8_12zip_iteratorINS8_5tupleINS8_6detail15normal_iteratorINS8_10device_ptrItEEEESH_NS8_9null_typeESI_SI_SI_SI_SI_SI_SI_EEEENS9_21zip_adj_not_predicateINS8_8equal_toItEEEEEEPllNS8_4plusIlEEEE10hipError_tPvRmT1_T2_T3_mT4_P12ihipStream_tbEUlT_E1_NS1_11comp_targetILNS1_3genE3ELNS1_11target_archE908ELNS1_3gpuE7ELNS1_3repE0EEENS1_30default_config_static_selectorELNS0_4arch9wavefront6targetE1EEEvSW_,comdat
.Lfunc_end899:
	.size	_ZN7rocprim17ROCPRIM_400000_NS6detail17trampoline_kernelINS0_14default_configENS1_22reduce_config_selectorIlEEZNS1_11reduce_implILb1ES3_N6thrust23THRUST_200600_302600_NS11hip_rocprim26transform_input_iterator_tIlNS8_12zip_iteratorINS8_5tupleINS8_6detail15normal_iteratorINS8_10device_ptrItEEEESH_NS8_9null_typeESI_SI_SI_SI_SI_SI_SI_EEEENS9_21zip_adj_not_predicateINS8_8equal_toItEEEEEEPllNS8_4plusIlEEEE10hipError_tPvRmT1_T2_T3_mT4_P12ihipStream_tbEUlT_E1_NS1_11comp_targetILNS1_3genE3ELNS1_11target_archE908ELNS1_3gpuE7ELNS1_3repE0EEENS1_30default_config_static_selectorELNS0_4arch9wavefront6targetE1EEEvSW_, .Lfunc_end899-_ZN7rocprim17ROCPRIM_400000_NS6detail17trampoline_kernelINS0_14default_configENS1_22reduce_config_selectorIlEEZNS1_11reduce_implILb1ES3_N6thrust23THRUST_200600_302600_NS11hip_rocprim26transform_input_iterator_tIlNS8_12zip_iteratorINS8_5tupleINS8_6detail15normal_iteratorINS8_10device_ptrItEEEESH_NS8_9null_typeESI_SI_SI_SI_SI_SI_SI_EEEENS9_21zip_adj_not_predicateINS8_8equal_toItEEEEEEPllNS8_4plusIlEEEE10hipError_tPvRmT1_T2_T3_mT4_P12ihipStream_tbEUlT_E1_NS1_11comp_targetILNS1_3genE3ELNS1_11target_archE908ELNS1_3gpuE7ELNS1_3repE0EEENS1_30default_config_static_selectorELNS0_4arch9wavefront6targetE1EEEvSW_
                                        ; -- End function
	.set _ZN7rocprim17ROCPRIM_400000_NS6detail17trampoline_kernelINS0_14default_configENS1_22reduce_config_selectorIlEEZNS1_11reduce_implILb1ES3_N6thrust23THRUST_200600_302600_NS11hip_rocprim26transform_input_iterator_tIlNS8_12zip_iteratorINS8_5tupleINS8_6detail15normal_iteratorINS8_10device_ptrItEEEESH_NS8_9null_typeESI_SI_SI_SI_SI_SI_SI_EEEENS9_21zip_adj_not_predicateINS8_8equal_toItEEEEEEPllNS8_4plusIlEEEE10hipError_tPvRmT1_T2_T3_mT4_P12ihipStream_tbEUlT_E1_NS1_11comp_targetILNS1_3genE3ELNS1_11target_archE908ELNS1_3gpuE7ELNS1_3repE0EEENS1_30default_config_static_selectorELNS0_4arch9wavefront6targetE1EEEvSW_.num_vgpr, 0
	.set _ZN7rocprim17ROCPRIM_400000_NS6detail17trampoline_kernelINS0_14default_configENS1_22reduce_config_selectorIlEEZNS1_11reduce_implILb1ES3_N6thrust23THRUST_200600_302600_NS11hip_rocprim26transform_input_iterator_tIlNS8_12zip_iteratorINS8_5tupleINS8_6detail15normal_iteratorINS8_10device_ptrItEEEESH_NS8_9null_typeESI_SI_SI_SI_SI_SI_SI_EEEENS9_21zip_adj_not_predicateINS8_8equal_toItEEEEEEPllNS8_4plusIlEEEE10hipError_tPvRmT1_T2_T3_mT4_P12ihipStream_tbEUlT_E1_NS1_11comp_targetILNS1_3genE3ELNS1_11target_archE908ELNS1_3gpuE7ELNS1_3repE0EEENS1_30default_config_static_selectorELNS0_4arch9wavefront6targetE1EEEvSW_.num_agpr, 0
	.set _ZN7rocprim17ROCPRIM_400000_NS6detail17trampoline_kernelINS0_14default_configENS1_22reduce_config_selectorIlEEZNS1_11reduce_implILb1ES3_N6thrust23THRUST_200600_302600_NS11hip_rocprim26transform_input_iterator_tIlNS8_12zip_iteratorINS8_5tupleINS8_6detail15normal_iteratorINS8_10device_ptrItEEEESH_NS8_9null_typeESI_SI_SI_SI_SI_SI_SI_EEEENS9_21zip_adj_not_predicateINS8_8equal_toItEEEEEEPllNS8_4plusIlEEEE10hipError_tPvRmT1_T2_T3_mT4_P12ihipStream_tbEUlT_E1_NS1_11comp_targetILNS1_3genE3ELNS1_11target_archE908ELNS1_3gpuE7ELNS1_3repE0EEENS1_30default_config_static_selectorELNS0_4arch9wavefront6targetE1EEEvSW_.numbered_sgpr, 0
	.set _ZN7rocprim17ROCPRIM_400000_NS6detail17trampoline_kernelINS0_14default_configENS1_22reduce_config_selectorIlEEZNS1_11reduce_implILb1ES3_N6thrust23THRUST_200600_302600_NS11hip_rocprim26transform_input_iterator_tIlNS8_12zip_iteratorINS8_5tupleINS8_6detail15normal_iteratorINS8_10device_ptrItEEEESH_NS8_9null_typeESI_SI_SI_SI_SI_SI_SI_EEEENS9_21zip_adj_not_predicateINS8_8equal_toItEEEEEEPllNS8_4plusIlEEEE10hipError_tPvRmT1_T2_T3_mT4_P12ihipStream_tbEUlT_E1_NS1_11comp_targetILNS1_3genE3ELNS1_11target_archE908ELNS1_3gpuE7ELNS1_3repE0EEENS1_30default_config_static_selectorELNS0_4arch9wavefront6targetE1EEEvSW_.num_named_barrier, 0
	.set _ZN7rocprim17ROCPRIM_400000_NS6detail17trampoline_kernelINS0_14default_configENS1_22reduce_config_selectorIlEEZNS1_11reduce_implILb1ES3_N6thrust23THRUST_200600_302600_NS11hip_rocprim26transform_input_iterator_tIlNS8_12zip_iteratorINS8_5tupleINS8_6detail15normal_iteratorINS8_10device_ptrItEEEESH_NS8_9null_typeESI_SI_SI_SI_SI_SI_SI_EEEENS9_21zip_adj_not_predicateINS8_8equal_toItEEEEEEPllNS8_4plusIlEEEE10hipError_tPvRmT1_T2_T3_mT4_P12ihipStream_tbEUlT_E1_NS1_11comp_targetILNS1_3genE3ELNS1_11target_archE908ELNS1_3gpuE7ELNS1_3repE0EEENS1_30default_config_static_selectorELNS0_4arch9wavefront6targetE1EEEvSW_.private_seg_size, 0
	.set _ZN7rocprim17ROCPRIM_400000_NS6detail17trampoline_kernelINS0_14default_configENS1_22reduce_config_selectorIlEEZNS1_11reduce_implILb1ES3_N6thrust23THRUST_200600_302600_NS11hip_rocprim26transform_input_iterator_tIlNS8_12zip_iteratorINS8_5tupleINS8_6detail15normal_iteratorINS8_10device_ptrItEEEESH_NS8_9null_typeESI_SI_SI_SI_SI_SI_SI_EEEENS9_21zip_adj_not_predicateINS8_8equal_toItEEEEEEPllNS8_4plusIlEEEE10hipError_tPvRmT1_T2_T3_mT4_P12ihipStream_tbEUlT_E1_NS1_11comp_targetILNS1_3genE3ELNS1_11target_archE908ELNS1_3gpuE7ELNS1_3repE0EEENS1_30default_config_static_selectorELNS0_4arch9wavefront6targetE1EEEvSW_.uses_vcc, 0
	.set _ZN7rocprim17ROCPRIM_400000_NS6detail17trampoline_kernelINS0_14default_configENS1_22reduce_config_selectorIlEEZNS1_11reduce_implILb1ES3_N6thrust23THRUST_200600_302600_NS11hip_rocprim26transform_input_iterator_tIlNS8_12zip_iteratorINS8_5tupleINS8_6detail15normal_iteratorINS8_10device_ptrItEEEESH_NS8_9null_typeESI_SI_SI_SI_SI_SI_SI_EEEENS9_21zip_adj_not_predicateINS8_8equal_toItEEEEEEPllNS8_4plusIlEEEE10hipError_tPvRmT1_T2_T3_mT4_P12ihipStream_tbEUlT_E1_NS1_11comp_targetILNS1_3genE3ELNS1_11target_archE908ELNS1_3gpuE7ELNS1_3repE0EEENS1_30default_config_static_selectorELNS0_4arch9wavefront6targetE1EEEvSW_.uses_flat_scratch, 0
	.set _ZN7rocprim17ROCPRIM_400000_NS6detail17trampoline_kernelINS0_14default_configENS1_22reduce_config_selectorIlEEZNS1_11reduce_implILb1ES3_N6thrust23THRUST_200600_302600_NS11hip_rocprim26transform_input_iterator_tIlNS8_12zip_iteratorINS8_5tupleINS8_6detail15normal_iteratorINS8_10device_ptrItEEEESH_NS8_9null_typeESI_SI_SI_SI_SI_SI_SI_EEEENS9_21zip_adj_not_predicateINS8_8equal_toItEEEEEEPllNS8_4plusIlEEEE10hipError_tPvRmT1_T2_T3_mT4_P12ihipStream_tbEUlT_E1_NS1_11comp_targetILNS1_3genE3ELNS1_11target_archE908ELNS1_3gpuE7ELNS1_3repE0EEENS1_30default_config_static_selectorELNS0_4arch9wavefront6targetE1EEEvSW_.has_dyn_sized_stack, 0
	.set _ZN7rocprim17ROCPRIM_400000_NS6detail17trampoline_kernelINS0_14default_configENS1_22reduce_config_selectorIlEEZNS1_11reduce_implILb1ES3_N6thrust23THRUST_200600_302600_NS11hip_rocprim26transform_input_iterator_tIlNS8_12zip_iteratorINS8_5tupleINS8_6detail15normal_iteratorINS8_10device_ptrItEEEESH_NS8_9null_typeESI_SI_SI_SI_SI_SI_SI_EEEENS9_21zip_adj_not_predicateINS8_8equal_toItEEEEEEPllNS8_4plusIlEEEE10hipError_tPvRmT1_T2_T3_mT4_P12ihipStream_tbEUlT_E1_NS1_11comp_targetILNS1_3genE3ELNS1_11target_archE908ELNS1_3gpuE7ELNS1_3repE0EEENS1_30default_config_static_selectorELNS0_4arch9wavefront6targetE1EEEvSW_.has_recursion, 0
	.set _ZN7rocprim17ROCPRIM_400000_NS6detail17trampoline_kernelINS0_14default_configENS1_22reduce_config_selectorIlEEZNS1_11reduce_implILb1ES3_N6thrust23THRUST_200600_302600_NS11hip_rocprim26transform_input_iterator_tIlNS8_12zip_iteratorINS8_5tupleINS8_6detail15normal_iteratorINS8_10device_ptrItEEEESH_NS8_9null_typeESI_SI_SI_SI_SI_SI_SI_EEEENS9_21zip_adj_not_predicateINS8_8equal_toItEEEEEEPllNS8_4plusIlEEEE10hipError_tPvRmT1_T2_T3_mT4_P12ihipStream_tbEUlT_E1_NS1_11comp_targetILNS1_3genE3ELNS1_11target_archE908ELNS1_3gpuE7ELNS1_3repE0EEENS1_30default_config_static_selectorELNS0_4arch9wavefront6targetE1EEEvSW_.has_indirect_call, 0
	.section	.AMDGPU.csdata,"",@progbits
; Kernel info:
; codeLenInByte = 0
; TotalNumSgprs: 4
; NumVgprs: 0
; ScratchSize: 0
; MemoryBound: 0
; FloatMode: 240
; IeeeMode: 1
; LDSByteSize: 0 bytes/workgroup (compile time only)
; SGPRBlocks: 0
; VGPRBlocks: 0
; NumSGPRsForWavesPerEU: 4
; NumVGPRsForWavesPerEU: 1
; Occupancy: 10
; WaveLimiterHint : 0
; COMPUTE_PGM_RSRC2:SCRATCH_EN: 0
; COMPUTE_PGM_RSRC2:USER_SGPR: 6
; COMPUTE_PGM_RSRC2:TRAP_HANDLER: 0
; COMPUTE_PGM_RSRC2:TGID_X_EN: 1
; COMPUTE_PGM_RSRC2:TGID_Y_EN: 0
; COMPUTE_PGM_RSRC2:TGID_Z_EN: 0
; COMPUTE_PGM_RSRC2:TIDIG_COMP_CNT: 0
	.section	.text._ZN7rocprim17ROCPRIM_400000_NS6detail17trampoline_kernelINS0_14default_configENS1_22reduce_config_selectorIlEEZNS1_11reduce_implILb1ES3_N6thrust23THRUST_200600_302600_NS11hip_rocprim26transform_input_iterator_tIlNS8_12zip_iteratorINS8_5tupleINS8_6detail15normal_iteratorINS8_10device_ptrItEEEESH_NS8_9null_typeESI_SI_SI_SI_SI_SI_SI_EEEENS9_21zip_adj_not_predicateINS8_8equal_toItEEEEEEPllNS8_4plusIlEEEE10hipError_tPvRmT1_T2_T3_mT4_P12ihipStream_tbEUlT_E1_NS1_11comp_targetILNS1_3genE2ELNS1_11target_archE906ELNS1_3gpuE6ELNS1_3repE0EEENS1_30default_config_static_selectorELNS0_4arch9wavefront6targetE1EEEvSW_,"axG",@progbits,_ZN7rocprim17ROCPRIM_400000_NS6detail17trampoline_kernelINS0_14default_configENS1_22reduce_config_selectorIlEEZNS1_11reduce_implILb1ES3_N6thrust23THRUST_200600_302600_NS11hip_rocprim26transform_input_iterator_tIlNS8_12zip_iteratorINS8_5tupleINS8_6detail15normal_iteratorINS8_10device_ptrItEEEESH_NS8_9null_typeESI_SI_SI_SI_SI_SI_SI_EEEENS9_21zip_adj_not_predicateINS8_8equal_toItEEEEEEPllNS8_4plusIlEEEE10hipError_tPvRmT1_T2_T3_mT4_P12ihipStream_tbEUlT_E1_NS1_11comp_targetILNS1_3genE2ELNS1_11target_archE906ELNS1_3gpuE6ELNS1_3repE0EEENS1_30default_config_static_selectorELNS0_4arch9wavefront6targetE1EEEvSW_,comdat
	.protected	_ZN7rocprim17ROCPRIM_400000_NS6detail17trampoline_kernelINS0_14default_configENS1_22reduce_config_selectorIlEEZNS1_11reduce_implILb1ES3_N6thrust23THRUST_200600_302600_NS11hip_rocprim26transform_input_iterator_tIlNS8_12zip_iteratorINS8_5tupleINS8_6detail15normal_iteratorINS8_10device_ptrItEEEESH_NS8_9null_typeESI_SI_SI_SI_SI_SI_SI_EEEENS9_21zip_adj_not_predicateINS8_8equal_toItEEEEEEPllNS8_4plusIlEEEE10hipError_tPvRmT1_T2_T3_mT4_P12ihipStream_tbEUlT_E1_NS1_11comp_targetILNS1_3genE2ELNS1_11target_archE906ELNS1_3gpuE6ELNS1_3repE0EEENS1_30default_config_static_selectorELNS0_4arch9wavefront6targetE1EEEvSW_ ; -- Begin function _ZN7rocprim17ROCPRIM_400000_NS6detail17trampoline_kernelINS0_14default_configENS1_22reduce_config_selectorIlEEZNS1_11reduce_implILb1ES3_N6thrust23THRUST_200600_302600_NS11hip_rocprim26transform_input_iterator_tIlNS8_12zip_iteratorINS8_5tupleINS8_6detail15normal_iteratorINS8_10device_ptrItEEEESH_NS8_9null_typeESI_SI_SI_SI_SI_SI_SI_EEEENS9_21zip_adj_not_predicateINS8_8equal_toItEEEEEEPllNS8_4plusIlEEEE10hipError_tPvRmT1_T2_T3_mT4_P12ihipStream_tbEUlT_E1_NS1_11comp_targetILNS1_3genE2ELNS1_11target_archE906ELNS1_3gpuE6ELNS1_3repE0EEENS1_30default_config_static_selectorELNS0_4arch9wavefront6targetE1EEEvSW_
	.globl	_ZN7rocprim17ROCPRIM_400000_NS6detail17trampoline_kernelINS0_14default_configENS1_22reduce_config_selectorIlEEZNS1_11reduce_implILb1ES3_N6thrust23THRUST_200600_302600_NS11hip_rocprim26transform_input_iterator_tIlNS8_12zip_iteratorINS8_5tupleINS8_6detail15normal_iteratorINS8_10device_ptrItEEEESH_NS8_9null_typeESI_SI_SI_SI_SI_SI_SI_EEEENS9_21zip_adj_not_predicateINS8_8equal_toItEEEEEEPllNS8_4plusIlEEEE10hipError_tPvRmT1_T2_T3_mT4_P12ihipStream_tbEUlT_E1_NS1_11comp_targetILNS1_3genE2ELNS1_11target_archE906ELNS1_3gpuE6ELNS1_3repE0EEENS1_30default_config_static_selectorELNS0_4arch9wavefront6targetE1EEEvSW_
	.p2align	8
	.type	_ZN7rocprim17ROCPRIM_400000_NS6detail17trampoline_kernelINS0_14default_configENS1_22reduce_config_selectorIlEEZNS1_11reduce_implILb1ES3_N6thrust23THRUST_200600_302600_NS11hip_rocprim26transform_input_iterator_tIlNS8_12zip_iteratorINS8_5tupleINS8_6detail15normal_iteratorINS8_10device_ptrItEEEESH_NS8_9null_typeESI_SI_SI_SI_SI_SI_SI_EEEENS9_21zip_adj_not_predicateINS8_8equal_toItEEEEEEPllNS8_4plusIlEEEE10hipError_tPvRmT1_T2_T3_mT4_P12ihipStream_tbEUlT_E1_NS1_11comp_targetILNS1_3genE2ELNS1_11target_archE906ELNS1_3gpuE6ELNS1_3repE0EEENS1_30default_config_static_selectorELNS0_4arch9wavefront6targetE1EEEvSW_,@function
_ZN7rocprim17ROCPRIM_400000_NS6detail17trampoline_kernelINS0_14default_configENS1_22reduce_config_selectorIlEEZNS1_11reduce_implILb1ES3_N6thrust23THRUST_200600_302600_NS11hip_rocprim26transform_input_iterator_tIlNS8_12zip_iteratorINS8_5tupleINS8_6detail15normal_iteratorINS8_10device_ptrItEEEESH_NS8_9null_typeESI_SI_SI_SI_SI_SI_SI_EEEENS9_21zip_adj_not_predicateINS8_8equal_toItEEEEEEPllNS8_4plusIlEEEE10hipError_tPvRmT1_T2_T3_mT4_P12ihipStream_tbEUlT_E1_NS1_11comp_targetILNS1_3genE2ELNS1_11target_archE906ELNS1_3gpuE6ELNS1_3repE0EEENS1_30default_config_static_selectorELNS0_4arch9wavefront6targetE1EEEvSW_: ; @_ZN7rocprim17ROCPRIM_400000_NS6detail17trampoline_kernelINS0_14default_configENS1_22reduce_config_selectorIlEEZNS1_11reduce_implILb1ES3_N6thrust23THRUST_200600_302600_NS11hip_rocprim26transform_input_iterator_tIlNS8_12zip_iteratorINS8_5tupleINS8_6detail15normal_iteratorINS8_10device_ptrItEEEESH_NS8_9null_typeESI_SI_SI_SI_SI_SI_SI_EEEENS9_21zip_adj_not_predicateINS8_8equal_toItEEEEEEPllNS8_4plusIlEEEE10hipError_tPvRmT1_T2_T3_mT4_P12ihipStream_tbEUlT_E1_NS1_11comp_targetILNS1_3genE2ELNS1_11target_archE906ELNS1_3gpuE6ELNS1_3repE0EEENS1_30default_config_static_selectorELNS0_4arch9wavefront6targetE1EEEvSW_
; %bb.0:
	s_load_dword s30, s[4:5], 0x4
	s_load_dwordx4 s[24:27], s[4:5], 0x8
	s_load_dwordx4 s[20:23], s[4:5], 0x20
	s_waitcnt lgkmcnt(0)
	s_cmp_lt_i32 s30, 4
	s_cbranch_scc1 .LBB900_10
; %bb.1:
	s_cmp_gt_i32 s30, 7
	s_cbranch_scc0 .LBB900_11
; %bb.2:
	s_cmp_gt_i32 s30, 15
	s_cbranch_scc0 .LBB900_12
; %bb.3:
	s_mov_b64 s[2:3], 0
	s_cmp_eq_u32 s30, 16
	s_mov_b64 s[0:1], 0
                                        ; implicit-def: $vgpr1_vgpr2
                                        ; implicit-def: $vgpr3_vgpr4
	s_cbranch_scc0 .LBB900_13
; %bb.4:
	s_mov_b32 s7, 0
	s_lshl_b32 s12, s6, 12
	s_mov_b32 s13, s7
	s_lshr_b64 s[0:1], s[20:21], 12
	s_lshl_b64 s[10:11], s[12:13], 1
	s_add_u32 s8, s24, s10
	s_addc_u32 s9, s25, s11
	s_add_u32 s10, s26, s10
	s_addc_u32 s11, s27, s11
	s_cmp_lg_u64 s[0:1], s[6:7]
	s_cbranch_scc0 .LBB900_21
; %bb.5:
	v_lshlrev_b32_e32 v5, 1, v0
	global_load_ushort v6, v5, s[8:9] offset:2048
	global_load_ushort v7, v5, s[10:11] offset:2048
	v_mov_b32_e32 v1, s9
	v_add_co_u32_e32 v3, vcc, s8, v5
	v_addc_co_u32_e32 v4, vcc, 0, v1, vcc
	v_mov_b32_e32 v2, s11
	v_add_co_u32_e32 v8, vcc, s10, v5
	global_load_ushort v10, v5, s[8:9] offset:2560
	global_load_ushort v11, v5, s[8:9] offset:3072
	;; [unrolled: 1-line block ×4, first 2 shown]
	global_load_ushort v14, v5, s[8:9]
	global_load_ushort v15, v5, s[8:9] offset:512
	global_load_ushort v16, v5, s[10:11] offset:2560
	;; [unrolled: 1-line block ×7, first 2 shown]
	global_load_ushort v22, v5, s[10:11]
	s_movk_i32 s0, 0x1000
	v_addc_co_u32_e32 v9, vcc, 0, v2, vcc
	v_add_co_u32_e32 v1, vcc, s0, v3
	v_addc_co_u32_e32 v2, vcc, 0, v4, vcc
	v_add_co_u32_e32 v3, vcc, s0, v8
	v_addc_co_u32_e32 v4, vcc, 0, v9, vcc
	global_load_ushort v8, v[3:4], off
	global_load_ushort v9, v[1:2], off
	global_load_ushort v23, v[1:2], off offset:512
	global_load_ushort v24, v[1:2], off offset:1024
	;; [unrolled: 1-line block ×8, first 2 shown]
	s_waitcnt vmcnt(23)
	v_cmp_ne_u16_e32 vcc, v6, v7
	global_load_ushort v6, v[1:2], off offset:2048
	global_load_ushort v7, v[1:2], off offset:2560
	;; [unrolled: 1-line block ×6, first 2 shown]
	global_load_ushort v35, v5, s[8:9] offset:1024
	v_cndmask_b32_e64 v3, 0, 1, vcc
	s_waitcnt vmcnt(23)
	v_cmp_ne_u16_e32 vcc, v10, v16
	v_cndmask_b32_e64 v4, 0, 1, vcc
	s_waitcnt vmcnt(22)
	v_cmp_ne_u16_e32 vcc, v11, v17
	;; [unrolled: 3-line block ×6, first 2 shown]
	v_cndmask_b32_e64 v8, 0, 1, vcc
	v_cmp_ne_u16_e64 s[0:1], v13, v19
	v_cndmask_b32_e64 v2, 0, 1, s[0:1]
	s_waitcnt vmcnt(11)
	v_cmp_ne_u16_e32 vcc, v23, v26
	v_cndmask_b32_e64 v9, 0, 1, vcc
	s_waitcnt vmcnt(10)
	v_cmp_ne_u16_e32 vcc, v24, v27
	v_cndmask_b32_e64 v13, 0, 1, vcc
	;; [unrolled: 3-line block ×3, first 2 shown]
	v_mov_b32_e32 v1, 0
	s_waitcnt vmcnt(6)
	v_cmp_ne_u16_e32 vcc, v6, v29
	v_cndmask_b32_e64 v6, 0, 1, vcc
	s_waitcnt vmcnt(5)
	v_cmp_ne_u16_e32 vcc, v7, v30
	v_cndmask_b32_e64 v7, 0, 1, vcc
	;; [unrolled: 3-line block ×4, first 2 shown]
	s_waitcnt vmcnt(0)
	v_cmp_ne_u16_e32 vcc, v35, v21
	v_addc_co_u32_e32 v11, vcc, v11, v12, vcc
	v_add_co_u32_e32 v2, vcc, v11, v2
	v_addc_co_u32_e64 v11, s[0:1], 0, 0, vcc
	v_add_co_u32_e32 v2, vcc, v2, v3
	v_addc_co_u32_e32 v3, vcc, 0, v11, vcc
	v_add_co_u32_e32 v2, vcc, v2, v4
	v_addc_co_u32_e32 v3, vcc, 0, v3, vcc
	;; [unrolled: 2-line block ×12, first 2 shown]
	s_nop 0
	v_mov_b32_dpp v5, v2 quad_perm:[1,0,3,2] row_mask:0xf bank_mask:0xf bound_ctrl:1
	v_add_co_u32_e32 v2, vcc, v2, v5
	v_addc_co_u32_e32 v4, vcc, 0, v4, vcc
	v_mov_b32_dpp v1, v1 quad_perm:[1,0,3,2] row_mask:0xf bank_mask:0xf bound_ctrl:1
	v_add_co_u32_e32 v5, vcc, 0, v2
	v_addc_co_u32_e32 v1, vcc, v1, v4, vcc
	v_mov_b32_dpp v2, v2 quad_perm:[2,3,0,1] row_mask:0xf bank_mask:0xf bound_ctrl:1
	v_add_co_u32_e32 v2, vcc, v5, v2
	v_mov_b32_dpp v4, v1 quad_perm:[2,3,0,1] row_mask:0xf bank_mask:0xf bound_ctrl:1
	v_addc_co_u32_e32 v1, vcc, 0, v1, vcc
	v_add_co_u32_e32 v5, vcc, 0, v2
	v_addc_co_u32_e32 v1, vcc, v1, v4, vcc
	v_mov_b32_dpp v2, v2 row_ror:4 row_mask:0xf bank_mask:0xf bound_ctrl:1
	v_add_co_u32_e32 v2, vcc, v5, v2
	v_mov_b32_dpp v4, v1 row_ror:4 row_mask:0xf bank_mask:0xf bound_ctrl:1
	v_addc_co_u32_e32 v1, vcc, 0, v1, vcc
	v_add_co_u32_e32 v5, vcc, 0, v2
	v_addc_co_u32_e32 v1, vcc, v1, v4, vcc
	v_mov_b32_dpp v2, v2 row_ror:8 row_mask:0xf bank_mask:0xf bound_ctrl:1
	v_add_co_u32_e32 v2, vcc, v5, v2
	v_mov_b32_dpp v4, v1 row_ror:8 row_mask:0xf bank_mask:0xf bound_ctrl:1
	v_addc_co_u32_e32 v1, vcc, 0, v1, vcc
	v_add_co_u32_e32 v5, vcc, 0, v2
	v_addc_co_u32_e32 v1, vcc, v1, v4, vcc
	v_mov_b32_dpp v2, v2 row_bcast:15 row_mask:0xf bank_mask:0xf bound_ctrl:1
	v_add_co_u32_e32 v2, vcc, v5, v2
	v_mov_b32_dpp v4, v1 row_bcast:15 row_mask:0xf bank_mask:0xf bound_ctrl:1
	v_addc_co_u32_e32 v1, vcc, 0, v1, vcc
	v_add_co_u32_e32 v5, vcc, 0, v2
	v_addc_co_u32_e32 v1, vcc, v1, v4, vcc
	v_mov_b32_dpp v2, v2 row_bcast:31 row_mask:0xf bank_mask:0xf bound_ctrl:1
	v_mbcnt_lo_u32_b32 v3, -1, 0
	v_add_co_u32_e32 v2, vcc, v5, v2
	v_mbcnt_hi_u32_b32 v3, -1, v3
	v_addc_co_u32_e32 v4, vcc, 0, v1, vcc
	v_cmp_eq_u32_e32 vcc, 0, v3
	s_nop 0
	v_add_u32_dpp v5, v1, v4 row_bcast:31 row_mask:0xf bank_mask:0xf bound_ctrl:1
	v_lshlrev_b32_e32 v4, 2, v3
	v_or_b32_e32 v6, 0xfc, v4
	ds_bpermute_b32 v1, v6, v2
	ds_bpermute_b32 v2, v6, v5
	s_and_saveexec_b64 s[0:1], vcc
	s_cbranch_execz .LBB900_7
; %bb.6:
	v_lshrrev_b32_e32 v5, 3, v0
	v_and_b32_e32 v5, 24, v5
	s_waitcnt lgkmcnt(0)
	ds_write_b64 v5, v[1:2]
.LBB900_7:
	s_or_b64 exec, exec, s[0:1]
	v_cmp_gt_u32_e32 vcc, 64, v0
	s_waitcnt lgkmcnt(0)
	s_barrier
	s_and_saveexec_b64 s[0:1], vcc
	s_cbranch_execz .LBB900_9
; %bb.8:
	v_and_b32_e32 v5, 3, v3
	v_lshlrev_b32_e32 v1, 3, v5
	ds_read_b64 v[1:2], v1
	v_cmp_ne_u32_e32 vcc, 3, v5
	v_addc_co_u32_e32 v3, vcc, 0, v3, vcc
	v_lshlrev_b32_e32 v3, 2, v3
	s_waitcnt lgkmcnt(0)
	ds_bpermute_b32 v5, v3, v1
	ds_bpermute_b32 v3, v3, v2
	v_or_b32_e32 v4, 8, v4
	s_waitcnt lgkmcnt(1)
	v_add_co_u32_e32 v1, vcc, v1, v5
	v_addc_co_u32_e32 v2, vcc, 0, v2, vcc
	ds_bpermute_b32 v5, v4, v1
	v_add_co_u32_e32 v1, vcc, 0, v1
	s_waitcnt lgkmcnt(1)
	v_addc_co_u32_e32 v2, vcc, v3, v2, vcc
	ds_bpermute_b32 v3, v4, v2
	s_waitcnt lgkmcnt(1)
	v_add_co_u32_e32 v1, vcc, v1, v5
	v_addc_co_u32_e32 v2, vcc, 0, v2, vcc
	v_add_co_u32_e32 v1, vcc, 0, v1
	s_waitcnt lgkmcnt(0)
	v_addc_co_u32_e32 v2, vcc, v2, v3, vcc
.LBB900_9:
	s_or_b64 exec, exec, s[0:1]
	s_mov_b64 s[0:1], 0
	s_branch .LBB900_22
.LBB900_10:
	s_mov_b64 s[0:1], 0
                                        ; implicit-def: $vgpr1_vgpr2
                                        ; implicit-def: $vgpr3_vgpr4
	s_cbranch_execnz .LBB900_145
	s_branch .LBB900_206
.LBB900_11:
	s_mov_b64 s[0:1], 0
                                        ; implicit-def: $vgpr1_vgpr2
                                        ; implicit-def: $vgpr3_vgpr4
	s_cbranch_execnz .LBB900_110
	s_branch .LBB900_144
.LBB900_12:
	s_mov_b64 s[2:3], -1
	s_mov_b64 s[0:1], 0
                                        ; implicit-def: $vgpr1_vgpr2
                                        ; implicit-def: $vgpr3_vgpr4
.LBB900_13:
	s_and_b64 vcc, exec, s[2:3]
	s_cbranch_vccz .LBB900_109
.LBB900_14:
	s_cmp_eq_u32 s30, 8
                                        ; implicit-def: $vgpr1_vgpr2
                                        ; implicit-def: $vgpr3_vgpr4
	s_cbranch_scc0 .LBB900_109
; %bb.15:
	s_mov_b32 s7, 0
	s_lshl_b32 s0, s6, 11
	s_mov_b32 s1, s7
	s_lshr_b64 s[2:3], s[20:21], 11
	s_lshl_b64 s[8:9], s[0:1], 1
	s_add_u32 s16, s24, s8
	s_addc_u32 s17, s25, s9
	s_add_u32 s18, s26, s8
	s_addc_u32 s19, s27, s9
	s_cmp_lg_u64 s[2:3], s[6:7]
	s_cbranch_scc0 .LBB900_73
; %bb.16:
	v_lshlrev_b32_e32 v1, 1, v0
	global_load_ushort v2, v1, s[18:19] offset:1536
	global_load_ushort v4, v1, s[16:17] offset:1536
	;; [unrolled: 1-line block ×12, first 2 shown]
	global_load_ushort v15, v1, s[18:19]
	global_load_ushort v16, v1, s[16:17]
	global_load_ushort v17, v1, s[16:17] offset:1024
	s_nop 0
	global_load_ushort v1, v1, s[18:19] offset:1024
	v_mov_b32_e32 v18, 0
	v_mbcnt_lo_u32_b32 v3, -1, 0
	v_mbcnt_hi_u32_b32 v3, -1, v3
	v_mov_b32_dpp v18, v18 quad_perm:[1,0,3,2] row_mask:0xf bank_mask:0xf bound_ctrl:1
	s_waitcnt vmcnt(14)
	v_cmp_ne_u16_e32 vcc, v4, v2
	v_cndmask_b32_e64 v2, 0, 1, vcc
	s_waitcnt vmcnt(12)
	v_cmp_ne_u16_e32 vcc, v5, v6
	v_cndmask_b32_e64 v4, 0, 1, vcc
	;; [unrolled: 3-line block ×7, first 2 shown]
	s_waitcnt vmcnt(0)
	v_cmp_ne_u16_e32 vcc, v17, v1
	v_addc_co_u32_e32 v1, vcc, v8, v9, vcc
	v_add_co_u32_e32 v1, vcc, v1, v2
	v_addc_co_u32_e64 v2, s[2:3], 0, 0, vcc
	v_add_co_u32_e32 v1, vcc, v1, v4
	v_addc_co_u32_e32 v2, vcc, 0, v2, vcc
	v_add_co_u32_e32 v1, vcc, v1, v5
	v_addc_co_u32_e32 v2, vcc, 0, v2, vcc
	;; [unrolled: 2-line block ×4, first 2 shown]
	s_nop 0
	v_mov_b32_dpp v4, v1 quad_perm:[1,0,3,2] row_mask:0xf bank_mask:0xf bound_ctrl:1
	v_add_co_u32_e32 v1, vcc, v1, v4
	v_addc_co_u32_e32 v2, vcc, 0, v2, vcc
	v_add_co_u32_e32 v4, vcc, 0, v1
	v_addc_co_u32_e32 v2, vcc, v18, v2, vcc
	v_mov_b32_dpp v1, v1 quad_perm:[2,3,0,1] row_mask:0xf bank_mask:0xf bound_ctrl:1
	v_add_co_u32_e32 v1, vcc, v4, v1
	v_mov_b32_dpp v5, v2 quad_perm:[2,3,0,1] row_mask:0xf bank_mask:0xf bound_ctrl:1
	v_addc_co_u32_e32 v2, vcc, 0, v2, vcc
	v_add_co_u32_e32 v4, vcc, 0, v1
	v_addc_co_u32_e32 v2, vcc, v2, v5, vcc
	v_mov_b32_dpp v1, v1 row_ror:4 row_mask:0xf bank_mask:0xf bound_ctrl:1
	v_add_co_u32_e32 v1, vcc, v4, v1
	v_mov_b32_dpp v5, v2 row_ror:4 row_mask:0xf bank_mask:0xf bound_ctrl:1
	v_addc_co_u32_e32 v2, vcc, 0, v2, vcc
	v_add_co_u32_e32 v4, vcc, 0, v1
	v_addc_co_u32_e32 v2, vcc, v2, v5, vcc
	v_mov_b32_dpp v1, v1 row_ror:8 row_mask:0xf bank_mask:0xf bound_ctrl:1
	v_add_co_u32_e32 v1, vcc, v4, v1
	v_mov_b32_dpp v5, v2 row_ror:8 row_mask:0xf bank_mask:0xf bound_ctrl:1
	v_addc_co_u32_e32 v2, vcc, 0, v2, vcc
	v_add_co_u32_e32 v4, vcc, 0, v1
	v_addc_co_u32_e32 v2, vcc, v2, v5, vcc
	v_mov_b32_dpp v1, v1 row_bcast:15 row_mask:0xf bank_mask:0xf bound_ctrl:1
	v_add_co_u32_e32 v1, vcc, v4, v1
	v_mov_b32_dpp v5, v2 row_bcast:15 row_mask:0xf bank_mask:0xf bound_ctrl:1
	v_addc_co_u32_e32 v2, vcc, 0, v2, vcc
	v_add_co_u32_e32 v4, vcc, 0, v1
	v_addc_co_u32_e32 v2, vcc, v2, v5, vcc
	v_mov_b32_dpp v1, v1 row_bcast:31 row_mask:0xf bank_mask:0xf bound_ctrl:1
	v_add_co_u32_e32 v1, vcc, v4, v1
	v_addc_co_u32_e32 v4, vcc, 0, v2, vcc
	v_cmp_eq_u32_e32 vcc, 0, v3
	s_nop 0
	v_add_u32_dpp v2, v2, v4 row_bcast:31 row_mask:0xf bank_mask:0xf bound_ctrl:1
	v_lshlrev_b32_e32 v4, 2, v3
	v_or_b32_e32 v5, 0xfc, v4
	ds_bpermute_b32 v1, v5, v1
	ds_bpermute_b32 v2, v5, v2
	s_and_saveexec_b64 s[2:3], vcc
	s_cbranch_execz .LBB900_18
; %bb.17:
	v_lshrrev_b32_e32 v5, 3, v0
	v_and_b32_e32 v5, 24, v5
	s_waitcnt lgkmcnt(0)
	ds_write_b64 v5, v[1:2] offset:128
.LBB900_18:
	s_or_b64 exec, exec, s[2:3]
	v_cmp_gt_u32_e32 vcc, 64, v0
	s_waitcnt lgkmcnt(0)
	s_barrier
	s_and_saveexec_b64 s[2:3], vcc
	s_cbranch_execz .LBB900_20
; %bb.19:
	v_and_b32_e32 v5, 3, v3
	v_lshlrev_b32_e32 v1, 3, v5
	ds_read_b64 v[1:2], v1 offset:128
	v_cmp_ne_u32_e32 vcc, 3, v5
	v_addc_co_u32_e32 v3, vcc, 0, v3, vcc
	v_lshlrev_b32_e32 v3, 2, v3
	s_waitcnt lgkmcnt(0)
	ds_bpermute_b32 v5, v3, v1
	ds_bpermute_b32 v3, v3, v2
	v_or_b32_e32 v4, 8, v4
	s_waitcnt lgkmcnt(1)
	v_add_co_u32_e32 v1, vcc, v1, v5
	v_addc_co_u32_e32 v2, vcc, 0, v2, vcc
	ds_bpermute_b32 v5, v4, v1
	v_add_co_u32_e32 v1, vcc, 0, v1
	s_waitcnt lgkmcnt(1)
	v_addc_co_u32_e32 v2, vcc, v3, v2, vcc
	ds_bpermute_b32 v3, v4, v2
	s_waitcnt lgkmcnt(1)
	v_add_co_u32_e32 v1, vcc, v1, v5
	v_addc_co_u32_e32 v2, vcc, 0, v2, vcc
	v_add_co_u32_e32 v1, vcc, 0, v1
	s_waitcnt lgkmcnt(0)
	v_addc_co_u32_e32 v2, vcc, v2, v3, vcc
.LBB900_20:
	s_or_b64 exec, exec, s[2:3]
	s_mov_b64 s[2:3], 0
	s_branch .LBB900_74
.LBB900_21:
	s_mov_b64 s[0:1], -1
                                        ; implicit-def: $vgpr1_vgpr2
.LBB900_22:
	s_and_b64 vcc, exec, s[0:1]
	s_cbranch_vccz .LBB900_72
; %bb.23:
	s_sub_i32 s12, s20, s12
	v_cmp_gt_u32_e32 vcc, s12, v0
                                        ; implicit-def: $vgpr1_vgpr2
	s_and_saveexec_b64 s[0:1], vcc
	s_cbranch_execz .LBB900_25
; %bb.24:
	v_lshlrev_b32_e32 v1, 1, v0
	global_load_ushort v2, v1, s[8:9]
	global_load_ushort v3, v1, s[10:11]
	s_mov_b32 s13, 0
	s_waitcnt vmcnt(0)
	v_cmp_ne_u16_e32 vcc, v2, v3
	v_cndmask_b32_e64 v1, 0, 1, vcc
	v_mov_b32_e32 v2, s13
.LBB900_25:
	s_or_b64 exec, exec, s[0:1]
	v_or_b32_e32 v7, 0x100, v0
	v_mov_b32_e32 v3, 0
	v_mov_b32_e32 v5, 0
	v_mov_b32_e32 v4, 0
	v_mov_b32_e32 v6, 0
	v_cmp_gt_u32_e32 vcc, s12, v7
	s_and_saveexec_b64 s[0:1], vcc
	s_cbranch_execz .LBB900_27
; %bb.26:
	v_lshlrev_b32_e32 v5, 1, v0
	global_load_ushort v6, v5, s[8:9] offset:512
	global_load_ushort v7, v5, s[10:11] offset:512
	s_mov_b32 s13, 0
	s_waitcnt vmcnt(0)
	v_cmp_ne_u16_e32 vcc, v6, v7
	v_cndmask_b32_e64 v5, 0, 1, vcc
	v_mov_b32_e32 v6, s13
.LBB900_27:
	s_or_b64 exec, exec, s[0:1]
	v_or_b32_e32 v7, 0x200, v0
	v_cmp_gt_u32_e32 vcc, s12, v7
	s_and_saveexec_b64 s[0:1], vcc
	s_cbranch_execz .LBB900_29
; %bb.28:
	v_lshlrev_b32_e32 v3, 1, v0
	global_load_ushort v4, v3, s[8:9] offset:1024
	global_load_ushort v7, v3, s[10:11] offset:1024
	s_mov_b32 s13, 0
	s_waitcnt vmcnt(0)
	v_cmp_ne_u16_e32 vcc, v4, v7
	v_cndmask_b32_e64 v3, 0, 1, vcc
	v_mov_b32_e32 v4, s13
.LBB900_29:
	s_or_b64 exec, exec, s[0:1]
	v_or_b32_e32 v11, 0x300, v0
	v_mov_b32_e32 v7, 0
	v_mov_b32_e32 v9, 0
	v_mov_b32_e32 v8, 0
	v_mov_b32_e32 v10, 0
	v_cmp_gt_u32_e32 vcc, s12, v11
	s_and_saveexec_b64 s[0:1], vcc
	s_cbranch_execz .LBB900_31
; %bb.30:
	v_lshlrev_b32_e32 v9, 1, v0
	global_load_ushort v10, v9, s[8:9] offset:1536
	global_load_ushort v11, v9, s[10:11] offset:1536
	s_mov_b32 s13, 0
	s_waitcnt vmcnt(0)
	v_cmp_ne_u16_e32 vcc, v10, v11
	v_cndmask_b32_e64 v9, 0, 1, vcc
	v_mov_b32_e32 v10, s13
.LBB900_31:
	s_or_b64 exec, exec, s[0:1]
	v_or_b32_e32 v11, 0x400, v0
	v_cmp_gt_u32_e32 vcc, s12, v11
	s_and_saveexec_b64 s[0:1], vcc
	s_cbranch_execz .LBB900_33
; %bb.32:
	v_lshlrev_b32_e32 v7, 1, v0
	global_load_ushort v8, v7, s[8:9] offset:2048
	global_load_ushort v11, v7, s[10:11] offset:2048
	s_mov_b32 s13, 0
	s_waitcnt vmcnt(0)
	v_cmp_ne_u16_e32 vcc, v8, v11
	v_cndmask_b32_e64 v7, 0, 1, vcc
	v_mov_b32_e32 v8, s13
.LBB900_33:
	;; [unrolled: 34-line block ×3, first 2 shown]
	s_or_b64 exec, exec, s[0:1]
	v_or_b32_e32 v19, 0x700, v0
	v_mov_b32_e32 v15, 0
	v_mov_b32_e32 v17, 0
	;; [unrolled: 1-line block ×4, first 2 shown]
	v_cmp_gt_u32_e32 vcc, s12, v19
	s_and_saveexec_b64 s[0:1], vcc
	s_cbranch_execz .LBB900_39
; %bb.38:
	v_lshlrev_b32_e32 v17, 1, v0
	global_load_ushort v18, v17, s[8:9] offset:3584
	global_load_ushort v19, v17, s[10:11] offset:3584
	s_mov_b32 s13, 0
	s_waitcnt vmcnt(0)
	v_cmp_ne_u16_e32 vcc, v18, v19
	v_cndmask_b32_e64 v17, 0, 1, vcc
	v_mov_b32_e32 v18, s13
.LBB900_39:
	s_or_b64 exec, exec, s[0:1]
	v_or_b32_e32 v19, 0x800, v0
	v_cmp_gt_u32_e32 vcc, s12, v19
	s_and_saveexec_b64 s[0:1], vcc
	s_cbranch_execz .LBB900_41
; %bb.40:
	v_lshlrev_b32_e32 v15, 1, v19
	global_load_ushort v16, v15, s[8:9]
	global_load_ushort v19, v15, s[10:11]
	s_mov_b32 s13, 0
	s_waitcnt vmcnt(0)
	v_cmp_ne_u16_e32 vcc, v16, v19
	v_cndmask_b32_e64 v15, 0, 1, vcc
	v_mov_b32_e32 v16, s13
.LBB900_41:
	s_or_b64 exec, exec, s[0:1]
	v_or_b32_e32 v23, 0x900, v0
	v_mov_b32_e32 v19, 0
	v_mov_b32_e32 v21, 0
	v_mov_b32_e32 v20, 0
	v_mov_b32_e32 v22, 0
	v_cmp_gt_u32_e32 vcc, s12, v23
	s_and_saveexec_b64 s[0:1], vcc
	s_cbranch_execz .LBB900_43
; %bb.42:
	v_lshlrev_b32_e32 v21, 1, v23
	global_load_ushort v22, v21, s[8:9]
	global_load_ushort v23, v21, s[10:11]
	s_mov_b32 s13, 0
	s_waitcnt vmcnt(0)
	v_cmp_ne_u16_e32 vcc, v22, v23
	v_cndmask_b32_e64 v21, 0, 1, vcc
	v_mov_b32_e32 v22, s13
.LBB900_43:
	s_or_b64 exec, exec, s[0:1]
	v_or_b32_e32 v23, 0xa00, v0
	v_cmp_gt_u32_e32 vcc, s12, v23
	s_and_saveexec_b64 s[0:1], vcc
	s_cbranch_execz .LBB900_45
; %bb.44:
	v_lshlrev_b32_e32 v19, 1, v23
	global_load_ushort v20, v19, s[8:9]
	global_load_ushort v23, v19, s[10:11]
	s_mov_b32 s13, 0
	s_waitcnt vmcnt(0)
	v_cmp_ne_u16_e32 vcc, v20, v23
	v_cndmask_b32_e64 v19, 0, 1, vcc
	v_mov_b32_e32 v20, s13
.LBB900_45:
	s_or_b64 exec, exec, s[0:1]
	v_or_b32_e32 v27, 0xb00, v0
	v_mov_b32_e32 v23, 0
	v_mov_b32_e32 v25, 0
	v_mov_b32_e32 v24, 0
	v_mov_b32_e32 v26, 0
	v_cmp_gt_u32_e32 vcc, s12, v27
	s_and_saveexec_b64 s[0:1], vcc
	s_cbranch_execz .LBB900_47
; %bb.46:
	v_lshlrev_b32_e32 v25, 1, v27
	global_load_ushort v26, v25, s[8:9]
	global_load_ushort v27, v25, s[10:11]
	s_mov_b32 s13, 0
	s_waitcnt vmcnt(0)
	v_cmp_ne_u16_e32 vcc, v26, v27
	v_cndmask_b32_e64 v25, 0, 1, vcc
	v_mov_b32_e32 v26, s13
.LBB900_47:
	;; [unrolled: 34-line block ×3, first 2 shown]
	s_or_b64 exec, exec, s[0:1]
	v_or_b32_e32 v31, 0xe00, v0
	v_cmp_gt_u32_e32 vcc, s12, v31
	s_and_saveexec_b64 s[0:1], vcc
	s_cbranch_execz .LBB900_53
; %bb.52:
	v_lshlrev_b32_e32 v27, 1, v31
	global_load_ushort v28, v27, s[8:9]
	global_load_ushort v31, v27, s[10:11]
	s_mov_b32 s13, 0
	s_waitcnt vmcnt(0)
	v_cmp_ne_u16_e32 vcc, v28, v31
	v_cndmask_b32_e64 v27, 0, 1, vcc
	v_mov_b32_e32 v28, s13
.LBB900_53:
	s_or_b64 exec, exec, s[0:1]
	v_or_b32_e32 v33, 0xf00, v0
	v_mov_b32_e32 v31, 0
	v_mov_b32_e32 v32, 0
	v_cmp_gt_u32_e32 vcc, s12, v33
	s_and_saveexec_b64 s[0:1], vcc
	s_cbranch_execz .LBB900_55
; %bb.54:
	v_lshlrev_b32_e32 v31, 1, v33
	global_load_ushort v32, v31, s[8:9]
	global_load_ushort v33, v31, s[10:11]
	s_mov_b32 s8, 0
	s_waitcnt vmcnt(0)
	v_cmp_ne_u16_e32 vcc, v32, v33
	v_cndmask_b32_e64 v31, 0, 1, vcc
	v_mov_b32_e32 v32, s8
.LBB900_55:
	s_or_b64 exec, exec, s[0:1]
	v_add_co_u32_e32 v1, vcc, v5, v1
	v_addc_co_u32_e32 v2, vcc, v6, v2, vcc
	v_add_co_u32_e32 v1, vcc, v1, v3
	v_addc_co_u32_e32 v2, vcc, v2, v4, vcc
	;; [unrolled: 2-line block ×14, first 2 shown]
	v_mbcnt_lo_u32_b32 v3, -1, 0
	v_add_co_u32_e32 v1, vcc, v1, v31
	v_mbcnt_hi_u32_b32 v3, -1, v3
	v_addc_co_u32_e32 v2, vcc, v2, v32, vcc
	v_and_b32_e32 v4, 63, v3
	v_cmp_ne_u32_e32 vcc, 63, v4
	v_addc_co_u32_e32 v6, vcc, 0, v3, vcc
	v_lshlrev_b32_e32 v6, 2, v6
	ds_bpermute_b32 v8, v6, v1
	ds_bpermute_b32 v7, v6, v2
	s_min_u32 s8, s12, 0x100
	v_and_b32_e32 v5, 0xc0, v0
	v_sub_u32_e64 v5, s8, v5 clamp
	v_add_u32_e32 v6, 1, v4
	v_cmp_lt_u32_e32 vcc, v6, v5
	v_mov_b32_e32 v6, v1
	s_and_saveexec_b64 s[0:1], vcc
	s_cbranch_execz .LBB900_57
; %bb.56:
	s_waitcnt lgkmcnt(1)
	v_add_co_u32_e32 v6, vcc, v1, v8
	v_addc_co_u32_e32 v2, vcc, 0, v2, vcc
	v_add_co_u32_e32 v1, vcc, 0, v6
	s_waitcnt lgkmcnt(0)
	v_addc_co_u32_e32 v2, vcc, v7, v2, vcc
.LBB900_57:
	s_or_b64 exec, exec, s[0:1]
	v_cmp_gt_u32_e32 vcc, 62, v4
	s_waitcnt lgkmcnt(0)
	v_cndmask_b32_e64 v7, 0, 2, vcc
	v_add_lshl_u32 v7, v7, v3, 2
	ds_bpermute_b32 v8, v7, v6
	ds_bpermute_b32 v7, v7, v2
	v_add_u32_e32 v9, 2, v4
	v_cmp_lt_u32_e32 vcc, v9, v5
	s_and_saveexec_b64 s[0:1], vcc
	s_cbranch_execz .LBB900_59
; %bb.58:
	s_waitcnt lgkmcnt(1)
	v_add_co_u32_e32 v6, vcc, v1, v8
	v_addc_co_u32_e32 v2, vcc, 0, v2, vcc
	v_add_co_u32_e32 v1, vcc, 0, v6
	s_waitcnt lgkmcnt(0)
	v_addc_co_u32_e32 v2, vcc, v7, v2, vcc
.LBB900_59:
	s_or_b64 exec, exec, s[0:1]
	v_cmp_gt_u32_e32 vcc, 60, v4
	s_waitcnt lgkmcnt(0)
	v_cndmask_b32_e64 v7, 0, 4, vcc
	v_add_lshl_u32 v7, v7, v3, 2
	ds_bpermute_b32 v8, v7, v6
	ds_bpermute_b32 v7, v7, v2
	v_add_u32_e32 v9, 4, v4
	v_cmp_lt_u32_e32 vcc, v9, v5
	;; [unrolled: 19-line block ×4, first 2 shown]
	s_and_saveexec_b64 s[0:1], vcc
	s_cbranch_execz .LBB900_65
; %bb.64:
	s_waitcnt lgkmcnt(1)
	v_add_co_u32_e32 v6, vcc, v1, v8
	v_addc_co_u32_e32 v2, vcc, 0, v2, vcc
	v_add_co_u32_e32 v1, vcc, 0, v6
	s_waitcnt lgkmcnt(0)
	v_addc_co_u32_e32 v2, vcc, v7, v2, vcc
.LBB900_65:
	s_or_b64 exec, exec, s[0:1]
	s_waitcnt lgkmcnt(0)
	v_lshlrev_b32_e32 v7, 2, v3
	v_or_b32_e32 v8, 0x80, v7
	ds_bpermute_b32 v6, v8, v6
	ds_bpermute_b32 v8, v8, v2
	v_add_u32_e32 v4, 32, v4
	s_waitcnt lgkmcnt(1)
	v_add_co_u32_e32 v6, vcc, v1, v6
	v_addc_co_u32_e32 v9, vcc, 0, v2, vcc
	v_add_co_u32_e32 v6, vcc, 0, v6
	s_waitcnt lgkmcnt(0)
	v_addc_co_u32_e32 v8, vcc, v9, v8, vcc
	v_cmp_lt_u32_e32 vcc, v4, v5
	v_cndmask_b32_e32 v2, v2, v8, vcc
	v_cndmask_b32_e32 v1, v1, v6, vcc
	v_cmp_eq_u32_e32 vcc, 0, v3
	s_and_saveexec_b64 s[0:1], vcc
; %bb.66:
	v_lshrrev_b32_e32 v4, 3, v0
	v_and_b32_e32 v4, 24, v4
	ds_write_b64 v4, v[1:2] offset:160
; %bb.67:
	s_or_b64 exec, exec, s[0:1]
	v_cmp_gt_u32_e32 vcc, 4, v0
	s_waitcnt lgkmcnt(0)
	s_barrier
	s_and_saveexec_b64 s[0:1], vcc
	s_cbranch_execz .LBB900_71
; %bb.68:
	v_lshlrev_b32_e32 v1, 3, v3
	ds_read_b64 v[1:2], v1 offset:160
	v_and_b32_e32 v4, 3, v3
	v_cmp_ne_u32_e32 vcc, 3, v4
	v_addc_co_u32_e32 v3, vcc, 0, v3, vcc
	v_lshlrev_b32_e32 v3, 2, v3
	s_waitcnt lgkmcnt(0)
	ds_bpermute_b32 v6, v3, v1
	ds_bpermute_b32 v5, v3, v2
	s_add_i32 s8, s8, 63
	s_lshr_b32 s10, s8, 6
	v_add_u32_e32 v3, 1, v4
	v_cmp_gt_u32_e32 vcc, s10, v3
	v_mov_b32_e32 v3, v1
	s_and_saveexec_b64 s[8:9], vcc
	s_cbranch_execz .LBB900_70
; %bb.69:
	s_waitcnt lgkmcnt(1)
	v_add_co_u32_e32 v3, vcc, v1, v6
	v_addc_co_u32_e32 v2, vcc, 0, v2, vcc
	v_add_co_u32_e32 v1, vcc, 0, v3
	s_waitcnt lgkmcnt(0)
	v_addc_co_u32_e32 v2, vcc, v5, v2, vcc
.LBB900_70:
	s_or_b64 exec, exec, s[8:9]
	s_waitcnt lgkmcnt(0)
	v_or_b32_e32 v5, 8, v7
	ds_bpermute_b32 v3, v5, v3
	ds_bpermute_b32 v5, v5, v2
	v_add_u32_e32 v4, 2, v4
	s_waitcnt lgkmcnt(1)
	v_add_co_u32_e32 v3, vcc, v1, v3
	v_addc_co_u32_e32 v6, vcc, 0, v2, vcc
	v_add_co_u32_e32 v3, vcc, 0, v3
	s_waitcnt lgkmcnt(0)
	v_addc_co_u32_e32 v5, vcc, v6, v5, vcc
	v_cmp_gt_u32_e32 vcc, s10, v4
	v_cndmask_b32_e32 v2, v2, v5, vcc
	v_cndmask_b32_e32 v1, v1, v3, vcc
.LBB900_71:
	s_or_b64 exec, exec, s[0:1]
.LBB900_72:
	v_mov_b32_e32 v3, s6
	v_cmp_eq_u32_e64 s[0:1], 0, v0
	v_mov_b32_e32 v4, s7
	s_and_b64 vcc, exec, s[2:3]
	s_cbranch_vccnz .LBB900_14
	s_branch .LBB900_109
.LBB900_73:
	s_mov_b64 s[2:3], -1
                                        ; implicit-def: $vgpr1_vgpr2
.LBB900_74:
	s_and_b64 vcc, exec, s[2:3]
	s_cbranch_vccz .LBB900_108
; %bb.75:
	s_sub_i32 s31, s20, s0
	v_mov_b32_e32 v1, 0
	v_cmp_gt_u32_e32 vcc, s31, v0
	v_mov_b32_e32 v2, v1
	v_mov_b32_e32 v3, v1
	;; [unrolled: 1-line block ×15, first 2 shown]
	s_and_saveexec_b64 s[0:1], vcc
	s_cbranch_execz .LBB900_77
; %bb.76:
	v_mov_b32_e32 v2, v1
	v_mov_b32_e32 v3, v1
	;; [unrolled: 1-line block ×15, first 2 shown]
	v_lshlrev_b32_e32 v1, 1, v0
	global_load_ushort v17, v1, s[16:17]
	global_load_ushort v18, v1, s[18:19]
	s_waitcnt vmcnt(0)
	v_cmp_ne_u16_e32 vcc, v17, v18
	v_cndmask_b32_e64 v1, 0, 1, vcc
	v_and_b32_e32 v1, 0xffff, v1
.LBB900_77:
	s_or_b64 exec, exec, s[0:1]
	v_or_b32_e32 v17, 0x100, v0
	v_cmp_gt_u32_e32 vcc, s31, v17
	s_and_saveexec_b64 s[2:3], vcc
	s_cbranch_execz .LBB900_79
; %bb.78:
	v_lshlrev_b32_e32 v3, 1, v0
	global_load_ushort v4, v3, s[16:17] offset:512
	global_load_ushort v17, v3, s[18:19] offset:512
	s_mov_b32 s8, 0
	s_waitcnt vmcnt(0)
	v_cmp_ne_u16_e64 s[0:1], v4, v17
	v_cndmask_b32_e64 v3, 0, 1, s[0:1]
	v_mov_b32_e32 v4, s8
.LBB900_79:
	s_or_b64 exec, exec, s[2:3]
	v_or_b32_e32 v17, 0x200, v0
	v_cmp_gt_u32_e64 s[0:1], s31, v17
	s_and_saveexec_b64 s[8:9], s[0:1]
	s_cbranch_execz .LBB900_81
; %bb.80:
	v_lshlrev_b32_e32 v5, 1, v0
	global_load_ushort v6, v5, s[16:17] offset:1024
	global_load_ushort v17, v5, s[18:19] offset:1024
	s_mov_b32 s10, 0
	s_waitcnt vmcnt(0)
	v_cmp_ne_u16_e64 s[2:3], v6, v17
	v_cndmask_b32_e64 v5, 0, 1, s[2:3]
	v_mov_b32_e32 v6, s10
.LBB900_81:
	s_or_b64 exec, exec, s[8:9]
	v_or_b32_e32 v17, 0x300, v0
	v_cmp_gt_u32_e64 s[2:3], s31, v17
	s_and_saveexec_b64 s[10:11], s[2:3]
	;; [unrolled: 15-line block ×6, first 2 shown]
	s_cbranch_execz .LBB900_91
; %bb.90:
	v_lshlrev_b32_e32 v15, 1, v0
	global_load_ushort v16, v15, s[16:17] offset:3584
	global_load_ushort v17, v15, s[18:19] offset:3584
	s_mov_b32 s18, 0
	s_waitcnt vmcnt(0)
	v_cmp_ne_u16_e64 s[16:17], v16, v17
	v_cndmask_b32_e64 v15, 0, 1, s[16:17]
	v_mov_b32_e32 v16, s18
.LBB900_91:
	s_or_b64 exec, exec, s[28:29]
	v_cndmask_b32_e32 v3, 0, v3, vcc
	v_cndmask_b32_e32 v4, 0, v4, vcc
	v_add_co_u32_e32 v1, vcc, v3, v1
	v_addc_co_u32_e32 v2, vcc, v4, v2, vcc
	v_cndmask_b32_e64 v4, 0, v5, s[0:1]
	v_cndmask_b32_e64 v3, 0, v6, s[0:1]
	v_add_co_u32_e32 v1, vcc, v1, v4
	v_addc_co_u32_e32 v2, vcc, v2, v3, vcc
	v_cndmask_b32_e64 v4, 0, v7, s[2:3]
	v_cndmask_b32_e64 v3, 0, v8, s[2:3]
	v_add_co_u32_e32 v1, vcc, v1, v4
	v_addc_co_u32_e32 v2, vcc, v2, v3, vcc
	v_cndmask_b32_e64 v4, 0, v9, s[8:9]
	v_cndmask_b32_e64 v3, 0, v10, s[8:9]
	v_add_co_u32_e32 v1, vcc, v1, v4
	v_addc_co_u32_e32 v2, vcc, v2, v3, vcc
	v_cndmask_b32_e64 v4, 0, v11, s[10:11]
	v_cndmask_b32_e64 v3, 0, v12, s[10:11]
	v_add_co_u32_e32 v1, vcc, v1, v4
	v_addc_co_u32_e32 v2, vcc, v2, v3, vcc
	v_cndmask_b32_e64 v4, 0, v13, s[12:13]
	v_cndmask_b32_e64 v3, 0, v14, s[12:13]
	v_add_co_u32_e32 v1, vcc, v1, v4
	v_addc_co_u32_e32 v2, vcc, v2, v3, vcc
	v_cndmask_b32_e64 v4, 0, v15, s[14:15]
	v_cndmask_b32_e64 v3, 0, v16, s[14:15]
	v_add_co_u32_e32 v1, vcc, v1, v4
	v_addc_co_u32_e32 v2, vcc, v2, v3, vcc
	v_mbcnt_lo_u32_b32 v3, -1, 0
	v_mbcnt_hi_u32_b32 v3, -1, v3
	v_and_b32_e32 v4, 63, v3
	v_cmp_ne_u32_e32 vcc, 63, v4
	v_addc_co_u32_e32 v6, vcc, 0, v3, vcc
	v_lshlrev_b32_e32 v6, 2, v6
	ds_bpermute_b32 v8, v6, v1
	ds_bpermute_b32 v7, v6, v2
	s_min_u32 s2, s31, 0x100
	v_and_b32_e32 v5, 0xc0, v0
	v_sub_u32_e64 v5, s2, v5 clamp
	v_add_u32_e32 v6, 1, v4
	v_cmp_lt_u32_e32 vcc, v6, v5
	v_mov_b32_e32 v6, v1
	s_and_saveexec_b64 s[0:1], vcc
	s_cbranch_execz .LBB900_93
; %bb.92:
	s_waitcnt lgkmcnt(1)
	v_add_co_u32_e32 v6, vcc, v1, v8
	v_addc_co_u32_e32 v2, vcc, 0, v2, vcc
	v_add_co_u32_e32 v1, vcc, 0, v6
	s_waitcnt lgkmcnt(0)
	v_addc_co_u32_e32 v2, vcc, v2, v7, vcc
.LBB900_93:
	s_or_b64 exec, exec, s[0:1]
	v_cmp_gt_u32_e32 vcc, 62, v4
	s_waitcnt lgkmcnt(0)
	v_cndmask_b32_e64 v7, 0, 2, vcc
	v_add_lshl_u32 v7, v7, v3, 2
	ds_bpermute_b32 v8, v7, v6
	ds_bpermute_b32 v7, v7, v2
	v_add_u32_e32 v9, 2, v4
	v_cmp_lt_u32_e32 vcc, v9, v5
	s_and_saveexec_b64 s[0:1], vcc
	s_cbranch_execz .LBB900_95
; %bb.94:
	s_waitcnt lgkmcnt(1)
	v_add_co_u32_e32 v6, vcc, v1, v8
	v_addc_co_u32_e32 v2, vcc, 0, v2, vcc
	v_add_co_u32_e32 v1, vcc, 0, v6
	s_waitcnt lgkmcnt(0)
	v_addc_co_u32_e32 v2, vcc, v7, v2, vcc
.LBB900_95:
	s_or_b64 exec, exec, s[0:1]
	v_cmp_gt_u32_e32 vcc, 60, v4
	s_waitcnt lgkmcnt(0)
	v_cndmask_b32_e64 v7, 0, 4, vcc
	v_add_lshl_u32 v7, v7, v3, 2
	ds_bpermute_b32 v8, v7, v6
	ds_bpermute_b32 v7, v7, v2
	v_add_u32_e32 v9, 4, v4
	v_cmp_lt_u32_e32 vcc, v9, v5
	;; [unrolled: 19-line block ×4, first 2 shown]
	s_and_saveexec_b64 s[0:1], vcc
	s_cbranch_execz .LBB900_101
; %bb.100:
	s_waitcnt lgkmcnt(1)
	v_add_co_u32_e32 v6, vcc, v1, v8
	v_addc_co_u32_e32 v2, vcc, 0, v2, vcc
	v_add_co_u32_e32 v1, vcc, 0, v6
	s_waitcnt lgkmcnt(0)
	v_addc_co_u32_e32 v2, vcc, v7, v2, vcc
.LBB900_101:
	s_or_b64 exec, exec, s[0:1]
	s_waitcnt lgkmcnt(0)
	v_lshlrev_b32_e32 v7, 2, v3
	v_or_b32_e32 v8, 0x80, v7
	ds_bpermute_b32 v6, v8, v6
	ds_bpermute_b32 v8, v8, v2
	v_add_u32_e32 v4, 32, v4
	s_waitcnt lgkmcnt(1)
	v_add_co_u32_e32 v6, vcc, v1, v6
	v_addc_co_u32_e32 v9, vcc, 0, v2, vcc
	v_add_co_u32_e32 v6, vcc, 0, v6
	s_waitcnt lgkmcnt(0)
	v_addc_co_u32_e32 v8, vcc, v9, v8, vcc
	v_cmp_lt_u32_e32 vcc, v4, v5
	v_cndmask_b32_e32 v2, v2, v8, vcc
	v_cndmask_b32_e32 v1, v1, v6, vcc
	v_cmp_eq_u32_e32 vcc, 0, v3
	s_and_saveexec_b64 s[0:1], vcc
; %bb.102:
	v_lshrrev_b32_e32 v4, 3, v0
	v_and_b32_e32 v4, 24, v4
	ds_write_b64 v4, v[1:2] offset:160
; %bb.103:
	s_or_b64 exec, exec, s[0:1]
	v_cmp_gt_u32_e32 vcc, 4, v0
	s_waitcnt lgkmcnt(0)
	s_barrier
	s_and_saveexec_b64 s[0:1], vcc
	s_cbranch_execz .LBB900_107
; %bb.104:
	v_lshlrev_b32_e32 v1, 3, v3
	ds_read_b64 v[1:2], v1 offset:160
	v_and_b32_e32 v4, 3, v3
	v_cmp_ne_u32_e32 vcc, 3, v4
	v_addc_co_u32_e32 v3, vcc, 0, v3, vcc
	v_lshlrev_b32_e32 v3, 2, v3
	s_waitcnt lgkmcnt(0)
	ds_bpermute_b32 v6, v3, v1
	ds_bpermute_b32 v5, v3, v2
	s_add_i32 s2, s2, 63
	s_lshr_b32 s8, s2, 6
	v_add_u32_e32 v3, 1, v4
	v_cmp_gt_u32_e32 vcc, s8, v3
	v_mov_b32_e32 v3, v1
	s_and_saveexec_b64 s[2:3], vcc
	s_cbranch_execz .LBB900_106
; %bb.105:
	s_waitcnt lgkmcnt(1)
	v_add_co_u32_e32 v3, vcc, v1, v6
	v_addc_co_u32_e32 v2, vcc, 0, v2, vcc
	v_add_co_u32_e32 v1, vcc, 0, v3
	s_waitcnt lgkmcnt(0)
	v_addc_co_u32_e32 v2, vcc, v5, v2, vcc
.LBB900_106:
	s_or_b64 exec, exec, s[2:3]
	s_waitcnt lgkmcnt(0)
	v_or_b32_e32 v5, 8, v7
	ds_bpermute_b32 v3, v5, v3
	ds_bpermute_b32 v5, v5, v2
	v_add_u32_e32 v4, 2, v4
	s_waitcnt lgkmcnt(1)
	v_add_co_u32_e32 v3, vcc, v1, v3
	v_addc_co_u32_e32 v6, vcc, 0, v2, vcc
	v_add_co_u32_e32 v3, vcc, 0, v3
	s_waitcnt lgkmcnt(0)
	v_addc_co_u32_e32 v5, vcc, v6, v5, vcc
	v_cmp_gt_u32_e32 vcc, s8, v4
	v_cndmask_b32_e32 v2, v2, v5, vcc
	v_cndmask_b32_e32 v1, v1, v3, vcc
.LBB900_107:
	s_or_b64 exec, exec, s[0:1]
.LBB900_108:
	v_mov_b32_e32 v3, s6
	v_cmp_eq_u32_e64 s[0:1], 0, v0
	v_mov_b32_e32 v4, s7
.LBB900_109:
	s_branch .LBB900_144
.LBB900_110:
	s_cmp_eq_u32 s30, 4
                                        ; implicit-def: $vgpr1_vgpr2
                                        ; implicit-def: $vgpr3_vgpr4
	s_cbranch_scc0 .LBB900_144
; %bb.111:
	s_mov_b32 s7, 0
	s_lshl_b32 s0, s6, 10
	s_mov_b32 s1, s7
	s_lshr_b64 s[2:3], s[20:21], 10
	s_lshl_b64 s[10:11], s[0:1], 1
	s_add_u32 s8, s24, s10
	s_addc_u32 s9, s25, s11
	s_add_u32 s10, s26, s10
	s_addc_u32 s11, s27, s11
	s_cmp_lg_u64 s[2:3], s[6:7]
	s_cbranch_scc0 .LBB900_117
; %bb.112:
	v_lshlrev_b32_e32 v1, 1, v0
	global_load_ushort v2, v1, s[10:11] offset:512
	global_load_ushort v5, v1, s[10:11] offset:1024
	;; [unrolled: 1-line block ×5, first 2 shown]
	global_load_ushort v9, v1, s[10:11]
	global_load_ushort v10, v1, s[8:9]
	global_load_ushort v11, v1, s[8:9] offset:1024
	v_mov_b32_e32 v1, 0
	v_mbcnt_lo_u32_b32 v3, -1, 0
	v_mbcnt_hi_u32_b32 v3, -1, v3
	v_mov_b32_dpp v1, v1 quad_perm:[1,0,3,2] row_mask:0xf bank_mask:0xf bound_ctrl:1
	v_lshlrev_b32_e32 v4, 2, v3
	v_or_b32_e32 v12, 0xfc, v4
	s_waitcnt vmcnt(4)
	v_cmp_ne_u16_e32 vcc, v7, v6
	v_cndmask_b32_e64 v6, 0, 1, vcc
	s_waitcnt vmcnt(3)
	v_cmp_ne_u16_e32 vcc, v8, v2
	v_cndmask_b32_e64 v2, 0, 1, vcc
	;; [unrolled: 3-line block ×3, first 2 shown]
	s_waitcnt vmcnt(0)
	v_cmp_ne_u16_e32 vcc, v11, v5
	v_addc_co_u32_e32 v2, vcc, v2, v7, vcc
	v_add_co_u32_e32 v2, vcc, v2, v6
	v_addc_co_u32_e64 v5, s[2:3], 0, 0, vcc
	s_nop 0
	v_mov_b32_dpp v6, v2 quad_perm:[1,0,3,2] row_mask:0xf bank_mask:0xf bound_ctrl:1
	v_add_co_u32_e32 v2, vcc, v2, v6
	v_addc_co_u32_e32 v5, vcc, 0, v5, vcc
	v_add_co_u32_e32 v6, vcc, 0, v2
	v_addc_co_u32_e32 v1, vcc, v1, v5, vcc
	v_mov_b32_dpp v2, v2 quad_perm:[2,3,0,1] row_mask:0xf bank_mask:0xf bound_ctrl:1
	v_add_co_u32_e32 v2, vcc, v6, v2
	v_mov_b32_dpp v5, v1 quad_perm:[2,3,0,1] row_mask:0xf bank_mask:0xf bound_ctrl:1
	v_addc_co_u32_e32 v1, vcc, 0, v1, vcc
	v_add_co_u32_e32 v6, vcc, 0, v2
	v_addc_co_u32_e32 v1, vcc, v1, v5, vcc
	v_mov_b32_dpp v2, v2 row_ror:4 row_mask:0xf bank_mask:0xf bound_ctrl:1
	v_add_co_u32_e32 v2, vcc, v6, v2
	v_mov_b32_dpp v5, v1 row_ror:4 row_mask:0xf bank_mask:0xf bound_ctrl:1
	v_addc_co_u32_e32 v1, vcc, 0, v1, vcc
	v_add_co_u32_e32 v6, vcc, 0, v2
	v_addc_co_u32_e32 v1, vcc, v1, v5, vcc
	v_mov_b32_dpp v2, v2 row_ror:8 row_mask:0xf bank_mask:0xf bound_ctrl:1
	v_add_co_u32_e32 v2, vcc, v6, v2
	v_mov_b32_dpp v5, v1 row_ror:8 row_mask:0xf bank_mask:0xf bound_ctrl:1
	v_addc_co_u32_e32 v1, vcc, 0, v1, vcc
	v_add_co_u32_e32 v6, vcc, 0, v2
	v_addc_co_u32_e32 v1, vcc, v1, v5, vcc
	v_mov_b32_dpp v2, v2 row_bcast:15 row_mask:0xf bank_mask:0xf bound_ctrl:1
	v_add_co_u32_e32 v2, vcc, v6, v2
	v_mov_b32_dpp v5, v1 row_bcast:15 row_mask:0xf bank_mask:0xf bound_ctrl:1
	v_addc_co_u32_e32 v1, vcc, 0, v1, vcc
	v_add_co_u32_e32 v6, vcc, 0, v2
	v_addc_co_u32_e32 v1, vcc, v1, v5, vcc
	v_mov_b32_dpp v2, v2 row_bcast:31 row_mask:0xf bank_mask:0xf bound_ctrl:1
	v_add_co_u32_e32 v2, vcc, v6, v2
	v_addc_co_u32_e32 v5, vcc, 0, v1, vcc
	v_cmp_eq_u32_e32 vcc, 0, v3
	s_nop 0
	v_add_u32_dpp v5, v1, v5 row_bcast:31 row_mask:0xf bank_mask:0xf bound_ctrl:1
	ds_bpermute_b32 v1, v12, v2
	ds_bpermute_b32 v2, v12, v5
	s_and_saveexec_b64 s[2:3], vcc
	s_cbranch_execz .LBB900_114
; %bb.113:
	v_lshrrev_b32_e32 v5, 3, v0
	v_and_b32_e32 v5, 24, v5
	s_waitcnt lgkmcnt(0)
	ds_write_b64 v5, v[1:2] offset:96
.LBB900_114:
	s_or_b64 exec, exec, s[2:3]
	v_cmp_gt_u32_e32 vcc, 64, v0
	s_waitcnt lgkmcnt(0)
	s_barrier
	s_and_saveexec_b64 s[2:3], vcc
	s_cbranch_execz .LBB900_116
; %bb.115:
	v_and_b32_e32 v5, 3, v3
	v_lshlrev_b32_e32 v1, 3, v5
	ds_read_b64 v[1:2], v1 offset:96
	v_cmp_ne_u32_e32 vcc, 3, v5
	v_addc_co_u32_e32 v3, vcc, 0, v3, vcc
	v_lshlrev_b32_e32 v3, 2, v3
	s_waitcnt lgkmcnt(0)
	ds_bpermute_b32 v5, v3, v1
	ds_bpermute_b32 v3, v3, v2
	v_or_b32_e32 v4, 8, v4
	s_waitcnt lgkmcnt(1)
	v_add_co_u32_e32 v1, vcc, v1, v5
	v_addc_co_u32_e32 v2, vcc, 0, v2, vcc
	ds_bpermute_b32 v5, v4, v1
	v_add_co_u32_e32 v1, vcc, 0, v1
	s_waitcnt lgkmcnt(1)
	v_addc_co_u32_e32 v2, vcc, v3, v2, vcc
	ds_bpermute_b32 v3, v4, v2
	s_waitcnt lgkmcnt(1)
	v_add_co_u32_e32 v1, vcc, v1, v5
	v_addc_co_u32_e32 v2, vcc, 0, v2, vcc
	v_add_co_u32_e32 v1, vcc, 0, v1
	s_waitcnt lgkmcnt(0)
	v_addc_co_u32_e32 v2, vcc, v2, v3, vcc
.LBB900_116:
	s_or_b64 exec, exec, s[2:3]
	s_branch .LBB900_143
.LBB900_117:
                                        ; implicit-def: $vgpr1_vgpr2
	s_cbranch_execz .LBB900_143
; %bb.118:
	s_sub_i32 s14, s20, s0
	v_mov_b32_e32 v1, 0
	v_cmp_gt_u32_e32 vcc, s14, v0
	v_mov_b32_e32 v2, v1
	v_mov_b32_e32 v3, v1
	;; [unrolled: 1-line block ×7, first 2 shown]
	s_and_saveexec_b64 s[0:1], vcc
	s_cbranch_execz .LBB900_120
; %bb.119:
	v_lshlrev_b32_e32 v2, 1, v0
	global_load_ushort v9, v2, s[8:9]
	global_load_ushort v10, v2, s[10:11]
	v_mov_b32_e32 v3, v1
	v_mov_b32_e32 v4, v1
	;; [unrolled: 1-line block ×6, first 2 shown]
	s_waitcnt vmcnt(0)
	v_cmp_ne_u16_e32 vcc, v9, v10
	v_cndmask_b32_e64 v2, 0, 1, vcc
	v_and_b32_e32 v2, 0xffff, v2
	v_mov_b32_e32 v9, v1
	v_mov_b32_e32 v1, v2
	;; [unrolled: 1-line block ×9, first 2 shown]
.LBB900_120:
	s_or_b64 exec, exec, s[0:1]
	v_or_b32_e32 v9, 0x100, v0
	v_cmp_gt_u32_e32 vcc, s14, v9
	s_and_saveexec_b64 s[2:3], vcc
	s_cbranch_execz .LBB900_122
; %bb.121:
	v_lshlrev_b32_e32 v3, 1, v0
	global_load_ushort v4, v3, s[8:9] offset:512
	global_load_ushort v9, v3, s[10:11] offset:512
	s_mov_b32 s12, 0
	s_waitcnt vmcnt(0)
	v_cmp_ne_u16_e64 s[0:1], v4, v9
	v_cndmask_b32_e64 v3, 0, 1, s[0:1]
	v_mov_b32_e32 v4, s12
.LBB900_122:
	s_or_b64 exec, exec, s[2:3]
	v_or_b32_e32 v9, 0x200, v0
	v_cmp_gt_u32_e64 s[0:1], s14, v9
	s_and_saveexec_b64 s[12:13], s[0:1]
	s_cbranch_execz .LBB900_124
; %bb.123:
	v_lshlrev_b32_e32 v5, 1, v0
	global_load_ushort v6, v5, s[8:9] offset:1024
	global_load_ushort v9, v5, s[10:11] offset:1024
	s_mov_b32 s15, 0
	s_waitcnt vmcnt(0)
	v_cmp_ne_u16_e64 s[2:3], v6, v9
	v_cndmask_b32_e64 v5, 0, 1, s[2:3]
	v_mov_b32_e32 v6, s15
.LBB900_124:
	s_or_b64 exec, exec, s[12:13]
	v_or_b32_e32 v9, 0x300, v0
	v_cmp_gt_u32_e64 s[2:3], s14, v9
	s_and_saveexec_b64 s[12:13], s[2:3]
	s_cbranch_execz .LBB900_126
; %bb.125:
	v_lshlrev_b32_e32 v7, 1, v0
	global_load_ushort v8, v7, s[8:9] offset:1536
	global_load_ushort v9, v7, s[10:11] offset:1536
	s_mov_b32 s10, 0
	s_waitcnt vmcnt(0)
	v_cmp_ne_u16_e64 s[8:9], v8, v9
	v_cndmask_b32_e64 v7, 0, 1, s[8:9]
	v_mov_b32_e32 v8, s10
.LBB900_126:
	s_or_b64 exec, exec, s[12:13]
	v_cndmask_b32_e32 v3, 0, v3, vcc
	v_cndmask_b32_e32 v4, 0, v4, vcc
	v_add_co_u32_e32 v1, vcc, v3, v1
	v_addc_co_u32_e32 v2, vcc, v4, v2, vcc
	v_cndmask_b32_e64 v4, 0, v5, s[0:1]
	v_cndmask_b32_e64 v3, 0, v6, s[0:1]
	v_add_co_u32_e32 v1, vcc, v1, v4
	v_addc_co_u32_e32 v2, vcc, v2, v3, vcc
	v_cndmask_b32_e64 v4, 0, v7, s[2:3]
	v_cndmask_b32_e64 v3, 0, v8, s[2:3]
	v_add_co_u32_e32 v1, vcc, v1, v4
	v_addc_co_u32_e32 v2, vcc, v2, v3, vcc
	v_mbcnt_lo_u32_b32 v3, -1, 0
	v_mbcnt_hi_u32_b32 v3, -1, v3
	v_and_b32_e32 v4, 63, v3
	v_cmp_ne_u32_e32 vcc, 63, v4
	v_addc_co_u32_e32 v6, vcc, 0, v3, vcc
	v_lshlrev_b32_e32 v6, 2, v6
	ds_bpermute_b32 v8, v6, v1
	ds_bpermute_b32 v7, v6, v2
	s_min_u32 s2, s14, 0x100
	v_and_b32_e32 v5, 0xc0, v0
	v_sub_u32_e64 v5, s2, v5 clamp
	v_add_u32_e32 v6, 1, v4
	v_cmp_lt_u32_e32 vcc, v6, v5
	v_mov_b32_e32 v6, v1
	s_and_saveexec_b64 s[0:1], vcc
	s_cbranch_execz .LBB900_128
; %bb.127:
	s_waitcnt lgkmcnt(1)
	v_add_co_u32_e32 v6, vcc, v1, v8
	v_addc_co_u32_e32 v2, vcc, 0, v2, vcc
	v_add_co_u32_e32 v1, vcc, 0, v6
	s_waitcnt lgkmcnt(0)
	v_addc_co_u32_e32 v2, vcc, v7, v2, vcc
.LBB900_128:
	s_or_b64 exec, exec, s[0:1]
	v_cmp_gt_u32_e32 vcc, 62, v4
	s_waitcnt lgkmcnt(0)
	v_cndmask_b32_e64 v7, 0, 2, vcc
	v_add_lshl_u32 v7, v7, v3, 2
	ds_bpermute_b32 v8, v7, v6
	ds_bpermute_b32 v7, v7, v2
	v_add_u32_e32 v9, 2, v4
	v_cmp_lt_u32_e32 vcc, v9, v5
	s_and_saveexec_b64 s[0:1], vcc
	s_cbranch_execz .LBB900_130
; %bb.129:
	s_waitcnt lgkmcnt(1)
	v_add_co_u32_e32 v6, vcc, v1, v8
	v_addc_co_u32_e32 v2, vcc, 0, v2, vcc
	v_add_co_u32_e32 v1, vcc, 0, v6
	s_waitcnt lgkmcnt(0)
	v_addc_co_u32_e32 v2, vcc, v7, v2, vcc
.LBB900_130:
	s_or_b64 exec, exec, s[0:1]
	v_cmp_gt_u32_e32 vcc, 60, v4
	s_waitcnt lgkmcnt(0)
	v_cndmask_b32_e64 v7, 0, 4, vcc
	v_add_lshl_u32 v7, v7, v3, 2
	ds_bpermute_b32 v8, v7, v6
	ds_bpermute_b32 v7, v7, v2
	v_add_u32_e32 v9, 4, v4
	v_cmp_lt_u32_e32 vcc, v9, v5
	;; [unrolled: 19-line block ×4, first 2 shown]
	s_and_saveexec_b64 s[0:1], vcc
	s_cbranch_execz .LBB900_136
; %bb.135:
	s_waitcnt lgkmcnt(1)
	v_add_co_u32_e32 v6, vcc, v1, v8
	v_addc_co_u32_e32 v2, vcc, 0, v2, vcc
	v_add_co_u32_e32 v1, vcc, 0, v6
	s_waitcnt lgkmcnt(0)
	v_addc_co_u32_e32 v2, vcc, v7, v2, vcc
.LBB900_136:
	s_or_b64 exec, exec, s[0:1]
	s_waitcnt lgkmcnt(0)
	v_lshlrev_b32_e32 v7, 2, v3
	v_or_b32_e32 v8, 0x80, v7
	ds_bpermute_b32 v6, v8, v6
	ds_bpermute_b32 v8, v8, v2
	v_add_u32_e32 v4, 32, v4
	s_waitcnt lgkmcnt(1)
	v_add_co_u32_e32 v6, vcc, v1, v6
	v_addc_co_u32_e32 v9, vcc, 0, v2, vcc
	v_add_co_u32_e32 v6, vcc, 0, v6
	s_waitcnt lgkmcnt(0)
	v_addc_co_u32_e32 v8, vcc, v9, v8, vcc
	v_cmp_lt_u32_e32 vcc, v4, v5
	v_cndmask_b32_e32 v2, v2, v8, vcc
	v_cndmask_b32_e32 v1, v1, v6, vcc
	v_cmp_eq_u32_e32 vcc, 0, v3
	s_and_saveexec_b64 s[0:1], vcc
; %bb.137:
	v_lshrrev_b32_e32 v4, 3, v0
	v_and_b32_e32 v4, 24, v4
	ds_write_b64 v4, v[1:2] offset:160
; %bb.138:
	s_or_b64 exec, exec, s[0:1]
	v_cmp_gt_u32_e32 vcc, 4, v0
	s_waitcnt lgkmcnt(0)
	s_barrier
	s_and_saveexec_b64 s[0:1], vcc
	s_cbranch_execz .LBB900_142
; %bb.139:
	v_lshlrev_b32_e32 v1, 3, v3
	ds_read_b64 v[1:2], v1 offset:160
	v_and_b32_e32 v4, 3, v3
	v_cmp_ne_u32_e32 vcc, 3, v4
	v_addc_co_u32_e32 v3, vcc, 0, v3, vcc
	v_lshlrev_b32_e32 v3, 2, v3
	s_waitcnt lgkmcnt(0)
	ds_bpermute_b32 v6, v3, v1
	ds_bpermute_b32 v5, v3, v2
	s_add_i32 s2, s2, 63
	s_lshr_b32 s8, s2, 6
	v_add_u32_e32 v3, 1, v4
	v_cmp_gt_u32_e32 vcc, s8, v3
	v_mov_b32_e32 v3, v1
	s_and_saveexec_b64 s[2:3], vcc
	s_cbranch_execz .LBB900_141
; %bb.140:
	s_waitcnt lgkmcnt(1)
	v_add_co_u32_e32 v3, vcc, v1, v6
	v_addc_co_u32_e32 v2, vcc, 0, v2, vcc
	v_add_co_u32_e32 v1, vcc, 0, v3
	s_waitcnt lgkmcnt(0)
	v_addc_co_u32_e32 v2, vcc, v5, v2, vcc
.LBB900_141:
	s_or_b64 exec, exec, s[2:3]
	s_waitcnt lgkmcnt(0)
	v_or_b32_e32 v5, 8, v7
	ds_bpermute_b32 v3, v5, v3
	ds_bpermute_b32 v5, v5, v2
	v_add_u32_e32 v4, 2, v4
	s_waitcnt lgkmcnt(1)
	v_add_co_u32_e32 v3, vcc, v1, v3
	v_addc_co_u32_e32 v6, vcc, 0, v2, vcc
	v_add_co_u32_e32 v3, vcc, 0, v3
	s_waitcnt lgkmcnt(0)
	v_addc_co_u32_e32 v5, vcc, v6, v5, vcc
	v_cmp_gt_u32_e32 vcc, s8, v4
	v_cndmask_b32_e32 v2, v2, v5, vcc
	v_cndmask_b32_e32 v1, v1, v3, vcc
.LBB900_142:
	s_or_b64 exec, exec, s[0:1]
.LBB900_143:
	v_mov_b32_e32 v3, s6
	v_cmp_eq_u32_e64 s[0:1], 0, v0
	v_mov_b32_e32 v4, s7
.LBB900_144:
	s_branch .LBB900_206
.LBB900_145:
	s_cmp_gt_i32 s30, 1
	s_cbranch_scc0 .LBB900_153
; %bb.146:
	s_cmp_eq_u32 s30, 2
                                        ; implicit-def: $vgpr1_vgpr2
                                        ; implicit-def: $vgpr3_vgpr4
	s_cbranch_scc0 .LBB900_154
; %bb.147:
	s_mov_b32 s7, 0
	s_lshl_b32 s8, s6, 9
	s_mov_b32 s9, s7
	s_lshr_b64 s[10:11], s[20:21], 9
	s_lshl_b64 s[2:3], s[8:9], 1
	s_add_u32 s0, s24, s2
	s_addc_u32 s1, s25, s3
	s_add_u32 s2, s26, s2
	s_addc_u32 s3, s27, s3
	s_cmp_lg_u64 s[10:11], s[6:7]
	s_cbranch_scc0 .LBB900_155
; %bb.148:
	v_lshlrev_b32_e32 v1, 1, v0
	global_load_ushort v2, v1, s[0:1]
	global_load_ushort v5, v1, s[2:3]
	global_load_ushort v6, v1, s[2:3] offset:512
	global_load_ushort v7, v1, s[0:1] offset:512
	v_mov_b32_e32 v1, 0
	v_mbcnt_lo_u32_b32 v3, -1, 0
	v_mbcnt_hi_u32_b32 v3, -1, v3
	v_mov_b32_dpp v1, v1 quad_perm:[1,0,3,2] row_mask:0xf bank_mask:0xf bound_ctrl:1
	v_lshlrev_b32_e32 v4, 2, v3
	v_or_b32_e32 v8, 0xfc, v4
	s_waitcnt vmcnt(2)
	v_cmp_ne_u16_e32 vcc, v2, v5
	v_cndmask_b32_e64 v2, 0, 1, vcc
	s_waitcnt vmcnt(0)
	v_cmp_ne_u16_e32 vcc, v7, v6
	v_addc_co_u32_e32 v2, vcc, 0, v2, vcc
	s_nop 1
	v_mov_b32_dpp v5, v2 quad_perm:[1,0,3,2] row_mask:0xf bank_mask:0xf bound_ctrl:1
	v_add_co_u32_e32 v2, vcc, v2, v5
	v_addc_co_u32_e64 v5, s[10:11], 0, 0, vcc
	v_add_co_u32_e32 v6, vcc, 0, v2
	v_addc_co_u32_e32 v1, vcc, v1, v5, vcc
	v_mov_b32_dpp v2, v2 quad_perm:[2,3,0,1] row_mask:0xf bank_mask:0xf bound_ctrl:1
	v_add_co_u32_e32 v2, vcc, v6, v2
	v_mov_b32_dpp v5, v1 quad_perm:[2,3,0,1] row_mask:0xf bank_mask:0xf bound_ctrl:1
	v_addc_co_u32_e32 v1, vcc, 0, v1, vcc
	v_add_co_u32_e32 v6, vcc, 0, v2
	v_addc_co_u32_e32 v1, vcc, v1, v5, vcc
	v_mov_b32_dpp v2, v2 row_ror:4 row_mask:0xf bank_mask:0xf bound_ctrl:1
	v_add_co_u32_e32 v2, vcc, v6, v2
	v_mov_b32_dpp v5, v1 row_ror:4 row_mask:0xf bank_mask:0xf bound_ctrl:1
	v_addc_co_u32_e32 v1, vcc, 0, v1, vcc
	v_add_co_u32_e32 v6, vcc, 0, v2
	v_addc_co_u32_e32 v1, vcc, v1, v5, vcc
	v_mov_b32_dpp v2, v2 row_ror:8 row_mask:0xf bank_mask:0xf bound_ctrl:1
	v_add_co_u32_e32 v2, vcc, v6, v2
	v_mov_b32_dpp v5, v1 row_ror:8 row_mask:0xf bank_mask:0xf bound_ctrl:1
	v_addc_co_u32_e32 v1, vcc, 0, v1, vcc
	v_add_co_u32_e32 v6, vcc, 0, v2
	v_addc_co_u32_e32 v1, vcc, v1, v5, vcc
	v_mov_b32_dpp v2, v2 row_bcast:15 row_mask:0xf bank_mask:0xf bound_ctrl:1
	v_add_co_u32_e32 v2, vcc, v6, v2
	v_mov_b32_dpp v5, v1 row_bcast:15 row_mask:0xf bank_mask:0xf bound_ctrl:1
	v_addc_co_u32_e32 v1, vcc, 0, v1, vcc
	v_add_co_u32_e32 v6, vcc, 0, v2
	v_addc_co_u32_e32 v1, vcc, v1, v5, vcc
	v_mov_b32_dpp v2, v2 row_bcast:31 row_mask:0xf bank_mask:0xf bound_ctrl:1
	v_add_co_u32_e32 v2, vcc, v6, v2
	v_addc_co_u32_e32 v5, vcc, 0, v1, vcc
	v_cmp_eq_u32_e32 vcc, 0, v3
	s_nop 0
	v_add_u32_dpp v5, v1, v5 row_bcast:31 row_mask:0xf bank_mask:0xf bound_ctrl:1
	ds_bpermute_b32 v1, v8, v2
	ds_bpermute_b32 v2, v8, v5
	s_and_saveexec_b64 s[10:11], vcc
	s_cbranch_execz .LBB900_150
; %bb.149:
	v_lshrrev_b32_e32 v5, 3, v0
	v_and_b32_e32 v5, 24, v5
	s_waitcnt lgkmcnt(0)
	ds_write_b64 v5, v[1:2] offset:64
.LBB900_150:
	s_or_b64 exec, exec, s[10:11]
	v_cmp_gt_u32_e32 vcc, 64, v0
	s_waitcnt lgkmcnt(0)
	s_barrier
	s_and_saveexec_b64 s[10:11], vcc
	s_cbranch_execz .LBB900_152
; %bb.151:
	v_and_b32_e32 v5, 3, v3
	v_lshlrev_b32_e32 v1, 3, v5
	ds_read_b64 v[1:2], v1 offset:64
	v_cmp_ne_u32_e32 vcc, 3, v5
	v_addc_co_u32_e32 v3, vcc, 0, v3, vcc
	v_lshlrev_b32_e32 v3, 2, v3
	s_waitcnt lgkmcnt(0)
	ds_bpermute_b32 v5, v3, v1
	ds_bpermute_b32 v3, v3, v2
	v_or_b32_e32 v4, 8, v4
	s_waitcnt lgkmcnt(1)
	v_add_co_u32_e32 v1, vcc, v1, v5
	v_addc_co_u32_e32 v2, vcc, 0, v2, vcc
	ds_bpermute_b32 v5, v4, v1
	v_add_co_u32_e32 v1, vcc, 0, v1
	s_waitcnt lgkmcnt(1)
	v_addc_co_u32_e32 v2, vcc, v3, v2, vcc
	ds_bpermute_b32 v3, v4, v2
	s_waitcnt lgkmcnt(1)
	v_add_co_u32_e32 v1, vcc, v1, v5
	v_addc_co_u32_e32 v2, vcc, 0, v2, vcc
	v_add_co_u32_e32 v1, vcc, 0, v1
	s_waitcnt lgkmcnt(0)
	v_addc_co_u32_e32 v2, vcc, v2, v3, vcc
.LBB900_152:
	s_or_b64 exec, exec, s[10:11]
	s_branch .LBB900_177
.LBB900_153:
                                        ; implicit-def: $vgpr1_vgpr2
                                        ; implicit-def: $vgpr3_vgpr4
	s_cbranch_execnz .LBB900_178
	s_branch .LBB900_206
.LBB900_154:
	s_branch .LBB900_206
.LBB900_155:
                                        ; implicit-def: $vgpr1_vgpr2
	s_cbranch_execz .LBB900_177
; %bb.156:
	s_sub_i32 s10, s20, s8
	v_mov_b32_e32 v1, 0
	v_cmp_gt_u32_e32 vcc, s10, v0
	v_mov_b32_e32 v2, v1
	v_mov_b32_e32 v3, v1
	;; [unrolled: 1-line block ×3, first 2 shown]
	s_and_saveexec_b64 s[8:9], vcc
	s_cbranch_execz .LBB900_158
; %bb.157:
	v_lshlrev_b32_e32 v2, 1, v0
	global_load_ushort v5, v2, s[0:1]
	global_load_ushort v6, v2, s[2:3]
	v_mov_b32_e32 v3, v1
	v_mov_b32_e32 v4, v1
	s_waitcnt vmcnt(0)
	v_cmp_ne_u16_e32 vcc, v5, v6
	v_cndmask_b32_e64 v2, 0, 1, vcc
	v_and_b32_e32 v2, 0xffff, v2
	v_mov_b32_e32 v5, v1
	v_mov_b32_e32 v1, v2
	;; [unrolled: 1-line block ×5, first 2 shown]
.LBB900_158:
	s_or_b64 exec, exec, s[8:9]
	v_or_b32_e32 v5, 0x100, v0
	v_cmp_gt_u32_e32 vcc, s10, v5
	s_and_saveexec_b64 s[8:9], vcc
	s_cbranch_execz .LBB900_160
; %bb.159:
	v_lshlrev_b32_e32 v3, 1, v0
	global_load_ushort v4, v3, s[0:1] offset:512
	global_load_ushort v5, v3, s[2:3] offset:512
	s_mov_b32 s2, 0
	s_waitcnt vmcnt(0)
	v_cmp_ne_u16_e64 s[0:1], v4, v5
	v_cndmask_b32_e64 v3, 0, 1, s[0:1]
	v_mov_b32_e32 v4, s2
.LBB900_160:
	s_or_b64 exec, exec, s[8:9]
	v_cndmask_b32_e32 v3, 0, v3, vcc
	v_cndmask_b32_e32 v4, 0, v4, vcc
	v_add_co_u32_e32 v1, vcc, v3, v1
	v_mbcnt_lo_u32_b32 v3, -1, 0
	v_mbcnt_hi_u32_b32 v3, -1, v3
	v_addc_co_u32_e32 v2, vcc, v4, v2, vcc
	v_and_b32_e32 v4, 63, v3
	v_cmp_ne_u32_e32 vcc, 63, v4
	v_addc_co_u32_e32 v6, vcc, 0, v3, vcc
	v_lshlrev_b32_e32 v6, 2, v6
	ds_bpermute_b32 v8, v6, v1
	ds_bpermute_b32 v7, v6, v2
	s_min_u32 s2, s10, 0x100
	v_and_b32_e32 v5, 0xc0, v0
	v_sub_u32_e64 v5, s2, v5 clamp
	v_add_u32_e32 v6, 1, v4
	v_cmp_lt_u32_e32 vcc, v6, v5
	v_mov_b32_e32 v6, v1
	s_and_saveexec_b64 s[0:1], vcc
	s_cbranch_execz .LBB900_162
; %bb.161:
	s_waitcnt lgkmcnt(1)
	v_add_co_u32_e32 v6, vcc, v1, v8
	v_addc_co_u32_e32 v2, vcc, 0, v2, vcc
	v_add_co_u32_e32 v1, vcc, 0, v6
	s_waitcnt lgkmcnt(0)
	v_addc_co_u32_e32 v2, vcc, v7, v2, vcc
.LBB900_162:
	s_or_b64 exec, exec, s[0:1]
	v_cmp_gt_u32_e32 vcc, 62, v4
	s_waitcnt lgkmcnt(0)
	v_cndmask_b32_e64 v7, 0, 2, vcc
	v_add_lshl_u32 v7, v7, v3, 2
	ds_bpermute_b32 v8, v7, v6
	ds_bpermute_b32 v7, v7, v2
	v_add_u32_e32 v9, 2, v4
	v_cmp_lt_u32_e32 vcc, v9, v5
	s_and_saveexec_b64 s[0:1], vcc
	s_cbranch_execz .LBB900_164
; %bb.163:
	s_waitcnt lgkmcnt(1)
	v_add_co_u32_e32 v6, vcc, v1, v8
	v_addc_co_u32_e32 v2, vcc, 0, v2, vcc
	v_add_co_u32_e32 v1, vcc, 0, v6
	s_waitcnt lgkmcnt(0)
	v_addc_co_u32_e32 v2, vcc, v7, v2, vcc
.LBB900_164:
	s_or_b64 exec, exec, s[0:1]
	v_cmp_gt_u32_e32 vcc, 60, v4
	s_waitcnt lgkmcnt(0)
	v_cndmask_b32_e64 v7, 0, 4, vcc
	v_add_lshl_u32 v7, v7, v3, 2
	ds_bpermute_b32 v8, v7, v6
	ds_bpermute_b32 v7, v7, v2
	v_add_u32_e32 v9, 4, v4
	v_cmp_lt_u32_e32 vcc, v9, v5
	;; [unrolled: 19-line block ×4, first 2 shown]
	s_and_saveexec_b64 s[0:1], vcc
	s_cbranch_execz .LBB900_170
; %bb.169:
	s_waitcnt lgkmcnt(1)
	v_add_co_u32_e32 v6, vcc, v1, v8
	v_addc_co_u32_e32 v2, vcc, 0, v2, vcc
	v_add_co_u32_e32 v1, vcc, 0, v6
	s_waitcnt lgkmcnt(0)
	v_addc_co_u32_e32 v2, vcc, v7, v2, vcc
.LBB900_170:
	s_or_b64 exec, exec, s[0:1]
	s_waitcnt lgkmcnt(0)
	v_lshlrev_b32_e32 v7, 2, v3
	v_or_b32_e32 v8, 0x80, v7
	ds_bpermute_b32 v6, v8, v6
	ds_bpermute_b32 v8, v8, v2
	v_add_u32_e32 v4, 32, v4
	s_waitcnt lgkmcnt(1)
	v_add_co_u32_e32 v6, vcc, v1, v6
	v_addc_co_u32_e32 v9, vcc, 0, v2, vcc
	v_add_co_u32_e32 v6, vcc, 0, v6
	s_waitcnt lgkmcnt(0)
	v_addc_co_u32_e32 v8, vcc, v9, v8, vcc
	v_cmp_lt_u32_e32 vcc, v4, v5
	v_cndmask_b32_e32 v2, v2, v8, vcc
	v_cndmask_b32_e32 v1, v1, v6, vcc
	v_cmp_eq_u32_e32 vcc, 0, v3
	s_and_saveexec_b64 s[0:1], vcc
; %bb.171:
	v_lshrrev_b32_e32 v4, 3, v0
	v_and_b32_e32 v4, 24, v4
	ds_write_b64 v4, v[1:2] offset:160
; %bb.172:
	s_or_b64 exec, exec, s[0:1]
	v_cmp_gt_u32_e32 vcc, 4, v0
	s_waitcnt lgkmcnt(0)
	s_barrier
	s_and_saveexec_b64 s[0:1], vcc
	s_cbranch_execz .LBB900_176
; %bb.173:
	v_lshlrev_b32_e32 v1, 3, v3
	ds_read_b64 v[1:2], v1 offset:160
	v_and_b32_e32 v4, 3, v3
	v_cmp_ne_u32_e32 vcc, 3, v4
	v_addc_co_u32_e32 v3, vcc, 0, v3, vcc
	v_lshlrev_b32_e32 v3, 2, v3
	s_waitcnt lgkmcnt(0)
	ds_bpermute_b32 v6, v3, v1
	ds_bpermute_b32 v5, v3, v2
	s_add_i32 s2, s2, 63
	s_lshr_b32 s8, s2, 6
	v_add_u32_e32 v3, 1, v4
	v_cmp_gt_u32_e32 vcc, s8, v3
	v_mov_b32_e32 v3, v1
	s_and_saveexec_b64 s[2:3], vcc
	s_cbranch_execz .LBB900_175
; %bb.174:
	s_waitcnt lgkmcnt(1)
	v_add_co_u32_e32 v3, vcc, v1, v6
	v_addc_co_u32_e32 v2, vcc, 0, v2, vcc
	v_add_co_u32_e32 v1, vcc, 0, v3
	s_waitcnt lgkmcnt(0)
	v_addc_co_u32_e32 v2, vcc, v5, v2, vcc
.LBB900_175:
	s_or_b64 exec, exec, s[2:3]
	s_waitcnt lgkmcnt(0)
	v_or_b32_e32 v5, 8, v7
	ds_bpermute_b32 v3, v5, v3
	ds_bpermute_b32 v5, v5, v2
	v_add_u32_e32 v4, 2, v4
	s_waitcnt lgkmcnt(1)
	v_add_co_u32_e32 v3, vcc, v1, v3
	v_addc_co_u32_e32 v6, vcc, 0, v2, vcc
	v_add_co_u32_e32 v3, vcc, 0, v3
	s_waitcnt lgkmcnt(0)
	v_addc_co_u32_e32 v5, vcc, v6, v5, vcc
	v_cmp_gt_u32_e32 vcc, s8, v4
	v_cndmask_b32_e32 v2, v2, v5, vcc
	v_cndmask_b32_e32 v1, v1, v3, vcc
.LBB900_176:
	s_or_b64 exec, exec, s[0:1]
.LBB900_177:
	v_mov_b32_e32 v3, s6
	v_cmp_eq_u32_e64 s[0:1], 0, v0
	v_mov_b32_e32 v4, s7
	s_branch .LBB900_206
.LBB900_178:
	s_cmp_eq_u32 s30, 1
                                        ; implicit-def: $vgpr1_vgpr2
                                        ; implicit-def: $vgpr3_vgpr4
	s_cbranch_scc0 .LBB900_206
; %bb.179:
	s_mov_b32 s1, 0
	s_lshl_b32 s0, s6, 8
	s_mov_b32 s7, s1
	s_lshr_b64 s[2:3], s[20:21], 8
	s_cmp_lg_u64 s[2:3], s[6:7]
	v_mbcnt_lo_u32_b32 v3, -1, 0
	s_cbranch_scc0 .LBB900_185
; %bb.180:
	s_lshl_b64 s[2:3], s[0:1], 1
	s_add_u32 s8, s24, s2
	s_addc_u32 s9, s25, s3
	s_add_u32 s2, s26, s2
	v_lshlrev_b32_e32 v1, 1, v0
	s_addc_u32 s3, s27, s3
	global_load_ushort v2, v1, s[8:9]
	global_load_ushort v6, v1, s[2:3]
	v_mov_b32_e32 v1, 0
	v_mbcnt_hi_u32_b32 v4, -1, v3
	v_lshlrev_b32_e32 v5, 2, v4
	v_mov_b32_dpp v1, v1 quad_perm:[1,0,3,2] row_mask:0xf bank_mask:0xf bound_ctrl:1
	v_or_b32_e32 v7, 0xfc, v5
	s_waitcnt vmcnt(0)
	v_cmp_ne_u16_e32 vcc, v2, v6
	v_cndmask_b32_e64 v2, 0, 1, vcc
	s_nop 1
	v_mov_b32_dpp v6, v2 quad_perm:[1,0,3,2] row_mask:0xf bank_mask:0xf bound_ctrl:1
	v_add_co_u32_e32 v2, vcc, v6, v2
	v_addc_co_u32_e64 v6, s[2:3], 0, 0, vcc
	v_add_co_u32_e32 v8, vcc, 0, v2
	v_addc_co_u32_e32 v1, vcc, v1, v6, vcc
	v_mov_b32_dpp v2, v2 quad_perm:[2,3,0,1] row_mask:0xf bank_mask:0xf bound_ctrl:1
	v_add_co_u32_e32 v2, vcc, v8, v2
	v_mov_b32_dpp v6, v1 quad_perm:[2,3,0,1] row_mask:0xf bank_mask:0xf bound_ctrl:1
	v_addc_co_u32_e32 v1, vcc, 0, v1, vcc
	v_add_co_u32_e32 v8, vcc, 0, v2
	v_addc_co_u32_e32 v1, vcc, v1, v6, vcc
	v_mov_b32_dpp v2, v2 row_ror:4 row_mask:0xf bank_mask:0xf bound_ctrl:1
	v_add_co_u32_e32 v2, vcc, v8, v2
	v_mov_b32_dpp v6, v1 row_ror:4 row_mask:0xf bank_mask:0xf bound_ctrl:1
	v_addc_co_u32_e32 v1, vcc, 0, v1, vcc
	v_add_co_u32_e32 v8, vcc, 0, v2
	v_addc_co_u32_e32 v1, vcc, v1, v6, vcc
	v_mov_b32_dpp v2, v2 row_ror:8 row_mask:0xf bank_mask:0xf bound_ctrl:1
	v_add_co_u32_e32 v2, vcc, v8, v2
	v_mov_b32_dpp v6, v1 row_ror:8 row_mask:0xf bank_mask:0xf bound_ctrl:1
	v_addc_co_u32_e32 v1, vcc, 0, v1, vcc
	v_add_co_u32_e32 v8, vcc, 0, v2
	v_addc_co_u32_e32 v1, vcc, v1, v6, vcc
	v_mov_b32_dpp v2, v2 row_bcast:15 row_mask:0xf bank_mask:0xf bound_ctrl:1
	v_add_co_u32_e32 v2, vcc, v8, v2
	v_mov_b32_dpp v6, v1 row_bcast:15 row_mask:0xf bank_mask:0xf bound_ctrl:1
	v_addc_co_u32_e32 v1, vcc, 0, v1, vcc
	v_add_co_u32_e32 v8, vcc, 0, v2
	v_addc_co_u32_e32 v1, vcc, v1, v6, vcc
	v_mov_b32_dpp v2, v2 row_bcast:31 row_mask:0xf bank_mask:0xf bound_ctrl:1
	v_add_co_u32_e32 v2, vcc, v8, v2
	v_addc_co_u32_e32 v6, vcc, 0, v1, vcc
	v_cmp_eq_u32_e32 vcc, 0, v4
	s_nop 0
	v_add_u32_dpp v6, v1, v6 row_bcast:31 row_mask:0xf bank_mask:0xf bound_ctrl:1
	ds_bpermute_b32 v1, v7, v2
	ds_bpermute_b32 v2, v7, v6
	s_and_saveexec_b64 s[2:3], vcc
	s_cbranch_execz .LBB900_182
; %bb.181:
	v_lshrrev_b32_e32 v6, 3, v0
	v_and_b32_e32 v6, 24, v6
	s_waitcnt lgkmcnt(0)
	ds_write_b64 v6, v[1:2] offset:32
.LBB900_182:
	s_or_b64 exec, exec, s[2:3]
	v_cmp_gt_u32_e32 vcc, 64, v0
	s_waitcnt lgkmcnt(0)
	s_barrier
	s_and_saveexec_b64 s[2:3], vcc
	s_cbranch_execz .LBB900_184
; %bb.183:
	v_and_b32_e32 v6, 3, v4
	v_lshlrev_b32_e32 v1, 3, v6
	ds_read_b64 v[1:2], v1 offset:32
	v_cmp_ne_u32_e32 vcc, 3, v6
	v_addc_co_u32_e32 v4, vcc, 0, v4, vcc
	v_lshlrev_b32_e32 v4, 2, v4
	s_waitcnt lgkmcnt(0)
	ds_bpermute_b32 v6, v4, v1
	ds_bpermute_b32 v4, v4, v2
	v_or_b32_e32 v5, 8, v5
	s_waitcnt lgkmcnt(1)
	v_add_co_u32_e32 v1, vcc, v1, v6
	v_addc_co_u32_e32 v2, vcc, 0, v2, vcc
	ds_bpermute_b32 v6, v5, v1
	v_add_co_u32_e32 v1, vcc, 0, v1
	s_waitcnt lgkmcnt(1)
	v_addc_co_u32_e32 v2, vcc, v4, v2, vcc
	ds_bpermute_b32 v4, v5, v2
	s_waitcnt lgkmcnt(1)
	v_add_co_u32_e32 v1, vcc, v1, v6
	v_addc_co_u32_e32 v2, vcc, 0, v2, vcc
	v_add_co_u32_e32 v1, vcc, 0, v1
	s_waitcnt lgkmcnt(0)
	v_addc_co_u32_e32 v2, vcc, v2, v4, vcc
.LBB900_184:
	s_or_b64 exec, exec, s[2:3]
	s_branch .LBB900_205
.LBB900_185:
                                        ; implicit-def: $vgpr1_vgpr2
	s_cbranch_execz .LBB900_205
; %bb.186:
	s_sub_i32 s8, s20, s0
	v_cmp_gt_u32_e32 vcc, s8, v0
                                        ; implicit-def: $vgpr1_vgpr2
	s_and_saveexec_b64 s[2:3], vcc
	s_cbranch_execz .LBB900_188
; %bb.187:
	s_lshl_b64 s[0:1], s[0:1], 1
	s_add_u32 s10, s26, s0
	s_addc_u32 s11, s27, s1
	s_add_u32 s0, s24, s0
	v_lshlrev_b32_e32 v1, 1, v0
	s_addc_u32 s1, s25, s1
	global_load_ushort v2, v1, s[0:1]
	global_load_ushort v4, v1, s[10:11]
	s_mov_b32 s0, 0
	s_waitcnt vmcnt(0)
	v_cmp_ne_u16_e32 vcc, v2, v4
	v_cndmask_b32_e64 v1, 0, 1, vcc
	v_mov_b32_e32 v2, s0
.LBB900_188:
	s_or_b64 exec, exec, s[2:3]
	v_mbcnt_hi_u32_b32 v3, -1, v3
	v_and_b32_e32 v4, 63, v3
	v_cmp_ne_u32_e32 vcc, 63, v4
	v_addc_co_u32_e32 v6, vcc, 0, v3, vcc
	v_lshlrev_b32_e32 v6, 2, v6
	ds_bpermute_b32 v8, v6, v1
	ds_bpermute_b32 v7, v6, v2
	s_min_u32 s2, s8, 0x100
	v_and_b32_e32 v5, 0xc0, v0
	v_sub_u32_e64 v5, s2, v5 clamp
	v_add_u32_e32 v6, 1, v4
	v_cmp_lt_u32_e32 vcc, v6, v5
	v_mov_b32_e32 v6, v1
	s_and_saveexec_b64 s[0:1], vcc
	s_cbranch_execz .LBB900_190
; %bb.189:
	s_waitcnt lgkmcnt(1)
	v_add_co_u32_e32 v6, vcc, v1, v8
	v_addc_co_u32_e32 v2, vcc, 0, v2, vcc
	v_add_co_u32_e32 v1, vcc, 0, v6
	s_waitcnt lgkmcnt(0)
	v_addc_co_u32_e32 v2, vcc, v7, v2, vcc
.LBB900_190:
	s_or_b64 exec, exec, s[0:1]
	v_cmp_gt_u32_e32 vcc, 62, v4
	s_waitcnt lgkmcnt(0)
	v_cndmask_b32_e64 v7, 0, 2, vcc
	v_add_lshl_u32 v7, v7, v3, 2
	ds_bpermute_b32 v8, v7, v6
	ds_bpermute_b32 v7, v7, v2
	v_add_u32_e32 v9, 2, v4
	v_cmp_lt_u32_e32 vcc, v9, v5
	s_and_saveexec_b64 s[0:1], vcc
	s_cbranch_execz .LBB900_192
; %bb.191:
	s_waitcnt lgkmcnt(1)
	v_add_co_u32_e32 v6, vcc, v1, v8
	v_addc_co_u32_e32 v2, vcc, 0, v2, vcc
	v_add_co_u32_e32 v1, vcc, 0, v6
	s_waitcnt lgkmcnt(0)
	v_addc_co_u32_e32 v2, vcc, v7, v2, vcc
.LBB900_192:
	s_or_b64 exec, exec, s[0:1]
	v_cmp_gt_u32_e32 vcc, 60, v4
	s_waitcnt lgkmcnt(0)
	v_cndmask_b32_e64 v7, 0, 4, vcc
	v_add_lshl_u32 v7, v7, v3, 2
	ds_bpermute_b32 v8, v7, v6
	ds_bpermute_b32 v7, v7, v2
	v_add_u32_e32 v9, 4, v4
	v_cmp_lt_u32_e32 vcc, v9, v5
	;; [unrolled: 19-line block ×4, first 2 shown]
	s_and_saveexec_b64 s[0:1], vcc
	s_cbranch_execz .LBB900_198
; %bb.197:
	s_waitcnt lgkmcnt(1)
	v_add_co_u32_e32 v6, vcc, v1, v8
	v_addc_co_u32_e32 v2, vcc, 0, v2, vcc
	v_add_co_u32_e32 v1, vcc, 0, v6
	s_waitcnt lgkmcnt(0)
	v_addc_co_u32_e32 v2, vcc, v7, v2, vcc
.LBB900_198:
	s_or_b64 exec, exec, s[0:1]
	s_waitcnt lgkmcnt(0)
	v_lshlrev_b32_e32 v7, 2, v3
	v_or_b32_e32 v8, 0x80, v7
	ds_bpermute_b32 v6, v8, v6
	ds_bpermute_b32 v8, v8, v2
	v_add_u32_e32 v4, 32, v4
	s_waitcnt lgkmcnt(1)
	v_add_co_u32_e32 v6, vcc, v1, v6
	v_addc_co_u32_e32 v9, vcc, 0, v2, vcc
	v_add_co_u32_e32 v6, vcc, 0, v6
	s_waitcnt lgkmcnt(0)
	v_addc_co_u32_e32 v8, vcc, v9, v8, vcc
	v_cmp_lt_u32_e32 vcc, v4, v5
	v_cndmask_b32_e32 v2, v2, v8, vcc
	v_cndmask_b32_e32 v1, v1, v6, vcc
	v_cmp_eq_u32_e32 vcc, 0, v3
	s_and_saveexec_b64 s[0:1], vcc
; %bb.199:
	v_lshrrev_b32_e32 v4, 3, v0
	v_and_b32_e32 v4, 24, v4
	ds_write_b64 v4, v[1:2] offset:160
; %bb.200:
	s_or_b64 exec, exec, s[0:1]
	v_cmp_gt_u32_e32 vcc, 4, v0
	s_waitcnt lgkmcnt(0)
	s_barrier
	s_and_saveexec_b64 s[0:1], vcc
	s_cbranch_execz .LBB900_204
; %bb.201:
	v_lshlrev_b32_e32 v1, 3, v3
	ds_read_b64 v[1:2], v1 offset:160
	v_and_b32_e32 v4, 3, v3
	v_cmp_ne_u32_e32 vcc, 3, v4
	v_addc_co_u32_e32 v3, vcc, 0, v3, vcc
	v_lshlrev_b32_e32 v3, 2, v3
	s_waitcnt lgkmcnt(0)
	ds_bpermute_b32 v6, v3, v1
	ds_bpermute_b32 v5, v3, v2
	s_add_i32 s2, s2, 63
	s_lshr_b32 s8, s2, 6
	v_add_u32_e32 v3, 1, v4
	v_cmp_gt_u32_e32 vcc, s8, v3
	v_mov_b32_e32 v3, v1
	s_and_saveexec_b64 s[2:3], vcc
	s_cbranch_execz .LBB900_203
; %bb.202:
	s_waitcnt lgkmcnt(1)
	v_add_co_u32_e32 v3, vcc, v1, v6
	v_addc_co_u32_e32 v2, vcc, 0, v2, vcc
	v_add_co_u32_e32 v1, vcc, 0, v3
	s_waitcnt lgkmcnt(0)
	v_addc_co_u32_e32 v2, vcc, v5, v2, vcc
.LBB900_203:
	s_or_b64 exec, exec, s[2:3]
	s_waitcnt lgkmcnt(0)
	v_or_b32_e32 v5, 8, v7
	ds_bpermute_b32 v3, v5, v3
	ds_bpermute_b32 v5, v5, v2
	v_add_u32_e32 v4, 2, v4
	s_waitcnt lgkmcnt(1)
	v_add_co_u32_e32 v3, vcc, v1, v3
	v_addc_co_u32_e32 v6, vcc, 0, v2, vcc
	v_add_co_u32_e32 v3, vcc, 0, v3
	s_waitcnt lgkmcnt(0)
	v_addc_co_u32_e32 v5, vcc, v6, v5, vcc
	v_cmp_gt_u32_e32 vcc, s8, v4
	v_cndmask_b32_e32 v2, v2, v5, vcc
	v_cndmask_b32_e32 v1, v1, v3, vcc
.LBB900_204:
	s_or_b64 exec, exec, s[0:1]
.LBB900_205:
	v_mov_b32_e32 v3, s6
	v_cmp_eq_u32_e64 s[0:1], 0, v0
	v_mov_b32_e32 v4, s7
.LBB900_206:
	s_and_saveexec_b64 s[2:3], s[0:1]
	s_cbranch_execz .LBB900_208
; %bb.207:
	v_lshlrev_b64 v[3:4], 3, v[3:4]
	s_load_dwordx2 s[0:1], s[4:5], 0x30
	v_mov_b32_e32 v0, s23
	v_add_co_u32_e32 v3, vcc, s22, v3
	v_addc_co_u32_e32 v4, vcc, v0, v4, vcc
	s_cmp_lg_u64 s[20:21], 0
	s_cselect_b64 vcc, -1, 0
	v_cndmask_b32_e32 v0, 0, v1, vcc
	v_cndmask_b32_e32 v2, 0, v2, vcc
	s_waitcnt lgkmcnt(0)
	v_mov_b32_e32 v1, s1
	v_add_co_u32_e32 v0, vcc, s0, v0
	v_addc_co_u32_e32 v1, vcc, v2, v1, vcc
	global_store_dwordx2 v[3:4], v[0:1], off
.LBB900_208:
	s_endpgm
	.section	.rodata,"a",@progbits
	.p2align	6, 0x0
	.amdhsa_kernel _ZN7rocprim17ROCPRIM_400000_NS6detail17trampoline_kernelINS0_14default_configENS1_22reduce_config_selectorIlEEZNS1_11reduce_implILb1ES3_N6thrust23THRUST_200600_302600_NS11hip_rocprim26transform_input_iterator_tIlNS8_12zip_iteratorINS8_5tupleINS8_6detail15normal_iteratorINS8_10device_ptrItEEEESH_NS8_9null_typeESI_SI_SI_SI_SI_SI_SI_EEEENS9_21zip_adj_not_predicateINS8_8equal_toItEEEEEEPllNS8_4plusIlEEEE10hipError_tPvRmT1_T2_T3_mT4_P12ihipStream_tbEUlT_E1_NS1_11comp_targetILNS1_3genE2ELNS1_11target_archE906ELNS1_3gpuE6ELNS1_3repE0EEENS1_30default_config_static_selectorELNS0_4arch9wavefront6targetE1EEEvSW_
		.amdhsa_group_segment_fixed_size 192
		.amdhsa_private_segment_fixed_size 0
		.amdhsa_kernarg_size 64
		.amdhsa_user_sgpr_count 6
		.amdhsa_user_sgpr_private_segment_buffer 1
		.amdhsa_user_sgpr_dispatch_ptr 0
		.amdhsa_user_sgpr_queue_ptr 0
		.amdhsa_user_sgpr_kernarg_segment_ptr 1
		.amdhsa_user_sgpr_dispatch_id 0
		.amdhsa_user_sgpr_flat_scratch_init 0
		.amdhsa_user_sgpr_private_segment_size 0
		.amdhsa_uses_dynamic_stack 0
		.amdhsa_system_sgpr_private_segment_wavefront_offset 0
		.amdhsa_system_sgpr_workgroup_id_x 1
		.amdhsa_system_sgpr_workgroup_id_y 0
		.amdhsa_system_sgpr_workgroup_id_z 0
		.amdhsa_system_sgpr_workgroup_info 0
		.amdhsa_system_vgpr_workitem_id 0
		.amdhsa_next_free_vgpr 36
		.amdhsa_next_free_sgpr 34
		.amdhsa_reserve_vcc 1
		.amdhsa_reserve_flat_scratch 0
		.amdhsa_float_round_mode_32 0
		.amdhsa_float_round_mode_16_64 0
		.amdhsa_float_denorm_mode_32 3
		.amdhsa_float_denorm_mode_16_64 3
		.amdhsa_dx10_clamp 1
		.amdhsa_ieee_mode 1
		.amdhsa_fp16_overflow 0
		.amdhsa_exception_fp_ieee_invalid_op 0
		.amdhsa_exception_fp_denorm_src 0
		.amdhsa_exception_fp_ieee_div_zero 0
		.amdhsa_exception_fp_ieee_overflow 0
		.amdhsa_exception_fp_ieee_underflow 0
		.amdhsa_exception_fp_ieee_inexact 0
		.amdhsa_exception_int_div_zero 0
	.end_amdhsa_kernel
	.section	.text._ZN7rocprim17ROCPRIM_400000_NS6detail17trampoline_kernelINS0_14default_configENS1_22reduce_config_selectorIlEEZNS1_11reduce_implILb1ES3_N6thrust23THRUST_200600_302600_NS11hip_rocprim26transform_input_iterator_tIlNS8_12zip_iteratorINS8_5tupleINS8_6detail15normal_iteratorINS8_10device_ptrItEEEESH_NS8_9null_typeESI_SI_SI_SI_SI_SI_SI_EEEENS9_21zip_adj_not_predicateINS8_8equal_toItEEEEEEPllNS8_4plusIlEEEE10hipError_tPvRmT1_T2_T3_mT4_P12ihipStream_tbEUlT_E1_NS1_11comp_targetILNS1_3genE2ELNS1_11target_archE906ELNS1_3gpuE6ELNS1_3repE0EEENS1_30default_config_static_selectorELNS0_4arch9wavefront6targetE1EEEvSW_,"axG",@progbits,_ZN7rocprim17ROCPRIM_400000_NS6detail17trampoline_kernelINS0_14default_configENS1_22reduce_config_selectorIlEEZNS1_11reduce_implILb1ES3_N6thrust23THRUST_200600_302600_NS11hip_rocprim26transform_input_iterator_tIlNS8_12zip_iteratorINS8_5tupleINS8_6detail15normal_iteratorINS8_10device_ptrItEEEESH_NS8_9null_typeESI_SI_SI_SI_SI_SI_SI_EEEENS9_21zip_adj_not_predicateINS8_8equal_toItEEEEEEPllNS8_4plusIlEEEE10hipError_tPvRmT1_T2_T3_mT4_P12ihipStream_tbEUlT_E1_NS1_11comp_targetILNS1_3genE2ELNS1_11target_archE906ELNS1_3gpuE6ELNS1_3repE0EEENS1_30default_config_static_selectorELNS0_4arch9wavefront6targetE1EEEvSW_,comdat
.Lfunc_end900:
	.size	_ZN7rocprim17ROCPRIM_400000_NS6detail17trampoline_kernelINS0_14default_configENS1_22reduce_config_selectorIlEEZNS1_11reduce_implILb1ES3_N6thrust23THRUST_200600_302600_NS11hip_rocprim26transform_input_iterator_tIlNS8_12zip_iteratorINS8_5tupleINS8_6detail15normal_iteratorINS8_10device_ptrItEEEESH_NS8_9null_typeESI_SI_SI_SI_SI_SI_SI_EEEENS9_21zip_adj_not_predicateINS8_8equal_toItEEEEEEPllNS8_4plusIlEEEE10hipError_tPvRmT1_T2_T3_mT4_P12ihipStream_tbEUlT_E1_NS1_11comp_targetILNS1_3genE2ELNS1_11target_archE906ELNS1_3gpuE6ELNS1_3repE0EEENS1_30default_config_static_selectorELNS0_4arch9wavefront6targetE1EEEvSW_, .Lfunc_end900-_ZN7rocprim17ROCPRIM_400000_NS6detail17trampoline_kernelINS0_14default_configENS1_22reduce_config_selectorIlEEZNS1_11reduce_implILb1ES3_N6thrust23THRUST_200600_302600_NS11hip_rocprim26transform_input_iterator_tIlNS8_12zip_iteratorINS8_5tupleINS8_6detail15normal_iteratorINS8_10device_ptrItEEEESH_NS8_9null_typeESI_SI_SI_SI_SI_SI_SI_EEEENS9_21zip_adj_not_predicateINS8_8equal_toItEEEEEEPllNS8_4plusIlEEEE10hipError_tPvRmT1_T2_T3_mT4_P12ihipStream_tbEUlT_E1_NS1_11comp_targetILNS1_3genE2ELNS1_11target_archE906ELNS1_3gpuE6ELNS1_3repE0EEENS1_30default_config_static_selectorELNS0_4arch9wavefront6targetE1EEEvSW_
                                        ; -- End function
	.set _ZN7rocprim17ROCPRIM_400000_NS6detail17trampoline_kernelINS0_14default_configENS1_22reduce_config_selectorIlEEZNS1_11reduce_implILb1ES3_N6thrust23THRUST_200600_302600_NS11hip_rocprim26transform_input_iterator_tIlNS8_12zip_iteratorINS8_5tupleINS8_6detail15normal_iteratorINS8_10device_ptrItEEEESH_NS8_9null_typeESI_SI_SI_SI_SI_SI_SI_EEEENS9_21zip_adj_not_predicateINS8_8equal_toItEEEEEEPllNS8_4plusIlEEEE10hipError_tPvRmT1_T2_T3_mT4_P12ihipStream_tbEUlT_E1_NS1_11comp_targetILNS1_3genE2ELNS1_11target_archE906ELNS1_3gpuE6ELNS1_3repE0EEENS1_30default_config_static_selectorELNS0_4arch9wavefront6targetE1EEEvSW_.num_vgpr, 36
	.set _ZN7rocprim17ROCPRIM_400000_NS6detail17trampoline_kernelINS0_14default_configENS1_22reduce_config_selectorIlEEZNS1_11reduce_implILb1ES3_N6thrust23THRUST_200600_302600_NS11hip_rocprim26transform_input_iterator_tIlNS8_12zip_iteratorINS8_5tupleINS8_6detail15normal_iteratorINS8_10device_ptrItEEEESH_NS8_9null_typeESI_SI_SI_SI_SI_SI_SI_EEEENS9_21zip_adj_not_predicateINS8_8equal_toItEEEEEEPllNS8_4plusIlEEEE10hipError_tPvRmT1_T2_T3_mT4_P12ihipStream_tbEUlT_E1_NS1_11comp_targetILNS1_3genE2ELNS1_11target_archE906ELNS1_3gpuE6ELNS1_3repE0EEENS1_30default_config_static_selectorELNS0_4arch9wavefront6targetE1EEEvSW_.num_agpr, 0
	.set _ZN7rocprim17ROCPRIM_400000_NS6detail17trampoline_kernelINS0_14default_configENS1_22reduce_config_selectorIlEEZNS1_11reduce_implILb1ES3_N6thrust23THRUST_200600_302600_NS11hip_rocprim26transform_input_iterator_tIlNS8_12zip_iteratorINS8_5tupleINS8_6detail15normal_iteratorINS8_10device_ptrItEEEESH_NS8_9null_typeESI_SI_SI_SI_SI_SI_SI_EEEENS9_21zip_adj_not_predicateINS8_8equal_toItEEEEEEPllNS8_4plusIlEEEE10hipError_tPvRmT1_T2_T3_mT4_P12ihipStream_tbEUlT_E1_NS1_11comp_targetILNS1_3genE2ELNS1_11target_archE906ELNS1_3gpuE6ELNS1_3repE0EEENS1_30default_config_static_selectorELNS0_4arch9wavefront6targetE1EEEvSW_.numbered_sgpr, 34
	.set _ZN7rocprim17ROCPRIM_400000_NS6detail17trampoline_kernelINS0_14default_configENS1_22reduce_config_selectorIlEEZNS1_11reduce_implILb1ES3_N6thrust23THRUST_200600_302600_NS11hip_rocprim26transform_input_iterator_tIlNS8_12zip_iteratorINS8_5tupleINS8_6detail15normal_iteratorINS8_10device_ptrItEEEESH_NS8_9null_typeESI_SI_SI_SI_SI_SI_SI_EEEENS9_21zip_adj_not_predicateINS8_8equal_toItEEEEEEPllNS8_4plusIlEEEE10hipError_tPvRmT1_T2_T3_mT4_P12ihipStream_tbEUlT_E1_NS1_11comp_targetILNS1_3genE2ELNS1_11target_archE906ELNS1_3gpuE6ELNS1_3repE0EEENS1_30default_config_static_selectorELNS0_4arch9wavefront6targetE1EEEvSW_.num_named_barrier, 0
	.set _ZN7rocprim17ROCPRIM_400000_NS6detail17trampoline_kernelINS0_14default_configENS1_22reduce_config_selectorIlEEZNS1_11reduce_implILb1ES3_N6thrust23THRUST_200600_302600_NS11hip_rocprim26transform_input_iterator_tIlNS8_12zip_iteratorINS8_5tupleINS8_6detail15normal_iteratorINS8_10device_ptrItEEEESH_NS8_9null_typeESI_SI_SI_SI_SI_SI_SI_EEEENS9_21zip_adj_not_predicateINS8_8equal_toItEEEEEEPllNS8_4plusIlEEEE10hipError_tPvRmT1_T2_T3_mT4_P12ihipStream_tbEUlT_E1_NS1_11comp_targetILNS1_3genE2ELNS1_11target_archE906ELNS1_3gpuE6ELNS1_3repE0EEENS1_30default_config_static_selectorELNS0_4arch9wavefront6targetE1EEEvSW_.private_seg_size, 0
	.set _ZN7rocprim17ROCPRIM_400000_NS6detail17trampoline_kernelINS0_14default_configENS1_22reduce_config_selectorIlEEZNS1_11reduce_implILb1ES3_N6thrust23THRUST_200600_302600_NS11hip_rocprim26transform_input_iterator_tIlNS8_12zip_iteratorINS8_5tupleINS8_6detail15normal_iteratorINS8_10device_ptrItEEEESH_NS8_9null_typeESI_SI_SI_SI_SI_SI_SI_EEEENS9_21zip_adj_not_predicateINS8_8equal_toItEEEEEEPllNS8_4plusIlEEEE10hipError_tPvRmT1_T2_T3_mT4_P12ihipStream_tbEUlT_E1_NS1_11comp_targetILNS1_3genE2ELNS1_11target_archE906ELNS1_3gpuE6ELNS1_3repE0EEENS1_30default_config_static_selectorELNS0_4arch9wavefront6targetE1EEEvSW_.uses_vcc, 1
	.set _ZN7rocprim17ROCPRIM_400000_NS6detail17trampoline_kernelINS0_14default_configENS1_22reduce_config_selectorIlEEZNS1_11reduce_implILb1ES3_N6thrust23THRUST_200600_302600_NS11hip_rocprim26transform_input_iterator_tIlNS8_12zip_iteratorINS8_5tupleINS8_6detail15normal_iteratorINS8_10device_ptrItEEEESH_NS8_9null_typeESI_SI_SI_SI_SI_SI_SI_EEEENS9_21zip_adj_not_predicateINS8_8equal_toItEEEEEEPllNS8_4plusIlEEEE10hipError_tPvRmT1_T2_T3_mT4_P12ihipStream_tbEUlT_E1_NS1_11comp_targetILNS1_3genE2ELNS1_11target_archE906ELNS1_3gpuE6ELNS1_3repE0EEENS1_30default_config_static_selectorELNS0_4arch9wavefront6targetE1EEEvSW_.uses_flat_scratch, 0
	.set _ZN7rocprim17ROCPRIM_400000_NS6detail17trampoline_kernelINS0_14default_configENS1_22reduce_config_selectorIlEEZNS1_11reduce_implILb1ES3_N6thrust23THRUST_200600_302600_NS11hip_rocprim26transform_input_iterator_tIlNS8_12zip_iteratorINS8_5tupleINS8_6detail15normal_iteratorINS8_10device_ptrItEEEESH_NS8_9null_typeESI_SI_SI_SI_SI_SI_SI_EEEENS9_21zip_adj_not_predicateINS8_8equal_toItEEEEEEPllNS8_4plusIlEEEE10hipError_tPvRmT1_T2_T3_mT4_P12ihipStream_tbEUlT_E1_NS1_11comp_targetILNS1_3genE2ELNS1_11target_archE906ELNS1_3gpuE6ELNS1_3repE0EEENS1_30default_config_static_selectorELNS0_4arch9wavefront6targetE1EEEvSW_.has_dyn_sized_stack, 0
	.set _ZN7rocprim17ROCPRIM_400000_NS6detail17trampoline_kernelINS0_14default_configENS1_22reduce_config_selectorIlEEZNS1_11reduce_implILb1ES3_N6thrust23THRUST_200600_302600_NS11hip_rocprim26transform_input_iterator_tIlNS8_12zip_iteratorINS8_5tupleINS8_6detail15normal_iteratorINS8_10device_ptrItEEEESH_NS8_9null_typeESI_SI_SI_SI_SI_SI_SI_EEEENS9_21zip_adj_not_predicateINS8_8equal_toItEEEEEEPllNS8_4plusIlEEEE10hipError_tPvRmT1_T2_T3_mT4_P12ihipStream_tbEUlT_E1_NS1_11comp_targetILNS1_3genE2ELNS1_11target_archE906ELNS1_3gpuE6ELNS1_3repE0EEENS1_30default_config_static_selectorELNS0_4arch9wavefront6targetE1EEEvSW_.has_recursion, 0
	.set _ZN7rocprim17ROCPRIM_400000_NS6detail17trampoline_kernelINS0_14default_configENS1_22reduce_config_selectorIlEEZNS1_11reduce_implILb1ES3_N6thrust23THRUST_200600_302600_NS11hip_rocprim26transform_input_iterator_tIlNS8_12zip_iteratorINS8_5tupleINS8_6detail15normal_iteratorINS8_10device_ptrItEEEESH_NS8_9null_typeESI_SI_SI_SI_SI_SI_SI_EEEENS9_21zip_adj_not_predicateINS8_8equal_toItEEEEEEPllNS8_4plusIlEEEE10hipError_tPvRmT1_T2_T3_mT4_P12ihipStream_tbEUlT_E1_NS1_11comp_targetILNS1_3genE2ELNS1_11target_archE906ELNS1_3gpuE6ELNS1_3repE0EEENS1_30default_config_static_selectorELNS0_4arch9wavefront6targetE1EEEvSW_.has_indirect_call, 0
	.section	.AMDGPU.csdata,"",@progbits
; Kernel info:
; codeLenInByte = 10580
; TotalNumSgprs: 38
; NumVgprs: 36
; ScratchSize: 0
; MemoryBound: 0
; FloatMode: 240
; IeeeMode: 1
; LDSByteSize: 192 bytes/workgroup (compile time only)
; SGPRBlocks: 4
; VGPRBlocks: 8
; NumSGPRsForWavesPerEU: 38
; NumVGPRsForWavesPerEU: 36
; Occupancy: 7
; WaveLimiterHint : 0
; COMPUTE_PGM_RSRC2:SCRATCH_EN: 0
; COMPUTE_PGM_RSRC2:USER_SGPR: 6
; COMPUTE_PGM_RSRC2:TRAP_HANDLER: 0
; COMPUTE_PGM_RSRC2:TGID_X_EN: 1
; COMPUTE_PGM_RSRC2:TGID_Y_EN: 0
; COMPUTE_PGM_RSRC2:TGID_Z_EN: 0
; COMPUTE_PGM_RSRC2:TIDIG_COMP_CNT: 0
	.section	.text._ZN7rocprim17ROCPRIM_400000_NS6detail17trampoline_kernelINS0_14default_configENS1_22reduce_config_selectorIlEEZNS1_11reduce_implILb1ES3_N6thrust23THRUST_200600_302600_NS11hip_rocprim26transform_input_iterator_tIlNS8_12zip_iteratorINS8_5tupleINS8_6detail15normal_iteratorINS8_10device_ptrItEEEESH_NS8_9null_typeESI_SI_SI_SI_SI_SI_SI_EEEENS9_21zip_adj_not_predicateINS8_8equal_toItEEEEEEPllNS8_4plusIlEEEE10hipError_tPvRmT1_T2_T3_mT4_P12ihipStream_tbEUlT_E1_NS1_11comp_targetILNS1_3genE10ELNS1_11target_archE1201ELNS1_3gpuE5ELNS1_3repE0EEENS1_30default_config_static_selectorELNS0_4arch9wavefront6targetE1EEEvSW_,"axG",@progbits,_ZN7rocprim17ROCPRIM_400000_NS6detail17trampoline_kernelINS0_14default_configENS1_22reduce_config_selectorIlEEZNS1_11reduce_implILb1ES3_N6thrust23THRUST_200600_302600_NS11hip_rocprim26transform_input_iterator_tIlNS8_12zip_iteratorINS8_5tupleINS8_6detail15normal_iteratorINS8_10device_ptrItEEEESH_NS8_9null_typeESI_SI_SI_SI_SI_SI_SI_EEEENS9_21zip_adj_not_predicateINS8_8equal_toItEEEEEEPllNS8_4plusIlEEEE10hipError_tPvRmT1_T2_T3_mT4_P12ihipStream_tbEUlT_E1_NS1_11comp_targetILNS1_3genE10ELNS1_11target_archE1201ELNS1_3gpuE5ELNS1_3repE0EEENS1_30default_config_static_selectorELNS0_4arch9wavefront6targetE1EEEvSW_,comdat
	.protected	_ZN7rocprim17ROCPRIM_400000_NS6detail17trampoline_kernelINS0_14default_configENS1_22reduce_config_selectorIlEEZNS1_11reduce_implILb1ES3_N6thrust23THRUST_200600_302600_NS11hip_rocprim26transform_input_iterator_tIlNS8_12zip_iteratorINS8_5tupleINS8_6detail15normal_iteratorINS8_10device_ptrItEEEESH_NS8_9null_typeESI_SI_SI_SI_SI_SI_SI_EEEENS9_21zip_adj_not_predicateINS8_8equal_toItEEEEEEPllNS8_4plusIlEEEE10hipError_tPvRmT1_T2_T3_mT4_P12ihipStream_tbEUlT_E1_NS1_11comp_targetILNS1_3genE10ELNS1_11target_archE1201ELNS1_3gpuE5ELNS1_3repE0EEENS1_30default_config_static_selectorELNS0_4arch9wavefront6targetE1EEEvSW_ ; -- Begin function _ZN7rocprim17ROCPRIM_400000_NS6detail17trampoline_kernelINS0_14default_configENS1_22reduce_config_selectorIlEEZNS1_11reduce_implILb1ES3_N6thrust23THRUST_200600_302600_NS11hip_rocprim26transform_input_iterator_tIlNS8_12zip_iteratorINS8_5tupleINS8_6detail15normal_iteratorINS8_10device_ptrItEEEESH_NS8_9null_typeESI_SI_SI_SI_SI_SI_SI_EEEENS9_21zip_adj_not_predicateINS8_8equal_toItEEEEEEPllNS8_4plusIlEEEE10hipError_tPvRmT1_T2_T3_mT4_P12ihipStream_tbEUlT_E1_NS1_11comp_targetILNS1_3genE10ELNS1_11target_archE1201ELNS1_3gpuE5ELNS1_3repE0EEENS1_30default_config_static_selectorELNS0_4arch9wavefront6targetE1EEEvSW_
	.globl	_ZN7rocprim17ROCPRIM_400000_NS6detail17trampoline_kernelINS0_14default_configENS1_22reduce_config_selectorIlEEZNS1_11reduce_implILb1ES3_N6thrust23THRUST_200600_302600_NS11hip_rocprim26transform_input_iterator_tIlNS8_12zip_iteratorINS8_5tupleINS8_6detail15normal_iteratorINS8_10device_ptrItEEEESH_NS8_9null_typeESI_SI_SI_SI_SI_SI_SI_EEEENS9_21zip_adj_not_predicateINS8_8equal_toItEEEEEEPllNS8_4plusIlEEEE10hipError_tPvRmT1_T2_T3_mT4_P12ihipStream_tbEUlT_E1_NS1_11comp_targetILNS1_3genE10ELNS1_11target_archE1201ELNS1_3gpuE5ELNS1_3repE0EEENS1_30default_config_static_selectorELNS0_4arch9wavefront6targetE1EEEvSW_
	.p2align	8
	.type	_ZN7rocprim17ROCPRIM_400000_NS6detail17trampoline_kernelINS0_14default_configENS1_22reduce_config_selectorIlEEZNS1_11reduce_implILb1ES3_N6thrust23THRUST_200600_302600_NS11hip_rocprim26transform_input_iterator_tIlNS8_12zip_iteratorINS8_5tupleINS8_6detail15normal_iteratorINS8_10device_ptrItEEEESH_NS8_9null_typeESI_SI_SI_SI_SI_SI_SI_EEEENS9_21zip_adj_not_predicateINS8_8equal_toItEEEEEEPllNS8_4plusIlEEEE10hipError_tPvRmT1_T2_T3_mT4_P12ihipStream_tbEUlT_E1_NS1_11comp_targetILNS1_3genE10ELNS1_11target_archE1201ELNS1_3gpuE5ELNS1_3repE0EEENS1_30default_config_static_selectorELNS0_4arch9wavefront6targetE1EEEvSW_,@function
_ZN7rocprim17ROCPRIM_400000_NS6detail17trampoline_kernelINS0_14default_configENS1_22reduce_config_selectorIlEEZNS1_11reduce_implILb1ES3_N6thrust23THRUST_200600_302600_NS11hip_rocprim26transform_input_iterator_tIlNS8_12zip_iteratorINS8_5tupleINS8_6detail15normal_iteratorINS8_10device_ptrItEEEESH_NS8_9null_typeESI_SI_SI_SI_SI_SI_SI_EEEENS9_21zip_adj_not_predicateINS8_8equal_toItEEEEEEPllNS8_4plusIlEEEE10hipError_tPvRmT1_T2_T3_mT4_P12ihipStream_tbEUlT_E1_NS1_11comp_targetILNS1_3genE10ELNS1_11target_archE1201ELNS1_3gpuE5ELNS1_3repE0EEENS1_30default_config_static_selectorELNS0_4arch9wavefront6targetE1EEEvSW_: ; @_ZN7rocprim17ROCPRIM_400000_NS6detail17trampoline_kernelINS0_14default_configENS1_22reduce_config_selectorIlEEZNS1_11reduce_implILb1ES3_N6thrust23THRUST_200600_302600_NS11hip_rocprim26transform_input_iterator_tIlNS8_12zip_iteratorINS8_5tupleINS8_6detail15normal_iteratorINS8_10device_ptrItEEEESH_NS8_9null_typeESI_SI_SI_SI_SI_SI_SI_EEEENS9_21zip_adj_not_predicateINS8_8equal_toItEEEEEEPllNS8_4plusIlEEEE10hipError_tPvRmT1_T2_T3_mT4_P12ihipStream_tbEUlT_E1_NS1_11comp_targetILNS1_3genE10ELNS1_11target_archE1201ELNS1_3gpuE5ELNS1_3repE0EEENS1_30default_config_static_selectorELNS0_4arch9wavefront6targetE1EEEvSW_
; %bb.0:
	.section	.rodata,"a",@progbits
	.p2align	6, 0x0
	.amdhsa_kernel _ZN7rocprim17ROCPRIM_400000_NS6detail17trampoline_kernelINS0_14default_configENS1_22reduce_config_selectorIlEEZNS1_11reduce_implILb1ES3_N6thrust23THRUST_200600_302600_NS11hip_rocprim26transform_input_iterator_tIlNS8_12zip_iteratorINS8_5tupleINS8_6detail15normal_iteratorINS8_10device_ptrItEEEESH_NS8_9null_typeESI_SI_SI_SI_SI_SI_SI_EEEENS9_21zip_adj_not_predicateINS8_8equal_toItEEEEEEPllNS8_4plusIlEEEE10hipError_tPvRmT1_T2_T3_mT4_P12ihipStream_tbEUlT_E1_NS1_11comp_targetILNS1_3genE10ELNS1_11target_archE1201ELNS1_3gpuE5ELNS1_3repE0EEENS1_30default_config_static_selectorELNS0_4arch9wavefront6targetE1EEEvSW_
		.amdhsa_group_segment_fixed_size 0
		.amdhsa_private_segment_fixed_size 0
		.amdhsa_kernarg_size 64
		.amdhsa_user_sgpr_count 6
		.amdhsa_user_sgpr_private_segment_buffer 1
		.amdhsa_user_sgpr_dispatch_ptr 0
		.amdhsa_user_sgpr_queue_ptr 0
		.amdhsa_user_sgpr_kernarg_segment_ptr 1
		.amdhsa_user_sgpr_dispatch_id 0
		.amdhsa_user_sgpr_flat_scratch_init 0
		.amdhsa_user_sgpr_private_segment_size 0
		.amdhsa_uses_dynamic_stack 0
		.amdhsa_system_sgpr_private_segment_wavefront_offset 0
		.amdhsa_system_sgpr_workgroup_id_x 1
		.amdhsa_system_sgpr_workgroup_id_y 0
		.amdhsa_system_sgpr_workgroup_id_z 0
		.amdhsa_system_sgpr_workgroup_info 0
		.amdhsa_system_vgpr_workitem_id 0
		.amdhsa_next_free_vgpr 1
		.amdhsa_next_free_sgpr 0
		.amdhsa_reserve_vcc 0
		.amdhsa_reserve_flat_scratch 0
		.amdhsa_float_round_mode_32 0
		.amdhsa_float_round_mode_16_64 0
		.amdhsa_float_denorm_mode_32 3
		.amdhsa_float_denorm_mode_16_64 3
		.amdhsa_dx10_clamp 1
		.amdhsa_ieee_mode 1
		.amdhsa_fp16_overflow 0
		.amdhsa_exception_fp_ieee_invalid_op 0
		.amdhsa_exception_fp_denorm_src 0
		.amdhsa_exception_fp_ieee_div_zero 0
		.amdhsa_exception_fp_ieee_overflow 0
		.amdhsa_exception_fp_ieee_underflow 0
		.amdhsa_exception_fp_ieee_inexact 0
		.amdhsa_exception_int_div_zero 0
	.end_amdhsa_kernel
	.section	.text._ZN7rocprim17ROCPRIM_400000_NS6detail17trampoline_kernelINS0_14default_configENS1_22reduce_config_selectorIlEEZNS1_11reduce_implILb1ES3_N6thrust23THRUST_200600_302600_NS11hip_rocprim26transform_input_iterator_tIlNS8_12zip_iteratorINS8_5tupleINS8_6detail15normal_iteratorINS8_10device_ptrItEEEESH_NS8_9null_typeESI_SI_SI_SI_SI_SI_SI_EEEENS9_21zip_adj_not_predicateINS8_8equal_toItEEEEEEPllNS8_4plusIlEEEE10hipError_tPvRmT1_T2_T3_mT4_P12ihipStream_tbEUlT_E1_NS1_11comp_targetILNS1_3genE10ELNS1_11target_archE1201ELNS1_3gpuE5ELNS1_3repE0EEENS1_30default_config_static_selectorELNS0_4arch9wavefront6targetE1EEEvSW_,"axG",@progbits,_ZN7rocprim17ROCPRIM_400000_NS6detail17trampoline_kernelINS0_14default_configENS1_22reduce_config_selectorIlEEZNS1_11reduce_implILb1ES3_N6thrust23THRUST_200600_302600_NS11hip_rocprim26transform_input_iterator_tIlNS8_12zip_iteratorINS8_5tupleINS8_6detail15normal_iteratorINS8_10device_ptrItEEEESH_NS8_9null_typeESI_SI_SI_SI_SI_SI_SI_EEEENS9_21zip_adj_not_predicateINS8_8equal_toItEEEEEEPllNS8_4plusIlEEEE10hipError_tPvRmT1_T2_T3_mT4_P12ihipStream_tbEUlT_E1_NS1_11comp_targetILNS1_3genE10ELNS1_11target_archE1201ELNS1_3gpuE5ELNS1_3repE0EEENS1_30default_config_static_selectorELNS0_4arch9wavefront6targetE1EEEvSW_,comdat
.Lfunc_end901:
	.size	_ZN7rocprim17ROCPRIM_400000_NS6detail17trampoline_kernelINS0_14default_configENS1_22reduce_config_selectorIlEEZNS1_11reduce_implILb1ES3_N6thrust23THRUST_200600_302600_NS11hip_rocprim26transform_input_iterator_tIlNS8_12zip_iteratorINS8_5tupleINS8_6detail15normal_iteratorINS8_10device_ptrItEEEESH_NS8_9null_typeESI_SI_SI_SI_SI_SI_SI_EEEENS9_21zip_adj_not_predicateINS8_8equal_toItEEEEEEPllNS8_4plusIlEEEE10hipError_tPvRmT1_T2_T3_mT4_P12ihipStream_tbEUlT_E1_NS1_11comp_targetILNS1_3genE10ELNS1_11target_archE1201ELNS1_3gpuE5ELNS1_3repE0EEENS1_30default_config_static_selectorELNS0_4arch9wavefront6targetE1EEEvSW_, .Lfunc_end901-_ZN7rocprim17ROCPRIM_400000_NS6detail17trampoline_kernelINS0_14default_configENS1_22reduce_config_selectorIlEEZNS1_11reduce_implILb1ES3_N6thrust23THRUST_200600_302600_NS11hip_rocprim26transform_input_iterator_tIlNS8_12zip_iteratorINS8_5tupleINS8_6detail15normal_iteratorINS8_10device_ptrItEEEESH_NS8_9null_typeESI_SI_SI_SI_SI_SI_SI_EEEENS9_21zip_adj_not_predicateINS8_8equal_toItEEEEEEPllNS8_4plusIlEEEE10hipError_tPvRmT1_T2_T3_mT4_P12ihipStream_tbEUlT_E1_NS1_11comp_targetILNS1_3genE10ELNS1_11target_archE1201ELNS1_3gpuE5ELNS1_3repE0EEENS1_30default_config_static_selectorELNS0_4arch9wavefront6targetE1EEEvSW_
                                        ; -- End function
	.set _ZN7rocprim17ROCPRIM_400000_NS6detail17trampoline_kernelINS0_14default_configENS1_22reduce_config_selectorIlEEZNS1_11reduce_implILb1ES3_N6thrust23THRUST_200600_302600_NS11hip_rocprim26transform_input_iterator_tIlNS8_12zip_iteratorINS8_5tupleINS8_6detail15normal_iteratorINS8_10device_ptrItEEEESH_NS8_9null_typeESI_SI_SI_SI_SI_SI_SI_EEEENS9_21zip_adj_not_predicateINS8_8equal_toItEEEEEEPllNS8_4plusIlEEEE10hipError_tPvRmT1_T2_T3_mT4_P12ihipStream_tbEUlT_E1_NS1_11comp_targetILNS1_3genE10ELNS1_11target_archE1201ELNS1_3gpuE5ELNS1_3repE0EEENS1_30default_config_static_selectorELNS0_4arch9wavefront6targetE1EEEvSW_.num_vgpr, 0
	.set _ZN7rocprim17ROCPRIM_400000_NS6detail17trampoline_kernelINS0_14default_configENS1_22reduce_config_selectorIlEEZNS1_11reduce_implILb1ES3_N6thrust23THRUST_200600_302600_NS11hip_rocprim26transform_input_iterator_tIlNS8_12zip_iteratorINS8_5tupleINS8_6detail15normal_iteratorINS8_10device_ptrItEEEESH_NS8_9null_typeESI_SI_SI_SI_SI_SI_SI_EEEENS9_21zip_adj_not_predicateINS8_8equal_toItEEEEEEPllNS8_4plusIlEEEE10hipError_tPvRmT1_T2_T3_mT4_P12ihipStream_tbEUlT_E1_NS1_11comp_targetILNS1_3genE10ELNS1_11target_archE1201ELNS1_3gpuE5ELNS1_3repE0EEENS1_30default_config_static_selectorELNS0_4arch9wavefront6targetE1EEEvSW_.num_agpr, 0
	.set _ZN7rocprim17ROCPRIM_400000_NS6detail17trampoline_kernelINS0_14default_configENS1_22reduce_config_selectorIlEEZNS1_11reduce_implILb1ES3_N6thrust23THRUST_200600_302600_NS11hip_rocprim26transform_input_iterator_tIlNS8_12zip_iteratorINS8_5tupleINS8_6detail15normal_iteratorINS8_10device_ptrItEEEESH_NS8_9null_typeESI_SI_SI_SI_SI_SI_SI_EEEENS9_21zip_adj_not_predicateINS8_8equal_toItEEEEEEPllNS8_4plusIlEEEE10hipError_tPvRmT1_T2_T3_mT4_P12ihipStream_tbEUlT_E1_NS1_11comp_targetILNS1_3genE10ELNS1_11target_archE1201ELNS1_3gpuE5ELNS1_3repE0EEENS1_30default_config_static_selectorELNS0_4arch9wavefront6targetE1EEEvSW_.numbered_sgpr, 0
	.set _ZN7rocprim17ROCPRIM_400000_NS6detail17trampoline_kernelINS0_14default_configENS1_22reduce_config_selectorIlEEZNS1_11reduce_implILb1ES3_N6thrust23THRUST_200600_302600_NS11hip_rocprim26transform_input_iterator_tIlNS8_12zip_iteratorINS8_5tupleINS8_6detail15normal_iteratorINS8_10device_ptrItEEEESH_NS8_9null_typeESI_SI_SI_SI_SI_SI_SI_EEEENS9_21zip_adj_not_predicateINS8_8equal_toItEEEEEEPllNS8_4plusIlEEEE10hipError_tPvRmT1_T2_T3_mT4_P12ihipStream_tbEUlT_E1_NS1_11comp_targetILNS1_3genE10ELNS1_11target_archE1201ELNS1_3gpuE5ELNS1_3repE0EEENS1_30default_config_static_selectorELNS0_4arch9wavefront6targetE1EEEvSW_.num_named_barrier, 0
	.set _ZN7rocprim17ROCPRIM_400000_NS6detail17trampoline_kernelINS0_14default_configENS1_22reduce_config_selectorIlEEZNS1_11reduce_implILb1ES3_N6thrust23THRUST_200600_302600_NS11hip_rocprim26transform_input_iterator_tIlNS8_12zip_iteratorINS8_5tupleINS8_6detail15normal_iteratorINS8_10device_ptrItEEEESH_NS8_9null_typeESI_SI_SI_SI_SI_SI_SI_EEEENS9_21zip_adj_not_predicateINS8_8equal_toItEEEEEEPllNS8_4plusIlEEEE10hipError_tPvRmT1_T2_T3_mT4_P12ihipStream_tbEUlT_E1_NS1_11comp_targetILNS1_3genE10ELNS1_11target_archE1201ELNS1_3gpuE5ELNS1_3repE0EEENS1_30default_config_static_selectorELNS0_4arch9wavefront6targetE1EEEvSW_.private_seg_size, 0
	.set _ZN7rocprim17ROCPRIM_400000_NS6detail17trampoline_kernelINS0_14default_configENS1_22reduce_config_selectorIlEEZNS1_11reduce_implILb1ES3_N6thrust23THRUST_200600_302600_NS11hip_rocprim26transform_input_iterator_tIlNS8_12zip_iteratorINS8_5tupleINS8_6detail15normal_iteratorINS8_10device_ptrItEEEESH_NS8_9null_typeESI_SI_SI_SI_SI_SI_SI_EEEENS9_21zip_adj_not_predicateINS8_8equal_toItEEEEEEPllNS8_4plusIlEEEE10hipError_tPvRmT1_T2_T3_mT4_P12ihipStream_tbEUlT_E1_NS1_11comp_targetILNS1_3genE10ELNS1_11target_archE1201ELNS1_3gpuE5ELNS1_3repE0EEENS1_30default_config_static_selectorELNS0_4arch9wavefront6targetE1EEEvSW_.uses_vcc, 0
	.set _ZN7rocprim17ROCPRIM_400000_NS6detail17trampoline_kernelINS0_14default_configENS1_22reduce_config_selectorIlEEZNS1_11reduce_implILb1ES3_N6thrust23THRUST_200600_302600_NS11hip_rocprim26transform_input_iterator_tIlNS8_12zip_iteratorINS8_5tupleINS8_6detail15normal_iteratorINS8_10device_ptrItEEEESH_NS8_9null_typeESI_SI_SI_SI_SI_SI_SI_EEEENS9_21zip_adj_not_predicateINS8_8equal_toItEEEEEEPllNS8_4plusIlEEEE10hipError_tPvRmT1_T2_T3_mT4_P12ihipStream_tbEUlT_E1_NS1_11comp_targetILNS1_3genE10ELNS1_11target_archE1201ELNS1_3gpuE5ELNS1_3repE0EEENS1_30default_config_static_selectorELNS0_4arch9wavefront6targetE1EEEvSW_.uses_flat_scratch, 0
	.set _ZN7rocprim17ROCPRIM_400000_NS6detail17trampoline_kernelINS0_14default_configENS1_22reduce_config_selectorIlEEZNS1_11reduce_implILb1ES3_N6thrust23THRUST_200600_302600_NS11hip_rocprim26transform_input_iterator_tIlNS8_12zip_iteratorINS8_5tupleINS8_6detail15normal_iteratorINS8_10device_ptrItEEEESH_NS8_9null_typeESI_SI_SI_SI_SI_SI_SI_EEEENS9_21zip_adj_not_predicateINS8_8equal_toItEEEEEEPllNS8_4plusIlEEEE10hipError_tPvRmT1_T2_T3_mT4_P12ihipStream_tbEUlT_E1_NS1_11comp_targetILNS1_3genE10ELNS1_11target_archE1201ELNS1_3gpuE5ELNS1_3repE0EEENS1_30default_config_static_selectorELNS0_4arch9wavefront6targetE1EEEvSW_.has_dyn_sized_stack, 0
	.set _ZN7rocprim17ROCPRIM_400000_NS6detail17trampoline_kernelINS0_14default_configENS1_22reduce_config_selectorIlEEZNS1_11reduce_implILb1ES3_N6thrust23THRUST_200600_302600_NS11hip_rocprim26transform_input_iterator_tIlNS8_12zip_iteratorINS8_5tupleINS8_6detail15normal_iteratorINS8_10device_ptrItEEEESH_NS8_9null_typeESI_SI_SI_SI_SI_SI_SI_EEEENS9_21zip_adj_not_predicateINS8_8equal_toItEEEEEEPllNS8_4plusIlEEEE10hipError_tPvRmT1_T2_T3_mT4_P12ihipStream_tbEUlT_E1_NS1_11comp_targetILNS1_3genE10ELNS1_11target_archE1201ELNS1_3gpuE5ELNS1_3repE0EEENS1_30default_config_static_selectorELNS0_4arch9wavefront6targetE1EEEvSW_.has_recursion, 0
	.set _ZN7rocprim17ROCPRIM_400000_NS6detail17trampoline_kernelINS0_14default_configENS1_22reduce_config_selectorIlEEZNS1_11reduce_implILb1ES3_N6thrust23THRUST_200600_302600_NS11hip_rocprim26transform_input_iterator_tIlNS8_12zip_iteratorINS8_5tupleINS8_6detail15normal_iteratorINS8_10device_ptrItEEEESH_NS8_9null_typeESI_SI_SI_SI_SI_SI_SI_EEEENS9_21zip_adj_not_predicateINS8_8equal_toItEEEEEEPllNS8_4plusIlEEEE10hipError_tPvRmT1_T2_T3_mT4_P12ihipStream_tbEUlT_E1_NS1_11comp_targetILNS1_3genE10ELNS1_11target_archE1201ELNS1_3gpuE5ELNS1_3repE0EEENS1_30default_config_static_selectorELNS0_4arch9wavefront6targetE1EEEvSW_.has_indirect_call, 0
	.section	.AMDGPU.csdata,"",@progbits
; Kernel info:
; codeLenInByte = 0
; TotalNumSgprs: 4
; NumVgprs: 0
; ScratchSize: 0
; MemoryBound: 0
; FloatMode: 240
; IeeeMode: 1
; LDSByteSize: 0 bytes/workgroup (compile time only)
; SGPRBlocks: 0
; VGPRBlocks: 0
; NumSGPRsForWavesPerEU: 4
; NumVGPRsForWavesPerEU: 1
; Occupancy: 10
; WaveLimiterHint : 0
; COMPUTE_PGM_RSRC2:SCRATCH_EN: 0
; COMPUTE_PGM_RSRC2:USER_SGPR: 6
; COMPUTE_PGM_RSRC2:TRAP_HANDLER: 0
; COMPUTE_PGM_RSRC2:TGID_X_EN: 1
; COMPUTE_PGM_RSRC2:TGID_Y_EN: 0
; COMPUTE_PGM_RSRC2:TGID_Z_EN: 0
; COMPUTE_PGM_RSRC2:TIDIG_COMP_CNT: 0
	.section	.text._ZN7rocprim17ROCPRIM_400000_NS6detail17trampoline_kernelINS0_14default_configENS1_22reduce_config_selectorIlEEZNS1_11reduce_implILb1ES3_N6thrust23THRUST_200600_302600_NS11hip_rocprim26transform_input_iterator_tIlNS8_12zip_iteratorINS8_5tupleINS8_6detail15normal_iteratorINS8_10device_ptrItEEEESH_NS8_9null_typeESI_SI_SI_SI_SI_SI_SI_EEEENS9_21zip_adj_not_predicateINS8_8equal_toItEEEEEEPllNS8_4plusIlEEEE10hipError_tPvRmT1_T2_T3_mT4_P12ihipStream_tbEUlT_E1_NS1_11comp_targetILNS1_3genE10ELNS1_11target_archE1200ELNS1_3gpuE4ELNS1_3repE0EEENS1_30default_config_static_selectorELNS0_4arch9wavefront6targetE1EEEvSW_,"axG",@progbits,_ZN7rocprim17ROCPRIM_400000_NS6detail17trampoline_kernelINS0_14default_configENS1_22reduce_config_selectorIlEEZNS1_11reduce_implILb1ES3_N6thrust23THRUST_200600_302600_NS11hip_rocprim26transform_input_iterator_tIlNS8_12zip_iteratorINS8_5tupleINS8_6detail15normal_iteratorINS8_10device_ptrItEEEESH_NS8_9null_typeESI_SI_SI_SI_SI_SI_SI_EEEENS9_21zip_adj_not_predicateINS8_8equal_toItEEEEEEPllNS8_4plusIlEEEE10hipError_tPvRmT1_T2_T3_mT4_P12ihipStream_tbEUlT_E1_NS1_11comp_targetILNS1_3genE10ELNS1_11target_archE1200ELNS1_3gpuE4ELNS1_3repE0EEENS1_30default_config_static_selectorELNS0_4arch9wavefront6targetE1EEEvSW_,comdat
	.protected	_ZN7rocprim17ROCPRIM_400000_NS6detail17trampoline_kernelINS0_14default_configENS1_22reduce_config_selectorIlEEZNS1_11reduce_implILb1ES3_N6thrust23THRUST_200600_302600_NS11hip_rocprim26transform_input_iterator_tIlNS8_12zip_iteratorINS8_5tupleINS8_6detail15normal_iteratorINS8_10device_ptrItEEEESH_NS8_9null_typeESI_SI_SI_SI_SI_SI_SI_EEEENS9_21zip_adj_not_predicateINS8_8equal_toItEEEEEEPllNS8_4plusIlEEEE10hipError_tPvRmT1_T2_T3_mT4_P12ihipStream_tbEUlT_E1_NS1_11comp_targetILNS1_3genE10ELNS1_11target_archE1200ELNS1_3gpuE4ELNS1_3repE0EEENS1_30default_config_static_selectorELNS0_4arch9wavefront6targetE1EEEvSW_ ; -- Begin function _ZN7rocprim17ROCPRIM_400000_NS6detail17trampoline_kernelINS0_14default_configENS1_22reduce_config_selectorIlEEZNS1_11reduce_implILb1ES3_N6thrust23THRUST_200600_302600_NS11hip_rocprim26transform_input_iterator_tIlNS8_12zip_iteratorINS8_5tupleINS8_6detail15normal_iteratorINS8_10device_ptrItEEEESH_NS8_9null_typeESI_SI_SI_SI_SI_SI_SI_EEEENS9_21zip_adj_not_predicateINS8_8equal_toItEEEEEEPllNS8_4plusIlEEEE10hipError_tPvRmT1_T2_T3_mT4_P12ihipStream_tbEUlT_E1_NS1_11comp_targetILNS1_3genE10ELNS1_11target_archE1200ELNS1_3gpuE4ELNS1_3repE0EEENS1_30default_config_static_selectorELNS0_4arch9wavefront6targetE1EEEvSW_
	.globl	_ZN7rocprim17ROCPRIM_400000_NS6detail17trampoline_kernelINS0_14default_configENS1_22reduce_config_selectorIlEEZNS1_11reduce_implILb1ES3_N6thrust23THRUST_200600_302600_NS11hip_rocprim26transform_input_iterator_tIlNS8_12zip_iteratorINS8_5tupleINS8_6detail15normal_iteratorINS8_10device_ptrItEEEESH_NS8_9null_typeESI_SI_SI_SI_SI_SI_SI_EEEENS9_21zip_adj_not_predicateINS8_8equal_toItEEEEEEPllNS8_4plusIlEEEE10hipError_tPvRmT1_T2_T3_mT4_P12ihipStream_tbEUlT_E1_NS1_11comp_targetILNS1_3genE10ELNS1_11target_archE1200ELNS1_3gpuE4ELNS1_3repE0EEENS1_30default_config_static_selectorELNS0_4arch9wavefront6targetE1EEEvSW_
	.p2align	8
	.type	_ZN7rocprim17ROCPRIM_400000_NS6detail17trampoline_kernelINS0_14default_configENS1_22reduce_config_selectorIlEEZNS1_11reduce_implILb1ES3_N6thrust23THRUST_200600_302600_NS11hip_rocprim26transform_input_iterator_tIlNS8_12zip_iteratorINS8_5tupleINS8_6detail15normal_iteratorINS8_10device_ptrItEEEESH_NS8_9null_typeESI_SI_SI_SI_SI_SI_SI_EEEENS9_21zip_adj_not_predicateINS8_8equal_toItEEEEEEPllNS8_4plusIlEEEE10hipError_tPvRmT1_T2_T3_mT4_P12ihipStream_tbEUlT_E1_NS1_11comp_targetILNS1_3genE10ELNS1_11target_archE1200ELNS1_3gpuE4ELNS1_3repE0EEENS1_30default_config_static_selectorELNS0_4arch9wavefront6targetE1EEEvSW_,@function
_ZN7rocprim17ROCPRIM_400000_NS6detail17trampoline_kernelINS0_14default_configENS1_22reduce_config_selectorIlEEZNS1_11reduce_implILb1ES3_N6thrust23THRUST_200600_302600_NS11hip_rocprim26transform_input_iterator_tIlNS8_12zip_iteratorINS8_5tupleINS8_6detail15normal_iteratorINS8_10device_ptrItEEEESH_NS8_9null_typeESI_SI_SI_SI_SI_SI_SI_EEEENS9_21zip_adj_not_predicateINS8_8equal_toItEEEEEEPllNS8_4plusIlEEEE10hipError_tPvRmT1_T2_T3_mT4_P12ihipStream_tbEUlT_E1_NS1_11comp_targetILNS1_3genE10ELNS1_11target_archE1200ELNS1_3gpuE4ELNS1_3repE0EEENS1_30default_config_static_selectorELNS0_4arch9wavefront6targetE1EEEvSW_: ; @_ZN7rocprim17ROCPRIM_400000_NS6detail17trampoline_kernelINS0_14default_configENS1_22reduce_config_selectorIlEEZNS1_11reduce_implILb1ES3_N6thrust23THRUST_200600_302600_NS11hip_rocprim26transform_input_iterator_tIlNS8_12zip_iteratorINS8_5tupleINS8_6detail15normal_iteratorINS8_10device_ptrItEEEESH_NS8_9null_typeESI_SI_SI_SI_SI_SI_SI_EEEENS9_21zip_adj_not_predicateINS8_8equal_toItEEEEEEPllNS8_4plusIlEEEE10hipError_tPvRmT1_T2_T3_mT4_P12ihipStream_tbEUlT_E1_NS1_11comp_targetILNS1_3genE10ELNS1_11target_archE1200ELNS1_3gpuE4ELNS1_3repE0EEENS1_30default_config_static_selectorELNS0_4arch9wavefront6targetE1EEEvSW_
; %bb.0:
	.section	.rodata,"a",@progbits
	.p2align	6, 0x0
	.amdhsa_kernel _ZN7rocprim17ROCPRIM_400000_NS6detail17trampoline_kernelINS0_14default_configENS1_22reduce_config_selectorIlEEZNS1_11reduce_implILb1ES3_N6thrust23THRUST_200600_302600_NS11hip_rocprim26transform_input_iterator_tIlNS8_12zip_iteratorINS8_5tupleINS8_6detail15normal_iteratorINS8_10device_ptrItEEEESH_NS8_9null_typeESI_SI_SI_SI_SI_SI_SI_EEEENS9_21zip_adj_not_predicateINS8_8equal_toItEEEEEEPllNS8_4plusIlEEEE10hipError_tPvRmT1_T2_T3_mT4_P12ihipStream_tbEUlT_E1_NS1_11comp_targetILNS1_3genE10ELNS1_11target_archE1200ELNS1_3gpuE4ELNS1_3repE0EEENS1_30default_config_static_selectorELNS0_4arch9wavefront6targetE1EEEvSW_
		.amdhsa_group_segment_fixed_size 0
		.amdhsa_private_segment_fixed_size 0
		.amdhsa_kernarg_size 64
		.amdhsa_user_sgpr_count 6
		.amdhsa_user_sgpr_private_segment_buffer 1
		.amdhsa_user_sgpr_dispatch_ptr 0
		.amdhsa_user_sgpr_queue_ptr 0
		.amdhsa_user_sgpr_kernarg_segment_ptr 1
		.amdhsa_user_sgpr_dispatch_id 0
		.amdhsa_user_sgpr_flat_scratch_init 0
		.amdhsa_user_sgpr_private_segment_size 0
		.amdhsa_uses_dynamic_stack 0
		.amdhsa_system_sgpr_private_segment_wavefront_offset 0
		.amdhsa_system_sgpr_workgroup_id_x 1
		.amdhsa_system_sgpr_workgroup_id_y 0
		.amdhsa_system_sgpr_workgroup_id_z 0
		.amdhsa_system_sgpr_workgroup_info 0
		.amdhsa_system_vgpr_workitem_id 0
		.amdhsa_next_free_vgpr 1
		.amdhsa_next_free_sgpr 0
		.amdhsa_reserve_vcc 0
		.amdhsa_reserve_flat_scratch 0
		.amdhsa_float_round_mode_32 0
		.amdhsa_float_round_mode_16_64 0
		.amdhsa_float_denorm_mode_32 3
		.amdhsa_float_denorm_mode_16_64 3
		.amdhsa_dx10_clamp 1
		.amdhsa_ieee_mode 1
		.amdhsa_fp16_overflow 0
		.amdhsa_exception_fp_ieee_invalid_op 0
		.amdhsa_exception_fp_denorm_src 0
		.amdhsa_exception_fp_ieee_div_zero 0
		.amdhsa_exception_fp_ieee_overflow 0
		.amdhsa_exception_fp_ieee_underflow 0
		.amdhsa_exception_fp_ieee_inexact 0
		.amdhsa_exception_int_div_zero 0
	.end_amdhsa_kernel
	.section	.text._ZN7rocprim17ROCPRIM_400000_NS6detail17trampoline_kernelINS0_14default_configENS1_22reduce_config_selectorIlEEZNS1_11reduce_implILb1ES3_N6thrust23THRUST_200600_302600_NS11hip_rocprim26transform_input_iterator_tIlNS8_12zip_iteratorINS8_5tupleINS8_6detail15normal_iteratorINS8_10device_ptrItEEEESH_NS8_9null_typeESI_SI_SI_SI_SI_SI_SI_EEEENS9_21zip_adj_not_predicateINS8_8equal_toItEEEEEEPllNS8_4plusIlEEEE10hipError_tPvRmT1_T2_T3_mT4_P12ihipStream_tbEUlT_E1_NS1_11comp_targetILNS1_3genE10ELNS1_11target_archE1200ELNS1_3gpuE4ELNS1_3repE0EEENS1_30default_config_static_selectorELNS0_4arch9wavefront6targetE1EEEvSW_,"axG",@progbits,_ZN7rocprim17ROCPRIM_400000_NS6detail17trampoline_kernelINS0_14default_configENS1_22reduce_config_selectorIlEEZNS1_11reduce_implILb1ES3_N6thrust23THRUST_200600_302600_NS11hip_rocprim26transform_input_iterator_tIlNS8_12zip_iteratorINS8_5tupleINS8_6detail15normal_iteratorINS8_10device_ptrItEEEESH_NS8_9null_typeESI_SI_SI_SI_SI_SI_SI_EEEENS9_21zip_adj_not_predicateINS8_8equal_toItEEEEEEPllNS8_4plusIlEEEE10hipError_tPvRmT1_T2_T3_mT4_P12ihipStream_tbEUlT_E1_NS1_11comp_targetILNS1_3genE10ELNS1_11target_archE1200ELNS1_3gpuE4ELNS1_3repE0EEENS1_30default_config_static_selectorELNS0_4arch9wavefront6targetE1EEEvSW_,comdat
.Lfunc_end902:
	.size	_ZN7rocprim17ROCPRIM_400000_NS6detail17trampoline_kernelINS0_14default_configENS1_22reduce_config_selectorIlEEZNS1_11reduce_implILb1ES3_N6thrust23THRUST_200600_302600_NS11hip_rocprim26transform_input_iterator_tIlNS8_12zip_iteratorINS8_5tupleINS8_6detail15normal_iteratorINS8_10device_ptrItEEEESH_NS8_9null_typeESI_SI_SI_SI_SI_SI_SI_EEEENS9_21zip_adj_not_predicateINS8_8equal_toItEEEEEEPllNS8_4plusIlEEEE10hipError_tPvRmT1_T2_T3_mT4_P12ihipStream_tbEUlT_E1_NS1_11comp_targetILNS1_3genE10ELNS1_11target_archE1200ELNS1_3gpuE4ELNS1_3repE0EEENS1_30default_config_static_selectorELNS0_4arch9wavefront6targetE1EEEvSW_, .Lfunc_end902-_ZN7rocprim17ROCPRIM_400000_NS6detail17trampoline_kernelINS0_14default_configENS1_22reduce_config_selectorIlEEZNS1_11reduce_implILb1ES3_N6thrust23THRUST_200600_302600_NS11hip_rocprim26transform_input_iterator_tIlNS8_12zip_iteratorINS8_5tupleINS8_6detail15normal_iteratorINS8_10device_ptrItEEEESH_NS8_9null_typeESI_SI_SI_SI_SI_SI_SI_EEEENS9_21zip_adj_not_predicateINS8_8equal_toItEEEEEEPllNS8_4plusIlEEEE10hipError_tPvRmT1_T2_T3_mT4_P12ihipStream_tbEUlT_E1_NS1_11comp_targetILNS1_3genE10ELNS1_11target_archE1200ELNS1_3gpuE4ELNS1_3repE0EEENS1_30default_config_static_selectorELNS0_4arch9wavefront6targetE1EEEvSW_
                                        ; -- End function
	.set _ZN7rocprim17ROCPRIM_400000_NS6detail17trampoline_kernelINS0_14default_configENS1_22reduce_config_selectorIlEEZNS1_11reduce_implILb1ES3_N6thrust23THRUST_200600_302600_NS11hip_rocprim26transform_input_iterator_tIlNS8_12zip_iteratorINS8_5tupleINS8_6detail15normal_iteratorINS8_10device_ptrItEEEESH_NS8_9null_typeESI_SI_SI_SI_SI_SI_SI_EEEENS9_21zip_adj_not_predicateINS8_8equal_toItEEEEEEPllNS8_4plusIlEEEE10hipError_tPvRmT1_T2_T3_mT4_P12ihipStream_tbEUlT_E1_NS1_11comp_targetILNS1_3genE10ELNS1_11target_archE1200ELNS1_3gpuE4ELNS1_3repE0EEENS1_30default_config_static_selectorELNS0_4arch9wavefront6targetE1EEEvSW_.num_vgpr, 0
	.set _ZN7rocprim17ROCPRIM_400000_NS6detail17trampoline_kernelINS0_14default_configENS1_22reduce_config_selectorIlEEZNS1_11reduce_implILb1ES3_N6thrust23THRUST_200600_302600_NS11hip_rocprim26transform_input_iterator_tIlNS8_12zip_iteratorINS8_5tupleINS8_6detail15normal_iteratorINS8_10device_ptrItEEEESH_NS8_9null_typeESI_SI_SI_SI_SI_SI_SI_EEEENS9_21zip_adj_not_predicateINS8_8equal_toItEEEEEEPllNS8_4plusIlEEEE10hipError_tPvRmT1_T2_T3_mT4_P12ihipStream_tbEUlT_E1_NS1_11comp_targetILNS1_3genE10ELNS1_11target_archE1200ELNS1_3gpuE4ELNS1_3repE0EEENS1_30default_config_static_selectorELNS0_4arch9wavefront6targetE1EEEvSW_.num_agpr, 0
	.set _ZN7rocprim17ROCPRIM_400000_NS6detail17trampoline_kernelINS0_14default_configENS1_22reduce_config_selectorIlEEZNS1_11reduce_implILb1ES3_N6thrust23THRUST_200600_302600_NS11hip_rocprim26transform_input_iterator_tIlNS8_12zip_iteratorINS8_5tupleINS8_6detail15normal_iteratorINS8_10device_ptrItEEEESH_NS8_9null_typeESI_SI_SI_SI_SI_SI_SI_EEEENS9_21zip_adj_not_predicateINS8_8equal_toItEEEEEEPllNS8_4plusIlEEEE10hipError_tPvRmT1_T2_T3_mT4_P12ihipStream_tbEUlT_E1_NS1_11comp_targetILNS1_3genE10ELNS1_11target_archE1200ELNS1_3gpuE4ELNS1_3repE0EEENS1_30default_config_static_selectorELNS0_4arch9wavefront6targetE1EEEvSW_.numbered_sgpr, 0
	.set _ZN7rocprim17ROCPRIM_400000_NS6detail17trampoline_kernelINS0_14default_configENS1_22reduce_config_selectorIlEEZNS1_11reduce_implILb1ES3_N6thrust23THRUST_200600_302600_NS11hip_rocprim26transform_input_iterator_tIlNS8_12zip_iteratorINS8_5tupleINS8_6detail15normal_iteratorINS8_10device_ptrItEEEESH_NS8_9null_typeESI_SI_SI_SI_SI_SI_SI_EEEENS9_21zip_adj_not_predicateINS8_8equal_toItEEEEEEPllNS8_4plusIlEEEE10hipError_tPvRmT1_T2_T3_mT4_P12ihipStream_tbEUlT_E1_NS1_11comp_targetILNS1_3genE10ELNS1_11target_archE1200ELNS1_3gpuE4ELNS1_3repE0EEENS1_30default_config_static_selectorELNS0_4arch9wavefront6targetE1EEEvSW_.num_named_barrier, 0
	.set _ZN7rocprim17ROCPRIM_400000_NS6detail17trampoline_kernelINS0_14default_configENS1_22reduce_config_selectorIlEEZNS1_11reduce_implILb1ES3_N6thrust23THRUST_200600_302600_NS11hip_rocprim26transform_input_iterator_tIlNS8_12zip_iteratorINS8_5tupleINS8_6detail15normal_iteratorINS8_10device_ptrItEEEESH_NS8_9null_typeESI_SI_SI_SI_SI_SI_SI_EEEENS9_21zip_adj_not_predicateINS8_8equal_toItEEEEEEPllNS8_4plusIlEEEE10hipError_tPvRmT1_T2_T3_mT4_P12ihipStream_tbEUlT_E1_NS1_11comp_targetILNS1_3genE10ELNS1_11target_archE1200ELNS1_3gpuE4ELNS1_3repE0EEENS1_30default_config_static_selectorELNS0_4arch9wavefront6targetE1EEEvSW_.private_seg_size, 0
	.set _ZN7rocprim17ROCPRIM_400000_NS6detail17trampoline_kernelINS0_14default_configENS1_22reduce_config_selectorIlEEZNS1_11reduce_implILb1ES3_N6thrust23THRUST_200600_302600_NS11hip_rocprim26transform_input_iterator_tIlNS8_12zip_iteratorINS8_5tupleINS8_6detail15normal_iteratorINS8_10device_ptrItEEEESH_NS8_9null_typeESI_SI_SI_SI_SI_SI_SI_EEEENS9_21zip_adj_not_predicateINS8_8equal_toItEEEEEEPllNS8_4plusIlEEEE10hipError_tPvRmT1_T2_T3_mT4_P12ihipStream_tbEUlT_E1_NS1_11comp_targetILNS1_3genE10ELNS1_11target_archE1200ELNS1_3gpuE4ELNS1_3repE0EEENS1_30default_config_static_selectorELNS0_4arch9wavefront6targetE1EEEvSW_.uses_vcc, 0
	.set _ZN7rocprim17ROCPRIM_400000_NS6detail17trampoline_kernelINS0_14default_configENS1_22reduce_config_selectorIlEEZNS1_11reduce_implILb1ES3_N6thrust23THRUST_200600_302600_NS11hip_rocprim26transform_input_iterator_tIlNS8_12zip_iteratorINS8_5tupleINS8_6detail15normal_iteratorINS8_10device_ptrItEEEESH_NS8_9null_typeESI_SI_SI_SI_SI_SI_SI_EEEENS9_21zip_adj_not_predicateINS8_8equal_toItEEEEEEPllNS8_4plusIlEEEE10hipError_tPvRmT1_T2_T3_mT4_P12ihipStream_tbEUlT_E1_NS1_11comp_targetILNS1_3genE10ELNS1_11target_archE1200ELNS1_3gpuE4ELNS1_3repE0EEENS1_30default_config_static_selectorELNS0_4arch9wavefront6targetE1EEEvSW_.uses_flat_scratch, 0
	.set _ZN7rocprim17ROCPRIM_400000_NS6detail17trampoline_kernelINS0_14default_configENS1_22reduce_config_selectorIlEEZNS1_11reduce_implILb1ES3_N6thrust23THRUST_200600_302600_NS11hip_rocprim26transform_input_iterator_tIlNS8_12zip_iteratorINS8_5tupleINS8_6detail15normal_iteratorINS8_10device_ptrItEEEESH_NS8_9null_typeESI_SI_SI_SI_SI_SI_SI_EEEENS9_21zip_adj_not_predicateINS8_8equal_toItEEEEEEPllNS8_4plusIlEEEE10hipError_tPvRmT1_T2_T3_mT4_P12ihipStream_tbEUlT_E1_NS1_11comp_targetILNS1_3genE10ELNS1_11target_archE1200ELNS1_3gpuE4ELNS1_3repE0EEENS1_30default_config_static_selectorELNS0_4arch9wavefront6targetE1EEEvSW_.has_dyn_sized_stack, 0
	.set _ZN7rocprim17ROCPRIM_400000_NS6detail17trampoline_kernelINS0_14default_configENS1_22reduce_config_selectorIlEEZNS1_11reduce_implILb1ES3_N6thrust23THRUST_200600_302600_NS11hip_rocprim26transform_input_iterator_tIlNS8_12zip_iteratorINS8_5tupleINS8_6detail15normal_iteratorINS8_10device_ptrItEEEESH_NS8_9null_typeESI_SI_SI_SI_SI_SI_SI_EEEENS9_21zip_adj_not_predicateINS8_8equal_toItEEEEEEPllNS8_4plusIlEEEE10hipError_tPvRmT1_T2_T3_mT4_P12ihipStream_tbEUlT_E1_NS1_11comp_targetILNS1_3genE10ELNS1_11target_archE1200ELNS1_3gpuE4ELNS1_3repE0EEENS1_30default_config_static_selectorELNS0_4arch9wavefront6targetE1EEEvSW_.has_recursion, 0
	.set _ZN7rocprim17ROCPRIM_400000_NS6detail17trampoline_kernelINS0_14default_configENS1_22reduce_config_selectorIlEEZNS1_11reduce_implILb1ES3_N6thrust23THRUST_200600_302600_NS11hip_rocprim26transform_input_iterator_tIlNS8_12zip_iteratorINS8_5tupleINS8_6detail15normal_iteratorINS8_10device_ptrItEEEESH_NS8_9null_typeESI_SI_SI_SI_SI_SI_SI_EEEENS9_21zip_adj_not_predicateINS8_8equal_toItEEEEEEPllNS8_4plusIlEEEE10hipError_tPvRmT1_T2_T3_mT4_P12ihipStream_tbEUlT_E1_NS1_11comp_targetILNS1_3genE10ELNS1_11target_archE1200ELNS1_3gpuE4ELNS1_3repE0EEENS1_30default_config_static_selectorELNS0_4arch9wavefront6targetE1EEEvSW_.has_indirect_call, 0
	.section	.AMDGPU.csdata,"",@progbits
; Kernel info:
; codeLenInByte = 0
; TotalNumSgprs: 4
; NumVgprs: 0
; ScratchSize: 0
; MemoryBound: 0
; FloatMode: 240
; IeeeMode: 1
; LDSByteSize: 0 bytes/workgroup (compile time only)
; SGPRBlocks: 0
; VGPRBlocks: 0
; NumSGPRsForWavesPerEU: 4
; NumVGPRsForWavesPerEU: 1
; Occupancy: 10
; WaveLimiterHint : 0
; COMPUTE_PGM_RSRC2:SCRATCH_EN: 0
; COMPUTE_PGM_RSRC2:USER_SGPR: 6
; COMPUTE_PGM_RSRC2:TRAP_HANDLER: 0
; COMPUTE_PGM_RSRC2:TGID_X_EN: 1
; COMPUTE_PGM_RSRC2:TGID_Y_EN: 0
; COMPUTE_PGM_RSRC2:TGID_Z_EN: 0
; COMPUTE_PGM_RSRC2:TIDIG_COMP_CNT: 0
	.section	.text._ZN7rocprim17ROCPRIM_400000_NS6detail17trampoline_kernelINS0_14default_configENS1_22reduce_config_selectorIlEEZNS1_11reduce_implILb1ES3_N6thrust23THRUST_200600_302600_NS11hip_rocprim26transform_input_iterator_tIlNS8_12zip_iteratorINS8_5tupleINS8_6detail15normal_iteratorINS8_10device_ptrItEEEESH_NS8_9null_typeESI_SI_SI_SI_SI_SI_SI_EEEENS9_21zip_adj_not_predicateINS8_8equal_toItEEEEEEPllNS8_4plusIlEEEE10hipError_tPvRmT1_T2_T3_mT4_P12ihipStream_tbEUlT_E1_NS1_11comp_targetILNS1_3genE9ELNS1_11target_archE1100ELNS1_3gpuE3ELNS1_3repE0EEENS1_30default_config_static_selectorELNS0_4arch9wavefront6targetE1EEEvSW_,"axG",@progbits,_ZN7rocprim17ROCPRIM_400000_NS6detail17trampoline_kernelINS0_14default_configENS1_22reduce_config_selectorIlEEZNS1_11reduce_implILb1ES3_N6thrust23THRUST_200600_302600_NS11hip_rocprim26transform_input_iterator_tIlNS8_12zip_iteratorINS8_5tupleINS8_6detail15normal_iteratorINS8_10device_ptrItEEEESH_NS8_9null_typeESI_SI_SI_SI_SI_SI_SI_EEEENS9_21zip_adj_not_predicateINS8_8equal_toItEEEEEEPllNS8_4plusIlEEEE10hipError_tPvRmT1_T2_T3_mT4_P12ihipStream_tbEUlT_E1_NS1_11comp_targetILNS1_3genE9ELNS1_11target_archE1100ELNS1_3gpuE3ELNS1_3repE0EEENS1_30default_config_static_selectorELNS0_4arch9wavefront6targetE1EEEvSW_,comdat
	.protected	_ZN7rocprim17ROCPRIM_400000_NS6detail17trampoline_kernelINS0_14default_configENS1_22reduce_config_selectorIlEEZNS1_11reduce_implILb1ES3_N6thrust23THRUST_200600_302600_NS11hip_rocprim26transform_input_iterator_tIlNS8_12zip_iteratorINS8_5tupleINS8_6detail15normal_iteratorINS8_10device_ptrItEEEESH_NS8_9null_typeESI_SI_SI_SI_SI_SI_SI_EEEENS9_21zip_adj_not_predicateINS8_8equal_toItEEEEEEPllNS8_4plusIlEEEE10hipError_tPvRmT1_T2_T3_mT4_P12ihipStream_tbEUlT_E1_NS1_11comp_targetILNS1_3genE9ELNS1_11target_archE1100ELNS1_3gpuE3ELNS1_3repE0EEENS1_30default_config_static_selectorELNS0_4arch9wavefront6targetE1EEEvSW_ ; -- Begin function _ZN7rocprim17ROCPRIM_400000_NS6detail17trampoline_kernelINS0_14default_configENS1_22reduce_config_selectorIlEEZNS1_11reduce_implILb1ES3_N6thrust23THRUST_200600_302600_NS11hip_rocprim26transform_input_iterator_tIlNS8_12zip_iteratorINS8_5tupleINS8_6detail15normal_iteratorINS8_10device_ptrItEEEESH_NS8_9null_typeESI_SI_SI_SI_SI_SI_SI_EEEENS9_21zip_adj_not_predicateINS8_8equal_toItEEEEEEPllNS8_4plusIlEEEE10hipError_tPvRmT1_T2_T3_mT4_P12ihipStream_tbEUlT_E1_NS1_11comp_targetILNS1_3genE9ELNS1_11target_archE1100ELNS1_3gpuE3ELNS1_3repE0EEENS1_30default_config_static_selectorELNS0_4arch9wavefront6targetE1EEEvSW_
	.globl	_ZN7rocprim17ROCPRIM_400000_NS6detail17trampoline_kernelINS0_14default_configENS1_22reduce_config_selectorIlEEZNS1_11reduce_implILb1ES3_N6thrust23THRUST_200600_302600_NS11hip_rocprim26transform_input_iterator_tIlNS8_12zip_iteratorINS8_5tupleINS8_6detail15normal_iteratorINS8_10device_ptrItEEEESH_NS8_9null_typeESI_SI_SI_SI_SI_SI_SI_EEEENS9_21zip_adj_not_predicateINS8_8equal_toItEEEEEEPllNS8_4plusIlEEEE10hipError_tPvRmT1_T2_T3_mT4_P12ihipStream_tbEUlT_E1_NS1_11comp_targetILNS1_3genE9ELNS1_11target_archE1100ELNS1_3gpuE3ELNS1_3repE0EEENS1_30default_config_static_selectorELNS0_4arch9wavefront6targetE1EEEvSW_
	.p2align	8
	.type	_ZN7rocprim17ROCPRIM_400000_NS6detail17trampoline_kernelINS0_14default_configENS1_22reduce_config_selectorIlEEZNS1_11reduce_implILb1ES3_N6thrust23THRUST_200600_302600_NS11hip_rocprim26transform_input_iterator_tIlNS8_12zip_iteratorINS8_5tupleINS8_6detail15normal_iteratorINS8_10device_ptrItEEEESH_NS8_9null_typeESI_SI_SI_SI_SI_SI_SI_EEEENS9_21zip_adj_not_predicateINS8_8equal_toItEEEEEEPllNS8_4plusIlEEEE10hipError_tPvRmT1_T2_T3_mT4_P12ihipStream_tbEUlT_E1_NS1_11comp_targetILNS1_3genE9ELNS1_11target_archE1100ELNS1_3gpuE3ELNS1_3repE0EEENS1_30default_config_static_selectorELNS0_4arch9wavefront6targetE1EEEvSW_,@function
_ZN7rocprim17ROCPRIM_400000_NS6detail17trampoline_kernelINS0_14default_configENS1_22reduce_config_selectorIlEEZNS1_11reduce_implILb1ES3_N6thrust23THRUST_200600_302600_NS11hip_rocprim26transform_input_iterator_tIlNS8_12zip_iteratorINS8_5tupleINS8_6detail15normal_iteratorINS8_10device_ptrItEEEESH_NS8_9null_typeESI_SI_SI_SI_SI_SI_SI_EEEENS9_21zip_adj_not_predicateINS8_8equal_toItEEEEEEPllNS8_4plusIlEEEE10hipError_tPvRmT1_T2_T3_mT4_P12ihipStream_tbEUlT_E1_NS1_11comp_targetILNS1_3genE9ELNS1_11target_archE1100ELNS1_3gpuE3ELNS1_3repE0EEENS1_30default_config_static_selectorELNS0_4arch9wavefront6targetE1EEEvSW_: ; @_ZN7rocprim17ROCPRIM_400000_NS6detail17trampoline_kernelINS0_14default_configENS1_22reduce_config_selectorIlEEZNS1_11reduce_implILb1ES3_N6thrust23THRUST_200600_302600_NS11hip_rocprim26transform_input_iterator_tIlNS8_12zip_iteratorINS8_5tupleINS8_6detail15normal_iteratorINS8_10device_ptrItEEEESH_NS8_9null_typeESI_SI_SI_SI_SI_SI_SI_EEEENS9_21zip_adj_not_predicateINS8_8equal_toItEEEEEEPllNS8_4plusIlEEEE10hipError_tPvRmT1_T2_T3_mT4_P12ihipStream_tbEUlT_E1_NS1_11comp_targetILNS1_3genE9ELNS1_11target_archE1100ELNS1_3gpuE3ELNS1_3repE0EEENS1_30default_config_static_selectorELNS0_4arch9wavefront6targetE1EEEvSW_
; %bb.0:
	.section	.rodata,"a",@progbits
	.p2align	6, 0x0
	.amdhsa_kernel _ZN7rocprim17ROCPRIM_400000_NS6detail17trampoline_kernelINS0_14default_configENS1_22reduce_config_selectorIlEEZNS1_11reduce_implILb1ES3_N6thrust23THRUST_200600_302600_NS11hip_rocprim26transform_input_iterator_tIlNS8_12zip_iteratorINS8_5tupleINS8_6detail15normal_iteratorINS8_10device_ptrItEEEESH_NS8_9null_typeESI_SI_SI_SI_SI_SI_SI_EEEENS9_21zip_adj_not_predicateINS8_8equal_toItEEEEEEPllNS8_4plusIlEEEE10hipError_tPvRmT1_T2_T3_mT4_P12ihipStream_tbEUlT_E1_NS1_11comp_targetILNS1_3genE9ELNS1_11target_archE1100ELNS1_3gpuE3ELNS1_3repE0EEENS1_30default_config_static_selectorELNS0_4arch9wavefront6targetE1EEEvSW_
		.amdhsa_group_segment_fixed_size 0
		.amdhsa_private_segment_fixed_size 0
		.amdhsa_kernarg_size 64
		.amdhsa_user_sgpr_count 6
		.amdhsa_user_sgpr_private_segment_buffer 1
		.amdhsa_user_sgpr_dispatch_ptr 0
		.amdhsa_user_sgpr_queue_ptr 0
		.amdhsa_user_sgpr_kernarg_segment_ptr 1
		.amdhsa_user_sgpr_dispatch_id 0
		.amdhsa_user_sgpr_flat_scratch_init 0
		.amdhsa_user_sgpr_private_segment_size 0
		.amdhsa_uses_dynamic_stack 0
		.amdhsa_system_sgpr_private_segment_wavefront_offset 0
		.amdhsa_system_sgpr_workgroup_id_x 1
		.amdhsa_system_sgpr_workgroup_id_y 0
		.amdhsa_system_sgpr_workgroup_id_z 0
		.amdhsa_system_sgpr_workgroup_info 0
		.amdhsa_system_vgpr_workitem_id 0
		.amdhsa_next_free_vgpr 1
		.amdhsa_next_free_sgpr 0
		.amdhsa_reserve_vcc 0
		.amdhsa_reserve_flat_scratch 0
		.amdhsa_float_round_mode_32 0
		.amdhsa_float_round_mode_16_64 0
		.amdhsa_float_denorm_mode_32 3
		.amdhsa_float_denorm_mode_16_64 3
		.amdhsa_dx10_clamp 1
		.amdhsa_ieee_mode 1
		.amdhsa_fp16_overflow 0
		.amdhsa_exception_fp_ieee_invalid_op 0
		.amdhsa_exception_fp_denorm_src 0
		.amdhsa_exception_fp_ieee_div_zero 0
		.amdhsa_exception_fp_ieee_overflow 0
		.amdhsa_exception_fp_ieee_underflow 0
		.amdhsa_exception_fp_ieee_inexact 0
		.amdhsa_exception_int_div_zero 0
	.end_amdhsa_kernel
	.section	.text._ZN7rocprim17ROCPRIM_400000_NS6detail17trampoline_kernelINS0_14default_configENS1_22reduce_config_selectorIlEEZNS1_11reduce_implILb1ES3_N6thrust23THRUST_200600_302600_NS11hip_rocprim26transform_input_iterator_tIlNS8_12zip_iteratorINS8_5tupleINS8_6detail15normal_iteratorINS8_10device_ptrItEEEESH_NS8_9null_typeESI_SI_SI_SI_SI_SI_SI_EEEENS9_21zip_adj_not_predicateINS8_8equal_toItEEEEEEPllNS8_4plusIlEEEE10hipError_tPvRmT1_T2_T3_mT4_P12ihipStream_tbEUlT_E1_NS1_11comp_targetILNS1_3genE9ELNS1_11target_archE1100ELNS1_3gpuE3ELNS1_3repE0EEENS1_30default_config_static_selectorELNS0_4arch9wavefront6targetE1EEEvSW_,"axG",@progbits,_ZN7rocprim17ROCPRIM_400000_NS6detail17trampoline_kernelINS0_14default_configENS1_22reduce_config_selectorIlEEZNS1_11reduce_implILb1ES3_N6thrust23THRUST_200600_302600_NS11hip_rocprim26transform_input_iterator_tIlNS8_12zip_iteratorINS8_5tupleINS8_6detail15normal_iteratorINS8_10device_ptrItEEEESH_NS8_9null_typeESI_SI_SI_SI_SI_SI_SI_EEEENS9_21zip_adj_not_predicateINS8_8equal_toItEEEEEEPllNS8_4plusIlEEEE10hipError_tPvRmT1_T2_T3_mT4_P12ihipStream_tbEUlT_E1_NS1_11comp_targetILNS1_3genE9ELNS1_11target_archE1100ELNS1_3gpuE3ELNS1_3repE0EEENS1_30default_config_static_selectorELNS0_4arch9wavefront6targetE1EEEvSW_,comdat
.Lfunc_end903:
	.size	_ZN7rocprim17ROCPRIM_400000_NS6detail17trampoline_kernelINS0_14default_configENS1_22reduce_config_selectorIlEEZNS1_11reduce_implILb1ES3_N6thrust23THRUST_200600_302600_NS11hip_rocprim26transform_input_iterator_tIlNS8_12zip_iteratorINS8_5tupleINS8_6detail15normal_iteratorINS8_10device_ptrItEEEESH_NS8_9null_typeESI_SI_SI_SI_SI_SI_SI_EEEENS9_21zip_adj_not_predicateINS8_8equal_toItEEEEEEPllNS8_4plusIlEEEE10hipError_tPvRmT1_T2_T3_mT4_P12ihipStream_tbEUlT_E1_NS1_11comp_targetILNS1_3genE9ELNS1_11target_archE1100ELNS1_3gpuE3ELNS1_3repE0EEENS1_30default_config_static_selectorELNS0_4arch9wavefront6targetE1EEEvSW_, .Lfunc_end903-_ZN7rocprim17ROCPRIM_400000_NS6detail17trampoline_kernelINS0_14default_configENS1_22reduce_config_selectorIlEEZNS1_11reduce_implILb1ES3_N6thrust23THRUST_200600_302600_NS11hip_rocprim26transform_input_iterator_tIlNS8_12zip_iteratorINS8_5tupleINS8_6detail15normal_iteratorINS8_10device_ptrItEEEESH_NS8_9null_typeESI_SI_SI_SI_SI_SI_SI_EEEENS9_21zip_adj_not_predicateINS8_8equal_toItEEEEEEPllNS8_4plusIlEEEE10hipError_tPvRmT1_T2_T3_mT4_P12ihipStream_tbEUlT_E1_NS1_11comp_targetILNS1_3genE9ELNS1_11target_archE1100ELNS1_3gpuE3ELNS1_3repE0EEENS1_30default_config_static_selectorELNS0_4arch9wavefront6targetE1EEEvSW_
                                        ; -- End function
	.set _ZN7rocprim17ROCPRIM_400000_NS6detail17trampoline_kernelINS0_14default_configENS1_22reduce_config_selectorIlEEZNS1_11reduce_implILb1ES3_N6thrust23THRUST_200600_302600_NS11hip_rocprim26transform_input_iterator_tIlNS8_12zip_iteratorINS8_5tupleINS8_6detail15normal_iteratorINS8_10device_ptrItEEEESH_NS8_9null_typeESI_SI_SI_SI_SI_SI_SI_EEEENS9_21zip_adj_not_predicateINS8_8equal_toItEEEEEEPllNS8_4plusIlEEEE10hipError_tPvRmT1_T2_T3_mT4_P12ihipStream_tbEUlT_E1_NS1_11comp_targetILNS1_3genE9ELNS1_11target_archE1100ELNS1_3gpuE3ELNS1_3repE0EEENS1_30default_config_static_selectorELNS0_4arch9wavefront6targetE1EEEvSW_.num_vgpr, 0
	.set _ZN7rocprim17ROCPRIM_400000_NS6detail17trampoline_kernelINS0_14default_configENS1_22reduce_config_selectorIlEEZNS1_11reduce_implILb1ES3_N6thrust23THRUST_200600_302600_NS11hip_rocprim26transform_input_iterator_tIlNS8_12zip_iteratorINS8_5tupleINS8_6detail15normal_iteratorINS8_10device_ptrItEEEESH_NS8_9null_typeESI_SI_SI_SI_SI_SI_SI_EEEENS9_21zip_adj_not_predicateINS8_8equal_toItEEEEEEPllNS8_4plusIlEEEE10hipError_tPvRmT1_T2_T3_mT4_P12ihipStream_tbEUlT_E1_NS1_11comp_targetILNS1_3genE9ELNS1_11target_archE1100ELNS1_3gpuE3ELNS1_3repE0EEENS1_30default_config_static_selectorELNS0_4arch9wavefront6targetE1EEEvSW_.num_agpr, 0
	.set _ZN7rocprim17ROCPRIM_400000_NS6detail17trampoline_kernelINS0_14default_configENS1_22reduce_config_selectorIlEEZNS1_11reduce_implILb1ES3_N6thrust23THRUST_200600_302600_NS11hip_rocprim26transform_input_iterator_tIlNS8_12zip_iteratorINS8_5tupleINS8_6detail15normal_iteratorINS8_10device_ptrItEEEESH_NS8_9null_typeESI_SI_SI_SI_SI_SI_SI_EEEENS9_21zip_adj_not_predicateINS8_8equal_toItEEEEEEPllNS8_4plusIlEEEE10hipError_tPvRmT1_T2_T3_mT4_P12ihipStream_tbEUlT_E1_NS1_11comp_targetILNS1_3genE9ELNS1_11target_archE1100ELNS1_3gpuE3ELNS1_3repE0EEENS1_30default_config_static_selectorELNS0_4arch9wavefront6targetE1EEEvSW_.numbered_sgpr, 0
	.set _ZN7rocprim17ROCPRIM_400000_NS6detail17trampoline_kernelINS0_14default_configENS1_22reduce_config_selectorIlEEZNS1_11reduce_implILb1ES3_N6thrust23THRUST_200600_302600_NS11hip_rocprim26transform_input_iterator_tIlNS8_12zip_iteratorINS8_5tupleINS8_6detail15normal_iteratorINS8_10device_ptrItEEEESH_NS8_9null_typeESI_SI_SI_SI_SI_SI_SI_EEEENS9_21zip_adj_not_predicateINS8_8equal_toItEEEEEEPllNS8_4plusIlEEEE10hipError_tPvRmT1_T2_T3_mT4_P12ihipStream_tbEUlT_E1_NS1_11comp_targetILNS1_3genE9ELNS1_11target_archE1100ELNS1_3gpuE3ELNS1_3repE0EEENS1_30default_config_static_selectorELNS0_4arch9wavefront6targetE1EEEvSW_.num_named_barrier, 0
	.set _ZN7rocprim17ROCPRIM_400000_NS6detail17trampoline_kernelINS0_14default_configENS1_22reduce_config_selectorIlEEZNS1_11reduce_implILb1ES3_N6thrust23THRUST_200600_302600_NS11hip_rocprim26transform_input_iterator_tIlNS8_12zip_iteratorINS8_5tupleINS8_6detail15normal_iteratorINS8_10device_ptrItEEEESH_NS8_9null_typeESI_SI_SI_SI_SI_SI_SI_EEEENS9_21zip_adj_not_predicateINS8_8equal_toItEEEEEEPllNS8_4plusIlEEEE10hipError_tPvRmT1_T2_T3_mT4_P12ihipStream_tbEUlT_E1_NS1_11comp_targetILNS1_3genE9ELNS1_11target_archE1100ELNS1_3gpuE3ELNS1_3repE0EEENS1_30default_config_static_selectorELNS0_4arch9wavefront6targetE1EEEvSW_.private_seg_size, 0
	.set _ZN7rocprim17ROCPRIM_400000_NS6detail17trampoline_kernelINS0_14default_configENS1_22reduce_config_selectorIlEEZNS1_11reduce_implILb1ES3_N6thrust23THRUST_200600_302600_NS11hip_rocprim26transform_input_iterator_tIlNS8_12zip_iteratorINS8_5tupleINS8_6detail15normal_iteratorINS8_10device_ptrItEEEESH_NS8_9null_typeESI_SI_SI_SI_SI_SI_SI_EEEENS9_21zip_adj_not_predicateINS8_8equal_toItEEEEEEPllNS8_4plusIlEEEE10hipError_tPvRmT1_T2_T3_mT4_P12ihipStream_tbEUlT_E1_NS1_11comp_targetILNS1_3genE9ELNS1_11target_archE1100ELNS1_3gpuE3ELNS1_3repE0EEENS1_30default_config_static_selectorELNS0_4arch9wavefront6targetE1EEEvSW_.uses_vcc, 0
	.set _ZN7rocprim17ROCPRIM_400000_NS6detail17trampoline_kernelINS0_14default_configENS1_22reduce_config_selectorIlEEZNS1_11reduce_implILb1ES3_N6thrust23THRUST_200600_302600_NS11hip_rocprim26transform_input_iterator_tIlNS8_12zip_iteratorINS8_5tupleINS8_6detail15normal_iteratorINS8_10device_ptrItEEEESH_NS8_9null_typeESI_SI_SI_SI_SI_SI_SI_EEEENS9_21zip_adj_not_predicateINS8_8equal_toItEEEEEEPllNS8_4plusIlEEEE10hipError_tPvRmT1_T2_T3_mT4_P12ihipStream_tbEUlT_E1_NS1_11comp_targetILNS1_3genE9ELNS1_11target_archE1100ELNS1_3gpuE3ELNS1_3repE0EEENS1_30default_config_static_selectorELNS0_4arch9wavefront6targetE1EEEvSW_.uses_flat_scratch, 0
	.set _ZN7rocprim17ROCPRIM_400000_NS6detail17trampoline_kernelINS0_14default_configENS1_22reduce_config_selectorIlEEZNS1_11reduce_implILb1ES3_N6thrust23THRUST_200600_302600_NS11hip_rocprim26transform_input_iterator_tIlNS8_12zip_iteratorINS8_5tupleINS8_6detail15normal_iteratorINS8_10device_ptrItEEEESH_NS8_9null_typeESI_SI_SI_SI_SI_SI_SI_EEEENS9_21zip_adj_not_predicateINS8_8equal_toItEEEEEEPllNS8_4plusIlEEEE10hipError_tPvRmT1_T2_T3_mT4_P12ihipStream_tbEUlT_E1_NS1_11comp_targetILNS1_3genE9ELNS1_11target_archE1100ELNS1_3gpuE3ELNS1_3repE0EEENS1_30default_config_static_selectorELNS0_4arch9wavefront6targetE1EEEvSW_.has_dyn_sized_stack, 0
	.set _ZN7rocprim17ROCPRIM_400000_NS6detail17trampoline_kernelINS0_14default_configENS1_22reduce_config_selectorIlEEZNS1_11reduce_implILb1ES3_N6thrust23THRUST_200600_302600_NS11hip_rocprim26transform_input_iterator_tIlNS8_12zip_iteratorINS8_5tupleINS8_6detail15normal_iteratorINS8_10device_ptrItEEEESH_NS8_9null_typeESI_SI_SI_SI_SI_SI_SI_EEEENS9_21zip_adj_not_predicateINS8_8equal_toItEEEEEEPllNS8_4plusIlEEEE10hipError_tPvRmT1_T2_T3_mT4_P12ihipStream_tbEUlT_E1_NS1_11comp_targetILNS1_3genE9ELNS1_11target_archE1100ELNS1_3gpuE3ELNS1_3repE0EEENS1_30default_config_static_selectorELNS0_4arch9wavefront6targetE1EEEvSW_.has_recursion, 0
	.set _ZN7rocprim17ROCPRIM_400000_NS6detail17trampoline_kernelINS0_14default_configENS1_22reduce_config_selectorIlEEZNS1_11reduce_implILb1ES3_N6thrust23THRUST_200600_302600_NS11hip_rocprim26transform_input_iterator_tIlNS8_12zip_iteratorINS8_5tupleINS8_6detail15normal_iteratorINS8_10device_ptrItEEEESH_NS8_9null_typeESI_SI_SI_SI_SI_SI_SI_EEEENS9_21zip_adj_not_predicateINS8_8equal_toItEEEEEEPllNS8_4plusIlEEEE10hipError_tPvRmT1_T2_T3_mT4_P12ihipStream_tbEUlT_E1_NS1_11comp_targetILNS1_3genE9ELNS1_11target_archE1100ELNS1_3gpuE3ELNS1_3repE0EEENS1_30default_config_static_selectorELNS0_4arch9wavefront6targetE1EEEvSW_.has_indirect_call, 0
	.section	.AMDGPU.csdata,"",@progbits
; Kernel info:
; codeLenInByte = 0
; TotalNumSgprs: 4
; NumVgprs: 0
; ScratchSize: 0
; MemoryBound: 0
; FloatMode: 240
; IeeeMode: 1
; LDSByteSize: 0 bytes/workgroup (compile time only)
; SGPRBlocks: 0
; VGPRBlocks: 0
; NumSGPRsForWavesPerEU: 4
; NumVGPRsForWavesPerEU: 1
; Occupancy: 10
; WaveLimiterHint : 0
; COMPUTE_PGM_RSRC2:SCRATCH_EN: 0
; COMPUTE_PGM_RSRC2:USER_SGPR: 6
; COMPUTE_PGM_RSRC2:TRAP_HANDLER: 0
; COMPUTE_PGM_RSRC2:TGID_X_EN: 1
; COMPUTE_PGM_RSRC2:TGID_Y_EN: 0
; COMPUTE_PGM_RSRC2:TGID_Z_EN: 0
; COMPUTE_PGM_RSRC2:TIDIG_COMP_CNT: 0
	.section	.text._ZN7rocprim17ROCPRIM_400000_NS6detail17trampoline_kernelINS0_14default_configENS1_22reduce_config_selectorIlEEZNS1_11reduce_implILb1ES3_N6thrust23THRUST_200600_302600_NS11hip_rocprim26transform_input_iterator_tIlNS8_12zip_iteratorINS8_5tupleINS8_6detail15normal_iteratorINS8_10device_ptrItEEEESH_NS8_9null_typeESI_SI_SI_SI_SI_SI_SI_EEEENS9_21zip_adj_not_predicateINS8_8equal_toItEEEEEEPllNS8_4plusIlEEEE10hipError_tPvRmT1_T2_T3_mT4_P12ihipStream_tbEUlT_E1_NS1_11comp_targetILNS1_3genE8ELNS1_11target_archE1030ELNS1_3gpuE2ELNS1_3repE0EEENS1_30default_config_static_selectorELNS0_4arch9wavefront6targetE1EEEvSW_,"axG",@progbits,_ZN7rocprim17ROCPRIM_400000_NS6detail17trampoline_kernelINS0_14default_configENS1_22reduce_config_selectorIlEEZNS1_11reduce_implILb1ES3_N6thrust23THRUST_200600_302600_NS11hip_rocprim26transform_input_iterator_tIlNS8_12zip_iteratorINS8_5tupleINS8_6detail15normal_iteratorINS8_10device_ptrItEEEESH_NS8_9null_typeESI_SI_SI_SI_SI_SI_SI_EEEENS9_21zip_adj_not_predicateINS8_8equal_toItEEEEEEPllNS8_4plusIlEEEE10hipError_tPvRmT1_T2_T3_mT4_P12ihipStream_tbEUlT_E1_NS1_11comp_targetILNS1_3genE8ELNS1_11target_archE1030ELNS1_3gpuE2ELNS1_3repE0EEENS1_30default_config_static_selectorELNS0_4arch9wavefront6targetE1EEEvSW_,comdat
	.protected	_ZN7rocprim17ROCPRIM_400000_NS6detail17trampoline_kernelINS0_14default_configENS1_22reduce_config_selectorIlEEZNS1_11reduce_implILb1ES3_N6thrust23THRUST_200600_302600_NS11hip_rocprim26transform_input_iterator_tIlNS8_12zip_iteratorINS8_5tupleINS8_6detail15normal_iteratorINS8_10device_ptrItEEEESH_NS8_9null_typeESI_SI_SI_SI_SI_SI_SI_EEEENS9_21zip_adj_not_predicateINS8_8equal_toItEEEEEEPllNS8_4plusIlEEEE10hipError_tPvRmT1_T2_T3_mT4_P12ihipStream_tbEUlT_E1_NS1_11comp_targetILNS1_3genE8ELNS1_11target_archE1030ELNS1_3gpuE2ELNS1_3repE0EEENS1_30default_config_static_selectorELNS0_4arch9wavefront6targetE1EEEvSW_ ; -- Begin function _ZN7rocprim17ROCPRIM_400000_NS6detail17trampoline_kernelINS0_14default_configENS1_22reduce_config_selectorIlEEZNS1_11reduce_implILb1ES3_N6thrust23THRUST_200600_302600_NS11hip_rocprim26transform_input_iterator_tIlNS8_12zip_iteratorINS8_5tupleINS8_6detail15normal_iteratorINS8_10device_ptrItEEEESH_NS8_9null_typeESI_SI_SI_SI_SI_SI_SI_EEEENS9_21zip_adj_not_predicateINS8_8equal_toItEEEEEEPllNS8_4plusIlEEEE10hipError_tPvRmT1_T2_T3_mT4_P12ihipStream_tbEUlT_E1_NS1_11comp_targetILNS1_3genE8ELNS1_11target_archE1030ELNS1_3gpuE2ELNS1_3repE0EEENS1_30default_config_static_selectorELNS0_4arch9wavefront6targetE1EEEvSW_
	.globl	_ZN7rocprim17ROCPRIM_400000_NS6detail17trampoline_kernelINS0_14default_configENS1_22reduce_config_selectorIlEEZNS1_11reduce_implILb1ES3_N6thrust23THRUST_200600_302600_NS11hip_rocprim26transform_input_iterator_tIlNS8_12zip_iteratorINS8_5tupleINS8_6detail15normal_iteratorINS8_10device_ptrItEEEESH_NS8_9null_typeESI_SI_SI_SI_SI_SI_SI_EEEENS9_21zip_adj_not_predicateINS8_8equal_toItEEEEEEPllNS8_4plusIlEEEE10hipError_tPvRmT1_T2_T3_mT4_P12ihipStream_tbEUlT_E1_NS1_11comp_targetILNS1_3genE8ELNS1_11target_archE1030ELNS1_3gpuE2ELNS1_3repE0EEENS1_30default_config_static_selectorELNS0_4arch9wavefront6targetE1EEEvSW_
	.p2align	8
	.type	_ZN7rocprim17ROCPRIM_400000_NS6detail17trampoline_kernelINS0_14default_configENS1_22reduce_config_selectorIlEEZNS1_11reduce_implILb1ES3_N6thrust23THRUST_200600_302600_NS11hip_rocprim26transform_input_iterator_tIlNS8_12zip_iteratorINS8_5tupleINS8_6detail15normal_iteratorINS8_10device_ptrItEEEESH_NS8_9null_typeESI_SI_SI_SI_SI_SI_SI_EEEENS9_21zip_adj_not_predicateINS8_8equal_toItEEEEEEPllNS8_4plusIlEEEE10hipError_tPvRmT1_T2_T3_mT4_P12ihipStream_tbEUlT_E1_NS1_11comp_targetILNS1_3genE8ELNS1_11target_archE1030ELNS1_3gpuE2ELNS1_3repE0EEENS1_30default_config_static_selectorELNS0_4arch9wavefront6targetE1EEEvSW_,@function
_ZN7rocprim17ROCPRIM_400000_NS6detail17trampoline_kernelINS0_14default_configENS1_22reduce_config_selectorIlEEZNS1_11reduce_implILb1ES3_N6thrust23THRUST_200600_302600_NS11hip_rocprim26transform_input_iterator_tIlNS8_12zip_iteratorINS8_5tupleINS8_6detail15normal_iteratorINS8_10device_ptrItEEEESH_NS8_9null_typeESI_SI_SI_SI_SI_SI_SI_EEEENS9_21zip_adj_not_predicateINS8_8equal_toItEEEEEEPllNS8_4plusIlEEEE10hipError_tPvRmT1_T2_T3_mT4_P12ihipStream_tbEUlT_E1_NS1_11comp_targetILNS1_3genE8ELNS1_11target_archE1030ELNS1_3gpuE2ELNS1_3repE0EEENS1_30default_config_static_selectorELNS0_4arch9wavefront6targetE1EEEvSW_: ; @_ZN7rocprim17ROCPRIM_400000_NS6detail17trampoline_kernelINS0_14default_configENS1_22reduce_config_selectorIlEEZNS1_11reduce_implILb1ES3_N6thrust23THRUST_200600_302600_NS11hip_rocprim26transform_input_iterator_tIlNS8_12zip_iteratorINS8_5tupleINS8_6detail15normal_iteratorINS8_10device_ptrItEEEESH_NS8_9null_typeESI_SI_SI_SI_SI_SI_SI_EEEENS9_21zip_adj_not_predicateINS8_8equal_toItEEEEEEPllNS8_4plusIlEEEE10hipError_tPvRmT1_T2_T3_mT4_P12ihipStream_tbEUlT_E1_NS1_11comp_targetILNS1_3genE8ELNS1_11target_archE1030ELNS1_3gpuE2ELNS1_3repE0EEENS1_30default_config_static_selectorELNS0_4arch9wavefront6targetE1EEEvSW_
; %bb.0:
	.section	.rodata,"a",@progbits
	.p2align	6, 0x0
	.amdhsa_kernel _ZN7rocprim17ROCPRIM_400000_NS6detail17trampoline_kernelINS0_14default_configENS1_22reduce_config_selectorIlEEZNS1_11reduce_implILb1ES3_N6thrust23THRUST_200600_302600_NS11hip_rocprim26transform_input_iterator_tIlNS8_12zip_iteratorINS8_5tupleINS8_6detail15normal_iteratorINS8_10device_ptrItEEEESH_NS8_9null_typeESI_SI_SI_SI_SI_SI_SI_EEEENS9_21zip_adj_not_predicateINS8_8equal_toItEEEEEEPllNS8_4plusIlEEEE10hipError_tPvRmT1_T2_T3_mT4_P12ihipStream_tbEUlT_E1_NS1_11comp_targetILNS1_3genE8ELNS1_11target_archE1030ELNS1_3gpuE2ELNS1_3repE0EEENS1_30default_config_static_selectorELNS0_4arch9wavefront6targetE1EEEvSW_
		.amdhsa_group_segment_fixed_size 0
		.amdhsa_private_segment_fixed_size 0
		.amdhsa_kernarg_size 64
		.amdhsa_user_sgpr_count 6
		.amdhsa_user_sgpr_private_segment_buffer 1
		.amdhsa_user_sgpr_dispatch_ptr 0
		.amdhsa_user_sgpr_queue_ptr 0
		.amdhsa_user_sgpr_kernarg_segment_ptr 1
		.amdhsa_user_sgpr_dispatch_id 0
		.amdhsa_user_sgpr_flat_scratch_init 0
		.amdhsa_user_sgpr_private_segment_size 0
		.amdhsa_uses_dynamic_stack 0
		.amdhsa_system_sgpr_private_segment_wavefront_offset 0
		.amdhsa_system_sgpr_workgroup_id_x 1
		.amdhsa_system_sgpr_workgroup_id_y 0
		.amdhsa_system_sgpr_workgroup_id_z 0
		.amdhsa_system_sgpr_workgroup_info 0
		.amdhsa_system_vgpr_workitem_id 0
		.amdhsa_next_free_vgpr 1
		.amdhsa_next_free_sgpr 0
		.amdhsa_reserve_vcc 0
		.amdhsa_reserve_flat_scratch 0
		.amdhsa_float_round_mode_32 0
		.amdhsa_float_round_mode_16_64 0
		.amdhsa_float_denorm_mode_32 3
		.amdhsa_float_denorm_mode_16_64 3
		.amdhsa_dx10_clamp 1
		.amdhsa_ieee_mode 1
		.amdhsa_fp16_overflow 0
		.amdhsa_exception_fp_ieee_invalid_op 0
		.amdhsa_exception_fp_denorm_src 0
		.amdhsa_exception_fp_ieee_div_zero 0
		.amdhsa_exception_fp_ieee_overflow 0
		.amdhsa_exception_fp_ieee_underflow 0
		.amdhsa_exception_fp_ieee_inexact 0
		.amdhsa_exception_int_div_zero 0
	.end_amdhsa_kernel
	.section	.text._ZN7rocprim17ROCPRIM_400000_NS6detail17trampoline_kernelINS0_14default_configENS1_22reduce_config_selectorIlEEZNS1_11reduce_implILb1ES3_N6thrust23THRUST_200600_302600_NS11hip_rocprim26transform_input_iterator_tIlNS8_12zip_iteratorINS8_5tupleINS8_6detail15normal_iteratorINS8_10device_ptrItEEEESH_NS8_9null_typeESI_SI_SI_SI_SI_SI_SI_EEEENS9_21zip_adj_not_predicateINS8_8equal_toItEEEEEEPllNS8_4plusIlEEEE10hipError_tPvRmT1_T2_T3_mT4_P12ihipStream_tbEUlT_E1_NS1_11comp_targetILNS1_3genE8ELNS1_11target_archE1030ELNS1_3gpuE2ELNS1_3repE0EEENS1_30default_config_static_selectorELNS0_4arch9wavefront6targetE1EEEvSW_,"axG",@progbits,_ZN7rocprim17ROCPRIM_400000_NS6detail17trampoline_kernelINS0_14default_configENS1_22reduce_config_selectorIlEEZNS1_11reduce_implILb1ES3_N6thrust23THRUST_200600_302600_NS11hip_rocprim26transform_input_iterator_tIlNS8_12zip_iteratorINS8_5tupleINS8_6detail15normal_iteratorINS8_10device_ptrItEEEESH_NS8_9null_typeESI_SI_SI_SI_SI_SI_SI_EEEENS9_21zip_adj_not_predicateINS8_8equal_toItEEEEEEPllNS8_4plusIlEEEE10hipError_tPvRmT1_T2_T3_mT4_P12ihipStream_tbEUlT_E1_NS1_11comp_targetILNS1_3genE8ELNS1_11target_archE1030ELNS1_3gpuE2ELNS1_3repE0EEENS1_30default_config_static_selectorELNS0_4arch9wavefront6targetE1EEEvSW_,comdat
.Lfunc_end904:
	.size	_ZN7rocprim17ROCPRIM_400000_NS6detail17trampoline_kernelINS0_14default_configENS1_22reduce_config_selectorIlEEZNS1_11reduce_implILb1ES3_N6thrust23THRUST_200600_302600_NS11hip_rocprim26transform_input_iterator_tIlNS8_12zip_iteratorINS8_5tupleINS8_6detail15normal_iteratorINS8_10device_ptrItEEEESH_NS8_9null_typeESI_SI_SI_SI_SI_SI_SI_EEEENS9_21zip_adj_not_predicateINS8_8equal_toItEEEEEEPllNS8_4plusIlEEEE10hipError_tPvRmT1_T2_T3_mT4_P12ihipStream_tbEUlT_E1_NS1_11comp_targetILNS1_3genE8ELNS1_11target_archE1030ELNS1_3gpuE2ELNS1_3repE0EEENS1_30default_config_static_selectorELNS0_4arch9wavefront6targetE1EEEvSW_, .Lfunc_end904-_ZN7rocprim17ROCPRIM_400000_NS6detail17trampoline_kernelINS0_14default_configENS1_22reduce_config_selectorIlEEZNS1_11reduce_implILb1ES3_N6thrust23THRUST_200600_302600_NS11hip_rocprim26transform_input_iterator_tIlNS8_12zip_iteratorINS8_5tupleINS8_6detail15normal_iteratorINS8_10device_ptrItEEEESH_NS8_9null_typeESI_SI_SI_SI_SI_SI_SI_EEEENS9_21zip_adj_not_predicateINS8_8equal_toItEEEEEEPllNS8_4plusIlEEEE10hipError_tPvRmT1_T2_T3_mT4_P12ihipStream_tbEUlT_E1_NS1_11comp_targetILNS1_3genE8ELNS1_11target_archE1030ELNS1_3gpuE2ELNS1_3repE0EEENS1_30default_config_static_selectorELNS0_4arch9wavefront6targetE1EEEvSW_
                                        ; -- End function
	.set _ZN7rocprim17ROCPRIM_400000_NS6detail17trampoline_kernelINS0_14default_configENS1_22reduce_config_selectorIlEEZNS1_11reduce_implILb1ES3_N6thrust23THRUST_200600_302600_NS11hip_rocprim26transform_input_iterator_tIlNS8_12zip_iteratorINS8_5tupleINS8_6detail15normal_iteratorINS8_10device_ptrItEEEESH_NS8_9null_typeESI_SI_SI_SI_SI_SI_SI_EEEENS9_21zip_adj_not_predicateINS8_8equal_toItEEEEEEPllNS8_4plusIlEEEE10hipError_tPvRmT1_T2_T3_mT4_P12ihipStream_tbEUlT_E1_NS1_11comp_targetILNS1_3genE8ELNS1_11target_archE1030ELNS1_3gpuE2ELNS1_3repE0EEENS1_30default_config_static_selectorELNS0_4arch9wavefront6targetE1EEEvSW_.num_vgpr, 0
	.set _ZN7rocprim17ROCPRIM_400000_NS6detail17trampoline_kernelINS0_14default_configENS1_22reduce_config_selectorIlEEZNS1_11reduce_implILb1ES3_N6thrust23THRUST_200600_302600_NS11hip_rocprim26transform_input_iterator_tIlNS8_12zip_iteratorINS8_5tupleINS8_6detail15normal_iteratorINS8_10device_ptrItEEEESH_NS8_9null_typeESI_SI_SI_SI_SI_SI_SI_EEEENS9_21zip_adj_not_predicateINS8_8equal_toItEEEEEEPllNS8_4plusIlEEEE10hipError_tPvRmT1_T2_T3_mT4_P12ihipStream_tbEUlT_E1_NS1_11comp_targetILNS1_3genE8ELNS1_11target_archE1030ELNS1_3gpuE2ELNS1_3repE0EEENS1_30default_config_static_selectorELNS0_4arch9wavefront6targetE1EEEvSW_.num_agpr, 0
	.set _ZN7rocprim17ROCPRIM_400000_NS6detail17trampoline_kernelINS0_14default_configENS1_22reduce_config_selectorIlEEZNS1_11reduce_implILb1ES3_N6thrust23THRUST_200600_302600_NS11hip_rocprim26transform_input_iterator_tIlNS8_12zip_iteratorINS8_5tupleINS8_6detail15normal_iteratorINS8_10device_ptrItEEEESH_NS8_9null_typeESI_SI_SI_SI_SI_SI_SI_EEEENS9_21zip_adj_not_predicateINS8_8equal_toItEEEEEEPllNS8_4plusIlEEEE10hipError_tPvRmT1_T2_T3_mT4_P12ihipStream_tbEUlT_E1_NS1_11comp_targetILNS1_3genE8ELNS1_11target_archE1030ELNS1_3gpuE2ELNS1_3repE0EEENS1_30default_config_static_selectorELNS0_4arch9wavefront6targetE1EEEvSW_.numbered_sgpr, 0
	.set _ZN7rocprim17ROCPRIM_400000_NS6detail17trampoline_kernelINS0_14default_configENS1_22reduce_config_selectorIlEEZNS1_11reduce_implILb1ES3_N6thrust23THRUST_200600_302600_NS11hip_rocprim26transform_input_iterator_tIlNS8_12zip_iteratorINS8_5tupleINS8_6detail15normal_iteratorINS8_10device_ptrItEEEESH_NS8_9null_typeESI_SI_SI_SI_SI_SI_SI_EEEENS9_21zip_adj_not_predicateINS8_8equal_toItEEEEEEPllNS8_4plusIlEEEE10hipError_tPvRmT1_T2_T3_mT4_P12ihipStream_tbEUlT_E1_NS1_11comp_targetILNS1_3genE8ELNS1_11target_archE1030ELNS1_3gpuE2ELNS1_3repE0EEENS1_30default_config_static_selectorELNS0_4arch9wavefront6targetE1EEEvSW_.num_named_barrier, 0
	.set _ZN7rocprim17ROCPRIM_400000_NS6detail17trampoline_kernelINS0_14default_configENS1_22reduce_config_selectorIlEEZNS1_11reduce_implILb1ES3_N6thrust23THRUST_200600_302600_NS11hip_rocprim26transform_input_iterator_tIlNS8_12zip_iteratorINS8_5tupleINS8_6detail15normal_iteratorINS8_10device_ptrItEEEESH_NS8_9null_typeESI_SI_SI_SI_SI_SI_SI_EEEENS9_21zip_adj_not_predicateINS8_8equal_toItEEEEEEPllNS8_4plusIlEEEE10hipError_tPvRmT1_T2_T3_mT4_P12ihipStream_tbEUlT_E1_NS1_11comp_targetILNS1_3genE8ELNS1_11target_archE1030ELNS1_3gpuE2ELNS1_3repE0EEENS1_30default_config_static_selectorELNS0_4arch9wavefront6targetE1EEEvSW_.private_seg_size, 0
	.set _ZN7rocprim17ROCPRIM_400000_NS6detail17trampoline_kernelINS0_14default_configENS1_22reduce_config_selectorIlEEZNS1_11reduce_implILb1ES3_N6thrust23THRUST_200600_302600_NS11hip_rocprim26transform_input_iterator_tIlNS8_12zip_iteratorINS8_5tupleINS8_6detail15normal_iteratorINS8_10device_ptrItEEEESH_NS8_9null_typeESI_SI_SI_SI_SI_SI_SI_EEEENS9_21zip_adj_not_predicateINS8_8equal_toItEEEEEEPllNS8_4plusIlEEEE10hipError_tPvRmT1_T2_T3_mT4_P12ihipStream_tbEUlT_E1_NS1_11comp_targetILNS1_3genE8ELNS1_11target_archE1030ELNS1_3gpuE2ELNS1_3repE0EEENS1_30default_config_static_selectorELNS0_4arch9wavefront6targetE1EEEvSW_.uses_vcc, 0
	.set _ZN7rocprim17ROCPRIM_400000_NS6detail17trampoline_kernelINS0_14default_configENS1_22reduce_config_selectorIlEEZNS1_11reduce_implILb1ES3_N6thrust23THRUST_200600_302600_NS11hip_rocprim26transform_input_iterator_tIlNS8_12zip_iteratorINS8_5tupleINS8_6detail15normal_iteratorINS8_10device_ptrItEEEESH_NS8_9null_typeESI_SI_SI_SI_SI_SI_SI_EEEENS9_21zip_adj_not_predicateINS8_8equal_toItEEEEEEPllNS8_4plusIlEEEE10hipError_tPvRmT1_T2_T3_mT4_P12ihipStream_tbEUlT_E1_NS1_11comp_targetILNS1_3genE8ELNS1_11target_archE1030ELNS1_3gpuE2ELNS1_3repE0EEENS1_30default_config_static_selectorELNS0_4arch9wavefront6targetE1EEEvSW_.uses_flat_scratch, 0
	.set _ZN7rocprim17ROCPRIM_400000_NS6detail17trampoline_kernelINS0_14default_configENS1_22reduce_config_selectorIlEEZNS1_11reduce_implILb1ES3_N6thrust23THRUST_200600_302600_NS11hip_rocprim26transform_input_iterator_tIlNS8_12zip_iteratorINS8_5tupleINS8_6detail15normal_iteratorINS8_10device_ptrItEEEESH_NS8_9null_typeESI_SI_SI_SI_SI_SI_SI_EEEENS9_21zip_adj_not_predicateINS8_8equal_toItEEEEEEPllNS8_4plusIlEEEE10hipError_tPvRmT1_T2_T3_mT4_P12ihipStream_tbEUlT_E1_NS1_11comp_targetILNS1_3genE8ELNS1_11target_archE1030ELNS1_3gpuE2ELNS1_3repE0EEENS1_30default_config_static_selectorELNS0_4arch9wavefront6targetE1EEEvSW_.has_dyn_sized_stack, 0
	.set _ZN7rocprim17ROCPRIM_400000_NS6detail17trampoline_kernelINS0_14default_configENS1_22reduce_config_selectorIlEEZNS1_11reduce_implILb1ES3_N6thrust23THRUST_200600_302600_NS11hip_rocprim26transform_input_iterator_tIlNS8_12zip_iteratorINS8_5tupleINS8_6detail15normal_iteratorINS8_10device_ptrItEEEESH_NS8_9null_typeESI_SI_SI_SI_SI_SI_SI_EEEENS9_21zip_adj_not_predicateINS8_8equal_toItEEEEEEPllNS8_4plusIlEEEE10hipError_tPvRmT1_T2_T3_mT4_P12ihipStream_tbEUlT_E1_NS1_11comp_targetILNS1_3genE8ELNS1_11target_archE1030ELNS1_3gpuE2ELNS1_3repE0EEENS1_30default_config_static_selectorELNS0_4arch9wavefront6targetE1EEEvSW_.has_recursion, 0
	.set _ZN7rocprim17ROCPRIM_400000_NS6detail17trampoline_kernelINS0_14default_configENS1_22reduce_config_selectorIlEEZNS1_11reduce_implILb1ES3_N6thrust23THRUST_200600_302600_NS11hip_rocprim26transform_input_iterator_tIlNS8_12zip_iteratorINS8_5tupleINS8_6detail15normal_iteratorINS8_10device_ptrItEEEESH_NS8_9null_typeESI_SI_SI_SI_SI_SI_SI_EEEENS9_21zip_adj_not_predicateINS8_8equal_toItEEEEEEPllNS8_4plusIlEEEE10hipError_tPvRmT1_T2_T3_mT4_P12ihipStream_tbEUlT_E1_NS1_11comp_targetILNS1_3genE8ELNS1_11target_archE1030ELNS1_3gpuE2ELNS1_3repE0EEENS1_30default_config_static_selectorELNS0_4arch9wavefront6targetE1EEEvSW_.has_indirect_call, 0
	.section	.AMDGPU.csdata,"",@progbits
; Kernel info:
; codeLenInByte = 0
; TotalNumSgprs: 4
; NumVgprs: 0
; ScratchSize: 0
; MemoryBound: 0
; FloatMode: 240
; IeeeMode: 1
; LDSByteSize: 0 bytes/workgroup (compile time only)
; SGPRBlocks: 0
; VGPRBlocks: 0
; NumSGPRsForWavesPerEU: 4
; NumVGPRsForWavesPerEU: 1
; Occupancy: 10
; WaveLimiterHint : 0
; COMPUTE_PGM_RSRC2:SCRATCH_EN: 0
; COMPUTE_PGM_RSRC2:USER_SGPR: 6
; COMPUTE_PGM_RSRC2:TRAP_HANDLER: 0
; COMPUTE_PGM_RSRC2:TGID_X_EN: 1
; COMPUTE_PGM_RSRC2:TGID_Y_EN: 0
; COMPUTE_PGM_RSRC2:TGID_Z_EN: 0
; COMPUTE_PGM_RSRC2:TIDIG_COMP_CNT: 0
	.section	.text._ZN7rocprim17ROCPRIM_400000_NS6detail17trampoline_kernelINS0_14default_configENS1_22reduce_config_selectorIlEEZNS1_11reduce_implILb1ES3_N6thrust23THRUST_200600_302600_NS11hip_rocprim26transform_input_iterator_tIlNS8_12zip_iteratorINS8_5tupleINS8_6detail15normal_iteratorINS8_10device_ptrItEEEESH_NS8_9null_typeESI_SI_SI_SI_SI_SI_SI_EEEENS9_21zip_adj_not_predicateI22is_equal_div_10_uniqueItEEEEEPllNS8_4plusIlEEEE10hipError_tPvRmT1_T2_T3_mT4_P12ihipStream_tbEUlT_E0_NS1_11comp_targetILNS1_3genE0ELNS1_11target_archE4294967295ELNS1_3gpuE0ELNS1_3repE0EEENS1_30default_config_static_selectorELNS0_4arch9wavefront6targetE1EEEvSW_,"axG",@progbits,_ZN7rocprim17ROCPRIM_400000_NS6detail17trampoline_kernelINS0_14default_configENS1_22reduce_config_selectorIlEEZNS1_11reduce_implILb1ES3_N6thrust23THRUST_200600_302600_NS11hip_rocprim26transform_input_iterator_tIlNS8_12zip_iteratorINS8_5tupleINS8_6detail15normal_iteratorINS8_10device_ptrItEEEESH_NS8_9null_typeESI_SI_SI_SI_SI_SI_SI_EEEENS9_21zip_adj_not_predicateI22is_equal_div_10_uniqueItEEEEEPllNS8_4plusIlEEEE10hipError_tPvRmT1_T2_T3_mT4_P12ihipStream_tbEUlT_E0_NS1_11comp_targetILNS1_3genE0ELNS1_11target_archE4294967295ELNS1_3gpuE0ELNS1_3repE0EEENS1_30default_config_static_selectorELNS0_4arch9wavefront6targetE1EEEvSW_,comdat
	.protected	_ZN7rocprim17ROCPRIM_400000_NS6detail17trampoline_kernelINS0_14default_configENS1_22reduce_config_selectorIlEEZNS1_11reduce_implILb1ES3_N6thrust23THRUST_200600_302600_NS11hip_rocprim26transform_input_iterator_tIlNS8_12zip_iteratorINS8_5tupleINS8_6detail15normal_iteratorINS8_10device_ptrItEEEESH_NS8_9null_typeESI_SI_SI_SI_SI_SI_SI_EEEENS9_21zip_adj_not_predicateI22is_equal_div_10_uniqueItEEEEEPllNS8_4plusIlEEEE10hipError_tPvRmT1_T2_T3_mT4_P12ihipStream_tbEUlT_E0_NS1_11comp_targetILNS1_3genE0ELNS1_11target_archE4294967295ELNS1_3gpuE0ELNS1_3repE0EEENS1_30default_config_static_selectorELNS0_4arch9wavefront6targetE1EEEvSW_ ; -- Begin function _ZN7rocprim17ROCPRIM_400000_NS6detail17trampoline_kernelINS0_14default_configENS1_22reduce_config_selectorIlEEZNS1_11reduce_implILb1ES3_N6thrust23THRUST_200600_302600_NS11hip_rocprim26transform_input_iterator_tIlNS8_12zip_iteratorINS8_5tupleINS8_6detail15normal_iteratorINS8_10device_ptrItEEEESH_NS8_9null_typeESI_SI_SI_SI_SI_SI_SI_EEEENS9_21zip_adj_not_predicateI22is_equal_div_10_uniqueItEEEEEPllNS8_4plusIlEEEE10hipError_tPvRmT1_T2_T3_mT4_P12ihipStream_tbEUlT_E0_NS1_11comp_targetILNS1_3genE0ELNS1_11target_archE4294967295ELNS1_3gpuE0ELNS1_3repE0EEENS1_30default_config_static_selectorELNS0_4arch9wavefront6targetE1EEEvSW_
	.globl	_ZN7rocprim17ROCPRIM_400000_NS6detail17trampoline_kernelINS0_14default_configENS1_22reduce_config_selectorIlEEZNS1_11reduce_implILb1ES3_N6thrust23THRUST_200600_302600_NS11hip_rocprim26transform_input_iterator_tIlNS8_12zip_iteratorINS8_5tupleINS8_6detail15normal_iteratorINS8_10device_ptrItEEEESH_NS8_9null_typeESI_SI_SI_SI_SI_SI_SI_EEEENS9_21zip_adj_not_predicateI22is_equal_div_10_uniqueItEEEEEPllNS8_4plusIlEEEE10hipError_tPvRmT1_T2_T3_mT4_P12ihipStream_tbEUlT_E0_NS1_11comp_targetILNS1_3genE0ELNS1_11target_archE4294967295ELNS1_3gpuE0ELNS1_3repE0EEENS1_30default_config_static_selectorELNS0_4arch9wavefront6targetE1EEEvSW_
	.p2align	8
	.type	_ZN7rocprim17ROCPRIM_400000_NS6detail17trampoline_kernelINS0_14default_configENS1_22reduce_config_selectorIlEEZNS1_11reduce_implILb1ES3_N6thrust23THRUST_200600_302600_NS11hip_rocprim26transform_input_iterator_tIlNS8_12zip_iteratorINS8_5tupleINS8_6detail15normal_iteratorINS8_10device_ptrItEEEESH_NS8_9null_typeESI_SI_SI_SI_SI_SI_SI_EEEENS9_21zip_adj_not_predicateI22is_equal_div_10_uniqueItEEEEEPllNS8_4plusIlEEEE10hipError_tPvRmT1_T2_T3_mT4_P12ihipStream_tbEUlT_E0_NS1_11comp_targetILNS1_3genE0ELNS1_11target_archE4294967295ELNS1_3gpuE0ELNS1_3repE0EEENS1_30default_config_static_selectorELNS0_4arch9wavefront6targetE1EEEvSW_,@function
_ZN7rocprim17ROCPRIM_400000_NS6detail17trampoline_kernelINS0_14default_configENS1_22reduce_config_selectorIlEEZNS1_11reduce_implILb1ES3_N6thrust23THRUST_200600_302600_NS11hip_rocprim26transform_input_iterator_tIlNS8_12zip_iteratorINS8_5tupleINS8_6detail15normal_iteratorINS8_10device_ptrItEEEESH_NS8_9null_typeESI_SI_SI_SI_SI_SI_SI_EEEENS9_21zip_adj_not_predicateI22is_equal_div_10_uniqueItEEEEEPllNS8_4plusIlEEEE10hipError_tPvRmT1_T2_T3_mT4_P12ihipStream_tbEUlT_E0_NS1_11comp_targetILNS1_3genE0ELNS1_11target_archE4294967295ELNS1_3gpuE0ELNS1_3repE0EEENS1_30default_config_static_selectorELNS0_4arch9wavefront6targetE1EEEvSW_: ; @_ZN7rocprim17ROCPRIM_400000_NS6detail17trampoline_kernelINS0_14default_configENS1_22reduce_config_selectorIlEEZNS1_11reduce_implILb1ES3_N6thrust23THRUST_200600_302600_NS11hip_rocprim26transform_input_iterator_tIlNS8_12zip_iteratorINS8_5tupleINS8_6detail15normal_iteratorINS8_10device_ptrItEEEESH_NS8_9null_typeESI_SI_SI_SI_SI_SI_SI_EEEENS9_21zip_adj_not_predicateI22is_equal_div_10_uniqueItEEEEEPllNS8_4plusIlEEEE10hipError_tPvRmT1_T2_T3_mT4_P12ihipStream_tbEUlT_E0_NS1_11comp_targetILNS1_3genE0ELNS1_11target_archE4294967295ELNS1_3gpuE0ELNS1_3repE0EEENS1_30default_config_static_selectorELNS0_4arch9wavefront6targetE1EEEvSW_
; %bb.0:
	.section	.rodata,"a",@progbits
	.p2align	6, 0x0
	.amdhsa_kernel _ZN7rocprim17ROCPRIM_400000_NS6detail17trampoline_kernelINS0_14default_configENS1_22reduce_config_selectorIlEEZNS1_11reduce_implILb1ES3_N6thrust23THRUST_200600_302600_NS11hip_rocprim26transform_input_iterator_tIlNS8_12zip_iteratorINS8_5tupleINS8_6detail15normal_iteratorINS8_10device_ptrItEEEESH_NS8_9null_typeESI_SI_SI_SI_SI_SI_SI_EEEENS9_21zip_adj_not_predicateI22is_equal_div_10_uniqueItEEEEEPllNS8_4plusIlEEEE10hipError_tPvRmT1_T2_T3_mT4_P12ihipStream_tbEUlT_E0_NS1_11comp_targetILNS1_3genE0ELNS1_11target_archE4294967295ELNS1_3gpuE0ELNS1_3repE0EEENS1_30default_config_static_selectorELNS0_4arch9wavefront6targetE1EEEvSW_
		.amdhsa_group_segment_fixed_size 0
		.amdhsa_private_segment_fixed_size 0
		.amdhsa_kernarg_size 80
		.amdhsa_user_sgpr_count 6
		.amdhsa_user_sgpr_private_segment_buffer 1
		.amdhsa_user_sgpr_dispatch_ptr 0
		.amdhsa_user_sgpr_queue_ptr 0
		.amdhsa_user_sgpr_kernarg_segment_ptr 1
		.amdhsa_user_sgpr_dispatch_id 0
		.amdhsa_user_sgpr_flat_scratch_init 0
		.amdhsa_user_sgpr_private_segment_size 0
		.amdhsa_uses_dynamic_stack 0
		.amdhsa_system_sgpr_private_segment_wavefront_offset 0
		.amdhsa_system_sgpr_workgroup_id_x 1
		.amdhsa_system_sgpr_workgroup_id_y 0
		.amdhsa_system_sgpr_workgroup_id_z 0
		.amdhsa_system_sgpr_workgroup_info 0
		.amdhsa_system_vgpr_workitem_id 0
		.amdhsa_next_free_vgpr 1
		.amdhsa_next_free_sgpr 0
		.amdhsa_reserve_vcc 0
		.amdhsa_reserve_flat_scratch 0
		.amdhsa_float_round_mode_32 0
		.amdhsa_float_round_mode_16_64 0
		.amdhsa_float_denorm_mode_32 3
		.amdhsa_float_denorm_mode_16_64 3
		.amdhsa_dx10_clamp 1
		.amdhsa_ieee_mode 1
		.amdhsa_fp16_overflow 0
		.amdhsa_exception_fp_ieee_invalid_op 0
		.amdhsa_exception_fp_denorm_src 0
		.amdhsa_exception_fp_ieee_div_zero 0
		.amdhsa_exception_fp_ieee_overflow 0
		.amdhsa_exception_fp_ieee_underflow 0
		.amdhsa_exception_fp_ieee_inexact 0
		.amdhsa_exception_int_div_zero 0
	.end_amdhsa_kernel
	.section	.text._ZN7rocprim17ROCPRIM_400000_NS6detail17trampoline_kernelINS0_14default_configENS1_22reduce_config_selectorIlEEZNS1_11reduce_implILb1ES3_N6thrust23THRUST_200600_302600_NS11hip_rocprim26transform_input_iterator_tIlNS8_12zip_iteratorINS8_5tupleINS8_6detail15normal_iteratorINS8_10device_ptrItEEEESH_NS8_9null_typeESI_SI_SI_SI_SI_SI_SI_EEEENS9_21zip_adj_not_predicateI22is_equal_div_10_uniqueItEEEEEPllNS8_4plusIlEEEE10hipError_tPvRmT1_T2_T3_mT4_P12ihipStream_tbEUlT_E0_NS1_11comp_targetILNS1_3genE0ELNS1_11target_archE4294967295ELNS1_3gpuE0ELNS1_3repE0EEENS1_30default_config_static_selectorELNS0_4arch9wavefront6targetE1EEEvSW_,"axG",@progbits,_ZN7rocprim17ROCPRIM_400000_NS6detail17trampoline_kernelINS0_14default_configENS1_22reduce_config_selectorIlEEZNS1_11reduce_implILb1ES3_N6thrust23THRUST_200600_302600_NS11hip_rocprim26transform_input_iterator_tIlNS8_12zip_iteratorINS8_5tupleINS8_6detail15normal_iteratorINS8_10device_ptrItEEEESH_NS8_9null_typeESI_SI_SI_SI_SI_SI_SI_EEEENS9_21zip_adj_not_predicateI22is_equal_div_10_uniqueItEEEEEPllNS8_4plusIlEEEE10hipError_tPvRmT1_T2_T3_mT4_P12ihipStream_tbEUlT_E0_NS1_11comp_targetILNS1_3genE0ELNS1_11target_archE4294967295ELNS1_3gpuE0ELNS1_3repE0EEENS1_30default_config_static_selectorELNS0_4arch9wavefront6targetE1EEEvSW_,comdat
.Lfunc_end905:
	.size	_ZN7rocprim17ROCPRIM_400000_NS6detail17trampoline_kernelINS0_14default_configENS1_22reduce_config_selectorIlEEZNS1_11reduce_implILb1ES3_N6thrust23THRUST_200600_302600_NS11hip_rocprim26transform_input_iterator_tIlNS8_12zip_iteratorINS8_5tupleINS8_6detail15normal_iteratorINS8_10device_ptrItEEEESH_NS8_9null_typeESI_SI_SI_SI_SI_SI_SI_EEEENS9_21zip_adj_not_predicateI22is_equal_div_10_uniqueItEEEEEPllNS8_4plusIlEEEE10hipError_tPvRmT1_T2_T3_mT4_P12ihipStream_tbEUlT_E0_NS1_11comp_targetILNS1_3genE0ELNS1_11target_archE4294967295ELNS1_3gpuE0ELNS1_3repE0EEENS1_30default_config_static_selectorELNS0_4arch9wavefront6targetE1EEEvSW_, .Lfunc_end905-_ZN7rocprim17ROCPRIM_400000_NS6detail17trampoline_kernelINS0_14default_configENS1_22reduce_config_selectorIlEEZNS1_11reduce_implILb1ES3_N6thrust23THRUST_200600_302600_NS11hip_rocprim26transform_input_iterator_tIlNS8_12zip_iteratorINS8_5tupleINS8_6detail15normal_iteratorINS8_10device_ptrItEEEESH_NS8_9null_typeESI_SI_SI_SI_SI_SI_SI_EEEENS9_21zip_adj_not_predicateI22is_equal_div_10_uniqueItEEEEEPllNS8_4plusIlEEEE10hipError_tPvRmT1_T2_T3_mT4_P12ihipStream_tbEUlT_E0_NS1_11comp_targetILNS1_3genE0ELNS1_11target_archE4294967295ELNS1_3gpuE0ELNS1_3repE0EEENS1_30default_config_static_selectorELNS0_4arch9wavefront6targetE1EEEvSW_
                                        ; -- End function
	.set _ZN7rocprim17ROCPRIM_400000_NS6detail17trampoline_kernelINS0_14default_configENS1_22reduce_config_selectorIlEEZNS1_11reduce_implILb1ES3_N6thrust23THRUST_200600_302600_NS11hip_rocprim26transform_input_iterator_tIlNS8_12zip_iteratorINS8_5tupleINS8_6detail15normal_iteratorINS8_10device_ptrItEEEESH_NS8_9null_typeESI_SI_SI_SI_SI_SI_SI_EEEENS9_21zip_adj_not_predicateI22is_equal_div_10_uniqueItEEEEEPllNS8_4plusIlEEEE10hipError_tPvRmT1_T2_T3_mT4_P12ihipStream_tbEUlT_E0_NS1_11comp_targetILNS1_3genE0ELNS1_11target_archE4294967295ELNS1_3gpuE0ELNS1_3repE0EEENS1_30default_config_static_selectorELNS0_4arch9wavefront6targetE1EEEvSW_.num_vgpr, 0
	.set _ZN7rocprim17ROCPRIM_400000_NS6detail17trampoline_kernelINS0_14default_configENS1_22reduce_config_selectorIlEEZNS1_11reduce_implILb1ES3_N6thrust23THRUST_200600_302600_NS11hip_rocprim26transform_input_iterator_tIlNS8_12zip_iteratorINS8_5tupleINS8_6detail15normal_iteratorINS8_10device_ptrItEEEESH_NS8_9null_typeESI_SI_SI_SI_SI_SI_SI_EEEENS9_21zip_adj_not_predicateI22is_equal_div_10_uniqueItEEEEEPllNS8_4plusIlEEEE10hipError_tPvRmT1_T2_T3_mT4_P12ihipStream_tbEUlT_E0_NS1_11comp_targetILNS1_3genE0ELNS1_11target_archE4294967295ELNS1_3gpuE0ELNS1_3repE0EEENS1_30default_config_static_selectorELNS0_4arch9wavefront6targetE1EEEvSW_.num_agpr, 0
	.set _ZN7rocprim17ROCPRIM_400000_NS6detail17trampoline_kernelINS0_14default_configENS1_22reduce_config_selectorIlEEZNS1_11reduce_implILb1ES3_N6thrust23THRUST_200600_302600_NS11hip_rocprim26transform_input_iterator_tIlNS8_12zip_iteratorINS8_5tupleINS8_6detail15normal_iteratorINS8_10device_ptrItEEEESH_NS8_9null_typeESI_SI_SI_SI_SI_SI_SI_EEEENS9_21zip_adj_not_predicateI22is_equal_div_10_uniqueItEEEEEPllNS8_4plusIlEEEE10hipError_tPvRmT1_T2_T3_mT4_P12ihipStream_tbEUlT_E0_NS1_11comp_targetILNS1_3genE0ELNS1_11target_archE4294967295ELNS1_3gpuE0ELNS1_3repE0EEENS1_30default_config_static_selectorELNS0_4arch9wavefront6targetE1EEEvSW_.numbered_sgpr, 0
	.set _ZN7rocprim17ROCPRIM_400000_NS6detail17trampoline_kernelINS0_14default_configENS1_22reduce_config_selectorIlEEZNS1_11reduce_implILb1ES3_N6thrust23THRUST_200600_302600_NS11hip_rocprim26transform_input_iterator_tIlNS8_12zip_iteratorINS8_5tupleINS8_6detail15normal_iteratorINS8_10device_ptrItEEEESH_NS8_9null_typeESI_SI_SI_SI_SI_SI_SI_EEEENS9_21zip_adj_not_predicateI22is_equal_div_10_uniqueItEEEEEPllNS8_4plusIlEEEE10hipError_tPvRmT1_T2_T3_mT4_P12ihipStream_tbEUlT_E0_NS1_11comp_targetILNS1_3genE0ELNS1_11target_archE4294967295ELNS1_3gpuE0ELNS1_3repE0EEENS1_30default_config_static_selectorELNS0_4arch9wavefront6targetE1EEEvSW_.num_named_barrier, 0
	.set _ZN7rocprim17ROCPRIM_400000_NS6detail17trampoline_kernelINS0_14default_configENS1_22reduce_config_selectorIlEEZNS1_11reduce_implILb1ES3_N6thrust23THRUST_200600_302600_NS11hip_rocprim26transform_input_iterator_tIlNS8_12zip_iteratorINS8_5tupleINS8_6detail15normal_iteratorINS8_10device_ptrItEEEESH_NS8_9null_typeESI_SI_SI_SI_SI_SI_SI_EEEENS9_21zip_adj_not_predicateI22is_equal_div_10_uniqueItEEEEEPllNS8_4plusIlEEEE10hipError_tPvRmT1_T2_T3_mT4_P12ihipStream_tbEUlT_E0_NS1_11comp_targetILNS1_3genE0ELNS1_11target_archE4294967295ELNS1_3gpuE0ELNS1_3repE0EEENS1_30default_config_static_selectorELNS0_4arch9wavefront6targetE1EEEvSW_.private_seg_size, 0
	.set _ZN7rocprim17ROCPRIM_400000_NS6detail17trampoline_kernelINS0_14default_configENS1_22reduce_config_selectorIlEEZNS1_11reduce_implILb1ES3_N6thrust23THRUST_200600_302600_NS11hip_rocprim26transform_input_iterator_tIlNS8_12zip_iteratorINS8_5tupleINS8_6detail15normal_iteratorINS8_10device_ptrItEEEESH_NS8_9null_typeESI_SI_SI_SI_SI_SI_SI_EEEENS9_21zip_adj_not_predicateI22is_equal_div_10_uniqueItEEEEEPllNS8_4plusIlEEEE10hipError_tPvRmT1_T2_T3_mT4_P12ihipStream_tbEUlT_E0_NS1_11comp_targetILNS1_3genE0ELNS1_11target_archE4294967295ELNS1_3gpuE0ELNS1_3repE0EEENS1_30default_config_static_selectorELNS0_4arch9wavefront6targetE1EEEvSW_.uses_vcc, 0
	.set _ZN7rocprim17ROCPRIM_400000_NS6detail17trampoline_kernelINS0_14default_configENS1_22reduce_config_selectorIlEEZNS1_11reduce_implILb1ES3_N6thrust23THRUST_200600_302600_NS11hip_rocprim26transform_input_iterator_tIlNS8_12zip_iteratorINS8_5tupleINS8_6detail15normal_iteratorINS8_10device_ptrItEEEESH_NS8_9null_typeESI_SI_SI_SI_SI_SI_SI_EEEENS9_21zip_adj_not_predicateI22is_equal_div_10_uniqueItEEEEEPllNS8_4plusIlEEEE10hipError_tPvRmT1_T2_T3_mT4_P12ihipStream_tbEUlT_E0_NS1_11comp_targetILNS1_3genE0ELNS1_11target_archE4294967295ELNS1_3gpuE0ELNS1_3repE0EEENS1_30default_config_static_selectorELNS0_4arch9wavefront6targetE1EEEvSW_.uses_flat_scratch, 0
	.set _ZN7rocprim17ROCPRIM_400000_NS6detail17trampoline_kernelINS0_14default_configENS1_22reduce_config_selectorIlEEZNS1_11reduce_implILb1ES3_N6thrust23THRUST_200600_302600_NS11hip_rocprim26transform_input_iterator_tIlNS8_12zip_iteratorINS8_5tupleINS8_6detail15normal_iteratorINS8_10device_ptrItEEEESH_NS8_9null_typeESI_SI_SI_SI_SI_SI_SI_EEEENS9_21zip_adj_not_predicateI22is_equal_div_10_uniqueItEEEEEPllNS8_4plusIlEEEE10hipError_tPvRmT1_T2_T3_mT4_P12ihipStream_tbEUlT_E0_NS1_11comp_targetILNS1_3genE0ELNS1_11target_archE4294967295ELNS1_3gpuE0ELNS1_3repE0EEENS1_30default_config_static_selectorELNS0_4arch9wavefront6targetE1EEEvSW_.has_dyn_sized_stack, 0
	.set _ZN7rocprim17ROCPRIM_400000_NS6detail17trampoline_kernelINS0_14default_configENS1_22reduce_config_selectorIlEEZNS1_11reduce_implILb1ES3_N6thrust23THRUST_200600_302600_NS11hip_rocprim26transform_input_iterator_tIlNS8_12zip_iteratorINS8_5tupleINS8_6detail15normal_iteratorINS8_10device_ptrItEEEESH_NS8_9null_typeESI_SI_SI_SI_SI_SI_SI_EEEENS9_21zip_adj_not_predicateI22is_equal_div_10_uniqueItEEEEEPllNS8_4plusIlEEEE10hipError_tPvRmT1_T2_T3_mT4_P12ihipStream_tbEUlT_E0_NS1_11comp_targetILNS1_3genE0ELNS1_11target_archE4294967295ELNS1_3gpuE0ELNS1_3repE0EEENS1_30default_config_static_selectorELNS0_4arch9wavefront6targetE1EEEvSW_.has_recursion, 0
	.set _ZN7rocprim17ROCPRIM_400000_NS6detail17trampoline_kernelINS0_14default_configENS1_22reduce_config_selectorIlEEZNS1_11reduce_implILb1ES3_N6thrust23THRUST_200600_302600_NS11hip_rocprim26transform_input_iterator_tIlNS8_12zip_iteratorINS8_5tupleINS8_6detail15normal_iteratorINS8_10device_ptrItEEEESH_NS8_9null_typeESI_SI_SI_SI_SI_SI_SI_EEEENS9_21zip_adj_not_predicateI22is_equal_div_10_uniqueItEEEEEPllNS8_4plusIlEEEE10hipError_tPvRmT1_T2_T3_mT4_P12ihipStream_tbEUlT_E0_NS1_11comp_targetILNS1_3genE0ELNS1_11target_archE4294967295ELNS1_3gpuE0ELNS1_3repE0EEENS1_30default_config_static_selectorELNS0_4arch9wavefront6targetE1EEEvSW_.has_indirect_call, 0
	.section	.AMDGPU.csdata,"",@progbits
; Kernel info:
; codeLenInByte = 0
; TotalNumSgprs: 4
; NumVgprs: 0
; ScratchSize: 0
; MemoryBound: 0
; FloatMode: 240
; IeeeMode: 1
; LDSByteSize: 0 bytes/workgroup (compile time only)
; SGPRBlocks: 0
; VGPRBlocks: 0
; NumSGPRsForWavesPerEU: 4
; NumVGPRsForWavesPerEU: 1
; Occupancy: 10
; WaveLimiterHint : 0
; COMPUTE_PGM_RSRC2:SCRATCH_EN: 0
; COMPUTE_PGM_RSRC2:USER_SGPR: 6
; COMPUTE_PGM_RSRC2:TRAP_HANDLER: 0
; COMPUTE_PGM_RSRC2:TGID_X_EN: 1
; COMPUTE_PGM_RSRC2:TGID_Y_EN: 0
; COMPUTE_PGM_RSRC2:TGID_Z_EN: 0
; COMPUTE_PGM_RSRC2:TIDIG_COMP_CNT: 0
	.section	.text._ZN7rocprim17ROCPRIM_400000_NS6detail17trampoline_kernelINS0_14default_configENS1_22reduce_config_selectorIlEEZNS1_11reduce_implILb1ES3_N6thrust23THRUST_200600_302600_NS11hip_rocprim26transform_input_iterator_tIlNS8_12zip_iteratorINS8_5tupleINS8_6detail15normal_iteratorINS8_10device_ptrItEEEESH_NS8_9null_typeESI_SI_SI_SI_SI_SI_SI_EEEENS9_21zip_adj_not_predicateI22is_equal_div_10_uniqueItEEEEEPllNS8_4plusIlEEEE10hipError_tPvRmT1_T2_T3_mT4_P12ihipStream_tbEUlT_E0_NS1_11comp_targetILNS1_3genE5ELNS1_11target_archE942ELNS1_3gpuE9ELNS1_3repE0EEENS1_30default_config_static_selectorELNS0_4arch9wavefront6targetE1EEEvSW_,"axG",@progbits,_ZN7rocprim17ROCPRIM_400000_NS6detail17trampoline_kernelINS0_14default_configENS1_22reduce_config_selectorIlEEZNS1_11reduce_implILb1ES3_N6thrust23THRUST_200600_302600_NS11hip_rocprim26transform_input_iterator_tIlNS8_12zip_iteratorINS8_5tupleINS8_6detail15normal_iteratorINS8_10device_ptrItEEEESH_NS8_9null_typeESI_SI_SI_SI_SI_SI_SI_EEEENS9_21zip_adj_not_predicateI22is_equal_div_10_uniqueItEEEEEPllNS8_4plusIlEEEE10hipError_tPvRmT1_T2_T3_mT4_P12ihipStream_tbEUlT_E0_NS1_11comp_targetILNS1_3genE5ELNS1_11target_archE942ELNS1_3gpuE9ELNS1_3repE0EEENS1_30default_config_static_selectorELNS0_4arch9wavefront6targetE1EEEvSW_,comdat
	.protected	_ZN7rocprim17ROCPRIM_400000_NS6detail17trampoline_kernelINS0_14default_configENS1_22reduce_config_selectorIlEEZNS1_11reduce_implILb1ES3_N6thrust23THRUST_200600_302600_NS11hip_rocprim26transform_input_iterator_tIlNS8_12zip_iteratorINS8_5tupleINS8_6detail15normal_iteratorINS8_10device_ptrItEEEESH_NS8_9null_typeESI_SI_SI_SI_SI_SI_SI_EEEENS9_21zip_adj_not_predicateI22is_equal_div_10_uniqueItEEEEEPllNS8_4plusIlEEEE10hipError_tPvRmT1_T2_T3_mT4_P12ihipStream_tbEUlT_E0_NS1_11comp_targetILNS1_3genE5ELNS1_11target_archE942ELNS1_3gpuE9ELNS1_3repE0EEENS1_30default_config_static_selectorELNS0_4arch9wavefront6targetE1EEEvSW_ ; -- Begin function _ZN7rocprim17ROCPRIM_400000_NS6detail17trampoline_kernelINS0_14default_configENS1_22reduce_config_selectorIlEEZNS1_11reduce_implILb1ES3_N6thrust23THRUST_200600_302600_NS11hip_rocprim26transform_input_iterator_tIlNS8_12zip_iteratorINS8_5tupleINS8_6detail15normal_iteratorINS8_10device_ptrItEEEESH_NS8_9null_typeESI_SI_SI_SI_SI_SI_SI_EEEENS9_21zip_adj_not_predicateI22is_equal_div_10_uniqueItEEEEEPllNS8_4plusIlEEEE10hipError_tPvRmT1_T2_T3_mT4_P12ihipStream_tbEUlT_E0_NS1_11comp_targetILNS1_3genE5ELNS1_11target_archE942ELNS1_3gpuE9ELNS1_3repE0EEENS1_30default_config_static_selectorELNS0_4arch9wavefront6targetE1EEEvSW_
	.globl	_ZN7rocprim17ROCPRIM_400000_NS6detail17trampoline_kernelINS0_14default_configENS1_22reduce_config_selectorIlEEZNS1_11reduce_implILb1ES3_N6thrust23THRUST_200600_302600_NS11hip_rocprim26transform_input_iterator_tIlNS8_12zip_iteratorINS8_5tupleINS8_6detail15normal_iteratorINS8_10device_ptrItEEEESH_NS8_9null_typeESI_SI_SI_SI_SI_SI_SI_EEEENS9_21zip_adj_not_predicateI22is_equal_div_10_uniqueItEEEEEPllNS8_4plusIlEEEE10hipError_tPvRmT1_T2_T3_mT4_P12ihipStream_tbEUlT_E0_NS1_11comp_targetILNS1_3genE5ELNS1_11target_archE942ELNS1_3gpuE9ELNS1_3repE0EEENS1_30default_config_static_selectorELNS0_4arch9wavefront6targetE1EEEvSW_
	.p2align	8
	.type	_ZN7rocprim17ROCPRIM_400000_NS6detail17trampoline_kernelINS0_14default_configENS1_22reduce_config_selectorIlEEZNS1_11reduce_implILb1ES3_N6thrust23THRUST_200600_302600_NS11hip_rocprim26transform_input_iterator_tIlNS8_12zip_iteratorINS8_5tupleINS8_6detail15normal_iteratorINS8_10device_ptrItEEEESH_NS8_9null_typeESI_SI_SI_SI_SI_SI_SI_EEEENS9_21zip_adj_not_predicateI22is_equal_div_10_uniqueItEEEEEPllNS8_4plusIlEEEE10hipError_tPvRmT1_T2_T3_mT4_P12ihipStream_tbEUlT_E0_NS1_11comp_targetILNS1_3genE5ELNS1_11target_archE942ELNS1_3gpuE9ELNS1_3repE0EEENS1_30default_config_static_selectorELNS0_4arch9wavefront6targetE1EEEvSW_,@function
_ZN7rocprim17ROCPRIM_400000_NS6detail17trampoline_kernelINS0_14default_configENS1_22reduce_config_selectorIlEEZNS1_11reduce_implILb1ES3_N6thrust23THRUST_200600_302600_NS11hip_rocprim26transform_input_iterator_tIlNS8_12zip_iteratorINS8_5tupleINS8_6detail15normal_iteratorINS8_10device_ptrItEEEESH_NS8_9null_typeESI_SI_SI_SI_SI_SI_SI_EEEENS9_21zip_adj_not_predicateI22is_equal_div_10_uniqueItEEEEEPllNS8_4plusIlEEEE10hipError_tPvRmT1_T2_T3_mT4_P12ihipStream_tbEUlT_E0_NS1_11comp_targetILNS1_3genE5ELNS1_11target_archE942ELNS1_3gpuE9ELNS1_3repE0EEENS1_30default_config_static_selectorELNS0_4arch9wavefront6targetE1EEEvSW_: ; @_ZN7rocprim17ROCPRIM_400000_NS6detail17trampoline_kernelINS0_14default_configENS1_22reduce_config_selectorIlEEZNS1_11reduce_implILb1ES3_N6thrust23THRUST_200600_302600_NS11hip_rocprim26transform_input_iterator_tIlNS8_12zip_iteratorINS8_5tupleINS8_6detail15normal_iteratorINS8_10device_ptrItEEEESH_NS8_9null_typeESI_SI_SI_SI_SI_SI_SI_EEEENS9_21zip_adj_not_predicateI22is_equal_div_10_uniqueItEEEEEPllNS8_4plusIlEEEE10hipError_tPvRmT1_T2_T3_mT4_P12ihipStream_tbEUlT_E0_NS1_11comp_targetILNS1_3genE5ELNS1_11target_archE942ELNS1_3gpuE9ELNS1_3repE0EEENS1_30default_config_static_selectorELNS0_4arch9wavefront6targetE1EEEvSW_
; %bb.0:
	.section	.rodata,"a",@progbits
	.p2align	6, 0x0
	.amdhsa_kernel _ZN7rocprim17ROCPRIM_400000_NS6detail17trampoline_kernelINS0_14default_configENS1_22reduce_config_selectorIlEEZNS1_11reduce_implILb1ES3_N6thrust23THRUST_200600_302600_NS11hip_rocprim26transform_input_iterator_tIlNS8_12zip_iteratorINS8_5tupleINS8_6detail15normal_iteratorINS8_10device_ptrItEEEESH_NS8_9null_typeESI_SI_SI_SI_SI_SI_SI_EEEENS9_21zip_adj_not_predicateI22is_equal_div_10_uniqueItEEEEEPllNS8_4plusIlEEEE10hipError_tPvRmT1_T2_T3_mT4_P12ihipStream_tbEUlT_E0_NS1_11comp_targetILNS1_3genE5ELNS1_11target_archE942ELNS1_3gpuE9ELNS1_3repE0EEENS1_30default_config_static_selectorELNS0_4arch9wavefront6targetE1EEEvSW_
		.amdhsa_group_segment_fixed_size 0
		.amdhsa_private_segment_fixed_size 0
		.amdhsa_kernarg_size 80
		.amdhsa_user_sgpr_count 6
		.amdhsa_user_sgpr_private_segment_buffer 1
		.amdhsa_user_sgpr_dispatch_ptr 0
		.amdhsa_user_sgpr_queue_ptr 0
		.amdhsa_user_sgpr_kernarg_segment_ptr 1
		.amdhsa_user_sgpr_dispatch_id 0
		.amdhsa_user_sgpr_flat_scratch_init 0
		.amdhsa_user_sgpr_private_segment_size 0
		.amdhsa_uses_dynamic_stack 0
		.amdhsa_system_sgpr_private_segment_wavefront_offset 0
		.amdhsa_system_sgpr_workgroup_id_x 1
		.amdhsa_system_sgpr_workgroup_id_y 0
		.amdhsa_system_sgpr_workgroup_id_z 0
		.amdhsa_system_sgpr_workgroup_info 0
		.amdhsa_system_vgpr_workitem_id 0
		.amdhsa_next_free_vgpr 1
		.amdhsa_next_free_sgpr 0
		.amdhsa_reserve_vcc 0
		.amdhsa_reserve_flat_scratch 0
		.amdhsa_float_round_mode_32 0
		.amdhsa_float_round_mode_16_64 0
		.amdhsa_float_denorm_mode_32 3
		.amdhsa_float_denorm_mode_16_64 3
		.amdhsa_dx10_clamp 1
		.amdhsa_ieee_mode 1
		.amdhsa_fp16_overflow 0
		.amdhsa_exception_fp_ieee_invalid_op 0
		.amdhsa_exception_fp_denorm_src 0
		.amdhsa_exception_fp_ieee_div_zero 0
		.amdhsa_exception_fp_ieee_overflow 0
		.amdhsa_exception_fp_ieee_underflow 0
		.amdhsa_exception_fp_ieee_inexact 0
		.amdhsa_exception_int_div_zero 0
	.end_amdhsa_kernel
	.section	.text._ZN7rocprim17ROCPRIM_400000_NS6detail17trampoline_kernelINS0_14default_configENS1_22reduce_config_selectorIlEEZNS1_11reduce_implILb1ES3_N6thrust23THRUST_200600_302600_NS11hip_rocprim26transform_input_iterator_tIlNS8_12zip_iteratorINS8_5tupleINS8_6detail15normal_iteratorINS8_10device_ptrItEEEESH_NS8_9null_typeESI_SI_SI_SI_SI_SI_SI_EEEENS9_21zip_adj_not_predicateI22is_equal_div_10_uniqueItEEEEEPllNS8_4plusIlEEEE10hipError_tPvRmT1_T2_T3_mT4_P12ihipStream_tbEUlT_E0_NS1_11comp_targetILNS1_3genE5ELNS1_11target_archE942ELNS1_3gpuE9ELNS1_3repE0EEENS1_30default_config_static_selectorELNS0_4arch9wavefront6targetE1EEEvSW_,"axG",@progbits,_ZN7rocprim17ROCPRIM_400000_NS6detail17trampoline_kernelINS0_14default_configENS1_22reduce_config_selectorIlEEZNS1_11reduce_implILb1ES3_N6thrust23THRUST_200600_302600_NS11hip_rocprim26transform_input_iterator_tIlNS8_12zip_iteratorINS8_5tupleINS8_6detail15normal_iteratorINS8_10device_ptrItEEEESH_NS8_9null_typeESI_SI_SI_SI_SI_SI_SI_EEEENS9_21zip_adj_not_predicateI22is_equal_div_10_uniqueItEEEEEPllNS8_4plusIlEEEE10hipError_tPvRmT1_T2_T3_mT4_P12ihipStream_tbEUlT_E0_NS1_11comp_targetILNS1_3genE5ELNS1_11target_archE942ELNS1_3gpuE9ELNS1_3repE0EEENS1_30default_config_static_selectorELNS0_4arch9wavefront6targetE1EEEvSW_,comdat
.Lfunc_end906:
	.size	_ZN7rocprim17ROCPRIM_400000_NS6detail17trampoline_kernelINS0_14default_configENS1_22reduce_config_selectorIlEEZNS1_11reduce_implILb1ES3_N6thrust23THRUST_200600_302600_NS11hip_rocprim26transform_input_iterator_tIlNS8_12zip_iteratorINS8_5tupleINS8_6detail15normal_iteratorINS8_10device_ptrItEEEESH_NS8_9null_typeESI_SI_SI_SI_SI_SI_SI_EEEENS9_21zip_adj_not_predicateI22is_equal_div_10_uniqueItEEEEEPllNS8_4plusIlEEEE10hipError_tPvRmT1_T2_T3_mT4_P12ihipStream_tbEUlT_E0_NS1_11comp_targetILNS1_3genE5ELNS1_11target_archE942ELNS1_3gpuE9ELNS1_3repE0EEENS1_30default_config_static_selectorELNS0_4arch9wavefront6targetE1EEEvSW_, .Lfunc_end906-_ZN7rocprim17ROCPRIM_400000_NS6detail17trampoline_kernelINS0_14default_configENS1_22reduce_config_selectorIlEEZNS1_11reduce_implILb1ES3_N6thrust23THRUST_200600_302600_NS11hip_rocprim26transform_input_iterator_tIlNS8_12zip_iteratorINS8_5tupleINS8_6detail15normal_iteratorINS8_10device_ptrItEEEESH_NS8_9null_typeESI_SI_SI_SI_SI_SI_SI_EEEENS9_21zip_adj_not_predicateI22is_equal_div_10_uniqueItEEEEEPllNS8_4plusIlEEEE10hipError_tPvRmT1_T2_T3_mT4_P12ihipStream_tbEUlT_E0_NS1_11comp_targetILNS1_3genE5ELNS1_11target_archE942ELNS1_3gpuE9ELNS1_3repE0EEENS1_30default_config_static_selectorELNS0_4arch9wavefront6targetE1EEEvSW_
                                        ; -- End function
	.set _ZN7rocprim17ROCPRIM_400000_NS6detail17trampoline_kernelINS0_14default_configENS1_22reduce_config_selectorIlEEZNS1_11reduce_implILb1ES3_N6thrust23THRUST_200600_302600_NS11hip_rocprim26transform_input_iterator_tIlNS8_12zip_iteratorINS8_5tupleINS8_6detail15normal_iteratorINS8_10device_ptrItEEEESH_NS8_9null_typeESI_SI_SI_SI_SI_SI_SI_EEEENS9_21zip_adj_not_predicateI22is_equal_div_10_uniqueItEEEEEPllNS8_4plusIlEEEE10hipError_tPvRmT1_T2_T3_mT4_P12ihipStream_tbEUlT_E0_NS1_11comp_targetILNS1_3genE5ELNS1_11target_archE942ELNS1_3gpuE9ELNS1_3repE0EEENS1_30default_config_static_selectorELNS0_4arch9wavefront6targetE1EEEvSW_.num_vgpr, 0
	.set _ZN7rocprim17ROCPRIM_400000_NS6detail17trampoline_kernelINS0_14default_configENS1_22reduce_config_selectorIlEEZNS1_11reduce_implILb1ES3_N6thrust23THRUST_200600_302600_NS11hip_rocprim26transform_input_iterator_tIlNS8_12zip_iteratorINS8_5tupleINS8_6detail15normal_iteratorINS8_10device_ptrItEEEESH_NS8_9null_typeESI_SI_SI_SI_SI_SI_SI_EEEENS9_21zip_adj_not_predicateI22is_equal_div_10_uniqueItEEEEEPllNS8_4plusIlEEEE10hipError_tPvRmT1_T2_T3_mT4_P12ihipStream_tbEUlT_E0_NS1_11comp_targetILNS1_3genE5ELNS1_11target_archE942ELNS1_3gpuE9ELNS1_3repE0EEENS1_30default_config_static_selectorELNS0_4arch9wavefront6targetE1EEEvSW_.num_agpr, 0
	.set _ZN7rocprim17ROCPRIM_400000_NS6detail17trampoline_kernelINS0_14default_configENS1_22reduce_config_selectorIlEEZNS1_11reduce_implILb1ES3_N6thrust23THRUST_200600_302600_NS11hip_rocprim26transform_input_iterator_tIlNS8_12zip_iteratorINS8_5tupleINS8_6detail15normal_iteratorINS8_10device_ptrItEEEESH_NS8_9null_typeESI_SI_SI_SI_SI_SI_SI_EEEENS9_21zip_adj_not_predicateI22is_equal_div_10_uniqueItEEEEEPllNS8_4plusIlEEEE10hipError_tPvRmT1_T2_T3_mT4_P12ihipStream_tbEUlT_E0_NS1_11comp_targetILNS1_3genE5ELNS1_11target_archE942ELNS1_3gpuE9ELNS1_3repE0EEENS1_30default_config_static_selectorELNS0_4arch9wavefront6targetE1EEEvSW_.numbered_sgpr, 0
	.set _ZN7rocprim17ROCPRIM_400000_NS6detail17trampoline_kernelINS0_14default_configENS1_22reduce_config_selectorIlEEZNS1_11reduce_implILb1ES3_N6thrust23THRUST_200600_302600_NS11hip_rocprim26transform_input_iterator_tIlNS8_12zip_iteratorINS8_5tupleINS8_6detail15normal_iteratorINS8_10device_ptrItEEEESH_NS8_9null_typeESI_SI_SI_SI_SI_SI_SI_EEEENS9_21zip_adj_not_predicateI22is_equal_div_10_uniqueItEEEEEPllNS8_4plusIlEEEE10hipError_tPvRmT1_T2_T3_mT4_P12ihipStream_tbEUlT_E0_NS1_11comp_targetILNS1_3genE5ELNS1_11target_archE942ELNS1_3gpuE9ELNS1_3repE0EEENS1_30default_config_static_selectorELNS0_4arch9wavefront6targetE1EEEvSW_.num_named_barrier, 0
	.set _ZN7rocprim17ROCPRIM_400000_NS6detail17trampoline_kernelINS0_14default_configENS1_22reduce_config_selectorIlEEZNS1_11reduce_implILb1ES3_N6thrust23THRUST_200600_302600_NS11hip_rocprim26transform_input_iterator_tIlNS8_12zip_iteratorINS8_5tupleINS8_6detail15normal_iteratorINS8_10device_ptrItEEEESH_NS8_9null_typeESI_SI_SI_SI_SI_SI_SI_EEEENS9_21zip_adj_not_predicateI22is_equal_div_10_uniqueItEEEEEPllNS8_4plusIlEEEE10hipError_tPvRmT1_T2_T3_mT4_P12ihipStream_tbEUlT_E0_NS1_11comp_targetILNS1_3genE5ELNS1_11target_archE942ELNS1_3gpuE9ELNS1_3repE0EEENS1_30default_config_static_selectorELNS0_4arch9wavefront6targetE1EEEvSW_.private_seg_size, 0
	.set _ZN7rocprim17ROCPRIM_400000_NS6detail17trampoline_kernelINS0_14default_configENS1_22reduce_config_selectorIlEEZNS1_11reduce_implILb1ES3_N6thrust23THRUST_200600_302600_NS11hip_rocprim26transform_input_iterator_tIlNS8_12zip_iteratorINS8_5tupleINS8_6detail15normal_iteratorINS8_10device_ptrItEEEESH_NS8_9null_typeESI_SI_SI_SI_SI_SI_SI_EEEENS9_21zip_adj_not_predicateI22is_equal_div_10_uniqueItEEEEEPllNS8_4plusIlEEEE10hipError_tPvRmT1_T2_T3_mT4_P12ihipStream_tbEUlT_E0_NS1_11comp_targetILNS1_3genE5ELNS1_11target_archE942ELNS1_3gpuE9ELNS1_3repE0EEENS1_30default_config_static_selectorELNS0_4arch9wavefront6targetE1EEEvSW_.uses_vcc, 0
	.set _ZN7rocprim17ROCPRIM_400000_NS6detail17trampoline_kernelINS0_14default_configENS1_22reduce_config_selectorIlEEZNS1_11reduce_implILb1ES3_N6thrust23THRUST_200600_302600_NS11hip_rocprim26transform_input_iterator_tIlNS8_12zip_iteratorINS8_5tupleINS8_6detail15normal_iteratorINS8_10device_ptrItEEEESH_NS8_9null_typeESI_SI_SI_SI_SI_SI_SI_EEEENS9_21zip_adj_not_predicateI22is_equal_div_10_uniqueItEEEEEPllNS8_4plusIlEEEE10hipError_tPvRmT1_T2_T3_mT4_P12ihipStream_tbEUlT_E0_NS1_11comp_targetILNS1_3genE5ELNS1_11target_archE942ELNS1_3gpuE9ELNS1_3repE0EEENS1_30default_config_static_selectorELNS0_4arch9wavefront6targetE1EEEvSW_.uses_flat_scratch, 0
	.set _ZN7rocprim17ROCPRIM_400000_NS6detail17trampoline_kernelINS0_14default_configENS1_22reduce_config_selectorIlEEZNS1_11reduce_implILb1ES3_N6thrust23THRUST_200600_302600_NS11hip_rocprim26transform_input_iterator_tIlNS8_12zip_iteratorINS8_5tupleINS8_6detail15normal_iteratorINS8_10device_ptrItEEEESH_NS8_9null_typeESI_SI_SI_SI_SI_SI_SI_EEEENS9_21zip_adj_not_predicateI22is_equal_div_10_uniqueItEEEEEPllNS8_4plusIlEEEE10hipError_tPvRmT1_T2_T3_mT4_P12ihipStream_tbEUlT_E0_NS1_11comp_targetILNS1_3genE5ELNS1_11target_archE942ELNS1_3gpuE9ELNS1_3repE0EEENS1_30default_config_static_selectorELNS0_4arch9wavefront6targetE1EEEvSW_.has_dyn_sized_stack, 0
	.set _ZN7rocprim17ROCPRIM_400000_NS6detail17trampoline_kernelINS0_14default_configENS1_22reduce_config_selectorIlEEZNS1_11reduce_implILb1ES3_N6thrust23THRUST_200600_302600_NS11hip_rocprim26transform_input_iterator_tIlNS8_12zip_iteratorINS8_5tupleINS8_6detail15normal_iteratorINS8_10device_ptrItEEEESH_NS8_9null_typeESI_SI_SI_SI_SI_SI_SI_EEEENS9_21zip_adj_not_predicateI22is_equal_div_10_uniqueItEEEEEPllNS8_4plusIlEEEE10hipError_tPvRmT1_T2_T3_mT4_P12ihipStream_tbEUlT_E0_NS1_11comp_targetILNS1_3genE5ELNS1_11target_archE942ELNS1_3gpuE9ELNS1_3repE0EEENS1_30default_config_static_selectorELNS0_4arch9wavefront6targetE1EEEvSW_.has_recursion, 0
	.set _ZN7rocprim17ROCPRIM_400000_NS6detail17trampoline_kernelINS0_14default_configENS1_22reduce_config_selectorIlEEZNS1_11reduce_implILb1ES3_N6thrust23THRUST_200600_302600_NS11hip_rocprim26transform_input_iterator_tIlNS8_12zip_iteratorINS8_5tupleINS8_6detail15normal_iteratorINS8_10device_ptrItEEEESH_NS8_9null_typeESI_SI_SI_SI_SI_SI_SI_EEEENS9_21zip_adj_not_predicateI22is_equal_div_10_uniqueItEEEEEPllNS8_4plusIlEEEE10hipError_tPvRmT1_T2_T3_mT4_P12ihipStream_tbEUlT_E0_NS1_11comp_targetILNS1_3genE5ELNS1_11target_archE942ELNS1_3gpuE9ELNS1_3repE0EEENS1_30default_config_static_selectorELNS0_4arch9wavefront6targetE1EEEvSW_.has_indirect_call, 0
	.section	.AMDGPU.csdata,"",@progbits
; Kernel info:
; codeLenInByte = 0
; TotalNumSgprs: 4
; NumVgprs: 0
; ScratchSize: 0
; MemoryBound: 0
; FloatMode: 240
; IeeeMode: 1
; LDSByteSize: 0 bytes/workgroup (compile time only)
; SGPRBlocks: 0
; VGPRBlocks: 0
; NumSGPRsForWavesPerEU: 4
; NumVGPRsForWavesPerEU: 1
; Occupancy: 10
; WaveLimiterHint : 0
; COMPUTE_PGM_RSRC2:SCRATCH_EN: 0
; COMPUTE_PGM_RSRC2:USER_SGPR: 6
; COMPUTE_PGM_RSRC2:TRAP_HANDLER: 0
; COMPUTE_PGM_RSRC2:TGID_X_EN: 1
; COMPUTE_PGM_RSRC2:TGID_Y_EN: 0
; COMPUTE_PGM_RSRC2:TGID_Z_EN: 0
; COMPUTE_PGM_RSRC2:TIDIG_COMP_CNT: 0
	.section	.text._ZN7rocprim17ROCPRIM_400000_NS6detail17trampoline_kernelINS0_14default_configENS1_22reduce_config_selectorIlEEZNS1_11reduce_implILb1ES3_N6thrust23THRUST_200600_302600_NS11hip_rocprim26transform_input_iterator_tIlNS8_12zip_iteratorINS8_5tupleINS8_6detail15normal_iteratorINS8_10device_ptrItEEEESH_NS8_9null_typeESI_SI_SI_SI_SI_SI_SI_EEEENS9_21zip_adj_not_predicateI22is_equal_div_10_uniqueItEEEEEPllNS8_4plusIlEEEE10hipError_tPvRmT1_T2_T3_mT4_P12ihipStream_tbEUlT_E0_NS1_11comp_targetILNS1_3genE4ELNS1_11target_archE910ELNS1_3gpuE8ELNS1_3repE0EEENS1_30default_config_static_selectorELNS0_4arch9wavefront6targetE1EEEvSW_,"axG",@progbits,_ZN7rocprim17ROCPRIM_400000_NS6detail17trampoline_kernelINS0_14default_configENS1_22reduce_config_selectorIlEEZNS1_11reduce_implILb1ES3_N6thrust23THRUST_200600_302600_NS11hip_rocprim26transform_input_iterator_tIlNS8_12zip_iteratorINS8_5tupleINS8_6detail15normal_iteratorINS8_10device_ptrItEEEESH_NS8_9null_typeESI_SI_SI_SI_SI_SI_SI_EEEENS9_21zip_adj_not_predicateI22is_equal_div_10_uniqueItEEEEEPllNS8_4plusIlEEEE10hipError_tPvRmT1_T2_T3_mT4_P12ihipStream_tbEUlT_E0_NS1_11comp_targetILNS1_3genE4ELNS1_11target_archE910ELNS1_3gpuE8ELNS1_3repE0EEENS1_30default_config_static_selectorELNS0_4arch9wavefront6targetE1EEEvSW_,comdat
	.protected	_ZN7rocprim17ROCPRIM_400000_NS6detail17trampoline_kernelINS0_14default_configENS1_22reduce_config_selectorIlEEZNS1_11reduce_implILb1ES3_N6thrust23THRUST_200600_302600_NS11hip_rocprim26transform_input_iterator_tIlNS8_12zip_iteratorINS8_5tupleINS8_6detail15normal_iteratorINS8_10device_ptrItEEEESH_NS8_9null_typeESI_SI_SI_SI_SI_SI_SI_EEEENS9_21zip_adj_not_predicateI22is_equal_div_10_uniqueItEEEEEPllNS8_4plusIlEEEE10hipError_tPvRmT1_T2_T3_mT4_P12ihipStream_tbEUlT_E0_NS1_11comp_targetILNS1_3genE4ELNS1_11target_archE910ELNS1_3gpuE8ELNS1_3repE0EEENS1_30default_config_static_selectorELNS0_4arch9wavefront6targetE1EEEvSW_ ; -- Begin function _ZN7rocprim17ROCPRIM_400000_NS6detail17trampoline_kernelINS0_14default_configENS1_22reduce_config_selectorIlEEZNS1_11reduce_implILb1ES3_N6thrust23THRUST_200600_302600_NS11hip_rocprim26transform_input_iterator_tIlNS8_12zip_iteratorINS8_5tupleINS8_6detail15normal_iteratorINS8_10device_ptrItEEEESH_NS8_9null_typeESI_SI_SI_SI_SI_SI_SI_EEEENS9_21zip_adj_not_predicateI22is_equal_div_10_uniqueItEEEEEPllNS8_4plusIlEEEE10hipError_tPvRmT1_T2_T3_mT4_P12ihipStream_tbEUlT_E0_NS1_11comp_targetILNS1_3genE4ELNS1_11target_archE910ELNS1_3gpuE8ELNS1_3repE0EEENS1_30default_config_static_selectorELNS0_4arch9wavefront6targetE1EEEvSW_
	.globl	_ZN7rocprim17ROCPRIM_400000_NS6detail17trampoline_kernelINS0_14default_configENS1_22reduce_config_selectorIlEEZNS1_11reduce_implILb1ES3_N6thrust23THRUST_200600_302600_NS11hip_rocprim26transform_input_iterator_tIlNS8_12zip_iteratorINS8_5tupleINS8_6detail15normal_iteratorINS8_10device_ptrItEEEESH_NS8_9null_typeESI_SI_SI_SI_SI_SI_SI_EEEENS9_21zip_adj_not_predicateI22is_equal_div_10_uniqueItEEEEEPllNS8_4plusIlEEEE10hipError_tPvRmT1_T2_T3_mT4_P12ihipStream_tbEUlT_E0_NS1_11comp_targetILNS1_3genE4ELNS1_11target_archE910ELNS1_3gpuE8ELNS1_3repE0EEENS1_30default_config_static_selectorELNS0_4arch9wavefront6targetE1EEEvSW_
	.p2align	8
	.type	_ZN7rocprim17ROCPRIM_400000_NS6detail17trampoline_kernelINS0_14default_configENS1_22reduce_config_selectorIlEEZNS1_11reduce_implILb1ES3_N6thrust23THRUST_200600_302600_NS11hip_rocprim26transform_input_iterator_tIlNS8_12zip_iteratorINS8_5tupleINS8_6detail15normal_iteratorINS8_10device_ptrItEEEESH_NS8_9null_typeESI_SI_SI_SI_SI_SI_SI_EEEENS9_21zip_adj_not_predicateI22is_equal_div_10_uniqueItEEEEEPllNS8_4plusIlEEEE10hipError_tPvRmT1_T2_T3_mT4_P12ihipStream_tbEUlT_E0_NS1_11comp_targetILNS1_3genE4ELNS1_11target_archE910ELNS1_3gpuE8ELNS1_3repE0EEENS1_30default_config_static_selectorELNS0_4arch9wavefront6targetE1EEEvSW_,@function
_ZN7rocprim17ROCPRIM_400000_NS6detail17trampoline_kernelINS0_14default_configENS1_22reduce_config_selectorIlEEZNS1_11reduce_implILb1ES3_N6thrust23THRUST_200600_302600_NS11hip_rocprim26transform_input_iterator_tIlNS8_12zip_iteratorINS8_5tupleINS8_6detail15normal_iteratorINS8_10device_ptrItEEEESH_NS8_9null_typeESI_SI_SI_SI_SI_SI_SI_EEEENS9_21zip_adj_not_predicateI22is_equal_div_10_uniqueItEEEEEPllNS8_4plusIlEEEE10hipError_tPvRmT1_T2_T3_mT4_P12ihipStream_tbEUlT_E0_NS1_11comp_targetILNS1_3genE4ELNS1_11target_archE910ELNS1_3gpuE8ELNS1_3repE0EEENS1_30default_config_static_selectorELNS0_4arch9wavefront6targetE1EEEvSW_: ; @_ZN7rocprim17ROCPRIM_400000_NS6detail17trampoline_kernelINS0_14default_configENS1_22reduce_config_selectorIlEEZNS1_11reduce_implILb1ES3_N6thrust23THRUST_200600_302600_NS11hip_rocprim26transform_input_iterator_tIlNS8_12zip_iteratorINS8_5tupleINS8_6detail15normal_iteratorINS8_10device_ptrItEEEESH_NS8_9null_typeESI_SI_SI_SI_SI_SI_SI_EEEENS9_21zip_adj_not_predicateI22is_equal_div_10_uniqueItEEEEEPllNS8_4plusIlEEEE10hipError_tPvRmT1_T2_T3_mT4_P12ihipStream_tbEUlT_E0_NS1_11comp_targetILNS1_3genE4ELNS1_11target_archE910ELNS1_3gpuE8ELNS1_3repE0EEENS1_30default_config_static_selectorELNS0_4arch9wavefront6targetE1EEEvSW_
; %bb.0:
	.section	.rodata,"a",@progbits
	.p2align	6, 0x0
	.amdhsa_kernel _ZN7rocprim17ROCPRIM_400000_NS6detail17trampoline_kernelINS0_14default_configENS1_22reduce_config_selectorIlEEZNS1_11reduce_implILb1ES3_N6thrust23THRUST_200600_302600_NS11hip_rocprim26transform_input_iterator_tIlNS8_12zip_iteratorINS8_5tupleINS8_6detail15normal_iteratorINS8_10device_ptrItEEEESH_NS8_9null_typeESI_SI_SI_SI_SI_SI_SI_EEEENS9_21zip_adj_not_predicateI22is_equal_div_10_uniqueItEEEEEPllNS8_4plusIlEEEE10hipError_tPvRmT1_T2_T3_mT4_P12ihipStream_tbEUlT_E0_NS1_11comp_targetILNS1_3genE4ELNS1_11target_archE910ELNS1_3gpuE8ELNS1_3repE0EEENS1_30default_config_static_selectorELNS0_4arch9wavefront6targetE1EEEvSW_
		.amdhsa_group_segment_fixed_size 0
		.amdhsa_private_segment_fixed_size 0
		.amdhsa_kernarg_size 80
		.amdhsa_user_sgpr_count 6
		.amdhsa_user_sgpr_private_segment_buffer 1
		.amdhsa_user_sgpr_dispatch_ptr 0
		.amdhsa_user_sgpr_queue_ptr 0
		.amdhsa_user_sgpr_kernarg_segment_ptr 1
		.amdhsa_user_sgpr_dispatch_id 0
		.amdhsa_user_sgpr_flat_scratch_init 0
		.amdhsa_user_sgpr_private_segment_size 0
		.amdhsa_uses_dynamic_stack 0
		.amdhsa_system_sgpr_private_segment_wavefront_offset 0
		.amdhsa_system_sgpr_workgroup_id_x 1
		.amdhsa_system_sgpr_workgroup_id_y 0
		.amdhsa_system_sgpr_workgroup_id_z 0
		.amdhsa_system_sgpr_workgroup_info 0
		.amdhsa_system_vgpr_workitem_id 0
		.amdhsa_next_free_vgpr 1
		.amdhsa_next_free_sgpr 0
		.amdhsa_reserve_vcc 0
		.amdhsa_reserve_flat_scratch 0
		.amdhsa_float_round_mode_32 0
		.amdhsa_float_round_mode_16_64 0
		.amdhsa_float_denorm_mode_32 3
		.amdhsa_float_denorm_mode_16_64 3
		.amdhsa_dx10_clamp 1
		.amdhsa_ieee_mode 1
		.amdhsa_fp16_overflow 0
		.amdhsa_exception_fp_ieee_invalid_op 0
		.amdhsa_exception_fp_denorm_src 0
		.amdhsa_exception_fp_ieee_div_zero 0
		.amdhsa_exception_fp_ieee_overflow 0
		.amdhsa_exception_fp_ieee_underflow 0
		.amdhsa_exception_fp_ieee_inexact 0
		.amdhsa_exception_int_div_zero 0
	.end_amdhsa_kernel
	.section	.text._ZN7rocprim17ROCPRIM_400000_NS6detail17trampoline_kernelINS0_14default_configENS1_22reduce_config_selectorIlEEZNS1_11reduce_implILb1ES3_N6thrust23THRUST_200600_302600_NS11hip_rocprim26transform_input_iterator_tIlNS8_12zip_iteratorINS8_5tupleINS8_6detail15normal_iteratorINS8_10device_ptrItEEEESH_NS8_9null_typeESI_SI_SI_SI_SI_SI_SI_EEEENS9_21zip_adj_not_predicateI22is_equal_div_10_uniqueItEEEEEPllNS8_4plusIlEEEE10hipError_tPvRmT1_T2_T3_mT4_P12ihipStream_tbEUlT_E0_NS1_11comp_targetILNS1_3genE4ELNS1_11target_archE910ELNS1_3gpuE8ELNS1_3repE0EEENS1_30default_config_static_selectorELNS0_4arch9wavefront6targetE1EEEvSW_,"axG",@progbits,_ZN7rocprim17ROCPRIM_400000_NS6detail17trampoline_kernelINS0_14default_configENS1_22reduce_config_selectorIlEEZNS1_11reduce_implILb1ES3_N6thrust23THRUST_200600_302600_NS11hip_rocprim26transform_input_iterator_tIlNS8_12zip_iteratorINS8_5tupleINS8_6detail15normal_iteratorINS8_10device_ptrItEEEESH_NS8_9null_typeESI_SI_SI_SI_SI_SI_SI_EEEENS9_21zip_adj_not_predicateI22is_equal_div_10_uniqueItEEEEEPllNS8_4plusIlEEEE10hipError_tPvRmT1_T2_T3_mT4_P12ihipStream_tbEUlT_E0_NS1_11comp_targetILNS1_3genE4ELNS1_11target_archE910ELNS1_3gpuE8ELNS1_3repE0EEENS1_30default_config_static_selectorELNS0_4arch9wavefront6targetE1EEEvSW_,comdat
.Lfunc_end907:
	.size	_ZN7rocprim17ROCPRIM_400000_NS6detail17trampoline_kernelINS0_14default_configENS1_22reduce_config_selectorIlEEZNS1_11reduce_implILb1ES3_N6thrust23THRUST_200600_302600_NS11hip_rocprim26transform_input_iterator_tIlNS8_12zip_iteratorINS8_5tupleINS8_6detail15normal_iteratorINS8_10device_ptrItEEEESH_NS8_9null_typeESI_SI_SI_SI_SI_SI_SI_EEEENS9_21zip_adj_not_predicateI22is_equal_div_10_uniqueItEEEEEPllNS8_4plusIlEEEE10hipError_tPvRmT1_T2_T3_mT4_P12ihipStream_tbEUlT_E0_NS1_11comp_targetILNS1_3genE4ELNS1_11target_archE910ELNS1_3gpuE8ELNS1_3repE0EEENS1_30default_config_static_selectorELNS0_4arch9wavefront6targetE1EEEvSW_, .Lfunc_end907-_ZN7rocprim17ROCPRIM_400000_NS6detail17trampoline_kernelINS0_14default_configENS1_22reduce_config_selectorIlEEZNS1_11reduce_implILb1ES3_N6thrust23THRUST_200600_302600_NS11hip_rocprim26transform_input_iterator_tIlNS8_12zip_iteratorINS8_5tupleINS8_6detail15normal_iteratorINS8_10device_ptrItEEEESH_NS8_9null_typeESI_SI_SI_SI_SI_SI_SI_EEEENS9_21zip_adj_not_predicateI22is_equal_div_10_uniqueItEEEEEPllNS8_4plusIlEEEE10hipError_tPvRmT1_T2_T3_mT4_P12ihipStream_tbEUlT_E0_NS1_11comp_targetILNS1_3genE4ELNS1_11target_archE910ELNS1_3gpuE8ELNS1_3repE0EEENS1_30default_config_static_selectorELNS0_4arch9wavefront6targetE1EEEvSW_
                                        ; -- End function
	.set _ZN7rocprim17ROCPRIM_400000_NS6detail17trampoline_kernelINS0_14default_configENS1_22reduce_config_selectorIlEEZNS1_11reduce_implILb1ES3_N6thrust23THRUST_200600_302600_NS11hip_rocprim26transform_input_iterator_tIlNS8_12zip_iteratorINS8_5tupleINS8_6detail15normal_iteratorINS8_10device_ptrItEEEESH_NS8_9null_typeESI_SI_SI_SI_SI_SI_SI_EEEENS9_21zip_adj_not_predicateI22is_equal_div_10_uniqueItEEEEEPllNS8_4plusIlEEEE10hipError_tPvRmT1_T2_T3_mT4_P12ihipStream_tbEUlT_E0_NS1_11comp_targetILNS1_3genE4ELNS1_11target_archE910ELNS1_3gpuE8ELNS1_3repE0EEENS1_30default_config_static_selectorELNS0_4arch9wavefront6targetE1EEEvSW_.num_vgpr, 0
	.set _ZN7rocprim17ROCPRIM_400000_NS6detail17trampoline_kernelINS0_14default_configENS1_22reduce_config_selectorIlEEZNS1_11reduce_implILb1ES3_N6thrust23THRUST_200600_302600_NS11hip_rocprim26transform_input_iterator_tIlNS8_12zip_iteratorINS8_5tupleINS8_6detail15normal_iteratorINS8_10device_ptrItEEEESH_NS8_9null_typeESI_SI_SI_SI_SI_SI_SI_EEEENS9_21zip_adj_not_predicateI22is_equal_div_10_uniqueItEEEEEPllNS8_4plusIlEEEE10hipError_tPvRmT1_T2_T3_mT4_P12ihipStream_tbEUlT_E0_NS1_11comp_targetILNS1_3genE4ELNS1_11target_archE910ELNS1_3gpuE8ELNS1_3repE0EEENS1_30default_config_static_selectorELNS0_4arch9wavefront6targetE1EEEvSW_.num_agpr, 0
	.set _ZN7rocprim17ROCPRIM_400000_NS6detail17trampoline_kernelINS0_14default_configENS1_22reduce_config_selectorIlEEZNS1_11reduce_implILb1ES3_N6thrust23THRUST_200600_302600_NS11hip_rocprim26transform_input_iterator_tIlNS8_12zip_iteratorINS8_5tupleINS8_6detail15normal_iteratorINS8_10device_ptrItEEEESH_NS8_9null_typeESI_SI_SI_SI_SI_SI_SI_EEEENS9_21zip_adj_not_predicateI22is_equal_div_10_uniqueItEEEEEPllNS8_4plusIlEEEE10hipError_tPvRmT1_T2_T3_mT4_P12ihipStream_tbEUlT_E0_NS1_11comp_targetILNS1_3genE4ELNS1_11target_archE910ELNS1_3gpuE8ELNS1_3repE0EEENS1_30default_config_static_selectorELNS0_4arch9wavefront6targetE1EEEvSW_.numbered_sgpr, 0
	.set _ZN7rocprim17ROCPRIM_400000_NS6detail17trampoline_kernelINS0_14default_configENS1_22reduce_config_selectorIlEEZNS1_11reduce_implILb1ES3_N6thrust23THRUST_200600_302600_NS11hip_rocprim26transform_input_iterator_tIlNS8_12zip_iteratorINS8_5tupleINS8_6detail15normal_iteratorINS8_10device_ptrItEEEESH_NS8_9null_typeESI_SI_SI_SI_SI_SI_SI_EEEENS9_21zip_adj_not_predicateI22is_equal_div_10_uniqueItEEEEEPllNS8_4plusIlEEEE10hipError_tPvRmT1_T2_T3_mT4_P12ihipStream_tbEUlT_E0_NS1_11comp_targetILNS1_3genE4ELNS1_11target_archE910ELNS1_3gpuE8ELNS1_3repE0EEENS1_30default_config_static_selectorELNS0_4arch9wavefront6targetE1EEEvSW_.num_named_barrier, 0
	.set _ZN7rocprim17ROCPRIM_400000_NS6detail17trampoline_kernelINS0_14default_configENS1_22reduce_config_selectorIlEEZNS1_11reduce_implILb1ES3_N6thrust23THRUST_200600_302600_NS11hip_rocprim26transform_input_iterator_tIlNS8_12zip_iteratorINS8_5tupleINS8_6detail15normal_iteratorINS8_10device_ptrItEEEESH_NS8_9null_typeESI_SI_SI_SI_SI_SI_SI_EEEENS9_21zip_adj_not_predicateI22is_equal_div_10_uniqueItEEEEEPllNS8_4plusIlEEEE10hipError_tPvRmT1_T2_T3_mT4_P12ihipStream_tbEUlT_E0_NS1_11comp_targetILNS1_3genE4ELNS1_11target_archE910ELNS1_3gpuE8ELNS1_3repE0EEENS1_30default_config_static_selectorELNS0_4arch9wavefront6targetE1EEEvSW_.private_seg_size, 0
	.set _ZN7rocprim17ROCPRIM_400000_NS6detail17trampoline_kernelINS0_14default_configENS1_22reduce_config_selectorIlEEZNS1_11reduce_implILb1ES3_N6thrust23THRUST_200600_302600_NS11hip_rocprim26transform_input_iterator_tIlNS8_12zip_iteratorINS8_5tupleINS8_6detail15normal_iteratorINS8_10device_ptrItEEEESH_NS8_9null_typeESI_SI_SI_SI_SI_SI_SI_EEEENS9_21zip_adj_not_predicateI22is_equal_div_10_uniqueItEEEEEPllNS8_4plusIlEEEE10hipError_tPvRmT1_T2_T3_mT4_P12ihipStream_tbEUlT_E0_NS1_11comp_targetILNS1_3genE4ELNS1_11target_archE910ELNS1_3gpuE8ELNS1_3repE0EEENS1_30default_config_static_selectorELNS0_4arch9wavefront6targetE1EEEvSW_.uses_vcc, 0
	.set _ZN7rocprim17ROCPRIM_400000_NS6detail17trampoline_kernelINS0_14default_configENS1_22reduce_config_selectorIlEEZNS1_11reduce_implILb1ES3_N6thrust23THRUST_200600_302600_NS11hip_rocprim26transform_input_iterator_tIlNS8_12zip_iteratorINS8_5tupleINS8_6detail15normal_iteratorINS8_10device_ptrItEEEESH_NS8_9null_typeESI_SI_SI_SI_SI_SI_SI_EEEENS9_21zip_adj_not_predicateI22is_equal_div_10_uniqueItEEEEEPllNS8_4plusIlEEEE10hipError_tPvRmT1_T2_T3_mT4_P12ihipStream_tbEUlT_E0_NS1_11comp_targetILNS1_3genE4ELNS1_11target_archE910ELNS1_3gpuE8ELNS1_3repE0EEENS1_30default_config_static_selectorELNS0_4arch9wavefront6targetE1EEEvSW_.uses_flat_scratch, 0
	.set _ZN7rocprim17ROCPRIM_400000_NS6detail17trampoline_kernelINS0_14default_configENS1_22reduce_config_selectorIlEEZNS1_11reduce_implILb1ES3_N6thrust23THRUST_200600_302600_NS11hip_rocprim26transform_input_iterator_tIlNS8_12zip_iteratorINS8_5tupleINS8_6detail15normal_iteratorINS8_10device_ptrItEEEESH_NS8_9null_typeESI_SI_SI_SI_SI_SI_SI_EEEENS9_21zip_adj_not_predicateI22is_equal_div_10_uniqueItEEEEEPllNS8_4plusIlEEEE10hipError_tPvRmT1_T2_T3_mT4_P12ihipStream_tbEUlT_E0_NS1_11comp_targetILNS1_3genE4ELNS1_11target_archE910ELNS1_3gpuE8ELNS1_3repE0EEENS1_30default_config_static_selectorELNS0_4arch9wavefront6targetE1EEEvSW_.has_dyn_sized_stack, 0
	.set _ZN7rocprim17ROCPRIM_400000_NS6detail17trampoline_kernelINS0_14default_configENS1_22reduce_config_selectorIlEEZNS1_11reduce_implILb1ES3_N6thrust23THRUST_200600_302600_NS11hip_rocprim26transform_input_iterator_tIlNS8_12zip_iteratorINS8_5tupleINS8_6detail15normal_iteratorINS8_10device_ptrItEEEESH_NS8_9null_typeESI_SI_SI_SI_SI_SI_SI_EEEENS9_21zip_adj_not_predicateI22is_equal_div_10_uniqueItEEEEEPllNS8_4plusIlEEEE10hipError_tPvRmT1_T2_T3_mT4_P12ihipStream_tbEUlT_E0_NS1_11comp_targetILNS1_3genE4ELNS1_11target_archE910ELNS1_3gpuE8ELNS1_3repE0EEENS1_30default_config_static_selectorELNS0_4arch9wavefront6targetE1EEEvSW_.has_recursion, 0
	.set _ZN7rocprim17ROCPRIM_400000_NS6detail17trampoline_kernelINS0_14default_configENS1_22reduce_config_selectorIlEEZNS1_11reduce_implILb1ES3_N6thrust23THRUST_200600_302600_NS11hip_rocprim26transform_input_iterator_tIlNS8_12zip_iteratorINS8_5tupleINS8_6detail15normal_iteratorINS8_10device_ptrItEEEESH_NS8_9null_typeESI_SI_SI_SI_SI_SI_SI_EEEENS9_21zip_adj_not_predicateI22is_equal_div_10_uniqueItEEEEEPllNS8_4plusIlEEEE10hipError_tPvRmT1_T2_T3_mT4_P12ihipStream_tbEUlT_E0_NS1_11comp_targetILNS1_3genE4ELNS1_11target_archE910ELNS1_3gpuE8ELNS1_3repE0EEENS1_30default_config_static_selectorELNS0_4arch9wavefront6targetE1EEEvSW_.has_indirect_call, 0
	.section	.AMDGPU.csdata,"",@progbits
; Kernel info:
; codeLenInByte = 0
; TotalNumSgprs: 4
; NumVgprs: 0
; ScratchSize: 0
; MemoryBound: 0
; FloatMode: 240
; IeeeMode: 1
; LDSByteSize: 0 bytes/workgroup (compile time only)
; SGPRBlocks: 0
; VGPRBlocks: 0
; NumSGPRsForWavesPerEU: 4
; NumVGPRsForWavesPerEU: 1
; Occupancy: 10
; WaveLimiterHint : 0
; COMPUTE_PGM_RSRC2:SCRATCH_EN: 0
; COMPUTE_PGM_RSRC2:USER_SGPR: 6
; COMPUTE_PGM_RSRC2:TRAP_HANDLER: 0
; COMPUTE_PGM_RSRC2:TGID_X_EN: 1
; COMPUTE_PGM_RSRC2:TGID_Y_EN: 0
; COMPUTE_PGM_RSRC2:TGID_Z_EN: 0
; COMPUTE_PGM_RSRC2:TIDIG_COMP_CNT: 0
	.section	.text._ZN7rocprim17ROCPRIM_400000_NS6detail17trampoline_kernelINS0_14default_configENS1_22reduce_config_selectorIlEEZNS1_11reduce_implILb1ES3_N6thrust23THRUST_200600_302600_NS11hip_rocprim26transform_input_iterator_tIlNS8_12zip_iteratorINS8_5tupleINS8_6detail15normal_iteratorINS8_10device_ptrItEEEESH_NS8_9null_typeESI_SI_SI_SI_SI_SI_SI_EEEENS9_21zip_adj_not_predicateI22is_equal_div_10_uniqueItEEEEEPllNS8_4plusIlEEEE10hipError_tPvRmT1_T2_T3_mT4_P12ihipStream_tbEUlT_E0_NS1_11comp_targetILNS1_3genE3ELNS1_11target_archE908ELNS1_3gpuE7ELNS1_3repE0EEENS1_30default_config_static_selectorELNS0_4arch9wavefront6targetE1EEEvSW_,"axG",@progbits,_ZN7rocprim17ROCPRIM_400000_NS6detail17trampoline_kernelINS0_14default_configENS1_22reduce_config_selectorIlEEZNS1_11reduce_implILb1ES3_N6thrust23THRUST_200600_302600_NS11hip_rocprim26transform_input_iterator_tIlNS8_12zip_iteratorINS8_5tupleINS8_6detail15normal_iteratorINS8_10device_ptrItEEEESH_NS8_9null_typeESI_SI_SI_SI_SI_SI_SI_EEEENS9_21zip_adj_not_predicateI22is_equal_div_10_uniqueItEEEEEPllNS8_4plusIlEEEE10hipError_tPvRmT1_T2_T3_mT4_P12ihipStream_tbEUlT_E0_NS1_11comp_targetILNS1_3genE3ELNS1_11target_archE908ELNS1_3gpuE7ELNS1_3repE0EEENS1_30default_config_static_selectorELNS0_4arch9wavefront6targetE1EEEvSW_,comdat
	.protected	_ZN7rocprim17ROCPRIM_400000_NS6detail17trampoline_kernelINS0_14default_configENS1_22reduce_config_selectorIlEEZNS1_11reduce_implILb1ES3_N6thrust23THRUST_200600_302600_NS11hip_rocprim26transform_input_iterator_tIlNS8_12zip_iteratorINS8_5tupleINS8_6detail15normal_iteratorINS8_10device_ptrItEEEESH_NS8_9null_typeESI_SI_SI_SI_SI_SI_SI_EEEENS9_21zip_adj_not_predicateI22is_equal_div_10_uniqueItEEEEEPllNS8_4plusIlEEEE10hipError_tPvRmT1_T2_T3_mT4_P12ihipStream_tbEUlT_E0_NS1_11comp_targetILNS1_3genE3ELNS1_11target_archE908ELNS1_3gpuE7ELNS1_3repE0EEENS1_30default_config_static_selectorELNS0_4arch9wavefront6targetE1EEEvSW_ ; -- Begin function _ZN7rocprim17ROCPRIM_400000_NS6detail17trampoline_kernelINS0_14default_configENS1_22reduce_config_selectorIlEEZNS1_11reduce_implILb1ES3_N6thrust23THRUST_200600_302600_NS11hip_rocprim26transform_input_iterator_tIlNS8_12zip_iteratorINS8_5tupleINS8_6detail15normal_iteratorINS8_10device_ptrItEEEESH_NS8_9null_typeESI_SI_SI_SI_SI_SI_SI_EEEENS9_21zip_adj_not_predicateI22is_equal_div_10_uniqueItEEEEEPllNS8_4plusIlEEEE10hipError_tPvRmT1_T2_T3_mT4_P12ihipStream_tbEUlT_E0_NS1_11comp_targetILNS1_3genE3ELNS1_11target_archE908ELNS1_3gpuE7ELNS1_3repE0EEENS1_30default_config_static_selectorELNS0_4arch9wavefront6targetE1EEEvSW_
	.globl	_ZN7rocprim17ROCPRIM_400000_NS6detail17trampoline_kernelINS0_14default_configENS1_22reduce_config_selectorIlEEZNS1_11reduce_implILb1ES3_N6thrust23THRUST_200600_302600_NS11hip_rocprim26transform_input_iterator_tIlNS8_12zip_iteratorINS8_5tupleINS8_6detail15normal_iteratorINS8_10device_ptrItEEEESH_NS8_9null_typeESI_SI_SI_SI_SI_SI_SI_EEEENS9_21zip_adj_not_predicateI22is_equal_div_10_uniqueItEEEEEPllNS8_4plusIlEEEE10hipError_tPvRmT1_T2_T3_mT4_P12ihipStream_tbEUlT_E0_NS1_11comp_targetILNS1_3genE3ELNS1_11target_archE908ELNS1_3gpuE7ELNS1_3repE0EEENS1_30default_config_static_selectorELNS0_4arch9wavefront6targetE1EEEvSW_
	.p2align	8
	.type	_ZN7rocprim17ROCPRIM_400000_NS6detail17trampoline_kernelINS0_14default_configENS1_22reduce_config_selectorIlEEZNS1_11reduce_implILb1ES3_N6thrust23THRUST_200600_302600_NS11hip_rocprim26transform_input_iterator_tIlNS8_12zip_iteratorINS8_5tupleINS8_6detail15normal_iteratorINS8_10device_ptrItEEEESH_NS8_9null_typeESI_SI_SI_SI_SI_SI_SI_EEEENS9_21zip_adj_not_predicateI22is_equal_div_10_uniqueItEEEEEPllNS8_4plusIlEEEE10hipError_tPvRmT1_T2_T3_mT4_P12ihipStream_tbEUlT_E0_NS1_11comp_targetILNS1_3genE3ELNS1_11target_archE908ELNS1_3gpuE7ELNS1_3repE0EEENS1_30default_config_static_selectorELNS0_4arch9wavefront6targetE1EEEvSW_,@function
_ZN7rocprim17ROCPRIM_400000_NS6detail17trampoline_kernelINS0_14default_configENS1_22reduce_config_selectorIlEEZNS1_11reduce_implILb1ES3_N6thrust23THRUST_200600_302600_NS11hip_rocprim26transform_input_iterator_tIlNS8_12zip_iteratorINS8_5tupleINS8_6detail15normal_iteratorINS8_10device_ptrItEEEESH_NS8_9null_typeESI_SI_SI_SI_SI_SI_SI_EEEENS9_21zip_adj_not_predicateI22is_equal_div_10_uniqueItEEEEEPllNS8_4plusIlEEEE10hipError_tPvRmT1_T2_T3_mT4_P12ihipStream_tbEUlT_E0_NS1_11comp_targetILNS1_3genE3ELNS1_11target_archE908ELNS1_3gpuE7ELNS1_3repE0EEENS1_30default_config_static_selectorELNS0_4arch9wavefront6targetE1EEEvSW_: ; @_ZN7rocprim17ROCPRIM_400000_NS6detail17trampoline_kernelINS0_14default_configENS1_22reduce_config_selectorIlEEZNS1_11reduce_implILb1ES3_N6thrust23THRUST_200600_302600_NS11hip_rocprim26transform_input_iterator_tIlNS8_12zip_iteratorINS8_5tupleINS8_6detail15normal_iteratorINS8_10device_ptrItEEEESH_NS8_9null_typeESI_SI_SI_SI_SI_SI_SI_EEEENS9_21zip_adj_not_predicateI22is_equal_div_10_uniqueItEEEEEPllNS8_4plusIlEEEE10hipError_tPvRmT1_T2_T3_mT4_P12ihipStream_tbEUlT_E0_NS1_11comp_targetILNS1_3genE3ELNS1_11target_archE908ELNS1_3gpuE7ELNS1_3repE0EEENS1_30default_config_static_selectorELNS0_4arch9wavefront6targetE1EEEvSW_
; %bb.0:
	.section	.rodata,"a",@progbits
	.p2align	6, 0x0
	.amdhsa_kernel _ZN7rocprim17ROCPRIM_400000_NS6detail17trampoline_kernelINS0_14default_configENS1_22reduce_config_selectorIlEEZNS1_11reduce_implILb1ES3_N6thrust23THRUST_200600_302600_NS11hip_rocprim26transform_input_iterator_tIlNS8_12zip_iteratorINS8_5tupleINS8_6detail15normal_iteratorINS8_10device_ptrItEEEESH_NS8_9null_typeESI_SI_SI_SI_SI_SI_SI_EEEENS9_21zip_adj_not_predicateI22is_equal_div_10_uniqueItEEEEEPllNS8_4plusIlEEEE10hipError_tPvRmT1_T2_T3_mT4_P12ihipStream_tbEUlT_E0_NS1_11comp_targetILNS1_3genE3ELNS1_11target_archE908ELNS1_3gpuE7ELNS1_3repE0EEENS1_30default_config_static_selectorELNS0_4arch9wavefront6targetE1EEEvSW_
		.amdhsa_group_segment_fixed_size 0
		.amdhsa_private_segment_fixed_size 0
		.amdhsa_kernarg_size 80
		.amdhsa_user_sgpr_count 6
		.amdhsa_user_sgpr_private_segment_buffer 1
		.amdhsa_user_sgpr_dispatch_ptr 0
		.amdhsa_user_sgpr_queue_ptr 0
		.amdhsa_user_sgpr_kernarg_segment_ptr 1
		.amdhsa_user_sgpr_dispatch_id 0
		.amdhsa_user_sgpr_flat_scratch_init 0
		.amdhsa_user_sgpr_private_segment_size 0
		.amdhsa_uses_dynamic_stack 0
		.amdhsa_system_sgpr_private_segment_wavefront_offset 0
		.amdhsa_system_sgpr_workgroup_id_x 1
		.amdhsa_system_sgpr_workgroup_id_y 0
		.amdhsa_system_sgpr_workgroup_id_z 0
		.amdhsa_system_sgpr_workgroup_info 0
		.amdhsa_system_vgpr_workitem_id 0
		.amdhsa_next_free_vgpr 1
		.amdhsa_next_free_sgpr 0
		.amdhsa_reserve_vcc 0
		.amdhsa_reserve_flat_scratch 0
		.amdhsa_float_round_mode_32 0
		.amdhsa_float_round_mode_16_64 0
		.amdhsa_float_denorm_mode_32 3
		.amdhsa_float_denorm_mode_16_64 3
		.amdhsa_dx10_clamp 1
		.amdhsa_ieee_mode 1
		.amdhsa_fp16_overflow 0
		.amdhsa_exception_fp_ieee_invalid_op 0
		.amdhsa_exception_fp_denorm_src 0
		.amdhsa_exception_fp_ieee_div_zero 0
		.amdhsa_exception_fp_ieee_overflow 0
		.amdhsa_exception_fp_ieee_underflow 0
		.amdhsa_exception_fp_ieee_inexact 0
		.amdhsa_exception_int_div_zero 0
	.end_amdhsa_kernel
	.section	.text._ZN7rocprim17ROCPRIM_400000_NS6detail17trampoline_kernelINS0_14default_configENS1_22reduce_config_selectorIlEEZNS1_11reduce_implILb1ES3_N6thrust23THRUST_200600_302600_NS11hip_rocprim26transform_input_iterator_tIlNS8_12zip_iteratorINS8_5tupleINS8_6detail15normal_iteratorINS8_10device_ptrItEEEESH_NS8_9null_typeESI_SI_SI_SI_SI_SI_SI_EEEENS9_21zip_adj_not_predicateI22is_equal_div_10_uniqueItEEEEEPllNS8_4plusIlEEEE10hipError_tPvRmT1_T2_T3_mT4_P12ihipStream_tbEUlT_E0_NS1_11comp_targetILNS1_3genE3ELNS1_11target_archE908ELNS1_3gpuE7ELNS1_3repE0EEENS1_30default_config_static_selectorELNS0_4arch9wavefront6targetE1EEEvSW_,"axG",@progbits,_ZN7rocprim17ROCPRIM_400000_NS6detail17trampoline_kernelINS0_14default_configENS1_22reduce_config_selectorIlEEZNS1_11reduce_implILb1ES3_N6thrust23THRUST_200600_302600_NS11hip_rocprim26transform_input_iterator_tIlNS8_12zip_iteratorINS8_5tupleINS8_6detail15normal_iteratorINS8_10device_ptrItEEEESH_NS8_9null_typeESI_SI_SI_SI_SI_SI_SI_EEEENS9_21zip_adj_not_predicateI22is_equal_div_10_uniqueItEEEEEPllNS8_4plusIlEEEE10hipError_tPvRmT1_T2_T3_mT4_P12ihipStream_tbEUlT_E0_NS1_11comp_targetILNS1_3genE3ELNS1_11target_archE908ELNS1_3gpuE7ELNS1_3repE0EEENS1_30default_config_static_selectorELNS0_4arch9wavefront6targetE1EEEvSW_,comdat
.Lfunc_end908:
	.size	_ZN7rocprim17ROCPRIM_400000_NS6detail17trampoline_kernelINS0_14default_configENS1_22reduce_config_selectorIlEEZNS1_11reduce_implILb1ES3_N6thrust23THRUST_200600_302600_NS11hip_rocprim26transform_input_iterator_tIlNS8_12zip_iteratorINS8_5tupleINS8_6detail15normal_iteratorINS8_10device_ptrItEEEESH_NS8_9null_typeESI_SI_SI_SI_SI_SI_SI_EEEENS9_21zip_adj_not_predicateI22is_equal_div_10_uniqueItEEEEEPllNS8_4plusIlEEEE10hipError_tPvRmT1_T2_T3_mT4_P12ihipStream_tbEUlT_E0_NS1_11comp_targetILNS1_3genE3ELNS1_11target_archE908ELNS1_3gpuE7ELNS1_3repE0EEENS1_30default_config_static_selectorELNS0_4arch9wavefront6targetE1EEEvSW_, .Lfunc_end908-_ZN7rocprim17ROCPRIM_400000_NS6detail17trampoline_kernelINS0_14default_configENS1_22reduce_config_selectorIlEEZNS1_11reduce_implILb1ES3_N6thrust23THRUST_200600_302600_NS11hip_rocprim26transform_input_iterator_tIlNS8_12zip_iteratorINS8_5tupleINS8_6detail15normal_iteratorINS8_10device_ptrItEEEESH_NS8_9null_typeESI_SI_SI_SI_SI_SI_SI_EEEENS9_21zip_adj_not_predicateI22is_equal_div_10_uniqueItEEEEEPllNS8_4plusIlEEEE10hipError_tPvRmT1_T2_T3_mT4_P12ihipStream_tbEUlT_E0_NS1_11comp_targetILNS1_3genE3ELNS1_11target_archE908ELNS1_3gpuE7ELNS1_3repE0EEENS1_30default_config_static_selectorELNS0_4arch9wavefront6targetE1EEEvSW_
                                        ; -- End function
	.set _ZN7rocprim17ROCPRIM_400000_NS6detail17trampoline_kernelINS0_14default_configENS1_22reduce_config_selectorIlEEZNS1_11reduce_implILb1ES3_N6thrust23THRUST_200600_302600_NS11hip_rocprim26transform_input_iterator_tIlNS8_12zip_iteratorINS8_5tupleINS8_6detail15normal_iteratorINS8_10device_ptrItEEEESH_NS8_9null_typeESI_SI_SI_SI_SI_SI_SI_EEEENS9_21zip_adj_not_predicateI22is_equal_div_10_uniqueItEEEEEPllNS8_4plusIlEEEE10hipError_tPvRmT1_T2_T3_mT4_P12ihipStream_tbEUlT_E0_NS1_11comp_targetILNS1_3genE3ELNS1_11target_archE908ELNS1_3gpuE7ELNS1_3repE0EEENS1_30default_config_static_selectorELNS0_4arch9wavefront6targetE1EEEvSW_.num_vgpr, 0
	.set _ZN7rocprim17ROCPRIM_400000_NS6detail17trampoline_kernelINS0_14default_configENS1_22reduce_config_selectorIlEEZNS1_11reduce_implILb1ES3_N6thrust23THRUST_200600_302600_NS11hip_rocprim26transform_input_iterator_tIlNS8_12zip_iteratorINS8_5tupleINS8_6detail15normal_iteratorINS8_10device_ptrItEEEESH_NS8_9null_typeESI_SI_SI_SI_SI_SI_SI_EEEENS9_21zip_adj_not_predicateI22is_equal_div_10_uniqueItEEEEEPllNS8_4plusIlEEEE10hipError_tPvRmT1_T2_T3_mT4_P12ihipStream_tbEUlT_E0_NS1_11comp_targetILNS1_3genE3ELNS1_11target_archE908ELNS1_3gpuE7ELNS1_3repE0EEENS1_30default_config_static_selectorELNS0_4arch9wavefront6targetE1EEEvSW_.num_agpr, 0
	.set _ZN7rocprim17ROCPRIM_400000_NS6detail17trampoline_kernelINS0_14default_configENS1_22reduce_config_selectorIlEEZNS1_11reduce_implILb1ES3_N6thrust23THRUST_200600_302600_NS11hip_rocprim26transform_input_iterator_tIlNS8_12zip_iteratorINS8_5tupleINS8_6detail15normal_iteratorINS8_10device_ptrItEEEESH_NS8_9null_typeESI_SI_SI_SI_SI_SI_SI_EEEENS9_21zip_adj_not_predicateI22is_equal_div_10_uniqueItEEEEEPllNS8_4plusIlEEEE10hipError_tPvRmT1_T2_T3_mT4_P12ihipStream_tbEUlT_E0_NS1_11comp_targetILNS1_3genE3ELNS1_11target_archE908ELNS1_3gpuE7ELNS1_3repE0EEENS1_30default_config_static_selectorELNS0_4arch9wavefront6targetE1EEEvSW_.numbered_sgpr, 0
	.set _ZN7rocprim17ROCPRIM_400000_NS6detail17trampoline_kernelINS0_14default_configENS1_22reduce_config_selectorIlEEZNS1_11reduce_implILb1ES3_N6thrust23THRUST_200600_302600_NS11hip_rocprim26transform_input_iterator_tIlNS8_12zip_iteratorINS8_5tupleINS8_6detail15normal_iteratorINS8_10device_ptrItEEEESH_NS8_9null_typeESI_SI_SI_SI_SI_SI_SI_EEEENS9_21zip_adj_not_predicateI22is_equal_div_10_uniqueItEEEEEPllNS8_4plusIlEEEE10hipError_tPvRmT1_T2_T3_mT4_P12ihipStream_tbEUlT_E0_NS1_11comp_targetILNS1_3genE3ELNS1_11target_archE908ELNS1_3gpuE7ELNS1_3repE0EEENS1_30default_config_static_selectorELNS0_4arch9wavefront6targetE1EEEvSW_.num_named_barrier, 0
	.set _ZN7rocprim17ROCPRIM_400000_NS6detail17trampoline_kernelINS0_14default_configENS1_22reduce_config_selectorIlEEZNS1_11reduce_implILb1ES3_N6thrust23THRUST_200600_302600_NS11hip_rocprim26transform_input_iterator_tIlNS8_12zip_iteratorINS8_5tupleINS8_6detail15normal_iteratorINS8_10device_ptrItEEEESH_NS8_9null_typeESI_SI_SI_SI_SI_SI_SI_EEEENS9_21zip_adj_not_predicateI22is_equal_div_10_uniqueItEEEEEPllNS8_4plusIlEEEE10hipError_tPvRmT1_T2_T3_mT4_P12ihipStream_tbEUlT_E0_NS1_11comp_targetILNS1_3genE3ELNS1_11target_archE908ELNS1_3gpuE7ELNS1_3repE0EEENS1_30default_config_static_selectorELNS0_4arch9wavefront6targetE1EEEvSW_.private_seg_size, 0
	.set _ZN7rocprim17ROCPRIM_400000_NS6detail17trampoline_kernelINS0_14default_configENS1_22reduce_config_selectorIlEEZNS1_11reduce_implILb1ES3_N6thrust23THRUST_200600_302600_NS11hip_rocprim26transform_input_iterator_tIlNS8_12zip_iteratorINS8_5tupleINS8_6detail15normal_iteratorINS8_10device_ptrItEEEESH_NS8_9null_typeESI_SI_SI_SI_SI_SI_SI_EEEENS9_21zip_adj_not_predicateI22is_equal_div_10_uniqueItEEEEEPllNS8_4plusIlEEEE10hipError_tPvRmT1_T2_T3_mT4_P12ihipStream_tbEUlT_E0_NS1_11comp_targetILNS1_3genE3ELNS1_11target_archE908ELNS1_3gpuE7ELNS1_3repE0EEENS1_30default_config_static_selectorELNS0_4arch9wavefront6targetE1EEEvSW_.uses_vcc, 0
	.set _ZN7rocprim17ROCPRIM_400000_NS6detail17trampoline_kernelINS0_14default_configENS1_22reduce_config_selectorIlEEZNS1_11reduce_implILb1ES3_N6thrust23THRUST_200600_302600_NS11hip_rocprim26transform_input_iterator_tIlNS8_12zip_iteratorINS8_5tupleINS8_6detail15normal_iteratorINS8_10device_ptrItEEEESH_NS8_9null_typeESI_SI_SI_SI_SI_SI_SI_EEEENS9_21zip_adj_not_predicateI22is_equal_div_10_uniqueItEEEEEPllNS8_4plusIlEEEE10hipError_tPvRmT1_T2_T3_mT4_P12ihipStream_tbEUlT_E0_NS1_11comp_targetILNS1_3genE3ELNS1_11target_archE908ELNS1_3gpuE7ELNS1_3repE0EEENS1_30default_config_static_selectorELNS0_4arch9wavefront6targetE1EEEvSW_.uses_flat_scratch, 0
	.set _ZN7rocprim17ROCPRIM_400000_NS6detail17trampoline_kernelINS0_14default_configENS1_22reduce_config_selectorIlEEZNS1_11reduce_implILb1ES3_N6thrust23THRUST_200600_302600_NS11hip_rocprim26transform_input_iterator_tIlNS8_12zip_iteratorINS8_5tupleINS8_6detail15normal_iteratorINS8_10device_ptrItEEEESH_NS8_9null_typeESI_SI_SI_SI_SI_SI_SI_EEEENS9_21zip_adj_not_predicateI22is_equal_div_10_uniqueItEEEEEPllNS8_4plusIlEEEE10hipError_tPvRmT1_T2_T3_mT4_P12ihipStream_tbEUlT_E0_NS1_11comp_targetILNS1_3genE3ELNS1_11target_archE908ELNS1_3gpuE7ELNS1_3repE0EEENS1_30default_config_static_selectorELNS0_4arch9wavefront6targetE1EEEvSW_.has_dyn_sized_stack, 0
	.set _ZN7rocprim17ROCPRIM_400000_NS6detail17trampoline_kernelINS0_14default_configENS1_22reduce_config_selectorIlEEZNS1_11reduce_implILb1ES3_N6thrust23THRUST_200600_302600_NS11hip_rocprim26transform_input_iterator_tIlNS8_12zip_iteratorINS8_5tupleINS8_6detail15normal_iteratorINS8_10device_ptrItEEEESH_NS8_9null_typeESI_SI_SI_SI_SI_SI_SI_EEEENS9_21zip_adj_not_predicateI22is_equal_div_10_uniqueItEEEEEPllNS8_4plusIlEEEE10hipError_tPvRmT1_T2_T3_mT4_P12ihipStream_tbEUlT_E0_NS1_11comp_targetILNS1_3genE3ELNS1_11target_archE908ELNS1_3gpuE7ELNS1_3repE0EEENS1_30default_config_static_selectorELNS0_4arch9wavefront6targetE1EEEvSW_.has_recursion, 0
	.set _ZN7rocprim17ROCPRIM_400000_NS6detail17trampoline_kernelINS0_14default_configENS1_22reduce_config_selectorIlEEZNS1_11reduce_implILb1ES3_N6thrust23THRUST_200600_302600_NS11hip_rocprim26transform_input_iterator_tIlNS8_12zip_iteratorINS8_5tupleINS8_6detail15normal_iteratorINS8_10device_ptrItEEEESH_NS8_9null_typeESI_SI_SI_SI_SI_SI_SI_EEEENS9_21zip_adj_not_predicateI22is_equal_div_10_uniqueItEEEEEPllNS8_4plusIlEEEE10hipError_tPvRmT1_T2_T3_mT4_P12ihipStream_tbEUlT_E0_NS1_11comp_targetILNS1_3genE3ELNS1_11target_archE908ELNS1_3gpuE7ELNS1_3repE0EEENS1_30default_config_static_selectorELNS0_4arch9wavefront6targetE1EEEvSW_.has_indirect_call, 0
	.section	.AMDGPU.csdata,"",@progbits
; Kernel info:
; codeLenInByte = 0
; TotalNumSgprs: 4
; NumVgprs: 0
; ScratchSize: 0
; MemoryBound: 0
; FloatMode: 240
; IeeeMode: 1
; LDSByteSize: 0 bytes/workgroup (compile time only)
; SGPRBlocks: 0
; VGPRBlocks: 0
; NumSGPRsForWavesPerEU: 4
; NumVGPRsForWavesPerEU: 1
; Occupancy: 10
; WaveLimiterHint : 0
; COMPUTE_PGM_RSRC2:SCRATCH_EN: 0
; COMPUTE_PGM_RSRC2:USER_SGPR: 6
; COMPUTE_PGM_RSRC2:TRAP_HANDLER: 0
; COMPUTE_PGM_RSRC2:TGID_X_EN: 1
; COMPUTE_PGM_RSRC2:TGID_Y_EN: 0
; COMPUTE_PGM_RSRC2:TGID_Z_EN: 0
; COMPUTE_PGM_RSRC2:TIDIG_COMP_CNT: 0
	.section	.text._ZN7rocprim17ROCPRIM_400000_NS6detail17trampoline_kernelINS0_14default_configENS1_22reduce_config_selectorIlEEZNS1_11reduce_implILb1ES3_N6thrust23THRUST_200600_302600_NS11hip_rocprim26transform_input_iterator_tIlNS8_12zip_iteratorINS8_5tupleINS8_6detail15normal_iteratorINS8_10device_ptrItEEEESH_NS8_9null_typeESI_SI_SI_SI_SI_SI_SI_EEEENS9_21zip_adj_not_predicateI22is_equal_div_10_uniqueItEEEEEPllNS8_4plusIlEEEE10hipError_tPvRmT1_T2_T3_mT4_P12ihipStream_tbEUlT_E0_NS1_11comp_targetILNS1_3genE2ELNS1_11target_archE906ELNS1_3gpuE6ELNS1_3repE0EEENS1_30default_config_static_selectorELNS0_4arch9wavefront6targetE1EEEvSW_,"axG",@progbits,_ZN7rocprim17ROCPRIM_400000_NS6detail17trampoline_kernelINS0_14default_configENS1_22reduce_config_selectorIlEEZNS1_11reduce_implILb1ES3_N6thrust23THRUST_200600_302600_NS11hip_rocprim26transform_input_iterator_tIlNS8_12zip_iteratorINS8_5tupleINS8_6detail15normal_iteratorINS8_10device_ptrItEEEESH_NS8_9null_typeESI_SI_SI_SI_SI_SI_SI_EEEENS9_21zip_adj_not_predicateI22is_equal_div_10_uniqueItEEEEEPllNS8_4plusIlEEEE10hipError_tPvRmT1_T2_T3_mT4_P12ihipStream_tbEUlT_E0_NS1_11comp_targetILNS1_3genE2ELNS1_11target_archE906ELNS1_3gpuE6ELNS1_3repE0EEENS1_30default_config_static_selectorELNS0_4arch9wavefront6targetE1EEEvSW_,comdat
	.protected	_ZN7rocprim17ROCPRIM_400000_NS6detail17trampoline_kernelINS0_14default_configENS1_22reduce_config_selectorIlEEZNS1_11reduce_implILb1ES3_N6thrust23THRUST_200600_302600_NS11hip_rocprim26transform_input_iterator_tIlNS8_12zip_iteratorINS8_5tupleINS8_6detail15normal_iteratorINS8_10device_ptrItEEEESH_NS8_9null_typeESI_SI_SI_SI_SI_SI_SI_EEEENS9_21zip_adj_not_predicateI22is_equal_div_10_uniqueItEEEEEPllNS8_4plusIlEEEE10hipError_tPvRmT1_T2_T3_mT4_P12ihipStream_tbEUlT_E0_NS1_11comp_targetILNS1_3genE2ELNS1_11target_archE906ELNS1_3gpuE6ELNS1_3repE0EEENS1_30default_config_static_selectorELNS0_4arch9wavefront6targetE1EEEvSW_ ; -- Begin function _ZN7rocprim17ROCPRIM_400000_NS6detail17trampoline_kernelINS0_14default_configENS1_22reduce_config_selectorIlEEZNS1_11reduce_implILb1ES3_N6thrust23THRUST_200600_302600_NS11hip_rocprim26transform_input_iterator_tIlNS8_12zip_iteratorINS8_5tupleINS8_6detail15normal_iteratorINS8_10device_ptrItEEEESH_NS8_9null_typeESI_SI_SI_SI_SI_SI_SI_EEEENS9_21zip_adj_not_predicateI22is_equal_div_10_uniqueItEEEEEPllNS8_4plusIlEEEE10hipError_tPvRmT1_T2_T3_mT4_P12ihipStream_tbEUlT_E0_NS1_11comp_targetILNS1_3genE2ELNS1_11target_archE906ELNS1_3gpuE6ELNS1_3repE0EEENS1_30default_config_static_selectorELNS0_4arch9wavefront6targetE1EEEvSW_
	.globl	_ZN7rocprim17ROCPRIM_400000_NS6detail17trampoline_kernelINS0_14default_configENS1_22reduce_config_selectorIlEEZNS1_11reduce_implILb1ES3_N6thrust23THRUST_200600_302600_NS11hip_rocprim26transform_input_iterator_tIlNS8_12zip_iteratorINS8_5tupleINS8_6detail15normal_iteratorINS8_10device_ptrItEEEESH_NS8_9null_typeESI_SI_SI_SI_SI_SI_SI_EEEENS9_21zip_adj_not_predicateI22is_equal_div_10_uniqueItEEEEEPllNS8_4plusIlEEEE10hipError_tPvRmT1_T2_T3_mT4_P12ihipStream_tbEUlT_E0_NS1_11comp_targetILNS1_3genE2ELNS1_11target_archE906ELNS1_3gpuE6ELNS1_3repE0EEENS1_30default_config_static_selectorELNS0_4arch9wavefront6targetE1EEEvSW_
	.p2align	8
	.type	_ZN7rocprim17ROCPRIM_400000_NS6detail17trampoline_kernelINS0_14default_configENS1_22reduce_config_selectorIlEEZNS1_11reduce_implILb1ES3_N6thrust23THRUST_200600_302600_NS11hip_rocprim26transform_input_iterator_tIlNS8_12zip_iteratorINS8_5tupleINS8_6detail15normal_iteratorINS8_10device_ptrItEEEESH_NS8_9null_typeESI_SI_SI_SI_SI_SI_SI_EEEENS9_21zip_adj_not_predicateI22is_equal_div_10_uniqueItEEEEEPllNS8_4plusIlEEEE10hipError_tPvRmT1_T2_T3_mT4_P12ihipStream_tbEUlT_E0_NS1_11comp_targetILNS1_3genE2ELNS1_11target_archE906ELNS1_3gpuE6ELNS1_3repE0EEENS1_30default_config_static_selectorELNS0_4arch9wavefront6targetE1EEEvSW_,@function
_ZN7rocprim17ROCPRIM_400000_NS6detail17trampoline_kernelINS0_14default_configENS1_22reduce_config_selectorIlEEZNS1_11reduce_implILb1ES3_N6thrust23THRUST_200600_302600_NS11hip_rocprim26transform_input_iterator_tIlNS8_12zip_iteratorINS8_5tupleINS8_6detail15normal_iteratorINS8_10device_ptrItEEEESH_NS8_9null_typeESI_SI_SI_SI_SI_SI_SI_EEEENS9_21zip_adj_not_predicateI22is_equal_div_10_uniqueItEEEEEPllNS8_4plusIlEEEE10hipError_tPvRmT1_T2_T3_mT4_P12ihipStream_tbEUlT_E0_NS1_11comp_targetILNS1_3genE2ELNS1_11target_archE906ELNS1_3gpuE6ELNS1_3repE0EEENS1_30default_config_static_selectorELNS0_4arch9wavefront6targetE1EEEvSW_: ; @_ZN7rocprim17ROCPRIM_400000_NS6detail17trampoline_kernelINS0_14default_configENS1_22reduce_config_selectorIlEEZNS1_11reduce_implILb1ES3_N6thrust23THRUST_200600_302600_NS11hip_rocprim26transform_input_iterator_tIlNS8_12zip_iteratorINS8_5tupleINS8_6detail15normal_iteratorINS8_10device_ptrItEEEESH_NS8_9null_typeESI_SI_SI_SI_SI_SI_SI_EEEENS9_21zip_adj_not_predicateI22is_equal_div_10_uniqueItEEEEEPllNS8_4plusIlEEEE10hipError_tPvRmT1_T2_T3_mT4_P12ihipStream_tbEUlT_E0_NS1_11comp_targetILNS1_3genE2ELNS1_11target_archE906ELNS1_3gpuE6ELNS1_3repE0EEENS1_30default_config_static_selectorELNS0_4arch9wavefront6targetE1EEEvSW_
; %bb.0:
	s_load_dwordx8 s[8:15], s[4:5], 0x18
	s_load_dwordx4 s[0:3], s[4:5], 0x0
	s_load_dwordx4 s[16:19], s[4:5], 0x38
	v_lshlrev_b32_e32 v6, 1, v0
	v_mbcnt_lo_u32_b32 v5, -1, 0
	s_waitcnt lgkmcnt(0)
	s_lshl_b64 s[4:5], s[8:9], 1
	s_add_u32 s0, s0, s4
	s_addc_u32 s1, s1, s5
	s_add_u32 s20, s2, s4
	s_addc_u32 s21, s3, s5
	s_lshl_b32 s4, s6, 9
	s_mov_b32 s5, 0
	s_lshr_b64 s[8:9], s[10:11], 9
	s_lshl_b64 s[2:3], s[4:5], 1
	s_add_u32 s0, s0, s2
	s_addc_u32 s1, s1, s3
	s_add_u32 s2, s20, s2
	s_mov_b32 s7, s5
	s_addc_u32 s3, s21, s3
	s_cmp_lg_u64 s[8:9], s[6:7]
	s_cbranch_scc0 .LBB909_6
; %bb.1:
	global_load_ushort v1, v6, s[0:1]
	global_load_ushort v2, v6, s[2:3]
	global_load_ushort v7, v6, s[2:3] offset:512
	global_load_ushort v8, v6, s[0:1] offset:512
	v_mov_b32_e32 v4, 0
	v_mbcnt_hi_u32_b32 v3, -1, v5
	s_waitcnt vmcnt(3)
	v_mul_u32_u24_e32 v1, 0xcccd, v1
	s_waitcnt vmcnt(2)
	v_mul_u32_u24_e32 v2, 0xcccd, v2
	s_waitcnt vmcnt(1)
	v_mul_u32_u24_e32 v7, 0xcccd, v7
	s_waitcnt vmcnt(0)
	v_mul_u32_u24_e32 v8, 0xcccd, v8
	v_lshrrev_b32_e32 v1, 19, v1
	v_lshrrev_b32_e32 v2, 19, v2
	v_lshrrev_b32_e32 v8, 19, v8
	v_lshrrev_b32_e32 v7, 19, v7
	v_cmp_ne_u16_e32 vcc, v1, v2
	v_cndmask_b32_e64 v1, 0, 1, vcc
	v_cmp_ne_u16_e32 vcc, v8, v7
	v_addc_co_u32_e32 v1, vcc, 0, v1, vcc
	v_mov_b32_dpp v9, v4 quad_perm:[1,0,3,2] row_mask:0xf bank_mask:0xf bound_ctrl:1
	s_nop 0
	v_mov_b32_dpp v2, v1 quad_perm:[1,0,3,2] row_mask:0xf bank_mask:0xf bound_ctrl:1
	v_add_co_u32_e32 v1, vcc, v1, v2
	v_addc_co_u32_e64 v2, s[8:9], 0, 0, vcc
	v_add_co_u32_e32 v7, vcc, 0, v1
	v_addc_co_u32_e32 v2, vcc, v9, v2, vcc
	v_mov_b32_dpp v1, v1 quad_perm:[2,3,0,1] row_mask:0xf bank_mask:0xf bound_ctrl:1
	v_add_co_u32_e32 v1, vcc, v7, v1
	v_mov_b32_dpp v8, v2 quad_perm:[2,3,0,1] row_mask:0xf bank_mask:0xf bound_ctrl:1
	v_addc_co_u32_e32 v2, vcc, 0, v2, vcc
	v_add_co_u32_e32 v7, vcc, 0, v1
	v_addc_co_u32_e32 v2, vcc, v2, v8, vcc
	v_mov_b32_dpp v1, v1 row_ror:4 row_mask:0xf bank_mask:0xf bound_ctrl:1
	v_add_co_u32_e32 v1, vcc, v7, v1
	v_mov_b32_dpp v8, v2 row_ror:4 row_mask:0xf bank_mask:0xf bound_ctrl:1
	v_addc_co_u32_e32 v2, vcc, 0, v2, vcc
	v_add_co_u32_e32 v7, vcc, 0, v1
	v_addc_co_u32_e32 v2, vcc, v2, v8, vcc
	v_mov_b32_dpp v1, v1 row_ror:8 row_mask:0xf bank_mask:0xf bound_ctrl:1
	v_add_co_u32_e32 v1, vcc, v7, v1
	v_mov_b32_dpp v8, v2 row_ror:8 row_mask:0xf bank_mask:0xf bound_ctrl:1
	v_addc_co_u32_e32 v2, vcc, 0, v2, vcc
	v_add_co_u32_e32 v7, vcc, 0, v1
	v_addc_co_u32_e32 v2, vcc, v2, v8, vcc
	v_mov_b32_dpp v1, v1 row_bcast:15 row_mask:0xf bank_mask:0xf bound_ctrl:1
	v_add_co_u32_e32 v1, vcc, v7, v1
	v_mov_b32_dpp v8, v2 row_bcast:15 row_mask:0xf bank_mask:0xf bound_ctrl:1
	v_addc_co_u32_e32 v2, vcc, 0, v2, vcc
	v_add_co_u32_e32 v7, vcc, 0, v1
	v_addc_co_u32_e32 v2, vcc, v2, v8, vcc
	v_mov_b32_dpp v1, v1 row_bcast:31 row_mask:0xf bank_mask:0xf bound_ctrl:1
	v_add_co_u32_e32 v1, vcc, v7, v1
	v_lshlrev_b32_e32 v4, 2, v3
	v_addc_co_u32_e32 v7, vcc, 0, v2, vcc
	v_or_b32_e32 v10, 0xfc, v4
	s_nop 0
	v_add_u32_dpp v2, v2, v7 row_bcast:31 row_mask:0xf bank_mask:0xf bound_ctrl:1
	ds_bpermute_b32 v1, v10, v1
	ds_bpermute_b32 v2, v10, v2
	v_cmp_eq_u32_e32 vcc, 0, v3
	s_and_saveexec_b64 s[8:9], vcc
	s_cbranch_execz .LBB909_3
; %bb.2:
	v_lshrrev_b32_e32 v7, 3, v0
	v_and_b32_e32 v7, 24, v7
	s_waitcnt lgkmcnt(0)
	ds_write_b64 v7, v[1:2]
.LBB909_3:
	s_or_b64 exec, exec, s[8:9]
	v_cmp_gt_u32_e32 vcc, 64, v0
	s_waitcnt lgkmcnt(0)
	s_barrier
	s_and_saveexec_b64 s[8:9], vcc
	s_cbranch_execz .LBB909_5
; %bb.4:
	v_and_b32_e32 v7, 3, v3
	v_lshlrev_b32_e32 v1, 3, v7
	ds_read_b64 v[1:2], v1
	v_cmp_ne_u32_e32 vcc, 3, v7
	v_addc_co_u32_e32 v3, vcc, 0, v3, vcc
	v_lshlrev_b32_e32 v3, 2, v3
	s_waitcnt lgkmcnt(0)
	ds_bpermute_b32 v7, v3, v1
	ds_bpermute_b32 v3, v3, v2
	v_or_b32_e32 v4, 8, v4
	s_waitcnt lgkmcnt(1)
	v_add_co_u32_e32 v1, vcc, v1, v7
	v_addc_co_u32_e32 v2, vcc, 0, v2, vcc
	ds_bpermute_b32 v7, v4, v1
	v_add_co_u32_e32 v1, vcc, 0, v1
	s_waitcnt lgkmcnt(1)
	v_addc_co_u32_e32 v2, vcc, v3, v2, vcc
	ds_bpermute_b32 v3, v4, v2
	s_waitcnt lgkmcnt(1)
	v_add_co_u32_e32 v1, vcc, v1, v7
	v_addc_co_u32_e32 v2, vcc, 0, v2, vcc
	v_add_co_u32_e32 v1, vcc, 0, v1
	s_waitcnt lgkmcnt(0)
	v_addc_co_u32_e32 v2, vcc, v2, v3, vcc
.LBB909_5:
	s_or_b64 exec, exec, s[8:9]
	s_branch .LBB909_28
.LBB909_6:
                                        ; implicit-def: $vgpr1_vgpr2
	s_cbranch_execz .LBB909_28
; %bb.7:
	s_sub_i32 s8, s10, s4
	v_mov_b32_e32 v1, 0
	v_cmp_gt_u32_e32 vcc, s8, v0
	v_mov_b32_e32 v2, v1
	v_mov_b32_e32 v3, v1
	;; [unrolled: 1-line block ×3, first 2 shown]
	s_and_saveexec_b64 s[4:5], vcc
	s_cbranch_execz .LBB909_9
; %bb.8:
	global_load_ushort v2, v6, s[0:1]
	global_load_ushort v3, v6, s[2:3]
	v_mov_b32_e32 v8, v1
	v_mov_b32_e32 v9, v1
	;; [unrolled: 1-line block ×3, first 2 shown]
	s_waitcnt vmcnt(1)
	v_mul_u32_u24_e32 v2, 0xcccd, v2
	s_waitcnt vmcnt(0)
	v_mul_u32_u24_e32 v3, 0xcccd, v3
	v_lshrrev_b32_e32 v2, 19, v2
	v_lshrrev_b32_e32 v3, 19, v3
	v_cmp_ne_u16_e32 vcc, v2, v3
	v_cndmask_b32_e64 v2, 0, 1, vcc
	v_and_b32_e32 v7, 0xffff, v2
	v_mov_b32_e32 v1, v7
	v_mov_b32_e32 v2, v8
	;; [unrolled: 1-line block ×4, first 2 shown]
.LBB909_9:
	s_or_b64 exec, exec, s[4:5]
	v_or_b32_e32 v7, 0x100, v0
	v_cmp_gt_u32_e32 vcc, s8, v7
	s_and_saveexec_b64 s[4:5], vcc
	s_cbranch_execz .LBB909_11
; %bb.10:
	global_load_ushort v3, v6, s[0:1] offset:512
	global_load_ushort v4, v6, s[2:3] offset:512
	s_mov_b32 s2, 0
	s_waitcnt vmcnt(1)
	v_mul_u32_u24_e32 v3, 0xcccd, v3
	s_waitcnt vmcnt(0)
	v_mul_u32_u24_e32 v4, 0xcccd, v4
	v_lshrrev_b32_e32 v3, 19, v3
	v_lshrrev_b32_e32 v4, 19, v4
	v_cmp_ne_u16_e64 s[0:1], v3, v4
	v_cndmask_b32_e64 v3, 0, 1, s[0:1]
	v_mov_b32_e32 v4, s2
.LBB909_11:
	s_or_b64 exec, exec, s[4:5]
	v_cndmask_b32_e32 v3, 0, v3, vcc
	v_cndmask_b32_e32 v4, 0, v4, vcc
	v_add_co_u32_e32 v1, vcc, v3, v1
	v_mbcnt_hi_u32_b32 v3, -1, v5
	v_addc_co_u32_e32 v2, vcc, v4, v2, vcc
	v_and_b32_e32 v4, 63, v3
	v_cmp_ne_u32_e32 vcc, 63, v4
	v_addc_co_u32_e32 v6, vcc, 0, v3, vcc
	v_lshlrev_b32_e32 v6, 2, v6
	ds_bpermute_b32 v8, v6, v1
	ds_bpermute_b32 v7, v6, v2
	s_min_u32 s2, s8, 0x100
	v_and_b32_e32 v5, 0xc0, v0
	v_sub_u32_e64 v5, s2, v5 clamp
	v_add_u32_e32 v6, 1, v4
	v_cmp_lt_u32_e32 vcc, v6, v5
	v_mov_b32_e32 v6, v1
	s_and_saveexec_b64 s[0:1], vcc
	s_cbranch_execz .LBB909_13
; %bb.12:
	s_waitcnt lgkmcnt(1)
	v_add_co_u32_e32 v6, vcc, v1, v8
	v_addc_co_u32_e32 v2, vcc, 0, v2, vcc
	v_add_co_u32_e32 v1, vcc, 0, v6
	s_waitcnt lgkmcnt(0)
	v_addc_co_u32_e32 v2, vcc, v7, v2, vcc
.LBB909_13:
	s_or_b64 exec, exec, s[0:1]
	v_cmp_gt_u32_e32 vcc, 62, v4
	s_waitcnt lgkmcnt(0)
	v_cndmask_b32_e64 v7, 0, 2, vcc
	v_add_lshl_u32 v7, v7, v3, 2
	ds_bpermute_b32 v8, v7, v6
	ds_bpermute_b32 v7, v7, v2
	v_add_u32_e32 v9, 2, v4
	v_cmp_lt_u32_e32 vcc, v9, v5
	s_and_saveexec_b64 s[0:1], vcc
	s_cbranch_execz .LBB909_15
; %bb.14:
	s_waitcnt lgkmcnt(1)
	v_add_co_u32_e32 v6, vcc, v1, v8
	v_addc_co_u32_e32 v2, vcc, 0, v2, vcc
	v_add_co_u32_e32 v1, vcc, 0, v6
	s_waitcnt lgkmcnt(0)
	v_addc_co_u32_e32 v2, vcc, v7, v2, vcc
.LBB909_15:
	s_or_b64 exec, exec, s[0:1]
	v_cmp_gt_u32_e32 vcc, 60, v4
	s_waitcnt lgkmcnt(0)
	v_cndmask_b32_e64 v7, 0, 4, vcc
	v_add_lshl_u32 v7, v7, v3, 2
	ds_bpermute_b32 v8, v7, v6
	ds_bpermute_b32 v7, v7, v2
	v_add_u32_e32 v9, 4, v4
	v_cmp_lt_u32_e32 vcc, v9, v5
	;; [unrolled: 19-line block ×4, first 2 shown]
	s_and_saveexec_b64 s[0:1], vcc
	s_cbranch_execz .LBB909_21
; %bb.20:
	s_waitcnt lgkmcnt(1)
	v_add_co_u32_e32 v6, vcc, v1, v8
	v_addc_co_u32_e32 v2, vcc, 0, v2, vcc
	v_add_co_u32_e32 v1, vcc, 0, v6
	s_waitcnt lgkmcnt(0)
	v_addc_co_u32_e32 v2, vcc, v7, v2, vcc
.LBB909_21:
	s_or_b64 exec, exec, s[0:1]
	s_waitcnt lgkmcnt(0)
	v_lshlrev_b32_e32 v7, 2, v3
	v_or_b32_e32 v8, 0x80, v7
	ds_bpermute_b32 v6, v8, v6
	ds_bpermute_b32 v8, v8, v2
	v_add_u32_e32 v4, 32, v4
	s_waitcnt lgkmcnt(1)
	v_add_co_u32_e32 v6, vcc, v1, v6
	v_addc_co_u32_e32 v9, vcc, 0, v2, vcc
	v_add_co_u32_e32 v6, vcc, 0, v6
	s_waitcnt lgkmcnt(0)
	v_addc_co_u32_e32 v8, vcc, v9, v8, vcc
	v_cmp_lt_u32_e32 vcc, v4, v5
	v_cndmask_b32_e32 v2, v2, v8, vcc
	v_cndmask_b32_e32 v1, v1, v6, vcc
	v_cmp_eq_u32_e32 vcc, 0, v3
	s_and_saveexec_b64 s[0:1], vcc
; %bb.22:
	v_lshrrev_b32_e32 v4, 3, v0
	v_and_b32_e32 v4, 24, v4
	ds_write_b64 v4, v[1:2] offset:32
; %bb.23:
	s_or_b64 exec, exec, s[0:1]
	v_cmp_gt_u32_e32 vcc, 4, v0
	s_waitcnt lgkmcnt(0)
	s_barrier
	s_and_saveexec_b64 s[0:1], vcc
	s_cbranch_execz .LBB909_27
; %bb.24:
	v_lshlrev_b32_e32 v1, 3, v3
	ds_read_b64 v[1:2], v1 offset:32
	v_and_b32_e32 v4, 3, v3
	v_cmp_ne_u32_e32 vcc, 3, v4
	v_addc_co_u32_e32 v3, vcc, 0, v3, vcc
	v_lshlrev_b32_e32 v3, 2, v3
	s_waitcnt lgkmcnt(0)
	ds_bpermute_b32 v6, v3, v1
	ds_bpermute_b32 v5, v3, v2
	s_add_i32 s2, s2, 63
	s_lshr_b32 s4, s2, 6
	v_add_u32_e32 v3, 1, v4
	v_cmp_gt_u32_e32 vcc, s4, v3
	v_mov_b32_e32 v3, v1
	s_and_saveexec_b64 s[2:3], vcc
	s_cbranch_execz .LBB909_26
; %bb.25:
	s_waitcnt lgkmcnt(1)
	v_add_co_u32_e32 v3, vcc, v1, v6
	v_addc_co_u32_e32 v2, vcc, 0, v2, vcc
	v_add_co_u32_e32 v1, vcc, 0, v3
	s_waitcnt lgkmcnt(0)
	v_addc_co_u32_e32 v2, vcc, v5, v2, vcc
.LBB909_26:
	s_or_b64 exec, exec, s[2:3]
	s_waitcnt lgkmcnt(0)
	v_or_b32_e32 v5, 8, v7
	ds_bpermute_b32 v3, v5, v3
	ds_bpermute_b32 v5, v5, v2
	v_add_u32_e32 v4, 2, v4
	s_waitcnt lgkmcnt(1)
	v_add_co_u32_e32 v3, vcc, v1, v3
	v_addc_co_u32_e32 v6, vcc, 0, v2, vcc
	v_add_co_u32_e32 v3, vcc, 0, v3
	s_waitcnt lgkmcnt(0)
	v_addc_co_u32_e32 v5, vcc, v6, v5, vcc
	v_cmp_gt_u32_e32 vcc, s4, v4
	v_cndmask_b32_e32 v2, v2, v5, vcc
	v_cndmask_b32_e32 v1, v1, v3, vcc
.LBB909_27:
	s_or_b64 exec, exec, s[0:1]
.LBB909_28:
	v_cmp_eq_u32_e32 vcc, 0, v0
	s_and_saveexec_b64 s[0:1], vcc
	s_cbranch_execnz .LBB909_30
; %bb.29:
	s_endpgm
.LBB909_30:
	s_mul_i32 s0, s16, s15
	s_mul_hi_u32 s1, s16, s14
	s_add_i32 s0, s1, s0
	s_mul_i32 s1, s17, s14
	s_add_i32 s1, s0, s1
	s_mul_i32 s0, s16, s14
	s_lshl_b64 s[0:1], s[0:1], 3
	s_add_u32 s2, s12, s0
	s_addc_u32 s3, s13, s1
	s_cmp_eq_u64 s[10:11], 0
	v_mov_b32_e32 v0, s19
	s_cselect_b64 vcc, -1, 0
	s_lshl_b64 s[0:1], s[6:7], 3
	v_cndmask_b32_e32 v2, v2, v0, vcc
	v_mov_b32_e32 v0, s18
	s_add_u32 s0, s2, s0
	v_cndmask_b32_e32 v1, v1, v0, vcc
	s_addc_u32 s1, s3, s1
	v_mov_b32_e32 v0, 0
	global_store_dwordx2 v0, v[1:2], s[0:1]
	s_endpgm
	.section	.rodata,"a",@progbits
	.p2align	6, 0x0
	.amdhsa_kernel _ZN7rocprim17ROCPRIM_400000_NS6detail17trampoline_kernelINS0_14default_configENS1_22reduce_config_selectorIlEEZNS1_11reduce_implILb1ES3_N6thrust23THRUST_200600_302600_NS11hip_rocprim26transform_input_iterator_tIlNS8_12zip_iteratorINS8_5tupleINS8_6detail15normal_iteratorINS8_10device_ptrItEEEESH_NS8_9null_typeESI_SI_SI_SI_SI_SI_SI_EEEENS9_21zip_adj_not_predicateI22is_equal_div_10_uniqueItEEEEEPllNS8_4plusIlEEEE10hipError_tPvRmT1_T2_T3_mT4_P12ihipStream_tbEUlT_E0_NS1_11comp_targetILNS1_3genE2ELNS1_11target_archE906ELNS1_3gpuE6ELNS1_3repE0EEENS1_30default_config_static_selectorELNS0_4arch9wavefront6targetE1EEEvSW_
		.amdhsa_group_segment_fixed_size 64
		.amdhsa_private_segment_fixed_size 0
		.amdhsa_kernarg_size 80
		.amdhsa_user_sgpr_count 6
		.amdhsa_user_sgpr_private_segment_buffer 1
		.amdhsa_user_sgpr_dispatch_ptr 0
		.amdhsa_user_sgpr_queue_ptr 0
		.amdhsa_user_sgpr_kernarg_segment_ptr 1
		.amdhsa_user_sgpr_dispatch_id 0
		.amdhsa_user_sgpr_flat_scratch_init 0
		.amdhsa_user_sgpr_private_segment_size 0
		.amdhsa_uses_dynamic_stack 0
		.amdhsa_system_sgpr_private_segment_wavefront_offset 0
		.amdhsa_system_sgpr_workgroup_id_x 1
		.amdhsa_system_sgpr_workgroup_id_y 0
		.amdhsa_system_sgpr_workgroup_id_z 0
		.amdhsa_system_sgpr_workgroup_info 0
		.amdhsa_system_vgpr_workitem_id 0
		.amdhsa_next_free_vgpr 11
		.amdhsa_next_free_sgpr 22
		.amdhsa_reserve_vcc 1
		.amdhsa_reserve_flat_scratch 0
		.amdhsa_float_round_mode_32 0
		.amdhsa_float_round_mode_16_64 0
		.amdhsa_float_denorm_mode_32 3
		.amdhsa_float_denorm_mode_16_64 3
		.amdhsa_dx10_clamp 1
		.amdhsa_ieee_mode 1
		.amdhsa_fp16_overflow 0
		.amdhsa_exception_fp_ieee_invalid_op 0
		.amdhsa_exception_fp_denorm_src 0
		.amdhsa_exception_fp_ieee_div_zero 0
		.amdhsa_exception_fp_ieee_overflow 0
		.amdhsa_exception_fp_ieee_underflow 0
		.amdhsa_exception_fp_ieee_inexact 0
		.amdhsa_exception_int_div_zero 0
	.end_amdhsa_kernel
	.section	.text._ZN7rocprim17ROCPRIM_400000_NS6detail17trampoline_kernelINS0_14default_configENS1_22reduce_config_selectorIlEEZNS1_11reduce_implILb1ES3_N6thrust23THRUST_200600_302600_NS11hip_rocprim26transform_input_iterator_tIlNS8_12zip_iteratorINS8_5tupleINS8_6detail15normal_iteratorINS8_10device_ptrItEEEESH_NS8_9null_typeESI_SI_SI_SI_SI_SI_SI_EEEENS9_21zip_adj_not_predicateI22is_equal_div_10_uniqueItEEEEEPllNS8_4plusIlEEEE10hipError_tPvRmT1_T2_T3_mT4_P12ihipStream_tbEUlT_E0_NS1_11comp_targetILNS1_3genE2ELNS1_11target_archE906ELNS1_3gpuE6ELNS1_3repE0EEENS1_30default_config_static_selectorELNS0_4arch9wavefront6targetE1EEEvSW_,"axG",@progbits,_ZN7rocprim17ROCPRIM_400000_NS6detail17trampoline_kernelINS0_14default_configENS1_22reduce_config_selectorIlEEZNS1_11reduce_implILb1ES3_N6thrust23THRUST_200600_302600_NS11hip_rocprim26transform_input_iterator_tIlNS8_12zip_iteratorINS8_5tupleINS8_6detail15normal_iteratorINS8_10device_ptrItEEEESH_NS8_9null_typeESI_SI_SI_SI_SI_SI_SI_EEEENS9_21zip_adj_not_predicateI22is_equal_div_10_uniqueItEEEEEPllNS8_4plusIlEEEE10hipError_tPvRmT1_T2_T3_mT4_P12ihipStream_tbEUlT_E0_NS1_11comp_targetILNS1_3genE2ELNS1_11target_archE906ELNS1_3gpuE6ELNS1_3repE0EEENS1_30default_config_static_selectorELNS0_4arch9wavefront6targetE1EEEvSW_,comdat
.Lfunc_end909:
	.size	_ZN7rocprim17ROCPRIM_400000_NS6detail17trampoline_kernelINS0_14default_configENS1_22reduce_config_selectorIlEEZNS1_11reduce_implILb1ES3_N6thrust23THRUST_200600_302600_NS11hip_rocprim26transform_input_iterator_tIlNS8_12zip_iteratorINS8_5tupleINS8_6detail15normal_iteratorINS8_10device_ptrItEEEESH_NS8_9null_typeESI_SI_SI_SI_SI_SI_SI_EEEENS9_21zip_adj_not_predicateI22is_equal_div_10_uniqueItEEEEEPllNS8_4plusIlEEEE10hipError_tPvRmT1_T2_T3_mT4_P12ihipStream_tbEUlT_E0_NS1_11comp_targetILNS1_3genE2ELNS1_11target_archE906ELNS1_3gpuE6ELNS1_3repE0EEENS1_30default_config_static_selectorELNS0_4arch9wavefront6targetE1EEEvSW_, .Lfunc_end909-_ZN7rocprim17ROCPRIM_400000_NS6detail17trampoline_kernelINS0_14default_configENS1_22reduce_config_selectorIlEEZNS1_11reduce_implILb1ES3_N6thrust23THRUST_200600_302600_NS11hip_rocprim26transform_input_iterator_tIlNS8_12zip_iteratorINS8_5tupleINS8_6detail15normal_iteratorINS8_10device_ptrItEEEESH_NS8_9null_typeESI_SI_SI_SI_SI_SI_SI_EEEENS9_21zip_adj_not_predicateI22is_equal_div_10_uniqueItEEEEEPllNS8_4plusIlEEEE10hipError_tPvRmT1_T2_T3_mT4_P12ihipStream_tbEUlT_E0_NS1_11comp_targetILNS1_3genE2ELNS1_11target_archE906ELNS1_3gpuE6ELNS1_3repE0EEENS1_30default_config_static_selectorELNS0_4arch9wavefront6targetE1EEEvSW_
                                        ; -- End function
	.set _ZN7rocprim17ROCPRIM_400000_NS6detail17trampoline_kernelINS0_14default_configENS1_22reduce_config_selectorIlEEZNS1_11reduce_implILb1ES3_N6thrust23THRUST_200600_302600_NS11hip_rocprim26transform_input_iterator_tIlNS8_12zip_iteratorINS8_5tupleINS8_6detail15normal_iteratorINS8_10device_ptrItEEEESH_NS8_9null_typeESI_SI_SI_SI_SI_SI_SI_EEEENS9_21zip_adj_not_predicateI22is_equal_div_10_uniqueItEEEEEPllNS8_4plusIlEEEE10hipError_tPvRmT1_T2_T3_mT4_P12ihipStream_tbEUlT_E0_NS1_11comp_targetILNS1_3genE2ELNS1_11target_archE906ELNS1_3gpuE6ELNS1_3repE0EEENS1_30default_config_static_selectorELNS0_4arch9wavefront6targetE1EEEvSW_.num_vgpr, 11
	.set _ZN7rocprim17ROCPRIM_400000_NS6detail17trampoline_kernelINS0_14default_configENS1_22reduce_config_selectorIlEEZNS1_11reduce_implILb1ES3_N6thrust23THRUST_200600_302600_NS11hip_rocprim26transform_input_iterator_tIlNS8_12zip_iteratorINS8_5tupleINS8_6detail15normal_iteratorINS8_10device_ptrItEEEESH_NS8_9null_typeESI_SI_SI_SI_SI_SI_SI_EEEENS9_21zip_adj_not_predicateI22is_equal_div_10_uniqueItEEEEEPllNS8_4plusIlEEEE10hipError_tPvRmT1_T2_T3_mT4_P12ihipStream_tbEUlT_E0_NS1_11comp_targetILNS1_3genE2ELNS1_11target_archE906ELNS1_3gpuE6ELNS1_3repE0EEENS1_30default_config_static_selectorELNS0_4arch9wavefront6targetE1EEEvSW_.num_agpr, 0
	.set _ZN7rocprim17ROCPRIM_400000_NS6detail17trampoline_kernelINS0_14default_configENS1_22reduce_config_selectorIlEEZNS1_11reduce_implILb1ES3_N6thrust23THRUST_200600_302600_NS11hip_rocprim26transform_input_iterator_tIlNS8_12zip_iteratorINS8_5tupleINS8_6detail15normal_iteratorINS8_10device_ptrItEEEESH_NS8_9null_typeESI_SI_SI_SI_SI_SI_SI_EEEENS9_21zip_adj_not_predicateI22is_equal_div_10_uniqueItEEEEEPllNS8_4plusIlEEEE10hipError_tPvRmT1_T2_T3_mT4_P12ihipStream_tbEUlT_E0_NS1_11comp_targetILNS1_3genE2ELNS1_11target_archE906ELNS1_3gpuE6ELNS1_3repE0EEENS1_30default_config_static_selectorELNS0_4arch9wavefront6targetE1EEEvSW_.numbered_sgpr, 22
	.set _ZN7rocprim17ROCPRIM_400000_NS6detail17trampoline_kernelINS0_14default_configENS1_22reduce_config_selectorIlEEZNS1_11reduce_implILb1ES3_N6thrust23THRUST_200600_302600_NS11hip_rocprim26transform_input_iterator_tIlNS8_12zip_iteratorINS8_5tupleINS8_6detail15normal_iteratorINS8_10device_ptrItEEEESH_NS8_9null_typeESI_SI_SI_SI_SI_SI_SI_EEEENS9_21zip_adj_not_predicateI22is_equal_div_10_uniqueItEEEEEPllNS8_4plusIlEEEE10hipError_tPvRmT1_T2_T3_mT4_P12ihipStream_tbEUlT_E0_NS1_11comp_targetILNS1_3genE2ELNS1_11target_archE906ELNS1_3gpuE6ELNS1_3repE0EEENS1_30default_config_static_selectorELNS0_4arch9wavefront6targetE1EEEvSW_.num_named_barrier, 0
	.set _ZN7rocprim17ROCPRIM_400000_NS6detail17trampoline_kernelINS0_14default_configENS1_22reduce_config_selectorIlEEZNS1_11reduce_implILb1ES3_N6thrust23THRUST_200600_302600_NS11hip_rocprim26transform_input_iterator_tIlNS8_12zip_iteratorINS8_5tupleINS8_6detail15normal_iteratorINS8_10device_ptrItEEEESH_NS8_9null_typeESI_SI_SI_SI_SI_SI_SI_EEEENS9_21zip_adj_not_predicateI22is_equal_div_10_uniqueItEEEEEPllNS8_4plusIlEEEE10hipError_tPvRmT1_T2_T3_mT4_P12ihipStream_tbEUlT_E0_NS1_11comp_targetILNS1_3genE2ELNS1_11target_archE906ELNS1_3gpuE6ELNS1_3repE0EEENS1_30default_config_static_selectorELNS0_4arch9wavefront6targetE1EEEvSW_.private_seg_size, 0
	.set _ZN7rocprim17ROCPRIM_400000_NS6detail17trampoline_kernelINS0_14default_configENS1_22reduce_config_selectorIlEEZNS1_11reduce_implILb1ES3_N6thrust23THRUST_200600_302600_NS11hip_rocprim26transform_input_iterator_tIlNS8_12zip_iteratorINS8_5tupleINS8_6detail15normal_iteratorINS8_10device_ptrItEEEESH_NS8_9null_typeESI_SI_SI_SI_SI_SI_SI_EEEENS9_21zip_adj_not_predicateI22is_equal_div_10_uniqueItEEEEEPllNS8_4plusIlEEEE10hipError_tPvRmT1_T2_T3_mT4_P12ihipStream_tbEUlT_E0_NS1_11comp_targetILNS1_3genE2ELNS1_11target_archE906ELNS1_3gpuE6ELNS1_3repE0EEENS1_30default_config_static_selectorELNS0_4arch9wavefront6targetE1EEEvSW_.uses_vcc, 1
	.set _ZN7rocprim17ROCPRIM_400000_NS6detail17trampoline_kernelINS0_14default_configENS1_22reduce_config_selectorIlEEZNS1_11reduce_implILb1ES3_N6thrust23THRUST_200600_302600_NS11hip_rocprim26transform_input_iterator_tIlNS8_12zip_iteratorINS8_5tupleINS8_6detail15normal_iteratorINS8_10device_ptrItEEEESH_NS8_9null_typeESI_SI_SI_SI_SI_SI_SI_EEEENS9_21zip_adj_not_predicateI22is_equal_div_10_uniqueItEEEEEPllNS8_4plusIlEEEE10hipError_tPvRmT1_T2_T3_mT4_P12ihipStream_tbEUlT_E0_NS1_11comp_targetILNS1_3genE2ELNS1_11target_archE906ELNS1_3gpuE6ELNS1_3repE0EEENS1_30default_config_static_selectorELNS0_4arch9wavefront6targetE1EEEvSW_.uses_flat_scratch, 0
	.set _ZN7rocprim17ROCPRIM_400000_NS6detail17trampoline_kernelINS0_14default_configENS1_22reduce_config_selectorIlEEZNS1_11reduce_implILb1ES3_N6thrust23THRUST_200600_302600_NS11hip_rocprim26transform_input_iterator_tIlNS8_12zip_iteratorINS8_5tupleINS8_6detail15normal_iteratorINS8_10device_ptrItEEEESH_NS8_9null_typeESI_SI_SI_SI_SI_SI_SI_EEEENS9_21zip_adj_not_predicateI22is_equal_div_10_uniqueItEEEEEPllNS8_4plusIlEEEE10hipError_tPvRmT1_T2_T3_mT4_P12ihipStream_tbEUlT_E0_NS1_11comp_targetILNS1_3genE2ELNS1_11target_archE906ELNS1_3gpuE6ELNS1_3repE0EEENS1_30default_config_static_selectorELNS0_4arch9wavefront6targetE1EEEvSW_.has_dyn_sized_stack, 0
	.set _ZN7rocprim17ROCPRIM_400000_NS6detail17trampoline_kernelINS0_14default_configENS1_22reduce_config_selectorIlEEZNS1_11reduce_implILb1ES3_N6thrust23THRUST_200600_302600_NS11hip_rocprim26transform_input_iterator_tIlNS8_12zip_iteratorINS8_5tupleINS8_6detail15normal_iteratorINS8_10device_ptrItEEEESH_NS8_9null_typeESI_SI_SI_SI_SI_SI_SI_EEEENS9_21zip_adj_not_predicateI22is_equal_div_10_uniqueItEEEEEPllNS8_4plusIlEEEE10hipError_tPvRmT1_T2_T3_mT4_P12ihipStream_tbEUlT_E0_NS1_11comp_targetILNS1_3genE2ELNS1_11target_archE906ELNS1_3gpuE6ELNS1_3repE0EEENS1_30default_config_static_selectorELNS0_4arch9wavefront6targetE1EEEvSW_.has_recursion, 0
	.set _ZN7rocprim17ROCPRIM_400000_NS6detail17trampoline_kernelINS0_14default_configENS1_22reduce_config_selectorIlEEZNS1_11reduce_implILb1ES3_N6thrust23THRUST_200600_302600_NS11hip_rocprim26transform_input_iterator_tIlNS8_12zip_iteratorINS8_5tupleINS8_6detail15normal_iteratorINS8_10device_ptrItEEEESH_NS8_9null_typeESI_SI_SI_SI_SI_SI_SI_EEEENS9_21zip_adj_not_predicateI22is_equal_div_10_uniqueItEEEEEPllNS8_4plusIlEEEE10hipError_tPvRmT1_T2_T3_mT4_P12ihipStream_tbEUlT_E0_NS1_11comp_targetILNS1_3genE2ELNS1_11target_archE906ELNS1_3gpuE6ELNS1_3repE0EEENS1_30default_config_static_selectorELNS0_4arch9wavefront6targetE1EEEvSW_.has_indirect_call, 0
	.section	.AMDGPU.csdata,"",@progbits
; Kernel info:
; codeLenInByte = 1728
; TotalNumSgprs: 26
; NumVgprs: 11
; ScratchSize: 0
; MemoryBound: 0
; FloatMode: 240
; IeeeMode: 1
; LDSByteSize: 64 bytes/workgroup (compile time only)
; SGPRBlocks: 3
; VGPRBlocks: 2
; NumSGPRsForWavesPerEU: 26
; NumVGPRsForWavesPerEU: 11
; Occupancy: 10
; WaveLimiterHint : 0
; COMPUTE_PGM_RSRC2:SCRATCH_EN: 0
; COMPUTE_PGM_RSRC2:USER_SGPR: 6
; COMPUTE_PGM_RSRC2:TRAP_HANDLER: 0
; COMPUTE_PGM_RSRC2:TGID_X_EN: 1
; COMPUTE_PGM_RSRC2:TGID_Y_EN: 0
; COMPUTE_PGM_RSRC2:TGID_Z_EN: 0
; COMPUTE_PGM_RSRC2:TIDIG_COMP_CNT: 0
	.section	.text._ZN7rocprim17ROCPRIM_400000_NS6detail17trampoline_kernelINS0_14default_configENS1_22reduce_config_selectorIlEEZNS1_11reduce_implILb1ES3_N6thrust23THRUST_200600_302600_NS11hip_rocprim26transform_input_iterator_tIlNS8_12zip_iteratorINS8_5tupleINS8_6detail15normal_iteratorINS8_10device_ptrItEEEESH_NS8_9null_typeESI_SI_SI_SI_SI_SI_SI_EEEENS9_21zip_adj_not_predicateI22is_equal_div_10_uniqueItEEEEEPllNS8_4plusIlEEEE10hipError_tPvRmT1_T2_T3_mT4_P12ihipStream_tbEUlT_E0_NS1_11comp_targetILNS1_3genE10ELNS1_11target_archE1201ELNS1_3gpuE5ELNS1_3repE0EEENS1_30default_config_static_selectorELNS0_4arch9wavefront6targetE1EEEvSW_,"axG",@progbits,_ZN7rocprim17ROCPRIM_400000_NS6detail17trampoline_kernelINS0_14default_configENS1_22reduce_config_selectorIlEEZNS1_11reduce_implILb1ES3_N6thrust23THRUST_200600_302600_NS11hip_rocprim26transform_input_iterator_tIlNS8_12zip_iteratorINS8_5tupleINS8_6detail15normal_iteratorINS8_10device_ptrItEEEESH_NS8_9null_typeESI_SI_SI_SI_SI_SI_SI_EEEENS9_21zip_adj_not_predicateI22is_equal_div_10_uniqueItEEEEEPllNS8_4plusIlEEEE10hipError_tPvRmT1_T2_T3_mT4_P12ihipStream_tbEUlT_E0_NS1_11comp_targetILNS1_3genE10ELNS1_11target_archE1201ELNS1_3gpuE5ELNS1_3repE0EEENS1_30default_config_static_selectorELNS0_4arch9wavefront6targetE1EEEvSW_,comdat
	.protected	_ZN7rocprim17ROCPRIM_400000_NS6detail17trampoline_kernelINS0_14default_configENS1_22reduce_config_selectorIlEEZNS1_11reduce_implILb1ES3_N6thrust23THRUST_200600_302600_NS11hip_rocprim26transform_input_iterator_tIlNS8_12zip_iteratorINS8_5tupleINS8_6detail15normal_iteratorINS8_10device_ptrItEEEESH_NS8_9null_typeESI_SI_SI_SI_SI_SI_SI_EEEENS9_21zip_adj_not_predicateI22is_equal_div_10_uniqueItEEEEEPllNS8_4plusIlEEEE10hipError_tPvRmT1_T2_T3_mT4_P12ihipStream_tbEUlT_E0_NS1_11comp_targetILNS1_3genE10ELNS1_11target_archE1201ELNS1_3gpuE5ELNS1_3repE0EEENS1_30default_config_static_selectorELNS0_4arch9wavefront6targetE1EEEvSW_ ; -- Begin function _ZN7rocprim17ROCPRIM_400000_NS6detail17trampoline_kernelINS0_14default_configENS1_22reduce_config_selectorIlEEZNS1_11reduce_implILb1ES3_N6thrust23THRUST_200600_302600_NS11hip_rocprim26transform_input_iterator_tIlNS8_12zip_iteratorINS8_5tupleINS8_6detail15normal_iteratorINS8_10device_ptrItEEEESH_NS8_9null_typeESI_SI_SI_SI_SI_SI_SI_EEEENS9_21zip_adj_not_predicateI22is_equal_div_10_uniqueItEEEEEPllNS8_4plusIlEEEE10hipError_tPvRmT1_T2_T3_mT4_P12ihipStream_tbEUlT_E0_NS1_11comp_targetILNS1_3genE10ELNS1_11target_archE1201ELNS1_3gpuE5ELNS1_3repE0EEENS1_30default_config_static_selectorELNS0_4arch9wavefront6targetE1EEEvSW_
	.globl	_ZN7rocprim17ROCPRIM_400000_NS6detail17trampoline_kernelINS0_14default_configENS1_22reduce_config_selectorIlEEZNS1_11reduce_implILb1ES3_N6thrust23THRUST_200600_302600_NS11hip_rocprim26transform_input_iterator_tIlNS8_12zip_iteratorINS8_5tupleINS8_6detail15normal_iteratorINS8_10device_ptrItEEEESH_NS8_9null_typeESI_SI_SI_SI_SI_SI_SI_EEEENS9_21zip_adj_not_predicateI22is_equal_div_10_uniqueItEEEEEPllNS8_4plusIlEEEE10hipError_tPvRmT1_T2_T3_mT4_P12ihipStream_tbEUlT_E0_NS1_11comp_targetILNS1_3genE10ELNS1_11target_archE1201ELNS1_3gpuE5ELNS1_3repE0EEENS1_30default_config_static_selectorELNS0_4arch9wavefront6targetE1EEEvSW_
	.p2align	8
	.type	_ZN7rocprim17ROCPRIM_400000_NS6detail17trampoline_kernelINS0_14default_configENS1_22reduce_config_selectorIlEEZNS1_11reduce_implILb1ES3_N6thrust23THRUST_200600_302600_NS11hip_rocprim26transform_input_iterator_tIlNS8_12zip_iteratorINS8_5tupleINS8_6detail15normal_iteratorINS8_10device_ptrItEEEESH_NS8_9null_typeESI_SI_SI_SI_SI_SI_SI_EEEENS9_21zip_adj_not_predicateI22is_equal_div_10_uniqueItEEEEEPllNS8_4plusIlEEEE10hipError_tPvRmT1_T2_T3_mT4_P12ihipStream_tbEUlT_E0_NS1_11comp_targetILNS1_3genE10ELNS1_11target_archE1201ELNS1_3gpuE5ELNS1_3repE0EEENS1_30default_config_static_selectorELNS0_4arch9wavefront6targetE1EEEvSW_,@function
_ZN7rocprim17ROCPRIM_400000_NS6detail17trampoline_kernelINS0_14default_configENS1_22reduce_config_selectorIlEEZNS1_11reduce_implILb1ES3_N6thrust23THRUST_200600_302600_NS11hip_rocprim26transform_input_iterator_tIlNS8_12zip_iteratorINS8_5tupleINS8_6detail15normal_iteratorINS8_10device_ptrItEEEESH_NS8_9null_typeESI_SI_SI_SI_SI_SI_SI_EEEENS9_21zip_adj_not_predicateI22is_equal_div_10_uniqueItEEEEEPllNS8_4plusIlEEEE10hipError_tPvRmT1_T2_T3_mT4_P12ihipStream_tbEUlT_E0_NS1_11comp_targetILNS1_3genE10ELNS1_11target_archE1201ELNS1_3gpuE5ELNS1_3repE0EEENS1_30default_config_static_selectorELNS0_4arch9wavefront6targetE1EEEvSW_: ; @_ZN7rocprim17ROCPRIM_400000_NS6detail17trampoline_kernelINS0_14default_configENS1_22reduce_config_selectorIlEEZNS1_11reduce_implILb1ES3_N6thrust23THRUST_200600_302600_NS11hip_rocprim26transform_input_iterator_tIlNS8_12zip_iteratorINS8_5tupleINS8_6detail15normal_iteratorINS8_10device_ptrItEEEESH_NS8_9null_typeESI_SI_SI_SI_SI_SI_SI_EEEENS9_21zip_adj_not_predicateI22is_equal_div_10_uniqueItEEEEEPllNS8_4plusIlEEEE10hipError_tPvRmT1_T2_T3_mT4_P12ihipStream_tbEUlT_E0_NS1_11comp_targetILNS1_3genE10ELNS1_11target_archE1201ELNS1_3gpuE5ELNS1_3repE0EEENS1_30default_config_static_selectorELNS0_4arch9wavefront6targetE1EEEvSW_
; %bb.0:
	.section	.rodata,"a",@progbits
	.p2align	6, 0x0
	.amdhsa_kernel _ZN7rocprim17ROCPRIM_400000_NS6detail17trampoline_kernelINS0_14default_configENS1_22reduce_config_selectorIlEEZNS1_11reduce_implILb1ES3_N6thrust23THRUST_200600_302600_NS11hip_rocprim26transform_input_iterator_tIlNS8_12zip_iteratorINS8_5tupleINS8_6detail15normal_iteratorINS8_10device_ptrItEEEESH_NS8_9null_typeESI_SI_SI_SI_SI_SI_SI_EEEENS9_21zip_adj_not_predicateI22is_equal_div_10_uniqueItEEEEEPllNS8_4plusIlEEEE10hipError_tPvRmT1_T2_T3_mT4_P12ihipStream_tbEUlT_E0_NS1_11comp_targetILNS1_3genE10ELNS1_11target_archE1201ELNS1_3gpuE5ELNS1_3repE0EEENS1_30default_config_static_selectorELNS0_4arch9wavefront6targetE1EEEvSW_
		.amdhsa_group_segment_fixed_size 0
		.amdhsa_private_segment_fixed_size 0
		.amdhsa_kernarg_size 80
		.amdhsa_user_sgpr_count 6
		.amdhsa_user_sgpr_private_segment_buffer 1
		.amdhsa_user_sgpr_dispatch_ptr 0
		.amdhsa_user_sgpr_queue_ptr 0
		.amdhsa_user_sgpr_kernarg_segment_ptr 1
		.amdhsa_user_sgpr_dispatch_id 0
		.amdhsa_user_sgpr_flat_scratch_init 0
		.amdhsa_user_sgpr_private_segment_size 0
		.amdhsa_uses_dynamic_stack 0
		.amdhsa_system_sgpr_private_segment_wavefront_offset 0
		.amdhsa_system_sgpr_workgroup_id_x 1
		.amdhsa_system_sgpr_workgroup_id_y 0
		.amdhsa_system_sgpr_workgroup_id_z 0
		.amdhsa_system_sgpr_workgroup_info 0
		.amdhsa_system_vgpr_workitem_id 0
		.amdhsa_next_free_vgpr 1
		.amdhsa_next_free_sgpr 0
		.amdhsa_reserve_vcc 0
		.amdhsa_reserve_flat_scratch 0
		.amdhsa_float_round_mode_32 0
		.amdhsa_float_round_mode_16_64 0
		.amdhsa_float_denorm_mode_32 3
		.amdhsa_float_denorm_mode_16_64 3
		.amdhsa_dx10_clamp 1
		.amdhsa_ieee_mode 1
		.amdhsa_fp16_overflow 0
		.amdhsa_exception_fp_ieee_invalid_op 0
		.amdhsa_exception_fp_denorm_src 0
		.amdhsa_exception_fp_ieee_div_zero 0
		.amdhsa_exception_fp_ieee_overflow 0
		.amdhsa_exception_fp_ieee_underflow 0
		.amdhsa_exception_fp_ieee_inexact 0
		.amdhsa_exception_int_div_zero 0
	.end_amdhsa_kernel
	.section	.text._ZN7rocprim17ROCPRIM_400000_NS6detail17trampoline_kernelINS0_14default_configENS1_22reduce_config_selectorIlEEZNS1_11reduce_implILb1ES3_N6thrust23THRUST_200600_302600_NS11hip_rocprim26transform_input_iterator_tIlNS8_12zip_iteratorINS8_5tupleINS8_6detail15normal_iteratorINS8_10device_ptrItEEEESH_NS8_9null_typeESI_SI_SI_SI_SI_SI_SI_EEEENS9_21zip_adj_not_predicateI22is_equal_div_10_uniqueItEEEEEPllNS8_4plusIlEEEE10hipError_tPvRmT1_T2_T3_mT4_P12ihipStream_tbEUlT_E0_NS1_11comp_targetILNS1_3genE10ELNS1_11target_archE1201ELNS1_3gpuE5ELNS1_3repE0EEENS1_30default_config_static_selectorELNS0_4arch9wavefront6targetE1EEEvSW_,"axG",@progbits,_ZN7rocprim17ROCPRIM_400000_NS6detail17trampoline_kernelINS0_14default_configENS1_22reduce_config_selectorIlEEZNS1_11reduce_implILb1ES3_N6thrust23THRUST_200600_302600_NS11hip_rocprim26transform_input_iterator_tIlNS8_12zip_iteratorINS8_5tupleINS8_6detail15normal_iteratorINS8_10device_ptrItEEEESH_NS8_9null_typeESI_SI_SI_SI_SI_SI_SI_EEEENS9_21zip_adj_not_predicateI22is_equal_div_10_uniqueItEEEEEPllNS8_4plusIlEEEE10hipError_tPvRmT1_T2_T3_mT4_P12ihipStream_tbEUlT_E0_NS1_11comp_targetILNS1_3genE10ELNS1_11target_archE1201ELNS1_3gpuE5ELNS1_3repE0EEENS1_30default_config_static_selectorELNS0_4arch9wavefront6targetE1EEEvSW_,comdat
.Lfunc_end910:
	.size	_ZN7rocprim17ROCPRIM_400000_NS6detail17trampoline_kernelINS0_14default_configENS1_22reduce_config_selectorIlEEZNS1_11reduce_implILb1ES3_N6thrust23THRUST_200600_302600_NS11hip_rocprim26transform_input_iterator_tIlNS8_12zip_iteratorINS8_5tupleINS8_6detail15normal_iteratorINS8_10device_ptrItEEEESH_NS8_9null_typeESI_SI_SI_SI_SI_SI_SI_EEEENS9_21zip_adj_not_predicateI22is_equal_div_10_uniqueItEEEEEPllNS8_4plusIlEEEE10hipError_tPvRmT1_T2_T3_mT4_P12ihipStream_tbEUlT_E0_NS1_11comp_targetILNS1_3genE10ELNS1_11target_archE1201ELNS1_3gpuE5ELNS1_3repE0EEENS1_30default_config_static_selectorELNS0_4arch9wavefront6targetE1EEEvSW_, .Lfunc_end910-_ZN7rocprim17ROCPRIM_400000_NS6detail17trampoline_kernelINS0_14default_configENS1_22reduce_config_selectorIlEEZNS1_11reduce_implILb1ES3_N6thrust23THRUST_200600_302600_NS11hip_rocprim26transform_input_iterator_tIlNS8_12zip_iteratorINS8_5tupleINS8_6detail15normal_iteratorINS8_10device_ptrItEEEESH_NS8_9null_typeESI_SI_SI_SI_SI_SI_SI_EEEENS9_21zip_adj_not_predicateI22is_equal_div_10_uniqueItEEEEEPllNS8_4plusIlEEEE10hipError_tPvRmT1_T2_T3_mT4_P12ihipStream_tbEUlT_E0_NS1_11comp_targetILNS1_3genE10ELNS1_11target_archE1201ELNS1_3gpuE5ELNS1_3repE0EEENS1_30default_config_static_selectorELNS0_4arch9wavefront6targetE1EEEvSW_
                                        ; -- End function
	.set _ZN7rocprim17ROCPRIM_400000_NS6detail17trampoline_kernelINS0_14default_configENS1_22reduce_config_selectorIlEEZNS1_11reduce_implILb1ES3_N6thrust23THRUST_200600_302600_NS11hip_rocprim26transform_input_iterator_tIlNS8_12zip_iteratorINS8_5tupleINS8_6detail15normal_iteratorINS8_10device_ptrItEEEESH_NS8_9null_typeESI_SI_SI_SI_SI_SI_SI_EEEENS9_21zip_adj_not_predicateI22is_equal_div_10_uniqueItEEEEEPllNS8_4plusIlEEEE10hipError_tPvRmT1_T2_T3_mT4_P12ihipStream_tbEUlT_E0_NS1_11comp_targetILNS1_3genE10ELNS1_11target_archE1201ELNS1_3gpuE5ELNS1_3repE0EEENS1_30default_config_static_selectorELNS0_4arch9wavefront6targetE1EEEvSW_.num_vgpr, 0
	.set _ZN7rocprim17ROCPRIM_400000_NS6detail17trampoline_kernelINS0_14default_configENS1_22reduce_config_selectorIlEEZNS1_11reduce_implILb1ES3_N6thrust23THRUST_200600_302600_NS11hip_rocprim26transform_input_iterator_tIlNS8_12zip_iteratorINS8_5tupleINS8_6detail15normal_iteratorINS8_10device_ptrItEEEESH_NS8_9null_typeESI_SI_SI_SI_SI_SI_SI_EEEENS9_21zip_adj_not_predicateI22is_equal_div_10_uniqueItEEEEEPllNS8_4plusIlEEEE10hipError_tPvRmT1_T2_T3_mT4_P12ihipStream_tbEUlT_E0_NS1_11comp_targetILNS1_3genE10ELNS1_11target_archE1201ELNS1_3gpuE5ELNS1_3repE0EEENS1_30default_config_static_selectorELNS0_4arch9wavefront6targetE1EEEvSW_.num_agpr, 0
	.set _ZN7rocprim17ROCPRIM_400000_NS6detail17trampoline_kernelINS0_14default_configENS1_22reduce_config_selectorIlEEZNS1_11reduce_implILb1ES3_N6thrust23THRUST_200600_302600_NS11hip_rocprim26transform_input_iterator_tIlNS8_12zip_iteratorINS8_5tupleINS8_6detail15normal_iteratorINS8_10device_ptrItEEEESH_NS8_9null_typeESI_SI_SI_SI_SI_SI_SI_EEEENS9_21zip_adj_not_predicateI22is_equal_div_10_uniqueItEEEEEPllNS8_4plusIlEEEE10hipError_tPvRmT1_T2_T3_mT4_P12ihipStream_tbEUlT_E0_NS1_11comp_targetILNS1_3genE10ELNS1_11target_archE1201ELNS1_3gpuE5ELNS1_3repE0EEENS1_30default_config_static_selectorELNS0_4arch9wavefront6targetE1EEEvSW_.numbered_sgpr, 0
	.set _ZN7rocprim17ROCPRIM_400000_NS6detail17trampoline_kernelINS0_14default_configENS1_22reduce_config_selectorIlEEZNS1_11reduce_implILb1ES3_N6thrust23THRUST_200600_302600_NS11hip_rocprim26transform_input_iterator_tIlNS8_12zip_iteratorINS8_5tupleINS8_6detail15normal_iteratorINS8_10device_ptrItEEEESH_NS8_9null_typeESI_SI_SI_SI_SI_SI_SI_EEEENS9_21zip_adj_not_predicateI22is_equal_div_10_uniqueItEEEEEPllNS8_4plusIlEEEE10hipError_tPvRmT1_T2_T3_mT4_P12ihipStream_tbEUlT_E0_NS1_11comp_targetILNS1_3genE10ELNS1_11target_archE1201ELNS1_3gpuE5ELNS1_3repE0EEENS1_30default_config_static_selectorELNS0_4arch9wavefront6targetE1EEEvSW_.num_named_barrier, 0
	.set _ZN7rocprim17ROCPRIM_400000_NS6detail17trampoline_kernelINS0_14default_configENS1_22reduce_config_selectorIlEEZNS1_11reduce_implILb1ES3_N6thrust23THRUST_200600_302600_NS11hip_rocprim26transform_input_iterator_tIlNS8_12zip_iteratorINS8_5tupleINS8_6detail15normal_iteratorINS8_10device_ptrItEEEESH_NS8_9null_typeESI_SI_SI_SI_SI_SI_SI_EEEENS9_21zip_adj_not_predicateI22is_equal_div_10_uniqueItEEEEEPllNS8_4plusIlEEEE10hipError_tPvRmT1_T2_T3_mT4_P12ihipStream_tbEUlT_E0_NS1_11comp_targetILNS1_3genE10ELNS1_11target_archE1201ELNS1_3gpuE5ELNS1_3repE0EEENS1_30default_config_static_selectorELNS0_4arch9wavefront6targetE1EEEvSW_.private_seg_size, 0
	.set _ZN7rocprim17ROCPRIM_400000_NS6detail17trampoline_kernelINS0_14default_configENS1_22reduce_config_selectorIlEEZNS1_11reduce_implILb1ES3_N6thrust23THRUST_200600_302600_NS11hip_rocprim26transform_input_iterator_tIlNS8_12zip_iteratorINS8_5tupleINS8_6detail15normal_iteratorINS8_10device_ptrItEEEESH_NS8_9null_typeESI_SI_SI_SI_SI_SI_SI_EEEENS9_21zip_adj_not_predicateI22is_equal_div_10_uniqueItEEEEEPllNS8_4plusIlEEEE10hipError_tPvRmT1_T2_T3_mT4_P12ihipStream_tbEUlT_E0_NS1_11comp_targetILNS1_3genE10ELNS1_11target_archE1201ELNS1_3gpuE5ELNS1_3repE0EEENS1_30default_config_static_selectorELNS0_4arch9wavefront6targetE1EEEvSW_.uses_vcc, 0
	.set _ZN7rocprim17ROCPRIM_400000_NS6detail17trampoline_kernelINS0_14default_configENS1_22reduce_config_selectorIlEEZNS1_11reduce_implILb1ES3_N6thrust23THRUST_200600_302600_NS11hip_rocprim26transform_input_iterator_tIlNS8_12zip_iteratorINS8_5tupleINS8_6detail15normal_iteratorINS8_10device_ptrItEEEESH_NS8_9null_typeESI_SI_SI_SI_SI_SI_SI_EEEENS9_21zip_adj_not_predicateI22is_equal_div_10_uniqueItEEEEEPllNS8_4plusIlEEEE10hipError_tPvRmT1_T2_T3_mT4_P12ihipStream_tbEUlT_E0_NS1_11comp_targetILNS1_3genE10ELNS1_11target_archE1201ELNS1_3gpuE5ELNS1_3repE0EEENS1_30default_config_static_selectorELNS0_4arch9wavefront6targetE1EEEvSW_.uses_flat_scratch, 0
	.set _ZN7rocprim17ROCPRIM_400000_NS6detail17trampoline_kernelINS0_14default_configENS1_22reduce_config_selectorIlEEZNS1_11reduce_implILb1ES3_N6thrust23THRUST_200600_302600_NS11hip_rocprim26transform_input_iterator_tIlNS8_12zip_iteratorINS8_5tupleINS8_6detail15normal_iteratorINS8_10device_ptrItEEEESH_NS8_9null_typeESI_SI_SI_SI_SI_SI_SI_EEEENS9_21zip_adj_not_predicateI22is_equal_div_10_uniqueItEEEEEPllNS8_4plusIlEEEE10hipError_tPvRmT1_T2_T3_mT4_P12ihipStream_tbEUlT_E0_NS1_11comp_targetILNS1_3genE10ELNS1_11target_archE1201ELNS1_3gpuE5ELNS1_3repE0EEENS1_30default_config_static_selectorELNS0_4arch9wavefront6targetE1EEEvSW_.has_dyn_sized_stack, 0
	.set _ZN7rocprim17ROCPRIM_400000_NS6detail17trampoline_kernelINS0_14default_configENS1_22reduce_config_selectorIlEEZNS1_11reduce_implILb1ES3_N6thrust23THRUST_200600_302600_NS11hip_rocprim26transform_input_iterator_tIlNS8_12zip_iteratorINS8_5tupleINS8_6detail15normal_iteratorINS8_10device_ptrItEEEESH_NS8_9null_typeESI_SI_SI_SI_SI_SI_SI_EEEENS9_21zip_adj_not_predicateI22is_equal_div_10_uniqueItEEEEEPllNS8_4plusIlEEEE10hipError_tPvRmT1_T2_T3_mT4_P12ihipStream_tbEUlT_E0_NS1_11comp_targetILNS1_3genE10ELNS1_11target_archE1201ELNS1_3gpuE5ELNS1_3repE0EEENS1_30default_config_static_selectorELNS0_4arch9wavefront6targetE1EEEvSW_.has_recursion, 0
	.set _ZN7rocprim17ROCPRIM_400000_NS6detail17trampoline_kernelINS0_14default_configENS1_22reduce_config_selectorIlEEZNS1_11reduce_implILb1ES3_N6thrust23THRUST_200600_302600_NS11hip_rocprim26transform_input_iterator_tIlNS8_12zip_iteratorINS8_5tupleINS8_6detail15normal_iteratorINS8_10device_ptrItEEEESH_NS8_9null_typeESI_SI_SI_SI_SI_SI_SI_EEEENS9_21zip_adj_not_predicateI22is_equal_div_10_uniqueItEEEEEPllNS8_4plusIlEEEE10hipError_tPvRmT1_T2_T3_mT4_P12ihipStream_tbEUlT_E0_NS1_11comp_targetILNS1_3genE10ELNS1_11target_archE1201ELNS1_3gpuE5ELNS1_3repE0EEENS1_30default_config_static_selectorELNS0_4arch9wavefront6targetE1EEEvSW_.has_indirect_call, 0
	.section	.AMDGPU.csdata,"",@progbits
; Kernel info:
; codeLenInByte = 0
; TotalNumSgprs: 4
; NumVgprs: 0
; ScratchSize: 0
; MemoryBound: 0
; FloatMode: 240
; IeeeMode: 1
; LDSByteSize: 0 bytes/workgroup (compile time only)
; SGPRBlocks: 0
; VGPRBlocks: 0
; NumSGPRsForWavesPerEU: 4
; NumVGPRsForWavesPerEU: 1
; Occupancy: 10
; WaveLimiterHint : 0
; COMPUTE_PGM_RSRC2:SCRATCH_EN: 0
; COMPUTE_PGM_RSRC2:USER_SGPR: 6
; COMPUTE_PGM_RSRC2:TRAP_HANDLER: 0
; COMPUTE_PGM_RSRC2:TGID_X_EN: 1
; COMPUTE_PGM_RSRC2:TGID_Y_EN: 0
; COMPUTE_PGM_RSRC2:TGID_Z_EN: 0
; COMPUTE_PGM_RSRC2:TIDIG_COMP_CNT: 0
	.section	.text._ZN7rocprim17ROCPRIM_400000_NS6detail17trampoline_kernelINS0_14default_configENS1_22reduce_config_selectorIlEEZNS1_11reduce_implILb1ES3_N6thrust23THRUST_200600_302600_NS11hip_rocprim26transform_input_iterator_tIlNS8_12zip_iteratorINS8_5tupleINS8_6detail15normal_iteratorINS8_10device_ptrItEEEESH_NS8_9null_typeESI_SI_SI_SI_SI_SI_SI_EEEENS9_21zip_adj_not_predicateI22is_equal_div_10_uniqueItEEEEEPllNS8_4plusIlEEEE10hipError_tPvRmT1_T2_T3_mT4_P12ihipStream_tbEUlT_E0_NS1_11comp_targetILNS1_3genE10ELNS1_11target_archE1200ELNS1_3gpuE4ELNS1_3repE0EEENS1_30default_config_static_selectorELNS0_4arch9wavefront6targetE1EEEvSW_,"axG",@progbits,_ZN7rocprim17ROCPRIM_400000_NS6detail17trampoline_kernelINS0_14default_configENS1_22reduce_config_selectorIlEEZNS1_11reduce_implILb1ES3_N6thrust23THRUST_200600_302600_NS11hip_rocprim26transform_input_iterator_tIlNS8_12zip_iteratorINS8_5tupleINS8_6detail15normal_iteratorINS8_10device_ptrItEEEESH_NS8_9null_typeESI_SI_SI_SI_SI_SI_SI_EEEENS9_21zip_adj_not_predicateI22is_equal_div_10_uniqueItEEEEEPllNS8_4plusIlEEEE10hipError_tPvRmT1_T2_T3_mT4_P12ihipStream_tbEUlT_E0_NS1_11comp_targetILNS1_3genE10ELNS1_11target_archE1200ELNS1_3gpuE4ELNS1_3repE0EEENS1_30default_config_static_selectorELNS0_4arch9wavefront6targetE1EEEvSW_,comdat
	.protected	_ZN7rocprim17ROCPRIM_400000_NS6detail17trampoline_kernelINS0_14default_configENS1_22reduce_config_selectorIlEEZNS1_11reduce_implILb1ES3_N6thrust23THRUST_200600_302600_NS11hip_rocprim26transform_input_iterator_tIlNS8_12zip_iteratorINS8_5tupleINS8_6detail15normal_iteratorINS8_10device_ptrItEEEESH_NS8_9null_typeESI_SI_SI_SI_SI_SI_SI_EEEENS9_21zip_adj_not_predicateI22is_equal_div_10_uniqueItEEEEEPllNS8_4plusIlEEEE10hipError_tPvRmT1_T2_T3_mT4_P12ihipStream_tbEUlT_E0_NS1_11comp_targetILNS1_3genE10ELNS1_11target_archE1200ELNS1_3gpuE4ELNS1_3repE0EEENS1_30default_config_static_selectorELNS0_4arch9wavefront6targetE1EEEvSW_ ; -- Begin function _ZN7rocprim17ROCPRIM_400000_NS6detail17trampoline_kernelINS0_14default_configENS1_22reduce_config_selectorIlEEZNS1_11reduce_implILb1ES3_N6thrust23THRUST_200600_302600_NS11hip_rocprim26transform_input_iterator_tIlNS8_12zip_iteratorINS8_5tupleINS8_6detail15normal_iteratorINS8_10device_ptrItEEEESH_NS8_9null_typeESI_SI_SI_SI_SI_SI_SI_EEEENS9_21zip_adj_not_predicateI22is_equal_div_10_uniqueItEEEEEPllNS8_4plusIlEEEE10hipError_tPvRmT1_T2_T3_mT4_P12ihipStream_tbEUlT_E0_NS1_11comp_targetILNS1_3genE10ELNS1_11target_archE1200ELNS1_3gpuE4ELNS1_3repE0EEENS1_30default_config_static_selectorELNS0_4arch9wavefront6targetE1EEEvSW_
	.globl	_ZN7rocprim17ROCPRIM_400000_NS6detail17trampoline_kernelINS0_14default_configENS1_22reduce_config_selectorIlEEZNS1_11reduce_implILb1ES3_N6thrust23THRUST_200600_302600_NS11hip_rocprim26transform_input_iterator_tIlNS8_12zip_iteratorINS8_5tupleINS8_6detail15normal_iteratorINS8_10device_ptrItEEEESH_NS8_9null_typeESI_SI_SI_SI_SI_SI_SI_EEEENS9_21zip_adj_not_predicateI22is_equal_div_10_uniqueItEEEEEPllNS8_4plusIlEEEE10hipError_tPvRmT1_T2_T3_mT4_P12ihipStream_tbEUlT_E0_NS1_11comp_targetILNS1_3genE10ELNS1_11target_archE1200ELNS1_3gpuE4ELNS1_3repE0EEENS1_30default_config_static_selectorELNS0_4arch9wavefront6targetE1EEEvSW_
	.p2align	8
	.type	_ZN7rocprim17ROCPRIM_400000_NS6detail17trampoline_kernelINS0_14default_configENS1_22reduce_config_selectorIlEEZNS1_11reduce_implILb1ES3_N6thrust23THRUST_200600_302600_NS11hip_rocprim26transform_input_iterator_tIlNS8_12zip_iteratorINS8_5tupleINS8_6detail15normal_iteratorINS8_10device_ptrItEEEESH_NS8_9null_typeESI_SI_SI_SI_SI_SI_SI_EEEENS9_21zip_adj_not_predicateI22is_equal_div_10_uniqueItEEEEEPllNS8_4plusIlEEEE10hipError_tPvRmT1_T2_T3_mT4_P12ihipStream_tbEUlT_E0_NS1_11comp_targetILNS1_3genE10ELNS1_11target_archE1200ELNS1_3gpuE4ELNS1_3repE0EEENS1_30default_config_static_selectorELNS0_4arch9wavefront6targetE1EEEvSW_,@function
_ZN7rocprim17ROCPRIM_400000_NS6detail17trampoline_kernelINS0_14default_configENS1_22reduce_config_selectorIlEEZNS1_11reduce_implILb1ES3_N6thrust23THRUST_200600_302600_NS11hip_rocprim26transform_input_iterator_tIlNS8_12zip_iteratorINS8_5tupleINS8_6detail15normal_iteratorINS8_10device_ptrItEEEESH_NS8_9null_typeESI_SI_SI_SI_SI_SI_SI_EEEENS9_21zip_adj_not_predicateI22is_equal_div_10_uniqueItEEEEEPllNS8_4plusIlEEEE10hipError_tPvRmT1_T2_T3_mT4_P12ihipStream_tbEUlT_E0_NS1_11comp_targetILNS1_3genE10ELNS1_11target_archE1200ELNS1_3gpuE4ELNS1_3repE0EEENS1_30default_config_static_selectorELNS0_4arch9wavefront6targetE1EEEvSW_: ; @_ZN7rocprim17ROCPRIM_400000_NS6detail17trampoline_kernelINS0_14default_configENS1_22reduce_config_selectorIlEEZNS1_11reduce_implILb1ES3_N6thrust23THRUST_200600_302600_NS11hip_rocprim26transform_input_iterator_tIlNS8_12zip_iteratorINS8_5tupleINS8_6detail15normal_iteratorINS8_10device_ptrItEEEESH_NS8_9null_typeESI_SI_SI_SI_SI_SI_SI_EEEENS9_21zip_adj_not_predicateI22is_equal_div_10_uniqueItEEEEEPllNS8_4plusIlEEEE10hipError_tPvRmT1_T2_T3_mT4_P12ihipStream_tbEUlT_E0_NS1_11comp_targetILNS1_3genE10ELNS1_11target_archE1200ELNS1_3gpuE4ELNS1_3repE0EEENS1_30default_config_static_selectorELNS0_4arch9wavefront6targetE1EEEvSW_
; %bb.0:
	.section	.rodata,"a",@progbits
	.p2align	6, 0x0
	.amdhsa_kernel _ZN7rocprim17ROCPRIM_400000_NS6detail17trampoline_kernelINS0_14default_configENS1_22reduce_config_selectorIlEEZNS1_11reduce_implILb1ES3_N6thrust23THRUST_200600_302600_NS11hip_rocprim26transform_input_iterator_tIlNS8_12zip_iteratorINS8_5tupleINS8_6detail15normal_iteratorINS8_10device_ptrItEEEESH_NS8_9null_typeESI_SI_SI_SI_SI_SI_SI_EEEENS9_21zip_adj_not_predicateI22is_equal_div_10_uniqueItEEEEEPllNS8_4plusIlEEEE10hipError_tPvRmT1_T2_T3_mT4_P12ihipStream_tbEUlT_E0_NS1_11comp_targetILNS1_3genE10ELNS1_11target_archE1200ELNS1_3gpuE4ELNS1_3repE0EEENS1_30default_config_static_selectorELNS0_4arch9wavefront6targetE1EEEvSW_
		.amdhsa_group_segment_fixed_size 0
		.amdhsa_private_segment_fixed_size 0
		.amdhsa_kernarg_size 80
		.amdhsa_user_sgpr_count 6
		.amdhsa_user_sgpr_private_segment_buffer 1
		.amdhsa_user_sgpr_dispatch_ptr 0
		.amdhsa_user_sgpr_queue_ptr 0
		.amdhsa_user_sgpr_kernarg_segment_ptr 1
		.amdhsa_user_sgpr_dispatch_id 0
		.amdhsa_user_sgpr_flat_scratch_init 0
		.amdhsa_user_sgpr_private_segment_size 0
		.amdhsa_uses_dynamic_stack 0
		.amdhsa_system_sgpr_private_segment_wavefront_offset 0
		.amdhsa_system_sgpr_workgroup_id_x 1
		.amdhsa_system_sgpr_workgroup_id_y 0
		.amdhsa_system_sgpr_workgroup_id_z 0
		.amdhsa_system_sgpr_workgroup_info 0
		.amdhsa_system_vgpr_workitem_id 0
		.amdhsa_next_free_vgpr 1
		.amdhsa_next_free_sgpr 0
		.amdhsa_reserve_vcc 0
		.amdhsa_reserve_flat_scratch 0
		.amdhsa_float_round_mode_32 0
		.amdhsa_float_round_mode_16_64 0
		.amdhsa_float_denorm_mode_32 3
		.amdhsa_float_denorm_mode_16_64 3
		.amdhsa_dx10_clamp 1
		.amdhsa_ieee_mode 1
		.amdhsa_fp16_overflow 0
		.amdhsa_exception_fp_ieee_invalid_op 0
		.amdhsa_exception_fp_denorm_src 0
		.amdhsa_exception_fp_ieee_div_zero 0
		.amdhsa_exception_fp_ieee_overflow 0
		.amdhsa_exception_fp_ieee_underflow 0
		.amdhsa_exception_fp_ieee_inexact 0
		.amdhsa_exception_int_div_zero 0
	.end_amdhsa_kernel
	.section	.text._ZN7rocprim17ROCPRIM_400000_NS6detail17trampoline_kernelINS0_14default_configENS1_22reduce_config_selectorIlEEZNS1_11reduce_implILb1ES3_N6thrust23THRUST_200600_302600_NS11hip_rocprim26transform_input_iterator_tIlNS8_12zip_iteratorINS8_5tupleINS8_6detail15normal_iteratorINS8_10device_ptrItEEEESH_NS8_9null_typeESI_SI_SI_SI_SI_SI_SI_EEEENS9_21zip_adj_not_predicateI22is_equal_div_10_uniqueItEEEEEPllNS8_4plusIlEEEE10hipError_tPvRmT1_T2_T3_mT4_P12ihipStream_tbEUlT_E0_NS1_11comp_targetILNS1_3genE10ELNS1_11target_archE1200ELNS1_3gpuE4ELNS1_3repE0EEENS1_30default_config_static_selectorELNS0_4arch9wavefront6targetE1EEEvSW_,"axG",@progbits,_ZN7rocprim17ROCPRIM_400000_NS6detail17trampoline_kernelINS0_14default_configENS1_22reduce_config_selectorIlEEZNS1_11reduce_implILb1ES3_N6thrust23THRUST_200600_302600_NS11hip_rocprim26transform_input_iterator_tIlNS8_12zip_iteratorINS8_5tupleINS8_6detail15normal_iteratorINS8_10device_ptrItEEEESH_NS8_9null_typeESI_SI_SI_SI_SI_SI_SI_EEEENS9_21zip_adj_not_predicateI22is_equal_div_10_uniqueItEEEEEPllNS8_4plusIlEEEE10hipError_tPvRmT1_T2_T3_mT4_P12ihipStream_tbEUlT_E0_NS1_11comp_targetILNS1_3genE10ELNS1_11target_archE1200ELNS1_3gpuE4ELNS1_3repE0EEENS1_30default_config_static_selectorELNS0_4arch9wavefront6targetE1EEEvSW_,comdat
.Lfunc_end911:
	.size	_ZN7rocprim17ROCPRIM_400000_NS6detail17trampoline_kernelINS0_14default_configENS1_22reduce_config_selectorIlEEZNS1_11reduce_implILb1ES3_N6thrust23THRUST_200600_302600_NS11hip_rocprim26transform_input_iterator_tIlNS8_12zip_iteratorINS8_5tupleINS8_6detail15normal_iteratorINS8_10device_ptrItEEEESH_NS8_9null_typeESI_SI_SI_SI_SI_SI_SI_EEEENS9_21zip_adj_not_predicateI22is_equal_div_10_uniqueItEEEEEPllNS8_4plusIlEEEE10hipError_tPvRmT1_T2_T3_mT4_P12ihipStream_tbEUlT_E0_NS1_11comp_targetILNS1_3genE10ELNS1_11target_archE1200ELNS1_3gpuE4ELNS1_3repE0EEENS1_30default_config_static_selectorELNS0_4arch9wavefront6targetE1EEEvSW_, .Lfunc_end911-_ZN7rocprim17ROCPRIM_400000_NS6detail17trampoline_kernelINS0_14default_configENS1_22reduce_config_selectorIlEEZNS1_11reduce_implILb1ES3_N6thrust23THRUST_200600_302600_NS11hip_rocprim26transform_input_iterator_tIlNS8_12zip_iteratorINS8_5tupleINS8_6detail15normal_iteratorINS8_10device_ptrItEEEESH_NS8_9null_typeESI_SI_SI_SI_SI_SI_SI_EEEENS9_21zip_adj_not_predicateI22is_equal_div_10_uniqueItEEEEEPllNS8_4plusIlEEEE10hipError_tPvRmT1_T2_T3_mT4_P12ihipStream_tbEUlT_E0_NS1_11comp_targetILNS1_3genE10ELNS1_11target_archE1200ELNS1_3gpuE4ELNS1_3repE0EEENS1_30default_config_static_selectorELNS0_4arch9wavefront6targetE1EEEvSW_
                                        ; -- End function
	.set _ZN7rocprim17ROCPRIM_400000_NS6detail17trampoline_kernelINS0_14default_configENS1_22reduce_config_selectorIlEEZNS1_11reduce_implILb1ES3_N6thrust23THRUST_200600_302600_NS11hip_rocprim26transform_input_iterator_tIlNS8_12zip_iteratorINS8_5tupleINS8_6detail15normal_iteratorINS8_10device_ptrItEEEESH_NS8_9null_typeESI_SI_SI_SI_SI_SI_SI_EEEENS9_21zip_adj_not_predicateI22is_equal_div_10_uniqueItEEEEEPllNS8_4plusIlEEEE10hipError_tPvRmT1_T2_T3_mT4_P12ihipStream_tbEUlT_E0_NS1_11comp_targetILNS1_3genE10ELNS1_11target_archE1200ELNS1_3gpuE4ELNS1_3repE0EEENS1_30default_config_static_selectorELNS0_4arch9wavefront6targetE1EEEvSW_.num_vgpr, 0
	.set _ZN7rocprim17ROCPRIM_400000_NS6detail17trampoline_kernelINS0_14default_configENS1_22reduce_config_selectorIlEEZNS1_11reduce_implILb1ES3_N6thrust23THRUST_200600_302600_NS11hip_rocprim26transform_input_iterator_tIlNS8_12zip_iteratorINS8_5tupleINS8_6detail15normal_iteratorINS8_10device_ptrItEEEESH_NS8_9null_typeESI_SI_SI_SI_SI_SI_SI_EEEENS9_21zip_adj_not_predicateI22is_equal_div_10_uniqueItEEEEEPllNS8_4plusIlEEEE10hipError_tPvRmT1_T2_T3_mT4_P12ihipStream_tbEUlT_E0_NS1_11comp_targetILNS1_3genE10ELNS1_11target_archE1200ELNS1_3gpuE4ELNS1_3repE0EEENS1_30default_config_static_selectorELNS0_4arch9wavefront6targetE1EEEvSW_.num_agpr, 0
	.set _ZN7rocprim17ROCPRIM_400000_NS6detail17trampoline_kernelINS0_14default_configENS1_22reduce_config_selectorIlEEZNS1_11reduce_implILb1ES3_N6thrust23THRUST_200600_302600_NS11hip_rocprim26transform_input_iterator_tIlNS8_12zip_iteratorINS8_5tupleINS8_6detail15normal_iteratorINS8_10device_ptrItEEEESH_NS8_9null_typeESI_SI_SI_SI_SI_SI_SI_EEEENS9_21zip_adj_not_predicateI22is_equal_div_10_uniqueItEEEEEPllNS8_4plusIlEEEE10hipError_tPvRmT1_T2_T3_mT4_P12ihipStream_tbEUlT_E0_NS1_11comp_targetILNS1_3genE10ELNS1_11target_archE1200ELNS1_3gpuE4ELNS1_3repE0EEENS1_30default_config_static_selectorELNS0_4arch9wavefront6targetE1EEEvSW_.numbered_sgpr, 0
	.set _ZN7rocprim17ROCPRIM_400000_NS6detail17trampoline_kernelINS0_14default_configENS1_22reduce_config_selectorIlEEZNS1_11reduce_implILb1ES3_N6thrust23THRUST_200600_302600_NS11hip_rocprim26transform_input_iterator_tIlNS8_12zip_iteratorINS8_5tupleINS8_6detail15normal_iteratorINS8_10device_ptrItEEEESH_NS8_9null_typeESI_SI_SI_SI_SI_SI_SI_EEEENS9_21zip_adj_not_predicateI22is_equal_div_10_uniqueItEEEEEPllNS8_4plusIlEEEE10hipError_tPvRmT1_T2_T3_mT4_P12ihipStream_tbEUlT_E0_NS1_11comp_targetILNS1_3genE10ELNS1_11target_archE1200ELNS1_3gpuE4ELNS1_3repE0EEENS1_30default_config_static_selectorELNS0_4arch9wavefront6targetE1EEEvSW_.num_named_barrier, 0
	.set _ZN7rocprim17ROCPRIM_400000_NS6detail17trampoline_kernelINS0_14default_configENS1_22reduce_config_selectorIlEEZNS1_11reduce_implILb1ES3_N6thrust23THRUST_200600_302600_NS11hip_rocprim26transform_input_iterator_tIlNS8_12zip_iteratorINS8_5tupleINS8_6detail15normal_iteratorINS8_10device_ptrItEEEESH_NS8_9null_typeESI_SI_SI_SI_SI_SI_SI_EEEENS9_21zip_adj_not_predicateI22is_equal_div_10_uniqueItEEEEEPllNS8_4plusIlEEEE10hipError_tPvRmT1_T2_T3_mT4_P12ihipStream_tbEUlT_E0_NS1_11comp_targetILNS1_3genE10ELNS1_11target_archE1200ELNS1_3gpuE4ELNS1_3repE0EEENS1_30default_config_static_selectorELNS0_4arch9wavefront6targetE1EEEvSW_.private_seg_size, 0
	.set _ZN7rocprim17ROCPRIM_400000_NS6detail17trampoline_kernelINS0_14default_configENS1_22reduce_config_selectorIlEEZNS1_11reduce_implILb1ES3_N6thrust23THRUST_200600_302600_NS11hip_rocprim26transform_input_iterator_tIlNS8_12zip_iteratorINS8_5tupleINS8_6detail15normal_iteratorINS8_10device_ptrItEEEESH_NS8_9null_typeESI_SI_SI_SI_SI_SI_SI_EEEENS9_21zip_adj_not_predicateI22is_equal_div_10_uniqueItEEEEEPllNS8_4plusIlEEEE10hipError_tPvRmT1_T2_T3_mT4_P12ihipStream_tbEUlT_E0_NS1_11comp_targetILNS1_3genE10ELNS1_11target_archE1200ELNS1_3gpuE4ELNS1_3repE0EEENS1_30default_config_static_selectorELNS0_4arch9wavefront6targetE1EEEvSW_.uses_vcc, 0
	.set _ZN7rocprim17ROCPRIM_400000_NS6detail17trampoline_kernelINS0_14default_configENS1_22reduce_config_selectorIlEEZNS1_11reduce_implILb1ES3_N6thrust23THRUST_200600_302600_NS11hip_rocprim26transform_input_iterator_tIlNS8_12zip_iteratorINS8_5tupleINS8_6detail15normal_iteratorINS8_10device_ptrItEEEESH_NS8_9null_typeESI_SI_SI_SI_SI_SI_SI_EEEENS9_21zip_adj_not_predicateI22is_equal_div_10_uniqueItEEEEEPllNS8_4plusIlEEEE10hipError_tPvRmT1_T2_T3_mT4_P12ihipStream_tbEUlT_E0_NS1_11comp_targetILNS1_3genE10ELNS1_11target_archE1200ELNS1_3gpuE4ELNS1_3repE0EEENS1_30default_config_static_selectorELNS0_4arch9wavefront6targetE1EEEvSW_.uses_flat_scratch, 0
	.set _ZN7rocprim17ROCPRIM_400000_NS6detail17trampoline_kernelINS0_14default_configENS1_22reduce_config_selectorIlEEZNS1_11reduce_implILb1ES3_N6thrust23THRUST_200600_302600_NS11hip_rocprim26transform_input_iterator_tIlNS8_12zip_iteratorINS8_5tupleINS8_6detail15normal_iteratorINS8_10device_ptrItEEEESH_NS8_9null_typeESI_SI_SI_SI_SI_SI_SI_EEEENS9_21zip_adj_not_predicateI22is_equal_div_10_uniqueItEEEEEPllNS8_4plusIlEEEE10hipError_tPvRmT1_T2_T3_mT4_P12ihipStream_tbEUlT_E0_NS1_11comp_targetILNS1_3genE10ELNS1_11target_archE1200ELNS1_3gpuE4ELNS1_3repE0EEENS1_30default_config_static_selectorELNS0_4arch9wavefront6targetE1EEEvSW_.has_dyn_sized_stack, 0
	.set _ZN7rocprim17ROCPRIM_400000_NS6detail17trampoline_kernelINS0_14default_configENS1_22reduce_config_selectorIlEEZNS1_11reduce_implILb1ES3_N6thrust23THRUST_200600_302600_NS11hip_rocprim26transform_input_iterator_tIlNS8_12zip_iteratorINS8_5tupleINS8_6detail15normal_iteratorINS8_10device_ptrItEEEESH_NS8_9null_typeESI_SI_SI_SI_SI_SI_SI_EEEENS9_21zip_adj_not_predicateI22is_equal_div_10_uniqueItEEEEEPllNS8_4plusIlEEEE10hipError_tPvRmT1_T2_T3_mT4_P12ihipStream_tbEUlT_E0_NS1_11comp_targetILNS1_3genE10ELNS1_11target_archE1200ELNS1_3gpuE4ELNS1_3repE0EEENS1_30default_config_static_selectorELNS0_4arch9wavefront6targetE1EEEvSW_.has_recursion, 0
	.set _ZN7rocprim17ROCPRIM_400000_NS6detail17trampoline_kernelINS0_14default_configENS1_22reduce_config_selectorIlEEZNS1_11reduce_implILb1ES3_N6thrust23THRUST_200600_302600_NS11hip_rocprim26transform_input_iterator_tIlNS8_12zip_iteratorINS8_5tupleINS8_6detail15normal_iteratorINS8_10device_ptrItEEEESH_NS8_9null_typeESI_SI_SI_SI_SI_SI_SI_EEEENS9_21zip_adj_not_predicateI22is_equal_div_10_uniqueItEEEEEPllNS8_4plusIlEEEE10hipError_tPvRmT1_T2_T3_mT4_P12ihipStream_tbEUlT_E0_NS1_11comp_targetILNS1_3genE10ELNS1_11target_archE1200ELNS1_3gpuE4ELNS1_3repE0EEENS1_30default_config_static_selectorELNS0_4arch9wavefront6targetE1EEEvSW_.has_indirect_call, 0
	.section	.AMDGPU.csdata,"",@progbits
; Kernel info:
; codeLenInByte = 0
; TotalNumSgprs: 4
; NumVgprs: 0
; ScratchSize: 0
; MemoryBound: 0
; FloatMode: 240
; IeeeMode: 1
; LDSByteSize: 0 bytes/workgroup (compile time only)
; SGPRBlocks: 0
; VGPRBlocks: 0
; NumSGPRsForWavesPerEU: 4
; NumVGPRsForWavesPerEU: 1
; Occupancy: 10
; WaveLimiterHint : 0
; COMPUTE_PGM_RSRC2:SCRATCH_EN: 0
; COMPUTE_PGM_RSRC2:USER_SGPR: 6
; COMPUTE_PGM_RSRC2:TRAP_HANDLER: 0
; COMPUTE_PGM_RSRC2:TGID_X_EN: 1
; COMPUTE_PGM_RSRC2:TGID_Y_EN: 0
; COMPUTE_PGM_RSRC2:TGID_Z_EN: 0
; COMPUTE_PGM_RSRC2:TIDIG_COMP_CNT: 0
	.section	.text._ZN7rocprim17ROCPRIM_400000_NS6detail17trampoline_kernelINS0_14default_configENS1_22reduce_config_selectorIlEEZNS1_11reduce_implILb1ES3_N6thrust23THRUST_200600_302600_NS11hip_rocprim26transform_input_iterator_tIlNS8_12zip_iteratorINS8_5tupleINS8_6detail15normal_iteratorINS8_10device_ptrItEEEESH_NS8_9null_typeESI_SI_SI_SI_SI_SI_SI_EEEENS9_21zip_adj_not_predicateI22is_equal_div_10_uniqueItEEEEEPllNS8_4plusIlEEEE10hipError_tPvRmT1_T2_T3_mT4_P12ihipStream_tbEUlT_E0_NS1_11comp_targetILNS1_3genE9ELNS1_11target_archE1100ELNS1_3gpuE3ELNS1_3repE0EEENS1_30default_config_static_selectorELNS0_4arch9wavefront6targetE1EEEvSW_,"axG",@progbits,_ZN7rocprim17ROCPRIM_400000_NS6detail17trampoline_kernelINS0_14default_configENS1_22reduce_config_selectorIlEEZNS1_11reduce_implILb1ES3_N6thrust23THRUST_200600_302600_NS11hip_rocprim26transform_input_iterator_tIlNS8_12zip_iteratorINS8_5tupleINS8_6detail15normal_iteratorINS8_10device_ptrItEEEESH_NS8_9null_typeESI_SI_SI_SI_SI_SI_SI_EEEENS9_21zip_adj_not_predicateI22is_equal_div_10_uniqueItEEEEEPllNS8_4plusIlEEEE10hipError_tPvRmT1_T2_T3_mT4_P12ihipStream_tbEUlT_E0_NS1_11comp_targetILNS1_3genE9ELNS1_11target_archE1100ELNS1_3gpuE3ELNS1_3repE0EEENS1_30default_config_static_selectorELNS0_4arch9wavefront6targetE1EEEvSW_,comdat
	.protected	_ZN7rocprim17ROCPRIM_400000_NS6detail17trampoline_kernelINS0_14default_configENS1_22reduce_config_selectorIlEEZNS1_11reduce_implILb1ES3_N6thrust23THRUST_200600_302600_NS11hip_rocprim26transform_input_iterator_tIlNS8_12zip_iteratorINS8_5tupleINS8_6detail15normal_iteratorINS8_10device_ptrItEEEESH_NS8_9null_typeESI_SI_SI_SI_SI_SI_SI_EEEENS9_21zip_adj_not_predicateI22is_equal_div_10_uniqueItEEEEEPllNS8_4plusIlEEEE10hipError_tPvRmT1_T2_T3_mT4_P12ihipStream_tbEUlT_E0_NS1_11comp_targetILNS1_3genE9ELNS1_11target_archE1100ELNS1_3gpuE3ELNS1_3repE0EEENS1_30default_config_static_selectorELNS0_4arch9wavefront6targetE1EEEvSW_ ; -- Begin function _ZN7rocprim17ROCPRIM_400000_NS6detail17trampoline_kernelINS0_14default_configENS1_22reduce_config_selectorIlEEZNS1_11reduce_implILb1ES3_N6thrust23THRUST_200600_302600_NS11hip_rocprim26transform_input_iterator_tIlNS8_12zip_iteratorINS8_5tupleINS8_6detail15normal_iteratorINS8_10device_ptrItEEEESH_NS8_9null_typeESI_SI_SI_SI_SI_SI_SI_EEEENS9_21zip_adj_not_predicateI22is_equal_div_10_uniqueItEEEEEPllNS8_4plusIlEEEE10hipError_tPvRmT1_T2_T3_mT4_P12ihipStream_tbEUlT_E0_NS1_11comp_targetILNS1_3genE9ELNS1_11target_archE1100ELNS1_3gpuE3ELNS1_3repE0EEENS1_30default_config_static_selectorELNS0_4arch9wavefront6targetE1EEEvSW_
	.globl	_ZN7rocprim17ROCPRIM_400000_NS6detail17trampoline_kernelINS0_14default_configENS1_22reduce_config_selectorIlEEZNS1_11reduce_implILb1ES3_N6thrust23THRUST_200600_302600_NS11hip_rocprim26transform_input_iterator_tIlNS8_12zip_iteratorINS8_5tupleINS8_6detail15normal_iteratorINS8_10device_ptrItEEEESH_NS8_9null_typeESI_SI_SI_SI_SI_SI_SI_EEEENS9_21zip_adj_not_predicateI22is_equal_div_10_uniqueItEEEEEPllNS8_4plusIlEEEE10hipError_tPvRmT1_T2_T3_mT4_P12ihipStream_tbEUlT_E0_NS1_11comp_targetILNS1_3genE9ELNS1_11target_archE1100ELNS1_3gpuE3ELNS1_3repE0EEENS1_30default_config_static_selectorELNS0_4arch9wavefront6targetE1EEEvSW_
	.p2align	8
	.type	_ZN7rocprim17ROCPRIM_400000_NS6detail17trampoline_kernelINS0_14default_configENS1_22reduce_config_selectorIlEEZNS1_11reduce_implILb1ES3_N6thrust23THRUST_200600_302600_NS11hip_rocprim26transform_input_iterator_tIlNS8_12zip_iteratorINS8_5tupleINS8_6detail15normal_iteratorINS8_10device_ptrItEEEESH_NS8_9null_typeESI_SI_SI_SI_SI_SI_SI_EEEENS9_21zip_adj_not_predicateI22is_equal_div_10_uniqueItEEEEEPllNS8_4plusIlEEEE10hipError_tPvRmT1_T2_T3_mT4_P12ihipStream_tbEUlT_E0_NS1_11comp_targetILNS1_3genE9ELNS1_11target_archE1100ELNS1_3gpuE3ELNS1_3repE0EEENS1_30default_config_static_selectorELNS0_4arch9wavefront6targetE1EEEvSW_,@function
_ZN7rocprim17ROCPRIM_400000_NS6detail17trampoline_kernelINS0_14default_configENS1_22reduce_config_selectorIlEEZNS1_11reduce_implILb1ES3_N6thrust23THRUST_200600_302600_NS11hip_rocprim26transform_input_iterator_tIlNS8_12zip_iteratorINS8_5tupleINS8_6detail15normal_iteratorINS8_10device_ptrItEEEESH_NS8_9null_typeESI_SI_SI_SI_SI_SI_SI_EEEENS9_21zip_adj_not_predicateI22is_equal_div_10_uniqueItEEEEEPllNS8_4plusIlEEEE10hipError_tPvRmT1_T2_T3_mT4_P12ihipStream_tbEUlT_E0_NS1_11comp_targetILNS1_3genE9ELNS1_11target_archE1100ELNS1_3gpuE3ELNS1_3repE0EEENS1_30default_config_static_selectorELNS0_4arch9wavefront6targetE1EEEvSW_: ; @_ZN7rocprim17ROCPRIM_400000_NS6detail17trampoline_kernelINS0_14default_configENS1_22reduce_config_selectorIlEEZNS1_11reduce_implILb1ES3_N6thrust23THRUST_200600_302600_NS11hip_rocprim26transform_input_iterator_tIlNS8_12zip_iteratorINS8_5tupleINS8_6detail15normal_iteratorINS8_10device_ptrItEEEESH_NS8_9null_typeESI_SI_SI_SI_SI_SI_SI_EEEENS9_21zip_adj_not_predicateI22is_equal_div_10_uniqueItEEEEEPllNS8_4plusIlEEEE10hipError_tPvRmT1_T2_T3_mT4_P12ihipStream_tbEUlT_E0_NS1_11comp_targetILNS1_3genE9ELNS1_11target_archE1100ELNS1_3gpuE3ELNS1_3repE0EEENS1_30default_config_static_selectorELNS0_4arch9wavefront6targetE1EEEvSW_
; %bb.0:
	.section	.rodata,"a",@progbits
	.p2align	6, 0x0
	.amdhsa_kernel _ZN7rocprim17ROCPRIM_400000_NS6detail17trampoline_kernelINS0_14default_configENS1_22reduce_config_selectorIlEEZNS1_11reduce_implILb1ES3_N6thrust23THRUST_200600_302600_NS11hip_rocprim26transform_input_iterator_tIlNS8_12zip_iteratorINS8_5tupleINS8_6detail15normal_iteratorINS8_10device_ptrItEEEESH_NS8_9null_typeESI_SI_SI_SI_SI_SI_SI_EEEENS9_21zip_adj_not_predicateI22is_equal_div_10_uniqueItEEEEEPllNS8_4plusIlEEEE10hipError_tPvRmT1_T2_T3_mT4_P12ihipStream_tbEUlT_E0_NS1_11comp_targetILNS1_3genE9ELNS1_11target_archE1100ELNS1_3gpuE3ELNS1_3repE0EEENS1_30default_config_static_selectorELNS0_4arch9wavefront6targetE1EEEvSW_
		.amdhsa_group_segment_fixed_size 0
		.amdhsa_private_segment_fixed_size 0
		.amdhsa_kernarg_size 80
		.amdhsa_user_sgpr_count 6
		.amdhsa_user_sgpr_private_segment_buffer 1
		.amdhsa_user_sgpr_dispatch_ptr 0
		.amdhsa_user_sgpr_queue_ptr 0
		.amdhsa_user_sgpr_kernarg_segment_ptr 1
		.amdhsa_user_sgpr_dispatch_id 0
		.amdhsa_user_sgpr_flat_scratch_init 0
		.amdhsa_user_sgpr_private_segment_size 0
		.amdhsa_uses_dynamic_stack 0
		.amdhsa_system_sgpr_private_segment_wavefront_offset 0
		.amdhsa_system_sgpr_workgroup_id_x 1
		.amdhsa_system_sgpr_workgroup_id_y 0
		.amdhsa_system_sgpr_workgroup_id_z 0
		.amdhsa_system_sgpr_workgroup_info 0
		.amdhsa_system_vgpr_workitem_id 0
		.amdhsa_next_free_vgpr 1
		.amdhsa_next_free_sgpr 0
		.amdhsa_reserve_vcc 0
		.amdhsa_reserve_flat_scratch 0
		.amdhsa_float_round_mode_32 0
		.amdhsa_float_round_mode_16_64 0
		.amdhsa_float_denorm_mode_32 3
		.amdhsa_float_denorm_mode_16_64 3
		.amdhsa_dx10_clamp 1
		.amdhsa_ieee_mode 1
		.amdhsa_fp16_overflow 0
		.amdhsa_exception_fp_ieee_invalid_op 0
		.amdhsa_exception_fp_denorm_src 0
		.amdhsa_exception_fp_ieee_div_zero 0
		.amdhsa_exception_fp_ieee_overflow 0
		.amdhsa_exception_fp_ieee_underflow 0
		.amdhsa_exception_fp_ieee_inexact 0
		.amdhsa_exception_int_div_zero 0
	.end_amdhsa_kernel
	.section	.text._ZN7rocprim17ROCPRIM_400000_NS6detail17trampoline_kernelINS0_14default_configENS1_22reduce_config_selectorIlEEZNS1_11reduce_implILb1ES3_N6thrust23THRUST_200600_302600_NS11hip_rocprim26transform_input_iterator_tIlNS8_12zip_iteratorINS8_5tupleINS8_6detail15normal_iteratorINS8_10device_ptrItEEEESH_NS8_9null_typeESI_SI_SI_SI_SI_SI_SI_EEEENS9_21zip_adj_not_predicateI22is_equal_div_10_uniqueItEEEEEPllNS8_4plusIlEEEE10hipError_tPvRmT1_T2_T3_mT4_P12ihipStream_tbEUlT_E0_NS1_11comp_targetILNS1_3genE9ELNS1_11target_archE1100ELNS1_3gpuE3ELNS1_3repE0EEENS1_30default_config_static_selectorELNS0_4arch9wavefront6targetE1EEEvSW_,"axG",@progbits,_ZN7rocprim17ROCPRIM_400000_NS6detail17trampoline_kernelINS0_14default_configENS1_22reduce_config_selectorIlEEZNS1_11reduce_implILb1ES3_N6thrust23THRUST_200600_302600_NS11hip_rocprim26transform_input_iterator_tIlNS8_12zip_iteratorINS8_5tupleINS8_6detail15normal_iteratorINS8_10device_ptrItEEEESH_NS8_9null_typeESI_SI_SI_SI_SI_SI_SI_EEEENS9_21zip_adj_not_predicateI22is_equal_div_10_uniqueItEEEEEPllNS8_4plusIlEEEE10hipError_tPvRmT1_T2_T3_mT4_P12ihipStream_tbEUlT_E0_NS1_11comp_targetILNS1_3genE9ELNS1_11target_archE1100ELNS1_3gpuE3ELNS1_3repE0EEENS1_30default_config_static_selectorELNS0_4arch9wavefront6targetE1EEEvSW_,comdat
.Lfunc_end912:
	.size	_ZN7rocprim17ROCPRIM_400000_NS6detail17trampoline_kernelINS0_14default_configENS1_22reduce_config_selectorIlEEZNS1_11reduce_implILb1ES3_N6thrust23THRUST_200600_302600_NS11hip_rocprim26transform_input_iterator_tIlNS8_12zip_iteratorINS8_5tupleINS8_6detail15normal_iteratorINS8_10device_ptrItEEEESH_NS8_9null_typeESI_SI_SI_SI_SI_SI_SI_EEEENS9_21zip_adj_not_predicateI22is_equal_div_10_uniqueItEEEEEPllNS8_4plusIlEEEE10hipError_tPvRmT1_T2_T3_mT4_P12ihipStream_tbEUlT_E0_NS1_11comp_targetILNS1_3genE9ELNS1_11target_archE1100ELNS1_3gpuE3ELNS1_3repE0EEENS1_30default_config_static_selectorELNS0_4arch9wavefront6targetE1EEEvSW_, .Lfunc_end912-_ZN7rocprim17ROCPRIM_400000_NS6detail17trampoline_kernelINS0_14default_configENS1_22reduce_config_selectorIlEEZNS1_11reduce_implILb1ES3_N6thrust23THRUST_200600_302600_NS11hip_rocprim26transform_input_iterator_tIlNS8_12zip_iteratorINS8_5tupleINS8_6detail15normal_iteratorINS8_10device_ptrItEEEESH_NS8_9null_typeESI_SI_SI_SI_SI_SI_SI_EEEENS9_21zip_adj_not_predicateI22is_equal_div_10_uniqueItEEEEEPllNS8_4plusIlEEEE10hipError_tPvRmT1_T2_T3_mT4_P12ihipStream_tbEUlT_E0_NS1_11comp_targetILNS1_3genE9ELNS1_11target_archE1100ELNS1_3gpuE3ELNS1_3repE0EEENS1_30default_config_static_selectorELNS0_4arch9wavefront6targetE1EEEvSW_
                                        ; -- End function
	.set _ZN7rocprim17ROCPRIM_400000_NS6detail17trampoline_kernelINS0_14default_configENS1_22reduce_config_selectorIlEEZNS1_11reduce_implILb1ES3_N6thrust23THRUST_200600_302600_NS11hip_rocprim26transform_input_iterator_tIlNS8_12zip_iteratorINS8_5tupleINS8_6detail15normal_iteratorINS8_10device_ptrItEEEESH_NS8_9null_typeESI_SI_SI_SI_SI_SI_SI_EEEENS9_21zip_adj_not_predicateI22is_equal_div_10_uniqueItEEEEEPllNS8_4plusIlEEEE10hipError_tPvRmT1_T2_T3_mT4_P12ihipStream_tbEUlT_E0_NS1_11comp_targetILNS1_3genE9ELNS1_11target_archE1100ELNS1_3gpuE3ELNS1_3repE0EEENS1_30default_config_static_selectorELNS0_4arch9wavefront6targetE1EEEvSW_.num_vgpr, 0
	.set _ZN7rocprim17ROCPRIM_400000_NS6detail17trampoline_kernelINS0_14default_configENS1_22reduce_config_selectorIlEEZNS1_11reduce_implILb1ES3_N6thrust23THRUST_200600_302600_NS11hip_rocprim26transform_input_iterator_tIlNS8_12zip_iteratorINS8_5tupleINS8_6detail15normal_iteratorINS8_10device_ptrItEEEESH_NS8_9null_typeESI_SI_SI_SI_SI_SI_SI_EEEENS9_21zip_adj_not_predicateI22is_equal_div_10_uniqueItEEEEEPllNS8_4plusIlEEEE10hipError_tPvRmT1_T2_T3_mT4_P12ihipStream_tbEUlT_E0_NS1_11comp_targetILNS1_3genE9ELNS1_11target_archE1100ELNS1_3gpuE3ELNS1_3repE0EEENS1_30default_config_static_selectorELNS0_4arch9wavefront6targetE1EEEvSW_.num_agpr, 0
	.set _ZN7rocprim17ROCPRIM_400000_NS6detail17trampoline_kernelINS0_14default_configENS1_22reduce_config_selectorIlEEZNS1_11reduce_implILb1ES3_N6thrust23THRUST_200600_302600_NS11hip_rocprim26transform_input_iterator_tIlNS8_12zip_iteratorINS8_5tupleINS8_6detail15normal_iteratorINS8_10device_ptrItEEEESH_NS8_9null_typeESI_SI_SI_SI_SI_SI_SI_EEEENS9_21zip_adj_not_predicateI22is_equal_div_10_uniqueItEEEEEPllNS8_4plusIlEEEE10hipError_tPvRmT1_T2_T3_mT4_P12ihipStream_tbEUlT_E0_NS1_11comp_targetILNS1_3genE9ELNS1_11target_archE1100ELNS1_3gpuE3ELNS1_3repE0EEENS1_30default_config_static_selectorELNS0_4arch9wavefront6targetE1EEEvSW_.numbered_sgpr, 0
	.set _ZN7rocprim17ROCPRIM_400000_NS6detail17trampoline_kernelINS0_14default_configENS1_22reduce_config_selectorIlEEZNS1_11reduce_implILb1ES3_N6thrust23THRUST_200600_302600_NS11hip_rocprim26transform_input_iterator_tIlNS8_12zip_iteratorINS8_5tupleINS8_6detail15normal_iteratorINS8_10device_ptrItEEEESH_NS8_9null_typeESI_SI_SI_SI_SI_SI_SI_EEEENS9_21zip_adj_not_predicateI22is_equal_div_10_uniqueItEEEEEPllNS8_4plusIlEEEE10hipError_tPvRmT1_T2_T3_mT4_P12ihipStream_tbEUlT_E0_NS1_11comp_targetILNS1_3genE9ELNS1_11target_archE1100ELNS1_3gpuE3ELNS1_3repE0EEENS1_30default_config_static_selectorELNS0_4arch9wavefront6targetE1EEEvSW_.num_named_barrier, 0
	.set _ZN7rocprim17ROCPRIM_400000_NS6detail17trampoline_kernelINS0_14default_configENS1_22reduce_config_selectorIlEEZNS1_11reduce_implILb1ES3_N6thrust23THRUST_200600_302600_NS11hip_rocprim26transform_input_iterator_tIlNS8_12zip_iteratorINS8_5tupleINS8_6detail15normal_iteratorINS8_10device_ptrItEEEESH_NS8_9null_typeESI_SI_SI_SI_SI_SI_SI_EEEENS9_21zip_adj_not_predicateI22is_equal_div_10_uniqueItEEEEEPllNS8_4plusIlEEEE10hipError_tPvRmT1_T2_T3_mT4_P12ihipStream_tbEUlT_E0_NS1_11comp_targetILNS1_3genE9ELNS1_11target_archE1100ELNS1_3gpuE3ELNS1_3repE0EEENS1_30default_config_static_selectorELNS0_4arch9wavefront6targetE1EEEvSW_.private_seg_size, 0
	.set _ZN7rocprim17ROCPRIM_400000_NS6detail17trampoline_kernelINS0_14default_configENS1_22reduce_config_selectorIlEEZNS1_11reduce_implILb1ES3_N6thrust23THRUST_200600_302600_NS11hip_rocprim26transform_input_iterator_tIlNS8_12zip_iteratorINS8_5tupleINS8_6detail15normal_iteratorINS8_10device_ptrItEEEESH_NS8_9null_typeESI_SI_SI_SI_SI_SI_SI_EEEENS9_21zip_adj_not_predicateI22is_equal_div_10_uniqueItEEEEEPllNS8_4plusIlEEEE10hipError_tPvRmT1_T2_T3_mT4_P12ihipStream_tbEUlT_E0_NS1_11comp_targetILNS1_3genE9ELNS1_11target_archE1100ELNS1_3gpuE3ELNS1_3repE0EEENS1_30default_config_static_selectorELNS0_4arch9wavefront6targetE1EEEvSW_.uses_vcc, 0
	.set _ZN7rocprim17ROCPRIM_400000_NS6detail17trampoline_kernelINS0_14default_configENS1_22reduce_config_selectorIlEEZNS1_11reduce_implILb1ES3_N6thrust23THRUST_200600_302600_NS11hip_rocprim26transform_input_iterator_tIlNS8_12zip_iteratorINS8_5tupleINS8_6detail15normal_iteratorINS8_10device_ptrItEEEESH_NS8_9null_typeESI_SI_SI_SI_SI_SI_SI_EEEENS9_21zip_adj_not_predicateI22is_equal_div_10_uniqueItEEEEEPllNS8_4plusIlEEEE10hipError_tPvRmT1_T2_T3_mT4_P12ihipStream_tbEUlT_E0_NS1_11comp_targetILNS1_3genE9ELNS1_11target_archE1100ELNS1_3gpuE3ELNS1_3repE0EEENS1_30default_config_static_selectorELNS0_4arch9wavefront6targetE1EEEvSW_.uses_flat_scratch, 0
	.set _ZN7rocprim17ROCPRIM_400000_NS6detail17trampoline_kernelINS0_14default_configENS1_22reduce_config_selectorIlEEZNS1_11reduce_implILb1ES3_N6thrust23THRUST_200600_302600_NS11hip_rocprim26transform_input_iterator_tIlNS8_12zip_iteratorINS8_5tupleINS8_6detail15normal_iteratorINS8_10device_ptrItEEEESH_NS8_9null_typeESI_SI_SI_SI_SI_SI_SI_EEEENS9_21zip_adj_not_predicateI22is_equal_div_10_uniqueItEEEEEPllNS8_4plusIlEEEE10hipError_tPvRmT1_T2_T3_mT4_P12ihipStream_tbEUlT_E0_NS1_11comp_targetILNS1_3genE9ELNS1_11target_archE1100ELNS1_3gpuE3ELNS1_3repE0EEENS1_30default_config_static_selectorELNS0_4arch9wavefront6targetE1EEEvSW_.has_dyn_sized_stack, 0
	.set _ZN7rocprim17ROCPRIM_400000_NS6detail17trampoline_kernelINS0_14default_configENS1_22reduce_config_selectorIlEEZNS1_11reduce_implILb1ES3_N6thrust23THRUST_200600_302600_NS11hip_rocprim26transform_input_iterator_tIlNS8_12zip_iteratorINS8_5tupleINS8_6detail15normal_iteratorINS8_10device_ptrItEEEESH_NS8_9null_typeESI_SI_SI_SI_SI_SI_SI_EEEENS9_21zip_adj_not_predicateI22is_equal_div_10_uniqueItEEEEEPllNS8_4plusIlEEEE10hipError_tPvRmT1_T2_T3_mT4_P12ihipStream_tbEUlT_E0_NS1_11comp_targetILNS1_3genE9ELNS1_11target_archE1100ELNS1_3gpuE3ELNS1_3repE0EEENS1_30default_config_static_selectorELNS0_4arch9wavefront6targetE1EEEvSW_.has_recursion, 0
	.set _ZN7rocprim17ROCPRIM_400000_NS6detail17trampoline_kernelINS0_14default_configENS1_22reduce_config_selectorIlEEZNS1_11reduce_implILb1ES3_N6thrust23THRUST_200600_302600_NS11hip_rocprim26transform_input_iterator_tIlNS8_12zip_iteratorINS8_5tupleINS8_6detail15normal_iteratorINS8_10device_ptrItEEEESH_NS8_9null_typeESI_SI_SI_SI_SI_SI_SI_EEEENS9_21zip_adj_not_predicateI22is_equal_div_10_uniqueItEEEEEPllNS8_4plusIlEEEE10hipError_tPvRmT1_T2_T3_mT4_P12ihipStream_tbEUlT_E0_NS1_11comp_targetILNS1_3genE9ELNS1_11target_archE1100ELNS1_3gpuE3ELNS1_3repE0EEENS1_30default_config_static_selectorELNS0_4arch9wavefront6targetE1EEEvSW_.has_indirect_call, 0
	.section	.AMDGPU.csdata,"",@progbits
; Kernel info:
; codeLenInByte = 0
; TotalNumSgprs: 4
; NumVgprs: 0
; ScratchSize: 0
; MemoryBound: 0
; FloatMode: 240
; IeeeMode: 1
; LDSByteSize: 0 bytes/workgroup (compile time only)
; SGPRBlocks: 0
; VGPRBlocks: 0
; NumSGPRsForWavesPerEU: 4
; NumVGPRsForWavesPerEU: 1
; Occupancy: 10
; WaveLimiterHint : 0
; COMPUTE_PGM_RSRC2:SCRATCH_EN: 0
; COMPUTE_PGM_RSRC2:USER_SGPR: 6
; COMPUTE_PGM_RSRC2:TRAP_HANDLER: 0
; COMPUTE_PGM_RSRC2:TGID_X_EN: 1
; COMPUTE_PGM_RSRC2:TGID_Y_EN: 0
; COMPUTE_PGM_RSRC2:TGID_Z_EN: 0
; COMPUTE_PGM_RSRC2:TIDIG_COMP_CNT: 0
	.section	.text._ZN7rocprim17ROCPRIM_400000_NS6detail17trampoline_kernelINS0_14default_configENS1_22reduce_config_selectorIlEEZNS1_11reduce_implILb1ES3_N6thrust23THRUST_200600_302600_NS11hip_rocprim26transform_input_iterator_tIlNS8_12zip_iteratorINS8_5tupleINS8_6detail15normal_iteratorINS8_10device_ptrItEEEESH_NS8_9null_typeESI_SI_SI_SI_SI_SI_SI_EEEENS9_21zip_adj_not_predicateI22is_equal_div_10_uniqueItEEEEEPllNS8_4plusIlEEEE10hipError_tPvRmT1_T2_T3_mT4_P12ihipStream_tbEUlT_E0_NS1_11comp_targetILNS1_3genE8ELNS1_11target_archE1030ELNS1_3gpuE2ELNS1_3repE0EEENS1_30default_config_static_selectorELNS0_4arch9wavefront6targetE1EEEvSW_,"axG",@progbits,_ZN7rocprim17ROCPRIM_400000_NS6detail17trampoline_kernelINS0_14default_configENS1_22reduce_config_selectorIlEEZNS1_11reduce_implILb1ES3_N6thrust23THRUST_200600_302600_NS11hip_rocprim26transform_input_iterator_tIlNS8_12zip_iteratorINS8_5tupleINS8_6detail15normal_iteratorINS8_10device_ptrItEEEESH_NS8_9null_typeESI_SI_SI_SI_SI_SI_SI_EEEENS9_21zip_adj_not_predicateI22is_equal_div_10_uniqueItEEEEEPllNS8_4plusIlEEEE10hipError_tPvRmT1_T2_T3_mT4_P12ihipStream_tbEUlT_E0_NS1_11comp_targetILNS1_3genE8ELNS1_11target_archE1030ELNS1_3gpuE2ELNS1_3repE0EEENS1_30default_config_static_selectorELNS0_4arch9wavefront6targetE1EEEvSW_,comdat
	.protected	_ZN7rocprim17ROCPRIM_400000_NS6detail17trampoline_kernelINS0_14default_configENS1_22reduce_config_selectorIlEEZNS1_11reduce_implILb1ES3_N6thrust23THRUST_200600_302600_NS11hip_rocprim26transform_input_iterator_tIlNS8_12zip_iteratorINS8_5tupleINS8_6detail15normal_iteratorINS8_10device_ptrItEEEESH_NS8_9null_typeESI_SI_SI_SI_SI_SI_SI_EEEENS9_21zip_adj_not_predicateI22is_equal_div_10_uniqueItEEEEEPllNS8_4plusIlEEEE10hipError_tPvRmT1_T2_T3_mT4_P12ihipStream_tbEUlT_E0_NS1_11comp_targetILNS1_3genE8ELNS1_11target_archE1030ELNS1_3gpuE2ELNS1_3repE0EEENS1_30default_config_static_selectorELNS0_4arch9wavefront6targetE1EEEvSW_ ; -- Begin function _ZN7rocprim17ROCPRIM_400000_NS6detail17trampoline_kernelINS0_14default_configENS1_22reduce_config_selectorIlEEZNS1_11reduce_implILb1ES3_N6thrust23THRUST_200600_302600_NS11hip_rocprim26transform_input_iterator_tIlNS8_12zip_iteratorINS8_5tupleINS8_6detail15normal_iteratorINS8_10device_ptrItEEEESH_NS8_9null_typeESI_SI_SI_SI_SI_SI_SI_EEEENS9_21zip_adj_not_predicateI22is_equal_div_10_uniqueItEEEEEPllNS8_4plusIlEEEE10hipError_tPvRmT1_T2_T3_mT4_P12ihipStream_tbEUlT_E0_NS1_11comp_targetILNS1_3genE8ELNS1_11target_archE1030ELNS1_3gpuE2ELNS1_3repE0EEENS1_30default_config_static_selectorELNS0_4arch9wavefront6targetE1EEEvSW_
	.globl	_ZN7rocprim17ROCPRIM_400000_NS6detail17trampoline_kernelINS0_14default_configENS1_22reduce_config_selectorIlEEZNS1_11reduce_implILb1ES3_N6thrust23THRUST_200600_302600_NS11hip_rocprim26transform_input_iterator_tIlNS8_12zip_iteratorINS8_5tupleINS8_6detail15normal_iteratorINS8_10device_ptrItEEEESH_NS8_9null_typeESI_SI_SI_SI_SI_SI_SI_EEEENS9_21zip_adj_not_predicateI22is_equal_div_10_uniqueItEEEEEPllNS8_4plusIlEEEE10hipError_tPvRmT1_T2_T3_mT4_P12ihipStream_tbEUlT_E0_NS1_11comp_targetILNS1_3genE8ELNS1_11target_archE1030ELNS1_3gpuE2ELNS1_3repE0EEENS1_30default_config_static_selectorELNS0_4arch9wavefront6targetE1EEEvSW_
	.p2align	8
	.type	_ZN7rocprim17ROCPRIM_400000_NS6detail17trampoline_kernelINS0_14default_configENS1_22reduce_config_selectorIlEEZNS1_11reduce_implILb1ES3_N6thrust23THRUST_200600_302600_NS11hip_rocprim26transform_input_iterator_tIlNS8_12zip_iteratorINS8_5tupleINS8_6detail15normal_iteratorINS8_10device_ptrItEEEESH_NS8_9null_typeESI_SI_SI_SI_SI_SI_SI_EEEENS9_21zip_adj_not_predicateI22is_equal_div_10_uniqueItEEEEEPllNS8_4plusIlEEEE10hipError_tPvRmT1_T2_T3_mT4_P12ihipStream_tbEUlT_E0_NS1_11comp_targetILNS1_3genE8ELNS1_11target_archE1030ELNS1_3gpuE2ELNS1_3repE0EEENS1_30default_config_static_selectorELNS0_4arch9wavefront6targetE1EEEvSW_,@function
_ZN7rocprim17ROCPRIM_400000_NS6detail17trampoline_kernelINS0_14default_configENS1_22reduce_config_selectorIlEEZNS1_11reduce_implILb1ES3_N6thrust23THRUST_200600_302600_NS11hip_rocprim26transform_input_iterator_tIlNS8_12zip_iteratorINS8_5tupleINS8_6detail15normal_iteratorINS8_10device_ptrItEEEESH_NS8_9null_typeESI_SI_SI_SI_SI_SI_SI_EEEENS9_21zip_adj_not_predicateI22is_equal_div_10_uniqueItEEEEEPllNS8_4plusIlEEEE10hipError_tPvRmT1_T2_T3_mT4_P12ihipStream_tbEUlT_E0_NS1_11comp_targetILNS1_3genE8ELNS1_11target_archE1030ELNS1_3gpuE2ELNS1_3repE0EEENS1_30default_config_static_selectorELNS0_4arch9wavefront6targetE1EEEvSW_: ; @_ZN7rocprim17ROCPRIM_400000_NS6detail17trampoline_kernelINS0_14default_configENS1_22reduce_config_selectorIlEEZNS1_11reduce_implILb1ES3_N6thrust23THRUST_200600_302600_NS11hip_rocprim26transform_input_iterator_tIlNS8_12zip_iteratorINS8_5tupleINS8_6detail15normal_iteratorINS8_10device_ptrItEEEESH_NS8_9null_typeESI_SI_SI_SI_SI_SI_SI_EEEENS9_21zip_adj_not_predicateI22is_equal_div_10_uniqueItEEEEEPllNS8_4plusIlEEEE10hipError_tPvRmT1_T2_T3_mT4_P12ihipStream_tbEUlT_E0_NS1_11comp_targetILNS1_3genE8ELNS1_11target_archE1030ELNS1_3gpuE2ELNS1_3repE0EEENS1_30default_config_static_selectorELNS0_4arch9wavefront6targetE1EEEvSW_
; %bb.0:
	.section	.rodata,"a",@progbits
	.p2align	6, 0x0
	.amdhsa_kernel _ZN7rocprim17ROCPRIM_400000_NS6detail17trampoline_kernelINS0_14default_configENS1_22reduce_config_selectorIlEEZNS1_11reduce_implILb1ES3_N6thrust23THRUST_200600_302600_NS11hip_rocprim26transform_input_iterator_tIlNS8_12zip_iteratorINS8_5tupleINS8_6detail15normal_iteratorINS8_10device_ptrItEEEESH_NS8_9null_typeESI_SI_SI_SI_SI_SI_SI_EEEENS9_21zip_adj_not_predicateI22is_equal_div_10_uniqueItEEEEEPllNS8_4plusIlEEEE10hipError_tPvRmT1_T2_T3_mT4_P12ihipStream_tbEUlT_E0_NS1_11comp_targetILNS1_3genE8ELNS1_11target_archE1030ELNS1_3gpuE2ELNS1_3repE0EEENS1_30default_config_static_selectorELNS0_4arch9wavefront6targetE1EEEvSW_
		.amdhsa_group_segment_fixed_size 0
		.amdhsa_private_segment_fixed_size 0
		.amdhsa_kernarg_size 80
		.amdhsa_user_sgpr_count 6
		.amdhsa_user_sgpr_private_segment_buffer 1
		.amdhsa_user_sgpr_dispatch_ptr 0
		.amdhsa_user_sgpr_queue_ptr 0
		.amdhsa_user_sgpr_kernarg_segment_ptr 1
		.amdhsa_user_sgpr_dispatch_id 0
		.amdhsa_user_sgpr_flat_scratch_init 0
		.amdhsa_user_sgpr_private_segment_size 0
		.amdhsa_uses_dynamic_stack 0
		.amdhsa_system_sgpr_private_segment_wavefront_offset 0
		.amdhsa_system_sgpr_workgroup_id_x 1
		.amdhsa_system_sgpr_workgroup_id_y 0
		.amdhsa_system_sgpr_workgroup_id_z 0
		.amdhsa_system_sgpr_workgroup_info 0
		.amdhsa_system_vgpr_workitem_id 0
		.amdhsa_next_free_vgpr 1
		.amdhsa_next_free_sgpr 0
		.amdhsa_reserve_vcc 0
		.amdhsa_reserve_flat_scratch 0
		.amdhsa_float_round_mode_32 0
		.amdhsa_float_round_mode_16_64 0
		.amdhsa_float_denorm_mode_32 3
		.amdhsa_float_denorm_mode_16_64 3
		.amdhsa_dx10_clamp 1
		.amdhsa_ieee_mode 1
		.amdhsa_fp16_overflow 0
		.amdhsa_exception_fp_ieee_invalid_op 0
		.amdhsa_exception_fp_denorm_src 0
		.amdhsa_exception_fp_ieee_div_zero 0
		.amdhsa_exception_fp_ieee_overflow 0
		.amdhsa_exception_fp_ieee_underflow 0
		.amdhsa_exception_fp_ieee_inexact 0
		.amdhsa_exception_int_div_zero 0
	.end_amdhsa_kernel
	.section	.text._ZN7rocprim17ROCPRIM_400000_NS6detail17trampoline_kernelINS0_14default_configENS1_22reduce_config_selectorIlEEZNS1_11reduce_implILb1ES3_N6thrust23THRUST_200600_302600_NS11hip_rocprim26transform_input_iterator_tIlNS8_12zip_iteratorINS8_5tupleINS8_6detail15normal_iteratorINS8_10device_ptrItEEEESH_NS8_9null_typeESI_SI_SI_SI_SI_SI_SI_EEEENS9_21zip_adj_not_predicateI22is_equal_div_10_uniqueItEEEEEPllNS8_4plusIlEEEE10hipError_tPvRmT1_T2_T3_mT4_P12ihipStream_tbEUlT_E0_NS1_11comp_targetILNS1_3genE8ELNS1_11target_archE1030ELNS1_3gpuE2ELNS1_3repE0EEENS1_30default_config_static_selectorELNS0_4arch9wavefront6targetE1EEEvSW_,"axG",@progbits,_ZN7rocprim17ROCPRIM_400000_NS6detail17trampoline_kernelINS0_14default_configENS1_22reduce_config_selectorIlEEZNS1_11reduce_implILb1ES3_N6thrust23THRUST_200600_302600_NS11hip_rocprim26transform_input_iterator_tIlNS8_12zip_iteratorINS8_5tupleINS8_6detail15normal_iteratorINS8_10device_ptrItEEEESH_NS8_9null_typeESI_SI_SI_SI_SI_SI_SI_EEEENS9_21zip_adj_not_predicateI22is_equal_div_10_uniqueItEEEEEPllNS8_4plusIlEEEE10hipError_tPvRmT1_T2_T3_mT4_P12ihipStream_tbEUlT_E0_NS1_11comp_targetILNS1_3genE8ELNS1_11target_archE1030ELNS1_3gpuE2ELNS1_3repE0EEENS1_30default_config_static_selectorELNS0_4arch9wavefront6targetE1EEEvSW_,comdat
.Lfunc_end913:
	.size	_ZN7rocprim17ROCPRIM_400000_NS6detail17trampoline_kernelINS0_14default_configENS1_22reduce_config_selectorIlEEZNS1_11reduce_implILb1ES3_N6thrust23THRUST_200600_302600_NS11hip_rocprim26transform_input_iterator_tIlNS8_12zip_iteratorINS8_5tupleINS8_6detail15normal_iteratorINS8_10device_ptrItEEEESH_NS8_9null_typeESI_SI_SI_SI_SI_SI_SI_EEEENS9_21zip_adj_not_predicateI22is_equal_div_10_uniqueItEEEEEPllNS8_4plusIlEEEE10hipError_tPvRmT1_T2_T3_mT4_P12ihipStream_tbEUlT_E0_NS1_11comp_targetILNS1_3genE8ELNS1_11target_archE1030ELNS1_3gpuE2ELNS1_3repE0EEENS1_30default_config_static_selectorELNS0_4arch9wavefront6targetE1EEEvSW_, .Lfunc_end913-_ZN7rocprim17ROCPRIM_400000_NS6detail17trampoline_kernelINS0_14default_configENS1_22reduce_config_selectorIlEEZNS1_11reduce_implILb1ES3_N6thrust23THRUST_200600_302600_NS11hip_rocprim26transform_input_iterator_tIlNS8_12zip_iteratorINS8_5tupleINS8_6detail15normal_iteratorINS8_10device_ptrItEEEESH_NS8_9null_typeESI_SI_SI_SI_SI_SI_SI_EEEENS9_21zip_adj_not_predicateI22is_equal_div_10_uniqueItEEEEEPllNS8_4plusIlEEEE10hipError_tPvRmT1_T2_T3_mT4_P12ihipStream_tbEUlT_E0_NS1_11comp_targetILNS1_3genE8ELNS1_11target_archE1030ELNS1_3gpuE2ELNS1_3repE0EEENS1_30default_config_static_selectorELNS0_4arch9wavefront6targetE1EEEvSW_
                                        ; -- End function
	.set _ZN7rocprim17ROCPRIM_400000_NS6detail17trampoline_kernelINS0_14default_configENS1_22reduce_config_selectorIlEEZNS1_11reduce_implILb1ES3_N6thrust23THRUST_200600_302600_NS11hip_rocprim26transform_input_iterator_tIlNS8_12zip_iteratorINS8_5tupleINS8_6detail15normal_iteratorINS8_10device_ptrItEEEESH_NS8_9null_typeESI_SI_SI_SI_SI_SI_SI_EEEENS9_21zip_adj_not_predicateI22is_equal_div_10_uniqueItEEEEEPllNS8_4plusIlEEEE10hipError_tPvRmT1_T2_T3_mT4_P12ihipStream_tbEUlT_E0_NS1_11comp_targetILNS1_3genE8ELNS1_11target_archE1030ELNS1_3gpuE2ELNS1_3repE0EEENS1_30default_config_static_selectorELNS0_4arch9wavefront6targetE1EEEvSW_.num_vgpr, 0
	.set _ZN7rocprim17ROCPRIM_400000_NS6detail17trampoline_kernelINS0_14default_configENS1_22reduce_config_selectorIlEEZNS1_11reduce_implILb1ES3_N6thrust23THRUST_200600_302600_NS11hip_rocprim26transform_input_iterator_tIlNS8_12zip_iteratorINS8_5tupleINS8_6detail15normal_iteratorINS8_10device_ptrItEEEESH_NS8_9null_typeESI_SI_SI_SI_SI_SI_SI_EEEENS9_21zip_adj_not_predicateI22is_equal_div_10_uniqueItEEEEEPllNS8_4plusIlEEEE10hipError_tPvRmT1_T2_T3_mT4_P12ihipStream_tbEUlT_E0_NS1_11comp_targetILNS1_3genE8ELNS1_11target_archE1030ELNS1_3gpuE2ELNS1_3repE0EEENS1_30default_config_static_selectorELNS0_4arch9wavefront6targetE1EEEvSW_.num_agpr, 0
	.set _ZN7rocprim17ROCPRIM_400000_NS6detail17trampoline_kernelINS0_14default_configENS1_22reduce_config_selectorIlEEZNS1_11reduce_implILb1ES3_N6thrust23THRUST_200600_302600_NS11hip_rocprim26transform_input_iterator_tIlNS8_12zip_iteratorINS8_5tupleINS8_6detail15normal_iteratorINS8_10device_ptrItEEEESH_NS8_9null_typeESI_SI_SI_SI_SI_SI_SI_EEEENS9_21zip_adj_not_predicateI22is_equal_div_10_uniqueItEEEEEPllNS8_4plusIlEEEE10hipError_tPvRmT1_T2_T3_mT4_P12ihipStream_tbEUlT_E0_NS1_11comp_targetILNS1_3genE8ELNS1_11target_archE1030ELNS1_3gpuE2ELNS1_3repE0EEENS1_30default_config_static_selectorELNS0_4arch9wavefront6targetE1EEEvSW_.numbered_sgpr, 0
	.set _ZN7rocprim17ROCPRIM_400000_NS6detail17trampoline_kernelINS0_14default_configENS1_22reduce_config_selectorIlEEZNS1_11reduce_implILb1ES3_N6thrust23THRUST_200600_302600_NS11hip_rocprim26transform_input_iterator_tIlNS8_12zip_iteratorINS8_5tupleINS8_6detail15normal_iteratorINS8_10device_ptrItEEEESH_NS8_9null_typeESI_SI_SI_SI_SI_SI_SI_EEEENS9_21zip_adj_not_predicateI22is_equal_div_10_uniqueItEEEEEPllNS8_4plusIlEEEE10hipError_tPvRmT1_T2_T3_mT4_P12ihipStream_tbEUlT_E0_NS1_11comp_targetILNS1_3genE8ELNS1_11target_archE1030ELNS1_3gpuE2ELNS1_3repE0EEENS1_30default_config_static_selectorELNS0_4arch9wavefront6targetE1EEEvSW_.num_named_barrier, 0
	.set _ZN7rocprim17ROCPRIM_400000_NS6detail17trampoline_kernelINS0_14default_configENS1_22reduce_config_selectorIlEEZNS1_11reduce_implILb1ES3_N6thrust23THRUST_200600_302600_NS11hip_rocprim26transform_input_iterator_tIlNS8_12zip_iteratorINS8_5tupleINS8_6detail15normal_iteratorINS8_10device_ptrItEEEESH_NS8_9null_typeESI_SI_SI_SI_SI_SI_SI_EEEENS9_21zip_adj_not_predicateI22is_equal_div_10_uniqueItEEEEEPllNS8_4plusIlEEEE10hipError_tPvRmT1_T2_T3_mT4_P12ihipStream_tbEUlT_E0_NS1_11comp_targetILNS1_3genE8ELNS1_11target_archE1030ELNS1_3gpuE2ELNS1_3repE0EEENS1_30default_config_static_selectorELNS0_4arch9wavefront6targetE1EEEvSW_.private_seg_size, 0
	.set _ZN7rocprim17ROCPRIM_400000_NS6detail17trampoline_kernelINS0_14default_configENS1_22reduce_config_selectorIlEEZNS1_11reduce_implILb1ES3_N6thrust23THRUST_200600_302600_NS11hip_rocprim26transform_input_iterator_tIlNS8_12zip_iteratorINS8_5tupleINS8_6detail15normal_iteratorINS8_10device_ptrItEEEESH_NS8_9null_typeESI_SI_SI_SI_SI_SI_SI_EEEENS9_21zip_adj_not_predicateI22is_equal_div_10_uniqueItEEEEEPllNS8_4plusIlEEEE10hipError_tPvRmT1_T2_T3_mT4_P12ihipStream_tbEUlT_E0_NS1_11comp_targetILNS1_3genE8ELNS1_11target_archE1030ELNS1_3gpuE2ELNS1_3repE0EEENS1_30default_config_static_selectorELNS0_4arch9wavefront6targetE1EEEvSW_.uses_vcc, 0
	.set _ZN7rocprim17ROCPRIM_400000_NS6detail17trampoline_kernelINS0_14default_configENS1_22reduce_config_selectorIlEEZNS1_11reduce_implILb1ES3_N6thrust23THRUST_200600_302600_NS11hip_rocprim26transform_input_iterator_tIlNS8_12zip_iteratorINS8_5tupleINS8_6detail15normal_iteratorINS8_10device_ptrItEEEESH_NS8_9null_typeESI_SI_SI_SI_SI_SI_SI_EEEENS9_21zip_adj_not_predicateI22is_equal_div_10_uniqueItEEEEEPllNS8_4plusIlEEEE10hipError_tPvRmT1_T2_T3_mT4_P12ihipStream_tbEUlT_E0_NS1_11comp_targetILNS1_3genE8ELNS1_11target_archE1030ELNS1_3gpuE2ELNS1_3repE0EEENS1_30default_config_static_selectorELNS0_4arch9wavefront6targetE1EEEvSW_.uses_flat_scratch, 0
	.set _ZN7rocprim17ROCPRIM_400000_NS6detail17trampoline_kernelINS0_14default_configENS1_22reduce_config_selectorIlEEZNS1_11reduce_implILb1ES3_N6thrust23THRUST_200600_302600_NS11hip_rocprim26transform_input_iterator_tIlNS8_12zip_iteratorINS8_5tupleINS8_6detail15normal_iteratorINS8_10device_ptrItEEEESH_NS8_9null_typeESI_SI_SI_SI_SI_SI_SI_EEEENS9_21zip_adj_not_predicateI22is_equal_div_10_uniqueItEEEEEPllNS8_4plusIlEEEE10hipError_tPvRmT1_T2_T3_mT4_P12ihipStream_tbEUlT_E0_NS1_11comp_targetILNS1_3genE8ELNS1_11target_archE1030ELNS1_3gpuE2ELNS1_3repE0EEENS1_30default_config_static_selectorELNS0_4arch9wavefront6targetE1EEEvSW_.has_dyn_sized_stack, 0
	.set _ZN7rocprim17ROCPRIM_400000_NS6detail17trampoline_kernelINS0_14default_configENS1_22reduce_config_selectorIlEEZNS1_11reduce_implILb1ES3_N6thrust23THRUST_200600_302600_NS11hip_rocprim26transform_input_iterator_tIlNS8_12zip_iteratorINS8_5tupleINS8_6detail15normal_iteratorINS8_10device_ptrItEEEESH_NS8_9null_typeESI_SI_SI_SI_SI_SI_SI_EEEENS9_21zip_adj_not_predicateI22is_equal_div_10_uniqueItEEEEEPllNS8_4plusIlEEEE10hipError_tPvRmT1_T2_T3_mT4_P12ihipStream_tbEUlT_E0_NS1_11comp_targetILNS1_3genE8ELNS1_11target_archE1030ELNS1_3gpuE2ELNS1_3repE0EEENS1_30default_config_static_selectorELNS0_4arch9wavefront6targetE1EEEvSW_.has_recursion, 0
	.set _ZN7rocprim17ROCPRIM_400000_NS6detail17trampoline_kernelINS0_14default_configENS1_22reduce_config_selectorIlEEZNS1_11reduce_implILb1ES3_N6thrust23THRUST_200600_302600_NS11hip_rocprim26transform_input_iterator_tIlNS8_12zip_iteratorINS8_5tupleINS8_6detail15normal_iteratorINS8_10device_ptrItEEEESH_NS8_9null_typeESI_SI_SI_SI_SI_SI_SI_EEEENS9_21zip_adj_not_predicateI22is_equal_div_10_uniqueItEEEEEPllNS8_4plusIlEEEE10hipError_tPvRmT1_T2_T3_mT4_P12ihipStream_tbEUlT_E0_NS1_11comp_targetILNS1_3genE8ELNS1_11target_archE1030ELNS1_3gpuE2ELNS1_3repE0EEENS1_30default_config_static_selectorELNS0_4arch9wavefront6targetE1EEEvSW_.has_indirect_call, 0
	.section	.AMDGPU.csdata,"",@progbits
; Kernel info:
; codeLenInByte = 0
; TotalNumSgprs: 4
; NumVgprs: 0
; ScratchSize: 0
; MemoryBound: 0
; FloatMode: 240
; IeeeMode: 1
; LDSByteSize: 0 bytes/workgroup (compile time only)
; SGPRBlocks: 0
; VGPRBlocks: 0
; NumSGPRsForWavesPerEU: 4
; NumVGPRsForWavesPerEU: 1
; Occupancy: 10
; WaveLimiterHint : 0
; COMPUTE_PGM_RSRC2:SCRATCH_EN: 0
; COMPUTE_PGM_RSRC2:USER_SGPR: 6
; COMPUTE_PGM_RSRC2:TRAP_HANDLER: 0
; COMPUTE_PGM_RSRC2:TGID_X_EN: 1
; COMPUTE_PGM_RSRC2:TGID_Y_EN: 0
; COMPUTE_PGM_RSRC2:TGID_Z_EN: 0
; COMPUTE_PGM_RSRC2:TIDIG_COMP_CNT: 0
	.section	.text._ZN7rocprim17ROCPRIM_400000_NS6detail17trampoline_kernelINS0_14default_configENS1_22reduce_config_selectorIlEEZNS1_11reduce_implILb1ES3_N6thrust23THRUST_200600_302600_NS11hip_rocprim26transform_input_iterator_tIlNS8_12zip_iteratorINS8_5tupleINS8_6detail15normal_iteratorINS8_10device_ptrItEEEESH_NS8_9null_typeESI_SI_SI_SI_SI_SI_SI_EEEENS9_21zip_adj_not_predicateI22is_equal_div_10_uniqueItEEEEEPllNS8_4plusIlEEEE10hipError_tPvRmT1_T2_T3_mT4_P12ihipStream_tbEUlT_E1_NS1_11comp_targetILNS1_3genE0ELNS1_11target_archE4294967295ELNS1_3gpuE0ELNS1_3repE0EEENS1_30default_config_static_selectorELNS0_4arch9wavefront6targetE1EEEvSW_,"axG",@progbits,_ZN7rocprim17ROCPRIM_400000_NS6detail17trampoline_kernelINS0_14default_configENS1_22reduce_config_selectorIlEEZNS1_11reduce_implILb1ES3_N6thrust23THRUST_200600_302600_NS11hip_rocprim26transform_input_iterator_tIlNS8_12zip_iteratorINS8_5tupleINS8_6detail15normal_iteratorINS8_10device_ptrItEEEESH_NS8_9null_typeESI_SI_SI_SI_SI_SI_SI_EEEENS9_21zip_adj_not_predicateI22is_equal_div_10_uniqueItEEEEEPllNS8_4plusIlEEEE10hipError_tPvRmT1_T2_T3_mT4_P12ihipStream_tbEUlT_E1_NS1_11comp_targetILNS1_3genE0ELNS1_11target_archE4294967295ELNS1_3gpuE0ELNS1_3repE0EEENS1_30default_config_static_selectorELNS0_4arch9wavefront6targetE1EEEvSW_,comdat
	.protected	_ZN7rocprim17ROCPRIM_400000_NS6detail17trampoline_kernelINS0_14default_configENS1_22reduce_config_selectorIlEEZNS1_11reduce_implILb1ES3_N6thrust23THRUST_200600_302600_NS11hip_rocprim26transform_input_iterator_tIlNS8_12zip_iteratorINS8_5tupleINS8_6detail15normal_iteratorINS8_10device_ptrItEEEESH_NS8_9null_typeESI_SI_SI_SI_SI_SI_SI_EEEENS9_21zip_adj_not_predicateI22is_equal_div_10_uniqueItEEEEEPllNS8_4plusIlEEEE10hipError_tPvRmT1_T2_T3_mT4_P12ihipStream_tbEUlT_E1_NS1_11comp_targetILNS1_3genE0ELNS1_11target_archE4294967295ELNS1_3gpuE0ELNS1_3repE0EEENS1_30default_config_static_selectorELNS0_4arch9wavefront6targetE1EEEvSW_ ; -- Begin function _ZN7rocprim17ROCPRIM_400000_NS6detail17trampoline_kernelINS0_14default_configENS1_22reduce_config_selectorIlEEZNS1_11reduce_implILb1ES3_N6thrust23THRUST_200600_302600_NS11hip_rocprim26transform_input_iterator_tIlNS8_12zip_iteratorINS8_5tupleINS8_6detail15normal_iteratorINS8_10device_ptrItEEEESH_NS8_9null_typeESI_SI_SI_SI_SI_SI_SI_EEEENS9_21zip_adj_not_predicateI22is_equal_div_10_uniqueItEEEEEPllNS8_4plusIlEEEE10hipError_tPvRmT1_T2_T3_mT4_P12ihipStream_tbEUlT_E1_NS1_11comp_targetILNS1_3genE0ELNS1_11target_archE4294967295ELNS1_3gpuE0ELNS1_3repE0EEENS1_30default_config_static_selectorELNS0_4arch9wavefront6targetE1EEEvSW_
	.globl	_ZN7rocprim17ROCPRIM_400000_NS6detail17trampoline_kernelINS0_14default_configENS1_22reduce_config_selectorIlEEZNS1_11reduce_implILb1ES3_N6thrust23THRUST_200600_302600_NS11hip_rocprim26transform_input_iterator_tIlNS8_12zip_iteratorINS8_5tupleINS8_6detail15normal_iteratorINS8_10device_ptrItEEEESH_NS8_9null_typeESI_SI_SI_SI_SI_SI_SI_EEEENS9_21zip_adj_not_predicateI22is_equal_div_10_uniqueItEEEEEPllNS8_4plusIlEEEE10hipError_tPvRmT1_T2_T3_mT4_P12ihipStream_tbEUlT_E1_NS1_11comp_targetILNS1_3genE0ELNS1_11target_archE4294967295ELNS1_3gpuE0ELNS1_3repE0EEENS1_30default_config_static_selectorELNS0_4arch9wavefront6targetE1EEEvSW_
	.p2align	8
	.type	_ZN7rocprim17ROCPRIM_400000_NS6detail17trampoline_kernelINS0_14default_configENS1_22reduce_config_selectorIlEEZNS1_11reduce_implILb1ES3_N6thrust23THRUST_200600_302600_NS11hip_rocprim26transform_input_iterator_tIlNS8_12zip_iteratorINS8_5tupleINS8_6detail15normal_iteratorINS8_10device_ptrItEEEESH_NS8_9null_typeESI_SI_SI_SI_SI_SI_SI_EEEENS9_21zip_adj_not_predicateI22is_equal_div_10_uniqueItEEEEEPllNS8_4plusIlEEEE10hipError_tPvRmT1_T2_T3_mT4_P12ihipStream_tbEUlT_E1_NS1_11comp_targetILNS1_3genE0ELNS1_11target_archE4294967295ELNS1_3gpuE0ELNS1_3repE0EEENS1_30default_config_static_selectorELNS0_4arch9wavefront6targetE1EEEvSW_,@function
_ZN7rocprim17ROCPRIM_400000_NS6detail17trampoline_kernelINS0_14default_configENS1_22reduce_config_selectorIlEEZNS1_11reduce_implILb1ES3_N6thrust23THRUST_200600_302600_NS11hip_rocprim26transform_input_iterator_tIlNS8_12zip_iteratorINS8_5tupleINS8_6detail15normal_iteratorINS8_10device_ptrItEEEESH_NS8_9null_typeESI_SI_SI_SI_SI_SI_SI_EEEENS9_21zip_adj_not_predicateI22is_equal_div_10_uniqueItEEEEEPllNS8_4plusIlEEEE10hipError_tPvRmT1_T2_T3_mT4_P12ihipStream_tbEUlT_E1_NS1_11comp_targetILNS1_3genE0ELNS1_11target_archE4294967295ELNS1_3gpuE0ELNS1_3repE0EEENS1_30default_config_static_selectorELNS0_4arch9wavefront6targetE1EEEvSW_: ; @_ZN7rocprim17ROCPRIM_400000_NS6detail17trampoline_kernelINS0_14default_configENS1_22reduce_config_selectorIlEEZNS1_11reduce_implILb1ES3_N6thrust23THRUST_200600_302600_NS11hip_rocprim26transform_input_iterator_tIlNS8_12zip_iteratorINS8_5tupleINS8_6detail15normal_iteratorINS8_10device_ptrItEEEESH_NS8_9null_typeESI_SI_SI_SI_SI_SI_SI_EEEENS9_21zip_adj_not_predicateI22is_equal_div_10_uniqueItEEEEEPllNS8_4plusIlEEEE10hipError_tPvRmT1_T2_T3_mT4_P12ihipStream_tbEUlT_E1_NS1_11comp_targetILNS1_3genE0ELNS1_11target_archE4294967295ELNS1_3gpuE0ELNS1_3repE0EEENS1_30default_config_static_selectorELNS0_4arch9wavefront6targetE1EEEvSW_
; %bb.0:
	.section	.rodata,"a",@progbits
	.p2align	6, 0x0
	.amdhsa_kernel _ZN7rocprim17ROCPRIM_400000_NS6detail17trampoline_kernelINS0_14default_configENS1_22reduce_config_selectorIlEEZNS1_11reduce_implILb1ES3_N6thrust23THRUST_200600_302600_NS11hip_rocprim26transform_input_iterator_tIlNS8_12zip_iteratorINS8_5tupleINS8_6detail15normal_iteratorINS8_10device_ptrItEEEESH_NS8_9null_typeESI_SI_SI_SI_SI_SI_SI_EEEENS9_21zip_adj_not_predicateI22is_equal_div_10_uniqueItEEEEEPllNS8_4plusIlEEEE10hipError_tPvRmT1_T2_T3_mT4_P12ihipStream_tbEUlT_E1_NS1_11comp_targetILNS1_3genE0ELNS1_11target_archE4294967295ELNS1_3gpuE0ELNS1_3repE0EEENS1_30default_config_static_selectorELNS0_4arch9wavefront6targetE1EEEvSW_
		.amdhsa_group_segment_fixed_size 0
		.amdhsa_private_segment_fixed_size 0
		.amdhsa_kernarg_size 64
		.amdhsa_user_sgpr_count 6
		.amdhsa_user_sgpr_private_segment_buffer 1
		.amdhsa_user_sgpr_dispatch_ptr 0
		.amdhsa_user_sgpr_queue_ptr 0
		.amdhsa_user_sgpr_kernarg_segment_ptr 1
		.amdhsa_user_sgpr_dispatch_id 0
		.amdhsa_user_sgpr_flat_scratch_init 0
		.amdhsa_user_sgpr_private_segment_size 0
		.amdhsa_uses_dynamic_stack 0
		.amdhsa_system_sgpr_private_segment_wavefront_offset 0
		.amdhsa_system_sgpr_workgroup_id_x 1
		.amdhsa_system_sgpr_workgroup_id_y 0
		.amdhsa_system_sgpr_workgroup_id_z 0
		.amdhsa_system_sgpr_workgroup_info 0
		.amdhsa_system_vgpr_workitem_id 0
		.amdhsa_next_free_vgpr 1
		.amdhsa_next_free_sgpr 0
		.amdhsa_reserve_vcc 0
		.amdhsa_reserve_flat_scratch 0
		.amdhsa_float_round_mode_32 0
		.amdhsa_float_round_mode_16_64 0
		.amdhsa_float_denorm_mode_32 3
		.amdhsa_float_denorm_mode_16_64 3
		.amdhsa_dx10_clamp 1
		.amdhsa_ieee_mode 1
		.amdhsa_fp16_overflow 0
		.amdhsa_exception_fp_ieee_invalid_op 0
		.amdhsa_exception_fp_denorm_src 0
		.amdhsa_exception_fp_ieee_div_zero 0
		.amdhsa_exception_fp_ieee_overflow 0
		.amdhsa_exception_fp_ieee_underflow 0
		.amdhsa_exception_fp_ieee_inexact 0
		.amdhsa_exception_int_div_zero 0
	.end_amdhsa_kernel
	.section	.text._ZN7rocprim17ROCPRIM_400000_NS6detail17trampoline_kernelINS0_14default_configENS1_22reduce_config_selectorIlEEZNS1_11reduce_implILb1ES3_N6thrust23THRUST_200600_302600_NS11hip_rocprim26transform_input_iterator_tIlNS8_12zip_iteratorINS8_5tupleINS8_6detail15normal_iteratorINS8_10device_ptrItEEEESH_NS8_9null_typeESI_SI_SI_SI_SI_SI_SI_EEEENS9_21zip_adj_not_predicateI22is_equal_div_10_uniqueItEEEEEPllNS8_4plusIlEEEE10hipError_tPvRmT1_T2_T3_mT4_P12ihipStream_tbEUlT_E1_NS1_11comp_targetILNS1_3genE0ELNS1_11target_archE4294967295ELNS1_3gpuE0ELNS1_3repE0EEENS1_30default_config_static_selectorELNS0_4arch9wavefront6targetE1EEEvSW_,"axG",@progbits,_ZN7rocprim17ROCPRIM_400000_NS6detail17trampoline_kernelINS0_14default_configENS1_22reduce_config_selectorIlEEZNS1_11reduce_implILb1ES3_N6thrust23THRUST_200600_302600_NS11hip_rocprim26transform_input_iterator_tIlNS8_12zip_iteratorINS8_5tupleINS8_6detail15normal_iteratorINS8_10device_ptrItEEEESH_NS8_9null_typeESI_SI_SI_SI_SI_SI_SI_EEEENS9_21zip_adj_not_predicateI22is_equal_div_10_uniqueItEEEEEPllNS8_4plusIlEEEE10hipError_tPvRmT1_T2_T3_mT4_P12ihipStream_tbEUlT_E1_NS1_11comp_targetILNS1_3genE0ELNS1_11target_archE4294967295ELNS1_3gpuE0ELNS1_3repE0EEENS1_30default_config_static_selectorELNS0_4arch9wavefront6targetE1EEEvSW_,comdat
.Lfunc_end914:
	.size	_ZN7rocprim17ROCPRIM_400000_NS6detail17trampoline_kernelINS0_14default_configENS1_22reduce_config_selectorIlEEZNS1_11reduce_implILb1ES3_N6thrust23THRUST_200600_302600_NS11hip_rocprim26transform_input_iterator_tIlNS8_12zip_iteratorINS8_5tupleINS8_6detail15normal_iteratorINS8_10device_ptrItEEEESH_NS8_9null_typeESI_SI_SI_SI_SI_SI_SI_EEEENS9_21zip_adj_not_predicateI22is_equal_div_10_uniqueItEEEEEPllNS8_4plusIlEEEE10hipError_tPvRmT1_T2_T3_mT4_P12ihipStream_tbEUlT_E1_NS1_11comp_targetILNS1_3genE0ELNS1_11target_archE4294967295ELNS1_3gpuE0ELNS1_3repE0EEENS1_30default_config_static_selectorELNS0_4arch9wavefront6targetE1EEEvSW_, .Lfunc_end914-_ZN7rocprim17ROCPRIM_400000_NS6detail17trampoline_kernelINS0_14default_configENS1_22reduce_config_selectorIlEEZNS1_11reduce_implILb1ES3_N6thrust23THRUST_200600_302600_NS11hip_rocprim26transform_input_iterator_tIlNS8_12zip_iteratorINS8_5tupleINS8_6detail15normal_iteratorINS8_10device_ptrItEEEESH_NS8_9null_typeESI_SI_SI_SI_SI_SI_SI_EEEENS9_21zip_adj_not_predicateI22is_equal_div_10_uniqueItEEEEEPllNS8_4plusIlEEEE10hipError_tPvRmT1_T2_T3_mT4_P12ihipStream_tbEUlT_E1_NS1_11comp_targetILNS1_3genE0ELNS1_11target_archE4294967295ELNS1_3gpuE0ELNS1_3repE0EEENS1_30default_config_static_selectorELNS0_4arch9wavefront6targetE1EEEvSW_
                                        ; -- End function
	.set _ZN7rocprim17ROCPRIM_400000_NS6detail17trampoline_kernelINS0_14default_configENS1_22reduce_config_selectorIlEEZNS1_11reduce_implILb1ES3_N6thrust23THRUST_200600_302600_NS11hip_rocprim26transform_input_iterator_tIlNS8_12zip_iteratorINS8_5tupleINS8_6detail15normal_iteratorINS8_10device_ptrItEEEESH_NS8_9null_typeESI_SI_SI_SI_SI_SI_SI_EEEENS9_21zip_adj_not_predicateI22is_equal_div_10_uniqueItEEEEEPllNS8_4plusIlEEEE10hipError_tPvRmT1_T2_T3_mT4_P12ihipStream_tbEUlT_E1_NS1_11comp_targetILNS1_3genE0ELNS1_11target_archE4294967295ELNS1_3gpuE0ELNS1_3repE0EEENS1_30default_config_static_selectorELNS0_4arch9wavefront6targetE1EEEvSW_.num_vgpr, 0
	.set _ZN7rocprim17ROCPRIM_400000_NS6detail17trampoline_kernelINS0_14default_configENS1_22reduce_config_selectorIlEEZNS1_11reduce_implILb1ES3_N6thrust23THRUST_200600_302600_NS11hip_rocprim26transform_input_iterator_tIlNS8_12zip_iteratorINS8_5tupleINS8_6detail15normal_iteratorINS8_10device_ptrItEEEESH_NS8_9null_typeESI_SI_SI_SI_SI_SI_SI_EEEENS9_21zip_adj_not_predicateI22is_equal_div_10_uniqueItEEEEEPllNS8_4plusIlEEEE10hipError_tPvRmT1_T2_T3_mT4_P12ihipStream_tbEUlT_E1_NS1_11comp_targetILNS1_3genE0ELNS1_11target_archE4294967295ELNS1_3gpuE0ELNS1_3repE0EEENS1_30default_config_static_selectorELNS0_4arch9wavefront6targetE1EEEvSW_.num_agpr, 0
	.set _ZN7rocprim17ROCPRIM_400000_NS6detail17trampoline_kernelINS0_14default_configENS1_22reduce_config_selectorIlEEZNS1_11reduce_implILb1ES3_N6thrust23THRUST_200600_302600_NS11hip_rocprim26transform_input_iterator_tIlNS8_12zip_iteratorINS8_5tupleINS8_6detail15normal_iteratorINS8_10device_ptrItEEEESH_NS8_9null_typeESI_SI_SI_SI_SI_SI_SI_EEEENS9_21zip_adj_not_predicateI22is_equal_div_10_uniqueItEEEEEPllNS8_4plusIlEEEE10hipError_tPvRmT1_T2_T3_mT4_P12ihipStream_tbEUlT_E1_NS1_11comp_targetILNS1_3genE0ELNS1_11target_archE4294967295ELNS1_3gpuE0ELNS1_3repE0EEENS1_30default_config_static_selectorELNS0_4arch9wavefront6targetE1EEEvSW_.numbered_sgpr, 0
	.set _ZN7rocprim17ROCPRIM_400000_NS6detail17trampoline_kernelINS0_14default_configENS1_22reduce_config_selectorIlEEZNS1_11reduce_implILb1ES3_N6thrust23THRUST_200600_302600_NS11hip_rocprim26transform_input_iterator_tIlNS8_12zip_iteratorINS8_5tupleINS8_6detail15normal_iteratorINS8_10device_ptrItEEEESH_NS8_9null_typeESI_SI_SI_SI_SI_SI_SI_EEEENS9_21zip_adj_not_predicateI22is_equal_div_10_uniqueItEEEEEPllNS8_4plusIlEEEE10hipError_tPvRmT1_T2_T3_mT4_P12ihipStream_tbEUlT_E1_NS1_11comp_targetILNS1_3genE0ELNS1_11target_archE4294967295ELNS1_3gpuE0ELNS1_3repE0EEENS1_30default_config_static_selectorELNS0_4arch9wavefront6targetE1EEEvSW_.num_named_barrier, 0
	.set _ZN7rocprim17ROCPRIM_400000_NS6detail17trampoline_kernelINS0_14default_configENS1_22reduce_config_selectorIlEEZNS1_11reduce_implILb1ES3_N6thrust23THRUST_200600_302600_NS11hip_rocprim26transform_input_iterator_tIlNS8_12zip_iteratorINS8_5tupleINS8_6detail15normal_iteratorINS8_10device_ptrItEEEESH_NS8_9null_typeESI_SI_SI_SI_SI_SI_SI_EEEENS9_21zip_adj_not_predicateI22is_equal_div_10_uniqueItEEEEEPllNS8_4plusIlEEEE10hipError_tPvRmT1_T2_T3_mT4_P12ihipStream_tbEUlT_E1_NS1_11comp_targetILNS1_3genE0ELNS1_11target_archE4294967295ELNS1_3gpuE0ELNS1_3repE0EEENS1_30default_config_static_selectorELNS0_4arch9wavefront6targetE1EEEvSW_.private_seg_size, 0
	.set _ZN7rocprim17ROCPRIM_400000_NS6detail17trampoline_kernelINS0_14default_configENS1_22reduce_config_selectorIlEEZNS1_11reduce_implILb1ES3_N6thrust23THRUST_200600_302600_NS11hip_rocprim26transform_input_iterator_tIlNS8_12zip_iteratorINS8_5tupleINS8_6detail15normal_iteratorINS8_10device_ptrItEEEESH_NS8_9null_typeESI_SI_SI_SI_SI_SI_SI_EEEENS9_21zip_adj_not_predicateI22is_equal_div_10_uniqueItEEEEEPllNS8_4plusIlEEEE10hipError_tPvRmT1_T2_T3_mT4_P12ihipStream_tbEUlT_E1_NS1_11comp_targetILNS1_3genE0ELNS1_11target_archE4294967295ELNS1_3gpuE0ELNS1_3repE0EEENS1_30default_config_static_selectorELNS0_4arch9wavefront6targetE1EEEvSW_.uses_vcc, 0
	.set _ZN7rocprim17ROCPRIM_400000_NS6detail17trampoline_kernelINS0_14default_configENS1_22reduce_config_selectorIlEEZNS1_11reduce_implILb1ES3_N6thrust23THRUST_200600_302600_NS11hip_rocprim26transform_input_iterator_tIlNS8_12zip_iteratorINS8_5tupleINS8_6detail15normal_iteratorINS8_10device_ptrItEEEESH_NS8_9null_typeESI_SI_SI_SI_SI_SI_SI_EEEENS9_21zip_adj_not_predicateI22is_equal_div_10_uniqueItEEEEEPllNS8_4plusIlEEEE10hipError_tPvRmT1_T2_T3_mT4_P12ihipStream_tbEUlT_E1_NS1_11comp_targetILNS1_3genE0ELNS1_11target_archE4294967295ELNS1_3gpuE0ELNS1_3repE0EEENS1_30default_config_static_selectorELNS0_4arch9wavefront6targetE1EEEvSW_.uses_flat_scratch, 0
	.set _ZN7rocprim17ROCPRIM_400000_NS6detail17trampoline_kernelINS0_14default_configENS1_22reduce_config_selectorIlEEZNS1_11reduce_implILb1ES3_N6thrust23THRUST_200600_302600_NS11hip_rocprim26transform_input_iterator_tIlNS8_12zip_iteratorINS8_5tupleINS8_6detail15normal_iteratorINS8_10device_ptrItEEEESH_NS8_9null_typeESI_SI_SI_SI_SI_SI_SI_EEEENS9_21zip_adj_not_predicateI22is_equal_div_10_uniqueItEEEEEPllNS8_4plusIlEEEE10hipError_tPvRmT1_T2_T3_mT4_P12ihipStream_tbEUlT_E1_NS1_11comp_targetILNS1_3genE0ELNS1_11target_archE4294967295ELNS1_3gpuE0ELNS1_3repE0EEENS1_30default_config_static_selectorELNS0_4arch9wavefront6targetE1EEEvSW_.has_dyn_sized_stack, 0
	.set _ZN7rocprim17ROCPRIM_400000_NS6detail17trampoline_kernelINS0_14default_configENS1_22reduce_config_selectorIlEEZNS1_11reduce_implILb1ES3_N6thrust23THRUST_200600_302600_NS11hip_rocprim26transform_input_iterator_tIlNS8_12zip_iteratorINS8_5tupleINS8_6detail15normal_iteratorINS8_10device_ptrItEEEESH_NS8_9null_typeESI_SI_SI_SI_SI_SI_SI_EEEENS9_21zip_adj_not_predicateI22is_equal_div_10_uniqueItEEEEEPllNS8_4plusIlEEEE10hipError_tPvRmT1_T2_T3_mT4_P12ihipStream_tbEUlT_E1_NS1_11comp_targetILNS1_3genE0ELNS1_11target_archE4294967295ELNS1_3gpuE0ELNS1_3repE0EEENS1_30default_config_static_selectorELNS0_4arch9wavefront6targetE1EEEvSW_.has_recursion, 0
	.set _ZN7rocprim17ROCPRIM_400000_NS6detail17trampoline_kernelINS0_14default_configENS1_22reduce_config_selectorIlEEZNS1_11reduce_implILb1ES3_N6thrust23THRUST_200600_302600_NS11hip_rocprim26transform_input_iterator_tIlNS8_12zip_iteratorINS8_5tupleINS8_6detail15normal_iteratorINS8_10device_ptrItEEEESH_NS8_9null_typeESI_SI_SI_SI_SI_SI_SI_EEEENS9_21zip_adj_not_predicateI22is_equal_div_10_uniqueItEEEEEPllNS8_4plusIlEEEE10hipError_tPvRmT1_T2_T3_mT4_P12ihipStream_tbEUlT_E1_NS1_11comp_targetILNS1_3genE0ELNS1_11target_archE4294967295ELNS1_3gpuE0ELNS1_3repE0EEENS1_30default_config_static_selectorELNS0_4arch9wavefront6targetE1EEEvSW_.has_indirect_call, 0
	.section	.AMDGPU.csdata,"",@progbits
; Kernel info:
; codeLenInByte = 0
; TotalNumSgprs: 4
; NumVgprs: 0
; ScratchSize: 0
; MemoryBound: 0
; FloatMode: 240
; IeeeMode: 1
; LDSByteSize: 0 bytes/workgroup (compile time only)
; SGPRBlocks: 0
; VGPRBlocks: 0
; NumSGPRsForWavesPerEU: 4
; NumVGPRsForWavesPerEU: 1
; Occupancy: 10
; WaveLimiterHint : 0
; COMPUTE_PGM_RSRC2:SCRATCH_EN: 0
; COMPUTE_PGM_RSRC2:USER_SGPR: 6
; COMPUTE_PGM_RSRC2:TRAP_HANDLER: 0
; COMPUTE_PGM_RSRC2:TGID_X_EN: 1
; COMPUTE_PGM_RSRC2:TGID_Y_EN: 0
; COMPUTE_PGM_RSRC2:TGID_Z_EN: 0
; COMPUTE_PGM_RSRC2:TIDIG_COMP_CNT: 0
	.section	.text._ZN7rocprim17ROCPRIM_400000_NS6detail17trampoline_kernelINS0_14default_configENS1_22reduce_config_selectorIlEEZNS1_11reduce_implILb1ES3_N6thrust23THRUST_200600_302600_NS11hip_rocprim26transform_input_iterator_tIlNS8_12zip_iteratorINS8_5tupleINS8_6detail15normal_iteratorINS8_10device_ptrItEEEESH_NS8_9null_typeESI_SI_SI_SI_SI_SI_SI_EEEENS9_21zip_adj_not_predicateI22is_equal_div_10_uniqueItEEEEEPllNS8_4plusIlEEEE10hipError_tPvRmT1_T2_T3_mT4_P12ihipStream_tbEUlT_E1_NS1_11comp_targetILNS1_3genE5ELNS1_11target_archE942ELNS1_3gpuE9ELNS1_3repE0EEENS1_30default_config_static_selectorELNS0_4arch9wavefront6targetE1EEEvSW_,"axG",@progbits,_ZN7rocprim17ROCPRIM_400000_NS6detail17trampoline_kernelINS0_14default_configENS1_22reduce_config_selectorIlEEZNS1_11reduce_implILb1ES3_N6thrust23THRUST_200600_302600_NS11hip_rocprim26transform_input_iterator_tIlNS8_12zip_iteratorINS8_5tupleINS8_6detail15normal_iteratorINS8_10device_ptrItEEEESH_NS8_9null_typeESI_SI_SI_SI_SI_SI_SI_EEEENS9_21zip_adj_not_predicateI22is_equal_div_10_uniqueItEEEEEPllNS8_4plusIlEEEE10hipError_tPvRmT1_T2_T3_mT4_P12ihipStream_tbEUlT_E1_NS1_11comp_targetILNS1_3genE5ELNS1_11target_archE942ELNS1_3gpuE9ELNS1_3repE0EEENS1_30default_config_static_selectorELNS0_4arch9wavefront6targetE1EEEvSW_,comdat
	.protected	_ZN7rocprim17ROCPRIM_400000_NS6detail17trampoline_kernelINS0_14default_configENS1_22reduce_config_selectorIlEEZNS1_11reduce_implILb1ES3_N6thrust23THRUST_200600_302600_NS11hip_rocprim26transform_input_iterator_tIlNS8_12zip_iteratorINS8_5tupleINS8_6detail15normal_iteratorINS8_10device_ptrItEEEESH_NS8_9null_typeESI_SI_SI_SI_SI_SI_SI_EEEENS9_21zip_adj_not_predicateI22is_equal_div_10_uniqueItEEEEEPllNS8_4plusIlEEEE10hipError_tPvRmT1_T2_T3_mT4_P12ihipStream_tbEUlT_E1_NS1_11comp_targetILNS1_3genE5ELNS1_11target_archE942ELNS1_3gpuE9ELNS1_3repE0EEENS1_30default_config_static_selectorELNS0_4arch9wavefront6targetE1EEEvSW_ ; -- Begin function _ZN7rocprim17ROCPRIM_400000_NS6detail17trampoline_kernelINS0_14default_configENS1_22reduce_config_selectorIlEEZNS1_11reduce_implILb1ES3_N6thrust23THRUST_200600_302600_NS11hip_rocprim26transform_input_iterator_tIlNS8_12zip_iteratorINS8_5tupleINS8_6detail15normal_iteratorINS8_10device_ptrItEEEESH_NS8_9null_typeESI_SI_SI_SI_SI_SI_SI_EEEENS9_21zip_adj_not_predicateI22is_equal_div_10_uniqueItEEEEEPllNS8_4plusIlEEEE10hipError_tPvRmT1_T2_T3_mT4_P12ihipStream_tbEUlT_E1_NS1_11comp_targetILNS1_3genE5ELNS1_11target_archE942ELNS1_3gpuE9ELNS1_3repE0EEENS1_30default_config_static_selectorELNS0_4arch9wavefront6targetE1EEEvSW_
	.globl	_ZN7rocprim17ROCPRIM_400000_NS6detail17trampoline_kernelINS0_14default_configENS1_22reduce_config_selectorIlEEZNS1_11reduce_implILb1ES3_N6thrust23THRUST_200600_302600_NS11hip_rocprim26transform_input_iterator_tIlNS8_12zip_iteratorINS8_5tupleINS8_6detail15normal_iteratorINS8_10device_ptrItEEEESH_NS8_9null_typeESI_SI_SI_SI_SI_SI_SI_EEEENS9_21zip_adj_not_predicateI22is_equal_div_10_uniqueItEEEEEPllNS8_4plusIlEEEE10hipError_tPvRmT1_T2_T3_mT4_P12ihipStream_tbEUlT_E1_NS1_11comp_targetILNS1_3genE5ELNS1_11target_archE942ELNS1_3gpuE9ELNS1_3repE0EEENS1_30default_config_static_selectorELNS0_4arch9wavefront6targetE1EEEvSW_
	.p2align	8
	.type	_ZN7rocprim17ROCPRIM_400000_NS6detail17trampoline_kernelINS0_14default_configENS1_22reduce_config_selectorIlEEZNS1_11reduce_implILb1ES3_N6thrust23THRUST_200600_302600_NS11hip_rocprim26transform_input_iterator_tIlNS8_12zip_iteratorINS8_5tupleINS8_6detail15normal_iteratorINS8_10device_ptrItEEEESH_NS8_9null_typeESI_SI_SI_SI_SI_SI_SI_EEEENS9_21zip_adj_not_predicateI22is_equal_div_10_uniqueItEEEEEPllNS8_4plusIlEEEE10hipError_tPvRmT1_T2_T3_mT4_P12ihipStream_tbEUlT_E1_NS1_11comp_targetILNS1_3genE5ELNS1_11target_archE942ELNS1_3gpuE9ELNS1_3repE0EEENS1_30default_config_static_selectorELNS0_4arch9wavefront6targetE1EEEvSW_,@function
_ZN7rocprim17ROCPRIM_400000_NS6detail17trampoline_kernelINS0_14default_configENS1_22reduce_config_selectorIlEEZNS1_11reduce_implILb1ES3_N6thrust23THRUST_200600_302600_NS11hip_rocprim26transform_input_iterator_tIlNS8_12zip_iteratorINS8_5tupleINS8_6detail15normal_iteratorINS8_10device_ptrItEEEESH_NS8_9null_typeESI_SI_SI_SI_SI_SI_SI_EEEENS9_21zip_adj_not_predicateI22is_equal_div_10_uniqueItEEEEEPllNS8_4plusIlEEEE10hipError_tPvRmT1_T2_T3_mT4_P12ihipStream_tbEUlT_E1_NS1_11comp_targetILNS1_3genE5ELNS1_11target_archE942ELNS1_3gpuE9ELNS1_3repE0EEENS1_30default_config_static_selectorELNS0_4arch9wavefront6targetE1EEEvSW_: ; @_ZN7rocprim17ROCPRIM_400000_NS6detail17trampoline_kernelINS0_14default_configENS1_22reduce_config_selectorIlEEZNS1_11reduce_implILb1ES3_N6thrust23THRUST_200600_302600_NS11hip_rocprim26transform_input_iterator_tIlNS8_12zip_iteratorINS8_5tupleINS8_6detail15normal_iteratorINS8_10device_ptrItEEEESH_NS8_9null_typeESI_SI_SI_SI_SI_SI_SI_EEEENS9_21zip_adj_not_predicateI22is_equal_div_10_uniqueItEEEEEPllNS8_4plusIlEEEE10hipError_tPvRmT1_T2_T3_mT4_P12ihipStream_tbEUlT_E1_NS1_11comp_targetILNS1_3genE5ELNS1_11target_archE942ELNS1_3gpuE9ELNS1_3repE0EEENS1_30default_config_static_selectorELNS0_4arch9wavefront6targetE1EEEvSW_
; %bb.0:
	.section	.rodata,"a",@progbits
	.p2align	6, 0x0
	.amdhsa_kernel _ZN7rocprim17ROCPRIM_400000_NS6detail17trampoline_kernelINS0_14default_configENS1_22reduce_config_selectorIlEEZNS1_11reduce_implILb1ES3_N6thrust23THRUST_200600_302600_NS11hip_rocprim26transform_input_iterator_tIlNS8_12zip_iteratorINS8_5tupleINS8_6detail15normal_iteratorINS8_10device_ptrItEEEESH_NS8_9null_typeESI_SI_SI_SI_SI_SI_SI_EEEENS9_21zip_adj_not_predicateI22is_equal_div_10_uniqueItEEEEEPllNS8_4plusIlEEEE10hipError_tPvRmT1_T2_T3_mT4_P12ihipStream_tbEUlT_E1_NS1_11comp_targetILNS1_3genE5ELNS1_11target_archE942ELNS1_3gpuE9ELNS1_3repE0EEENS1_30default_config_static_selectorELNS0_4arch9wavefront6targetE1EEEvSW_
		.amdhsa_group_segment_fixed_size 0
		.amdhsa_private_segment_fixed_size 0
		.amdhsa_kernarg_size 64
		.amdhsa_user_sgpr_count 6
		.amdhsa_user_sgpr_private_segment_buffer 1
		.amdhsa_user_sgpr_dispatch_ptr 0
		.amdhsa_user_sgpr_queue_ptr 0
		.amdhsa_user_sgpr_kernarg_segment_ptr 1
		.amdhsa_user_sgpr_dispatch_id 0
		.amdhsa_user_sgpr_flat_scratch_init 0
		.amdhsa_user_sgpr_private_segment_size 0
		.amdhsa_uses_dynamic_stack 0
		.amdhsa_system_sgpr_private_segment_wavefront_offset 0
		.amdhsa_system_sgpr_workgroup_id_x 1
		.amdhsa_system_sgpr_workgroup_id_y 0
		.amdhsa_system_sgpr_workgroup_id_z 0
		.amdhsa_system_sgpr_workgroup_info 0
		.amdhsa_system_vgpr_workitem_id 0
		.amdhsa_next_free_vgpr 1
		.amdhsa_next_free_sgpr 0
		.amdhsa_reserve_vcc 0
		.amdhsa_reserve_flat_scratch 0
		.amdhsa_float_round_mode_32 0
		.amdhsa_float_round_mode_16_64 0
		.amdhsa_float_denorm_mode_32 3
		.amdhsa_float_denorm_mode_16_64 3
		.amdhsa_dx10_clamp 1
		.amdhsa_ieee_mode 1
		.amdhsa_fp16_overflow 0
		.amdhsa_exception_fp_ieee_invalid_op 0
		.amdhsa_exception_fp_denorm_src 0
		.amdhsa_exception_fp_ieee_div_zero 0
		.amdhsa_exception_fp_ieee_overflow 0
		.amdhsa_exception_fp_ieee_underflow 0
		.amdhsa_exception_fp_ieee_inexact 0
		.amdhsa_exception_int_div_zero 0
	.end_amdhsa_kernel
	.section	.text._ZN7rocprim17ROCPRIM_400000_NS6detail17trampoline_kernelINS0_14default_configENS1_22reduce_config_selectorIlEEZNS1_11reduce_implILb1ES3_N6thrust23THRUST_200600_302600_NS11hip_rocprim26transform_input_iterator_tIlNS8_12zip_iteratorINS8_5tupleINS8_6detail15normal_iteratorINS8_10device_ptrItEEEESH_NS8_9null_typeESI_SI_SI_SI_SI_SI_SI_EEEENS9_21zip_adj_not_predicateI22is_equal_div_10_uniqueItEEEEEPllNS8_4plusIlEEEE10hipError_tPvRmT1_T2_T3_mT4_P12ihipStream_tbEUlT_E1_NS1_11comp_targetILNS1_3genE5ELNS1_11target_archE942ELNS1_3gpuE9ELNS1_3repE0EEENS1_30default_config_static_selectorELNS0_4arch9wavefront6targetE1EEEvSW_,"axG",@progbits,_ZN7rocprim17ROCPRIM_400000_NS6detail17trampoline_kernelINS0_14default_configENS1_22reduce_config_selectorIlEEZNS1_11reduce_implILb1ES3_N6thrust23THRUST_200600_302600_NS11hip_rocprim26transform_input_iterator_tIlNS8_12zip_iteratorINS8_5tupleINS8_6detail15normal_iteratorINS8_10device_ptrItEEEESH_NS8_9null_typeESI_SI_SI_SI_SI_SI_SI_EEEENS9_21zip_adj_not_predicateI22is_equal_div_10_uniqueItEEEEEPllNS8_4plusIlEEEE10hipError_tPvRmT1_T2_T3_mT4_P12ihipStream_tbEUlT_E1_NS1_11comp_targetILNS1_3genE5ELNS1_11target_archE942ELNS1_3gpuE9ELNS1_3repE0EEENS1_30default_config_static_selectorELNS0_4arch9wavefront6targetE1EEEvSW_,comdat
.Lfunc_end915:
	.size	_ZN7rocprim17ROCPRIM_400000_NS6detail17trampoline_kernelINS0_14default_configENS1_22reduce_config_selectorIlEEZNS1_11reduce_implILb1ES3_N6thrust23THRUST_200600_302600_NS11hip_rocprim26transform_input_iterator_tIlNS8_12zip_iteratorINS8_5tupleINS8_6detail15normal_iteratorINS8_10device_ptrItEEEESH_NS8_9null_typeESI_SI_SI_SI_SI_SI_SI_EEEENS9_21zip_adj_not_predicateI22is_equal_div_10_uniqueItEEEEEPllNS8_4plusIlEEEE10hipError_tPvRmT1_T2_T3_mT4_P12ihipStream_tbEUlT_E1_NS1_11comp_targetILNS1_3genE5ELNS1_11target_archE942ELNS1_3gpuE9ELNS1_3repE0EEENS1_30default_config_static_selectorELNS0_4arch9wavefront6targetE1EEEvSW_, .Lfunc_end915-_ZN7rocprim17ROCPRIM_400000_NS6detail17trampoline_kernelINS0_14default_configENS1_22reduce_config_selectorIlEEZNS1_11reduce_implILb1ES3_N6thrust23THRUST_200600_302600_NS11hip_rocprim26transform_input_iterator_tIlNS8_12zip_iteratorINS8_5tupleINS8_6detail15normal_iteratorINS8_10device_ptrItEEEESH_NS8_9null_typeESI_SI_SI_SI_SI_SI_SI_EEEENS9_21zip_adj_not_predicateI22is_equal_div_10_uniqueItEEEEEPllNS8_4plusIlEEEE10hipError_tPvRmT1_T2_T3_mT4_P12ihipStream_tbEUlT_E1_NS1_11comp_targetILNS1_3genE5ELNS1_11target_archE942ELNS1_3gpuE9ELNS1_3repE0EEENS1_30default_config_static_selectorELNS0_4arch9wavefront6targetE1EEEvSW_
                                        ; -- End function
	.set _ZN7rocprim17ROCPRIM_400000_NS6detail17trampoline_kernelINS0_14default_configENS1_22reduce_config_selectorIlEEZNS1_11reduce_implILb1ES3_N6thrust23THRUST_200600_302600_NS11hip_rocprim26transform_input_iterator_tIlNS8_12zip_iteratorINS8_5tupleINS8_6detail15normal_iteratorINS8_10device_ptrItEEEESH_NS8_9null_typeESI_SI_SI_SI_SI_SI_SI_EEEENS9_21zip_adj_not_predicateI22is_equal_div_10_uniqueItEEEEEPllNS8_4plusIlEEEE10hipError_tPvRmT1_T2_T3_mT4_P12ihipStream_tbEUlT_E1_NS1_11comp_targetILNS1_3genE5ELNS1_11target_archE942ELNS1_3gpuE9ELNS1_3repE0EEENS1_30default_config_static_selectorELNS0_4arch9wavefront6targetE1EEEvSW_.num_vgpr, 0
	.set _ZN7rocprim17ROCPRIM_400000_NS6detail17trampoline_kernelINS0_14default_configENS1_22reduce_config_selectorIlEEZNS1_11reduce_implILb1ES3_N6thrust23THRUST_200600_302600_NS11hip_rocprim26transform_input_iterator_tIlNS8_12zip_iteratorINS8_5tupleINS8_6detail15normal_iteratorINS8_10device_ptrItEEEESH_NS8_9null_typeESI_SI_SI_SI_SI_SI_SI_EEEENS9_21zip_adj_not_predicateI22is_equal_div_10_uniqueItEEEEEPllNS8_4plusIlEEEE10hipError_tPvRmT1_T2_T3_mT4_P12ihipStream_tbEUlT_E1_NS1_11comp_targetILNS1_3genE5ELNS1_11target_archE942ELNS1_3gpuE9ELNS1_3repE0EEENS1_30default_config_static_selectorELNS0_4arch9wavefront6targetE1EEEvSW_.num_agpr, 0
	.set _ZN7rocprim17ROCPRIM_400000_NS6detail17trampoline_kernelINS0_14default_configENS1_22reduce_config_selectorIlEEZNS1_11reduce_implILb1ES3_N6thrust23THRUST_200600_302600_NS11hip_rocprim26transform_input_iterator_tIlNS8_12zip_iteratorINS8_5tupleINS8_6detail15normal_iteratorINS8_10device_ptrItEEEESH_NS8_9null_typeESI_SI_SI_SI_SI_SI_SI_EEEENS9_21zip_adj_not_predicateI22is_equal_div_10_uniqueItEEEEEPllNS8_4plusIlEEEE10hipError_tPvRmT1_T2_T3_mT4_P12ihipStream_tbEUlT_E1_NS1_11comp_targetILNS1_3genE5ELNS1_11target_archE942ELNS1_3gpuE9ELNS1_3repE0EEENS1_30default_config_static_selectorELNS0_4arch9wavefront6targetE1EEEvSW_.numbered_sgpr, 0
	.set _ZN7rocprim17ROCPRIM_400000_NS6detail17trampoline_kernelINS0_14default_configENS1_22reduce_config_selectorIlEEZNS1_11reduce_implILb1ES3_N6thrust23THRUST_200600_302600_NS11hip_rocprim26transform_input_iterator_tIlNS8_12zip_iteratorINS8_5tupleINS8_6detail15normal_iteratorINS8_10device_ptrItEEEESH_NS8_9null_typeESI_SI_SI_SI_SI_SI_SI_EEEENS9_21zip_adj_not_predicateI22is_equal_div_10_uniqueItEEEEEPllNS8_4plusIlEEEE10hipError_tPvRmT1_T2_T3_mT4_P12ihipStream_tbEUlT_E1_NS1_11comp_targetILNS1_3genE5ELNS1_11target_archE942ELNS1_3gpuE9ELNS1_3repE0EEENS1_30default_config_static_selectorELNS0_4arch9wavefront6targetE1EEEvSW_.num_named_barrier, 0
	.set _ZN7rocprim17ROCPRIM_400000_NS6detail17trampoline_kernelINS0_14default_configENS1_22reduce_config_selectorIlEEZNS1_11reduce_implILb1ES3_N6thrust23THRUST_200600_302600_NS11hip_rocprim26transform_input_iterator_tIlNS8_12zip_iteratorINS8_5tupleINS8_6detail15normal_iteratorINS8_10device_ptrItEEEESH_NS8_9null_typeESI_SI_SI_SI_SI_SI_SI_EEEENS9_21zip_adj_not_predicateI22is_equal_div_10_uniqueItEEEEEPllNS8_4plusIlEEEE10hipError_tPvRmT1_T2_T3_mT4_P12ihipStream_tbEUlT_E1_NS1_11comp_targetILNS1_3genE5ELNS1_11target_archE942ELNS1_3gpuE9ELNS1_3repE0EEENS1_30default_config_static_selectorELNS0_4arch9wavefront6targetE1EEEvSW_.private_seg_size, 0
	.set _ZN7rocprim17ROCPRIM_400000_NS6detail17trampoline_kernelINS0_14default_configENS1_22reduce_config_selectorIlEEZNS1_11reduce_implILb1ES3_N6thrust23THRUST_200600_302600_NS11hip_rocprim26transform_input_iterator_tIlNS8_12zip_iteratorINS8_5tupleINS8_6detail15normal_iteratorINS8_10device_ptrItEEEESH_NS8_9null_typeESI_SI_SI_SI_SI_SI_SI_EEEENS9_21zip_adj_not_predicateI22is_equal_div_10_uniqueItEEEEEPllNS8_4plusIlEEEE10hipError_tPvRmT1_T2_T3_mT4_P12ihipStream_tbEUlT_E1_NS1_11comp_targetILNS1_3genE5ELNS1_11target_archE942ELNS1_3gpuE9ELNS1_3repE0EEENS1_30default_config_static_selectorELNS0_4arch9wavefront6targetE1EEEvSW_.uses_vcc, 0
	.set _ZN7rocprim17ROCPRIM_400000_NS6detail17trampoline_kernelINS0_14default_configENS1_22reduce_config_selectorIlEEZNS1_11reduce_implILb1ES3_N6thrust23THRUST_200600_302600_NS11hip_rocprim26transform_input_iterator_tIlNS8_12zip_iteratorINS8_5tupleINS8_6detail15normal_iteratorINS8_10device_ptrItEEEESH_NS8_9null_typeESI_SI_SI_SI_SI_SI_SI_EEEENS9_21zip_adj_not_predicateI22is_equal_div_10_uniqueItEEEEEPllNS8_4plusIlEEEE10hipError_tPvRmT1_T2_T3_mT4_P12ihipStream_tbEUlT_E1_NS1_11comp_targetILNS1_3genE5ELNS1_11target_archE942ELNS1_3gpuE9ELNS1_3repE0EEENS1_30default_config_static_selectorELNS0_4arch9wavefront6targetE1EEEvSW_.uses_flat_scratch, 0
	.set _ZN7rocprim17ROCPRIM_400000_NS6detail17trampoline_kernelINS0_14default_configENS1_22reduce_config_selectorIlEEZNS1_11reduce_implILb1ES3_N6thrust23THRUST_200600_302600_NS11hip_rocprim26transform_input_iterator_tIlNS8_12zip_iteratorINS8_5tupleINS8_6detail15normal_iteratorINS8_10device_ptrItEEEESH_NS8_9null_typeESI_SI_SI_SI_SI_SI_SI_EEEENS9_21zip_adj_not_predicateI22is_equal_div_10_uniqueItEEEEEPllNS8_4plusIlEEEE10hipError_tPvRmT1_T2_T3_mT4_P12ihipStream_tbEUlT_E1_NS1_11comp_targetILNS1_3genE5ELNS1_11target_archE942ELNS1_3gpuE9ELNS1_3repE0EEENS1_30default_config_static_selectorELNS0_4arch9wavefront6targetE1EEEvSW_.has_dyn_sized_stack, 0
	.set _ZN7rocprim17ROCPRIM_400000_NS6detail17trampoline_kernelINS0_14default_configENS1_22reduce_config_selectorIlEEZNS1_11reduce_implILb1ES3_N6thrust23THRUST_200600_302600_NS11hip_rocprim26transform_input_iterator_tIlNS8_12zip_iteratorINS8_5tupleINS8_6detail15normal_iteratorINS8_10device_ptrItEEEESH_NS8_9null_typeESI_SI_SI_SI_SI_SI_SI_EEEENS9_21zip_adj_not_predicateI22is_equal_div_10_uniqueItEEEEEPllNS8_4plusIlEEEE10hipError_tPvRmT1_T2_T3_mT4_P12ihipStream_tbEUlT_E1_NS1_11comp_targetILNS1_3genE5ELNS1_11target_archE942ELNS1_3gpuE9ELNS1_3repE0EEENS1_30default_config_static_selectorELNS0_4arch9wavefront6targetE1EEEvSW_.has_recursion, 0
	.set _ZN7rocprim17ROCPRIM_400000_NS6detail17trampoline_kernelINS0_14default_configENS1_22reduce_config_selectorIlEEZNS1_11reduce_implILb1ES3_N6thrust23THRUST_200600_302600_NS11hip_rocprim26transform_input_iterator_tIlNS8_12zip_iteratorINS8_5tupleINS8_6detail15normal_iteratorINS8_10device_ptrItEEEESH_NS8_9null_typeESI_SI_SI_SI_SI_SI_SI_EEEENS9_21zip_adj_not_predicateI22is_equal_div_10_uniqueItEEEEEPllNS8_4plusIlEEEE10hipError_tPvRmT1_T2_T3_mT4_P12ihipStream_tbEUlT_E1_NS1_11comp_targetILNS1_3genE5ELNS1_11target_archE942ELNS1_3gpuE9ELNS1_3repE0EEENS1_30default_config_static_selectorELNS0_4arch9wavefront6targetE1EEEvSW_.has_indirect_call, 0
	.section	.AMDGPU.csdata,"",@progbits
; Kernel info:
; codeLenInByte = 0
; TotalNumSgprs: 4
; NumVgprs: 0
; ScratchSize: 0
; MemoryBound: 0
; FloatMode: 240
; IeeeMode: 1
; LDSByteSize: 0 bytes/workgroup (compile time only)
; SGPRBlocks: 0
; VGPRBlocks: 0
; NumSGPRsForWavesPerEU: 4
; NumVGPRsForWavesPerEU: 1
; Occupancy: 10
; WaveLimiterHint : 0
; COMPUTE_PGM_RSRC2:SCRATCH_EN: 0
; COMPUTE_PGM_RSRC2:USER_SGPR: 6
; COMPUTE_PGM_RSRC2:TRAP_HANDLER: 0
; COMPUTE_PGM_RSRC2:TGID_X_EN: 1
; COMPUTE_PGM_RSRC2:TGID_Y_EN: 0
; COMPUTE_PGM_RSRC2:TGID_Z_EN: 0
; COMPUTE_PGM_RSRC2:TIDIG_COMP_CNT: 0
	.section	.text._ZN7rocprim17ROCPRIM_400000_NS6detail17trampoline_kernelINS0_14default_configENS1_22reduce_config_selectorIlEEZNS1_11reduce_implILb1ES3_N6thrust23THRUST_200600_302600_NS11hip_rocprim26transform_input_iterator_tIlNS8_12zip_iteratorINS8_5tupleINS8_6detail15normal_iteratorINS8_10device_ptrItEEEESH_NS8_9null_typeESI_SI_SI_SI_SI_SI_SI_EEEENS9_21zip_adj_not_predicateI22is_equal_div_10_uniqueItEEEEEPllNS8_4plusIlEEEE10hipError_tPvRmT1_T2_T3_mT4_P12ihipStream_tbEUlT_E1_NS1_11comp_targetILNS1_3genE4ELNS1_11target_archE910ELNS1_3gpuE8ELNS1_3repE0EEENS1_30default_config_static_selectorELNS0_4arch9wavefront6targetE1EEEvSW_,"axG",@progbits,_ZN7rocprim17ROCPRIM_400000_NS6detail17trampoline_kernelINS0_14default_configENS1_22reduce_config_selectorIlEEZNS1_11reduce_implILb1ES3_N6thrust23THRUST_200600_302600_NS11hip_rocprim26transform_input_iterator_tIlNS8_12zip_iteratorINS8_5tupleINS8_6detail15normal_iteratorINS8_10device_ptrItEEEESH_NS8_9null_typeESI_SI_SI_SI_SI_SI_SI_EEEENS9_21zip_adj_not_predicateI22is_equal_div_10_uniqueItEEEEEPllNS8_4plusIlEEEE10hipError_tPvRmT1_T2_T3_mT4_P12ihipStream_tbEUlT_E1_NS1_11comp_targetILNS1_3genE4ELNS1_11target_archE910ELNS1_3gpuE8ELNS1_3repE0EEENS1_30default_config_static_selectorELNS0_4arch9wavefront6targetE1EEEvSW_,comdat
	.protected	_ZN7rocprim17ROCPRIM_400000_NS6detail17trampoline_kernelINS0_14default_configENS1_22reduce_config_selectorIlEEZNS1_11reduce_implILb1ES3_N6thrust23THRUST_200600_302600_NS11hip_rocprim26transform_input_iterator_tIlNS8_12zip_iteratorINS8_5tupleINS8_6detail15normal_iteratorINS8_10device_ptrItEEEESH_NS8_9null_typeESI_SI_SI_SI_SI_SI_SI_EEEENS9_21zip_adj_not_predicateI22is_equal_div_10_uniqueItEEEEEPllNS8_4plusIlEEEE10hipError_tPvRmT1_T2_T3_mT4_P12ihipStream_tbEUlT_E1_NS1_11comp_targetILNS1_3genE4ELNS1_11target_archE910ELNS1_3gpuE8ELNS1_3repE0EEENS1_30default_config_static_selectorELNS0_4arch9wavefront6targetE1EEEvSW_ ; -- Begin function _ZN7rocprim17ROCPRIM_400000_NS6detail17trampoline_kernelINS0_14default_configENS1_22reduce_config_selectorIlEEZNS1_11reduce_implILb1ES3_N6thrust23THRUST_200600_302600_NS11hip_rocprim26transform_input_iterator_tIlNS8_12zip_iteratorINS8_5tupleINS8_6detail15normal_iteratorINS8_10device_ptrItEEEESH_NS8_9null_typeESI_SI_SI_SI_SI_SI_SI_EEEENS9_21zip_adj_not_predicateI22is_equal_div_10_uniqueItEEEEEPllNS8_4plusIlEEEE10hipError_tPvRmT1_T2_T3_mT4_P12ihipStream_tbEUlT_E1_NS1_11comp_targetILNS1_3genE4ELNS1_11target_archE910ELNS1_3gpuE8ELNS1_3repE0EEENS1_30default_config_static_selectorELNS0_4arch9wavefront6targetE1EEEvSW_
	.globl	_ZN7rocprim17ROCPRIM_400000_NS6detail17trampoline_kernelINS0_14default_configENS1_22reduce_config_selectorIlEEZNS1_11reduce_implILb1ES3_N6thrust23THRUST_200600_302600_NS11hip_rocprim26transform_input_iterator_tIlNS8_12zip_iteratorINS8_5tupleINS8_6detail15normal_iteratorINS8_10device_ptrItEEEESH_NS8_9null_typeESI_SI_SI_SI_SI_SI_SI_EEEENS9_21zip_adj_not_predicateI22is_equal_div_10_uniqueItEEEEEPllNS8_4plusIlEEEE10hipError_tPvRmT1_T2_T3_mT4_P12ihipStream_tbEUlT_E1_NS1_11comp_targetILNS1_3genE4ELNS1_11target_archE910ELNS1_3gpuE8ELNS1_3repE0EEENS1_30default_config_static_selectorELNS0_4arch9wavefront6targetE1EEEvSW_
	.p2align	8
	.type	_ZN7rocprim17ROCPRIM_400000_NS6detail17trampoline_kernelINS0_14default_configENS1_22reduce_config_selectorIlEEZNS1_11reduce_implILb1ES3_N6thrust23THRUST_200600_302600_NS11hip_rocprim26transform_input_iterator_tIlNS8_12zip_iteratorINS8_5tupleINS8_6detail15normal_iteratorINS8_10device_ptrItEEEESH_NS8_9null_typeESI_SI_SI_SI_SI_SI_SI_EEEENS9_21zip_adj_not_predicateI22is_equal_div_10_uniqueItEEEEEPllNS8_4plusIlEEEE10hipError_tPvRmT1_T2_T3_mT4_P12ihipStream_tbEUlT_E1_NS1_11comp_targetILNS1_3genE4ELNS1_11target_archE910ELNS1_3gpuE8ELNS1_3repE0EEENS1_30default_config_static_selectorELNS0_4arch9wavefront6targetE1EEEvSW_,@function
_ZN7rocprim17ROCPRIM_400000_NS6detail17trampoline_kernelINS0_14default_configENS1_22reduce_config_selectorIlEEZNS1_11reduce_implILb1ES3_N6thrust23THRUST_200600_302600_NS11hip_rocprim26transform_input_iterator_tIlNS8_12zip_iteratorINS8_5tupleINS8_6detail15normal_iteratorINS8_10device_ptrItEEEESH_NS8_9null_typeESI_SI_SI_SI_SI_SI_SI_EEEENS9_21zip_adj_not_predicateI22is_equal_div_10_uniqueItEEEEEPllNS8_4plusIlEEEE10hipError_tPvRmT1_T2_T3_mT4_P12ihipStream_tbEUlT_E1_NS1_11comp_targetILNS1_3genE4ELNS1_11target_archE910ELNS1_3gpuE8ELNS1_3repE0EEENS1_30default_config_static_selectorELNS0_4arch9wavefront6targetE1EEEvSW_: ; @_ZN7rocprim17ROCPRIM_400000_NS6detail17trampoline_kernelINS0_14default_configENS1_22reduce_config_selectorIlEEZNS1_11reduce_implILb1ES3_N6thrust23THRUST_200600_302600_NS11hip_rocprim26transform_input_iterator_tIlNS8_12zip_iteratorINS8_5tupleINS8_6detail15normal_iteratorINS8_10device_ptrItEEEESH_NS8_9null_typeESI_SI_SI_SI_SI_SI_SI_EEEENS9_21zip_adj_not_predicateI22is_equal_div_10_uniqueItEEEEEPllNS8_4plusIlEEEE10hipError_tPvRmT1_T2_T3_mT4_P12ihipStream_tbEUlT_E1_NS1_11comp_targetILNS1_3genE4ELNS1_11target_archE910ELNS1_3gpuE8ELNS1_3repE0EEENS1_30default_config_static_selectorELNS0_4arch9wavefront6targetE1EEEvSW_
; %bb.0:
	.section	.rodata,"a",@progbits
	.p2align	6, 0x0
	.amdhsa_kernel _ZN7rocprim17ROCPRIM_400000_NS6detail17trampoline_kernelINS0_14default_configENS1_22reduce_config_selectorIlEEZNS1_11reduce_implILb1ES3_N6thrust23THRUST_200600_302600_NS11hip_rocprim26transform_input_iterator_tIlNS8_12zip_iteratorINS8_5tupleINS8_6detail15normal_iteratorINS8_10device_ptrItEEEESH_NS8_9null_typeESI_SI_SI_SI_SI_SI_SI_EEEENS9_21zip_adj_not_predicateI22is_equal_div_10_uniqueItEEEEEPllNS8_4plusIlEEEE10hipError_tPvRmT1_T2_T3_mT4_P12ihipStream_tbEUlT_E1_NS1_11comp_targetILNS1_3genE4ELNS1_11target_archE910ELNS1_3gpuE8ELNS1_3repE0EEENS1_30default_config_static_selectorELNS0_4arch9wavefront6targetE1EEEvSW_
		.amdhsa_group_segment_fixed_size 0
		.amdhsa_private_segment_fixed_size 0
		.amdhsa_kernarg_size 64
		.amdhsa_user_sgpr_count 6
		.amdhsa_user_sgpr_private_segment_buffer 1
		.amdhsa_user_sgpr_dispatch_ptr 0
		.amdhsa_user_sgpr_queue_ptr 0
		.amdhsa_user_sgpr_kernarg_segment_ptr 1
		.amdhsa_user_sgpr_dispatch_id 0
		.amdhsa_user_sgpr_flat_scratch_init 0
		.amdhsa_user_sgpr_private_segment_size 0
		.amdhsa_uses_dynamic_stack 0
		.amdhsa_system_sgpr_private_segment_wavefront_offset 0
		.amdhsa_system_sgpr_workgroup_id_x 1
		.amdhsa_system_sgpr_workgroup_id_y 0
		.amdhsa_system_sgpr_workgroup_id_z 0
		.amdhsa_system_sgpr_workgroup_info 0
		.amdhsa_system_vgpr_workitem_id 0
		.amdhsa_next_free_vgpr 1
		.amdhsa_next_free_sgpr 0
		.amdhsa_reserve_vcc 0
		.amdhsa_reserve_flat_scratch 0
		.amdhsa_float_round_mode_32 0
		.amdhsa_float_round_mode_16_64 0
		.amdhsa_float_denorm_mode_32 3
		.amdhsa_float_denorm_mode_16_64 3
		.amdhsa_dx10_clamp 1
		.amdhsa_ieee_mode 1
		.amdhsa_fp16_overflow 0
		.amdhsa_exception_fp_ieee_invalid_op 0
		.amdhsa_exception_fp_denorm_src 0
		.amdhsa_exception_fp_ieee_div_zero 0
		.amdhsa_exception_fp_ieee_overflow 0
		.amdhsa_exception_fp_ieee_underflow 0
		.amdhsa_exception_fp_ieee_inexact 0
		.amdhsa_exception_int_div_zero 0
	.end_amdhsa_kernel
	.section	.text._ZN7rocprim17ROCPRIM_400000_NS6detail17trampoline_kernelINS0_14default_configENS1_22reduce_config_selectorIlEEZNS1_11reduce_implILb1ES3_N6thrust23THRUST_200600_302600_NS11hip_rocprim26transform_input_iterator_tIlNS8_12zip_iteratorINS8_5tupleINS8_6detail15normal_iteratorINS8_10device_ptrItEEEESH_NS8_9null_typeESI_SI_SI_SI_SI_SI_SI_EEEENS9_21zip_adj_not_predicateI22is_equal_div_10_uniqueItEEEEEPllNS8_4plusIlEEEE10hipError_tPvRmT1_T2_T3_mT4_P12ihipStream_tbEUlT_E1_NS1_11comp_targetILNS1_3genE4ELNS1_11target_archE910ELNS1_3gpuE8ELNS1_3repE0EEENS1_30default_config_static_selectorELNS0_4arch9wavefront6targetE1EEEvSW_,"axG",@progbits,_ZN7rocprim17ROCPRIM_400000_NS6detail17trampoline_kernelINS0_14default_configENS1_22reduce_config_selectorIlEEZNS1_11reduce_implILb1ES3_N6thrust23THRUST_200600_302600_NS11hip_rocprim26transform_input_iterator_tIlNS8_12zip_iteratorINS8_5tupleINS8_6detail15normal_iteratorINS8_10device_ptrItEEEESH_NS8_9null_typeESI_SI_SI_SI_SI_SI_SI_EEEENS9_21zip_adj_not_predicateI22is_equal_div_10_uniqueItEEEEEPllNS8_4plusIlEEEE10hipError_tPvRmT1_T2_T3_mT4_P12ihipStream_tbEUlT_E1_NS1_11comp_targetILNS1_3genE4ELNS1_11target_archE910ELNS1_3gpuE8ELNS1_3repE0EEENS1_30default_config_static_selectorELNS0_4arch9wavefront6targetE1EEEvSW_,comdat
.Lfunc_end916:
	.size	_ZN7rocprim17ROCPRIM_400000_NS6detail17trampoline_kernelINS0_14default_configENS1_22reduce_config_selectorIlEEZNS1_11reduce_implILb1ES3_N6thrust23THRUST_200600_302600_NS11hip_rocprim26transform_input_iterator_tIlNS8_12zip_iteratorINS8_5tupleINS8_6detail15normal_iteratorINS8_10device_ptrItEEEESH_NS8_9null_typeESI_SI_SI_SI_SI_SI_SI_EEEENS9_21zip_adj_not_predicateI22is_equal_div_10_uniqueItEEEEEPllNS8_4plusIlEEEE10hipError_tPvRmT1_T2_T3_mT4_P12ihipStream_tbEUlT_E1_NS1_11comp_targetILNS1_3genE4ELNS1_11target_archE910ELNS1_3gpuE8ELNS1_3repE0EEENS1_30default_config_static_selectorELNS0_4arch9wavefront6targetE1EEEvSW_, .Lfunc_end916-_ZN7rocprim17ROCPRIM_400000_NS6detail17trampoline_kernelINS0_14default_configENS1_22reduce_config_selectorIlEEZNS1_11reduce_implILb1ES3_N6thrust23THRUST_200600_302600_NS11hip_rocprim26transform_input_iterator_tIlNS8_12zip_iteratorINS8_5tupleINS8_6detail15normal_iteratorINS8_10device_ptrItEEEESH_NS8_9null_typeESI_SI_SI_SI_SI_SI_SI_EEEENS9_21zip_adj_not_predicateI22is_equal_div_10_uniqueItEEEEEPllNS8_4plusIlEEEE10hipError_tPvRmT1_T2_T3_mT4_P12ihipStream_tbEUlT_E1_NS1_11comp_targetILNS1_3genE4ELNS1_11target_archE910ELNS1_3gpuE8ELNS1_3repE0EEENS1_30default_config_static_selectorELNS0_4arch9wavefront6targetE1EEEvSW_
                                        ; -- End function
	.set _ZN7rocprim17ROCPRIM_400000_NS6detail17trampoline_kernelINS0_14default_configENS1_22reduce_config_selectorIlEEZNS1_11reduce_implILb1ES3_N6thrust23THRUST_200600_302600_NS11hip_rocprim26transform_input_iterator_tIlNS8_12zip_iteratorINS8_5tupleINS8_6detail15normal_iteratorINS8_10device_ptrItEEEESH_NS8_9null_typeESI_SI_SI_SI_SI_SI_SI_EEEENS9_21zip_adj_not_predicateI22is_equal_div_10_uniqueItEEEEEPllNS8_4plusIlEEEE10hipError_tPvRmT1_T2_T3_mT4_P12ihipStream_tbEUlT_E1_NS1_11comp_targetILNS1_3genE4ELNS1_11target_archE910ELNS1_3gpuE8ELNS1_3repE0EEENS1_30default_config_static_selectorELNS0_4arch9wavefront6targetE1EEEvSW_.num_vgpr, 0
	.set _ZN7rocprim17ROCPRIM_400000_NS6detail17trampoline_kernelINS0_14default_configENS1_22reduce_config_selectorIlEEZNS1_11reduce_implILb1ES3_N6thrust23THRUST_200600_302600_NS11hip_rocprim26transform_input_iterator_tIlNS8_12zip_iteratorINS8_5tupleINS8_6detail15normal_iteratorINS8_10device_ptrItEEEESH_NS8_9null_typeESI_SI_SI_SI_SI_SI_SI_EEEENS9_21zip_adj_not_predicateI22is_equal_div_10_uniqueItEEEEEPllNS8_4plusIlEEEE10hipError_tPvRmT1_T2_T3_mT4_P12ihipStream_tbEUlT_E1_NS1_11comp_targetILNS1_3genE4ELNS1_11target_archE910ELNS1_3gpuE8ELNS1_3repE0EEENS1_30default_config_static_selectorELNS0_4arch9wavefront6targetE1EEEvSW_.num_agpr, 0
	.set _ZN7rocprim17ROCPRIM_400000_NS6detail17trampoline_kernelINS0_14default_configENS1_22reduce_config_selectorIlEEZNS1_11reduce_implILb1ES3_N6thrust23THRUST_200600_302600_NS11hip_rocprim26transform_input_iterator_tIlNS8_12zip_iteratorINS8_5tupleINS8_6detail15normal_iteratorINS8_10device_ptrItEEEESH_NS8_9null_typeESI_SI_SI_SI_SI_SI_SI_EEEENS9_21zip_adj_not_predicateI22is_equal_div_10_uniqueItEEEEEPllNS8_4plusIlEEEE10hipError_tPvRmT1_T2_T3_mT4_P12ihipStream_tbEUlT_E1_NS1_11comp_targetILNS1_3genE4ELNS1_11target_archE910ELNS1_3gpuE8ELNS1_3repE0EEENS1_30default_config_static_selectorELNS0_4arch9wavefront6targetE1EEEvSW_.numbered_sgpr, 0
	.set _ZN7rocprim17ROCPRIM_400000_NS6detail17trampoline_kernelINS0_14default_configENS1_22reduce_config_selectorIlEEZNS1_11reduce_implILb1ES3_N6thrust23THRUST_200600_302600_NS11hip_rocprim26transform_input_iterator_tIlNS8_12zip_iteratorINS8_5tupleINS8_6detail15normal_iteratorINS8_10device_ptrItEEEESH_NS8_9null_typeESI_SI_SI_SI_SI_SI_SI_EEEENS9_21zip_adj_not_predicateI22is_equal_div_10_uniqueItEEEEEPllNS8_4plusIlEEEE10hipError_tPvRmT1_T2_T3_mT4_P12ihipStream_tbEUlT_E1_NS1_11comp_targetILNS1_3genE4ELNS1_11target_archE910ELNS1_3gpuE8ELNS1_3repE0EEENS1_30default_config_static_selectorELNS0_4arch9wavefront6targetE1EEEvSW_.num_named_barrier, 0
	.set _ZN7rocprim17ROCPRIM_400000_NS6detail17trampoline_kernelINS0_14default_configENS1_22reduce_config_selectorIlEEZNS1_11reduce_implILb1ES3_N6thrust23THRUST_200600_302600_NS11hip_rocprim26transform_input_iterator_tIlNS8_12zip_iteratorINS8_5tupleINS8_6detail15normal_iteratorINS8_10device_ptrItEEEESH_NS8_9null_typeESI_SI_SI_SI_SI_SI_SI_EEEENS9_21zip_adj_not_predicateI22is_equal_div_10_uniqueItEEEEEPllNS8_4plusIlEEEE10hipError_tPvRmT1_T2_T3_mT4_P12ihipStream_tbEUlT_E1_NS1_11comp_targetILNS1_3genE4ELNS1_11target_archE910ELNS1_3gpuE8ELNS1_3repE0EEENS1_30default_config_static_selectorELNS0_4arch9wavefront6targetE1EEEvSW_.private_seg_size, 0
	.set _ZN7rocprim17ROCPRIM_400000_NS6detail17trampoline_kernelINS0_14default_configENS1_22reduce_config_selectorIlEEZNS1_11reduce_implILb1ES3_N6thrust23THRUST_200600_302600_NS11hip_rocprim26transform_input_iterator_tIlNS8_12zip_iteratorINS8_5tupleINS8_6detail15normal_iteratorINS8_10device_ptrItEEEESH_NS8_9null_typeESI_SI_SI_SI_SI_SI_SI_EEEENS9_21zip_adj_not_predicateI22is_equal_div_10_uniqueItEEEEEPllNS8_4plusIlEEEE10hipError_tPvRmT1_T2_T3_mT4_P12ihipStream_tbEUlT_E1_NS1_11comp_targetILNS1_3genE4ELNS1_11target_archE910ELNS1_3gpuE8ELNS1_3repE0EEENS1_30default_config_static_selectorELNS0_4arch9wavefront6targetE1EEEvSW_.uses_vcc, 0
	.set _ZN7rocprim17ROCPRIM_400000_NS6detail17trampoline_kernelINS0_14default_configENS1_22reduce_config_selectorIlEEZNS1_11reduce_implILb1ES3_N6thrust23THRUST_200600_302600_NS11hip_rocprim26transform_input_iterator_tIlNS8_12zip_iteratorINS8_5tupleINS8_6detail15normal_iteratorINS8_10device_ptrItEEEESH_NS8_9null_typeESI_SI_SI_SI_SI_SI_SI_EEEENS9_21zip_adj_not_predicateI22is_equal_div_10_uniqueItEEEEEPllNS8_4plusIlEEEE10hipError_tPvRmT1_T2_T3_mT4_P12ihipStream_tbEUlT_E1_NS1_11comp_targetILNS1_3genE4ELNS1_11target_archE910ELNS1_3gpuE8ELNS1_3repE0EEENS1_30default_config_static_selectorELNS0_4arch9wavefront6targetE1EEEvSW_.uses_flat_scratch, 0
	.set _ZN7rocprim17ROCPRIM_400000_NS6detail17trampoline_kernelINS0_14default_configENS1_22reduce_config_selectorIlEEZNS1_11reduce_implILb1ES3_N6thrust23THRUST_200600_302600_NS11hip_rocprim26transform_input_iterator_tIlNS8_12zip_iteratorINS8_5tupleINS8_6detail15normal_iteratorINS8_10device_ptrItEEEESH_NS8_9null_typeESI_SI_SI_SI_SI_SI_SI_EEEENS9_21zip_adj_not_predicateI22is_equal_div_10_uniqueItEEEEEPllNS8_4plusIlEEEE10hipError_tPvRmT1_T2_T3_mT4_P12ihipStream_tbEUlT_E1_NS1_11comp_targetILNS1_3genE4ELNS1_11target_archE910ELNS1_3gpuE8ELNS1_3repE0EEENS1_30default_config_static_selectorELNS0_4arch9wavefront6targetE1EEEvSW_.has_dyn_sized_stack, 0
	.set _ZN7rocprim17ROCPRIM_400000_NS6detail17trampoline_kernelINS0_14default_configENS1_22reduce_config_selectorIlEEZNS1_11reduce_implILb1ES3_N6thrust23THRUST_200600_302600_NS11hip_rocprim26transform_input_iterator_tIlNS8_12zip_iteratorINS8_5tupleINS8_6detail15normal_iteratorINS8_10device_ptrItEEEESH_NS8_9null_typeESI_SI_SI_SI_SI_SI_SI_EEEENS9_21zip_adj_not_predicateI22is_equal_div_10_uniqueItEEEEEPllNS8_4plusIlEEEE10hipError_tPvRmT1_T2_T3_mT4_P12ihipStream_tbEUlT_E1_NS1_11comp_targetILNS1_3genE4ELNS1_11target_archE910ELNS1_3gpuE8ELNS1_3repE0EEENS1_30default_config_static_selectorELNS0_4arch9wavefront6targetE1EEEvSW_.has_recursion, 0
	.set _ZN7rocprim17ROCPRIM_400000_NS6detail17trampoline_kernelINS0_14default_configENS1_22reduce_config_selectorIlEEZNS1_11reduce_implILb1ES3_N6thrust23THRUST_200600_302600_NS11hip_rocprim26transform_input_iterator_tIlNS8_12zip_iteratorINS8_5tupleINS8_6detail15normal_iteratorINS8_10device_ptrItEEEESH_NS8_9null_typeESI_SI_SI_SI_SI_SI_SI_EEEENS9_21zip_adj_not_predicateI22is_equal_div_10_uniqueItEEEEEPllNS8_4plusIlEEEE10hipError_tPvRmT1_T2_T3_mT4_P12ihipStream_tbEUlT_E1_NS1_11comp_targetILNS1_3genE4ELNS1_11target_archE910ELNS1_3gpuE8ELNS1_3repE0EEENS1_30default_config_static_selectorELNS0_4arch9wavefront6targetE1EEEvSW_.has_indirect_call, 0
	.section	.AMDGPU.csdata,"",@progbits
; Kernel info:
; codeLenInByte = 0
; TotalNumSgprs: 4
; NumVgprs: 0
; ScratchSize: 0
; MemoryBound: 0
; FloatMode: 240
; IeeeMode: 1
; LDSByteSize: 0 bytes/workgroup (compile time only)
; SGPRBlocks: 0
; VGPRBlocks: 0
; NumSGPRsForWavesPerEU: 4
; NumVGPRsForWavesPerEU: 1
; Occupancy: 10
; WaveLimiterHint : 0
; COMPUTE_PGM_RSRC2:SCRATCH_EN: 0
; COMPUTE_PGM_RSRC2:USER_SGPR: 6
; COMPUTE_PGM_RSRC2:TRAP_HANDLER: 0
; COMPUTE_PGM_RSRC2:TGID_X_EN: 1
; COMPUTE_PGM_RSRC2:TGID_Y_EN: 0
; COMPUTE_PGM_RSRC2:TGID_Z_EN: 0
; COMPUTE_PGM_RSRC2:TIDIG_COMP_CNT: 0
	.section	.text._ZN7rocprim17ROCPRIM_400000_NS6detail17trampoline_kernelINS0_14default_configENS1_22reduce_config_selectorIlEEZNS1_11reduce_implILb1ES3_N6thrust23THRUST_200600_302600_NS11hip_rocprim26transform_input_iterator_tIlNS8_12zip_iteratorINS8_5tupleINS8_6detail15normal_iteratorINS8_10device_ptrItEEEESH_NS8_9null_typeESI_SI_SI_SI_SI_SI_SI_EEEENS9_21zip_adj_not_predicateI22is_equal_div_10_uniqueItEEEEEPllNS8_4plusIlEEEE10hipError_tPvRmT1_T2_T3_mT4_P12ihipStream_tbEUlT_E1_NS1_11comp_targetILNS1_3genE3ELNS1_11target_archE908ELNS1_3gpuE7ELNS1_3repE0EEENS1_30default_config_static_selectorELNS0_4arch9wavefront6targetE1EEEvSW_,"axG",@progbits,_ZN7rocprim17ROCPRIM_400000_NS6detail17trampoline_kernelINS0_14default_configENS1_22reduce_config_selectorIlEEZNS1_11reduce_implILb1ES3_N6thrust23THRUST_200600_302600_NS11hip_rocprim26transform_input_iterator_tIlNS8_12zip_iteratorINS8_5tupleINS8_6detail15normal_iteratorINS8_10device_ptrItEEEESH_NS8_9null_typeESI_SI_SI_SI_SI_SI_SI_EEEENS9_21zip_adj_not_predicateI22is_equal_div_10_uniqueItEEEEEPllNS8_4plusIlEEEE10hipError_tPvRmT1_T2_T3_mT4_P12ihipStream_tbEUlT_E1_NS1_11comp_targetILNS1_3genE3ELNS1_11target_archE908ELNS1_3gpuE7ELNS1_3repE0EEENS1_30default_config_static_selectorELNS0_4arch9wavefront6targetE1EEEvSW_,comdat
	.protected	_ZN7rocprim17ROCPRIM_400000_NS6detail17trampoline_kernelINS0_14default_configENS1_22reduce_config_selectorIlEEZNS1_11reduce_implILb1ES3_N6thrust23THRUST_200600_302600_NS11hip_rocprim26transform_input_iterator_tIlNS8_12zip_iteratorINS8_5tupleINS8_6detail15normal_iteratorINS8_10device_ptrItEEEESH_NS8_9null_typeESI_SI_SI_SI_SI_SI_SI_EEEENS9_21zip_adj_not_predicateI22is_equal_div_10_uniqueItEEEEEPllNS8_4plusIlEEEE10hipError_tPvRmT1_T2_T3_mT4_P12ihipStream_tbEUlT_E1_NS1_11comp_targetILNS1_3genE3ELNS1_11target_archE908ELNS1_3gpuE7ELNS1_3repE0EEENS1_30default_config_static_selectorELNS0_4arch9wavefront6targetE1EEEvSW_ ; -- Begin function _ZN7rocprim17ROCPRIM_400000_NS6detail17trampoline_kernelINS0_14default_configENS1_22reduce_config_selectorIlEEZNS1_11reduce_implILb1ES3_N6thrust23THRUST_200600_302600_NS11hip_rocprim26transform_input_iterator_tIlNS8_12zip_iteratorINS8_5tupleINS8_6detail15normal_iteratorINS8_10device_ptrItEEEESH_NS8_9null_typeESI_SI_SI_SI_SI_SI_SI_EEEENS9_21zip_adj_not_predicateI22is_equal_div_10_uniqueItEEEEEPllNS8_4plusIlEEEE10hipError_tPvRmT1_T2_T3_mT4_P12ihipStream_tbEUlT_E1_NS1_11comp_targetILNS1_3genE3ELNS1_11target_archE908ELNS1_3gpuE7ELNS1_3repE0EEENS1_30default_config_static_selectorELNS0_4arch9wavefront6targetE1EEEvSW_
	.globl	_ZN7rocprim17ROCPRIM_400000_NS6detail17trampoline_kernelINS0_14default_configENS1_22reduce_config_selectorIlEEZNS1_11reduce_implILb1ES3_N6thrust23THRUST_200600_302600_NS11hip_rocprim26transform_input_iterator_tIlNS8_12zip_iteratorINS8_5tupleINS8_6detail15normal_iteratorINS8_10device_ptrItEEEESH_NS8_9null_typeESI_SI_SI_SI_SI_SI_SI_EEEENS9_21zip_adj_not_predicateI22is_equal_div_10_uniqueItEEEEEPllNS8_4plusIlEEEE10hipError_tPvRmT1_T2_T3_mT4_P12ihipStream_tbEUlT_E1_NS1_11comp_targetILNS1_3genE3ELNS1_11target_archE908ELNS1_3gpuE7ELNS1_3repE0EEENS1_30default_config_static_selectorELNS0_4arch9wavefront6targetE1EEEvSW_
	.p2align	8
	.type	_ZN7rocprim17ROCPRIM_400000_NS6detail17trampoline_kernelINS0_14default_configENS1_22reduce_config_selectorIlEEZNS1_11reduce_implILb1ES3_N6thrust23THRUST_200600_302600_NS11hip_rocprim26transform_input_iterator_tIlNS8_12zip_iteratorINS8_5tupleINS8_6detail15normal_iteratorINS8_10device_ptrItEEEESH_NS8_9null_typeESI_SI_SI_SI_SI_SI_SI_EEEENS9_21zip_adj_not_predicateI22is_equal_div_10_uniqueItEEEEEPllNS8_4plusIlEEEE10hipError_tPvRmT1_T2_T3_mT4_P12ihipStream_tbEUlT_E1_NS1_11comp_targetILNS1_3genE3ELNS1_11target_archE908ELNS1_3gpuE7ELNS1_3repE0EEENS1_30default_config_static_selectorELNS0_4arch9wavefront6targetE1EEEvSW_,@function
_ZN7rocprim17ROCPRIM_400000_NS6detail17trampoline_kernelINS0_14default_configENS1_22reduce_config_selectorIlEEZNS1_11reduce_implILb1ES3_N6thrust23THRUST_200600_302600_NS11hip_rocprim26transform_input_iterator_tIlNS8_12zip_iteratorINS8_5tupleINS8_6detail15normal_iteratorINS8_10device_ptrItEEEESH_NS8_9null_typeESI_SI_SI_SI_SI_SI_SI_EEEENS9_21zip_adj_not_predicateI22is_equal_div_10_uniqueItEEEEEPllNS8_4plusIlEEEE10hipError_tPvRmT1_T2_T3_mT4_P12ihipStream_tbEUlT_E1_NS1_11comp_targetILNS1_3genE3ELNS1_11target_archE908ELNS1_3gpuE7ELNS1_3repE0EEENS1_30default_config_static_selectorELNS0_4arch9wavefront6targetE1EEEvSW_: ; @_ZN7rocprim17ROCPRIM_400000_NS6detail17trampoline_kernelINS0_14default_configENS1_22reduce_config_selectorIlEEZNS1_11reduce_implILb1ES3_N6thrust23THRUST_200600_302600_NS11hip_rocprim26transform_input_iterator_tIlNS8_12zip_iteratorINS8_5tupleINS8_6detail15normal_iteratorINS8_10device_ptrItEEEESH_NS8_9null_typeESI_SI_SI_SI_SI_SI_SI_EEEENS9_21zip_adj_not_predicateI22is_equal_div_10_uniqueItEEEEEPllNS8_4plusIlEEEE10hipError_tPvRmT1_T2_T3_mT4_P12ihipStream_tbEUlT_E1_NS1_11comp_targetILNS1_3genE3ELNS1_11target_archE908ELNS1_3gpuE7ELNS1_3repE0EEENS1_30default_config_static_selectorELNS0_4arch9wavefront6targetE1EEEvSW_
; %bb.0:
	.section	.rodata,"a",@progbits
	.p2align	6, 0x0
	.amdhsa_kernel _ZN7rocprim17ROCPRIM_400000_NS6detail17trampoline_kernelINS0_14default_configENS1_22reduce_config_selectorIlEEZNS1_11reduce_implILb1ES3_N6thrust23THRUST_200600_302600_NS11hip_rocprim26transform_input_iterator_tIlNS8_12zip_iteratorINS8_5tupleINS8_6detail15normal_iteratorINS8_10device_ptrItEEEESH_NS8_9null_typeESI_SI_SI_SI_SI_SI_SI_EEEENS9_21zip_adj_not_predicateI22is_equal_div_10_uniqueItEEEEEPllNS8_4plusIlEEEE10hipError_tPvRmT1_T2_T3_mT4_P12ihipStream_tbEUlT_E1_NS1_11comp_targetILNS1_3genE3ELNS1_11target_archE908ELNS1_3gpuE7ELNS1_3repE0EEENS1_30default_config_static_selectorELNS0_4arch9wavefront6targetE1EEEvSW_
		.amdhsa_group_segment_fixed_size 0
		.amdhsa_private_segment_fixed_size 0
		.amdhsa_kernarg_size 64
		.amdhsa_user_sgpr_count 6
		.amdhsa_user_sgpr_private_segment_buffer 1
		.amdhsa_user_sgpr_dispatch_ptr 0
		.amdhsa_user_sgpr_queue_ptr 0
		.amdhsa_user_sgpr_kernarg_segment_ptr 1
		.amdhsa_user_sgpr_dispatch_id 0
		.amdhsa_user_sgpr_flat_scratch_init 0
		.amdhsa_user_sgpr_private_segment_size 0
		.amdhsa_uses_dynamic_stack 0
		.amdhsa_system_sgpr_private_segment_wavefront_offset 0
		.amdhsa_system_sgpr_workgroup_id_x 1
		.amdhsa_system_sgpr_workgroup_id_y 0
		.amdhsa_system_sgpr_workgroup_id_z 0
		.amdhsa_system_sgpr_workgroup_info 0
		.amdhsa_system_vgpr_workitem_id 0
		.amdhsa_next_free_vgpr 1
		.amdhsa_next_free_sgpr 0
		.amdhsa_reserve_vcc 0
		.amdhsa_reserve_flat_scratch 0
		.amdhsa_float_round_mode_32 0
		.amdhsa_float_round_mode_16_64 0
		.amdhsa_float_denorm_mode_32 3
		.amdhsa_float_denorm_mode_16_64 3
		.amdhsa_dx10_clamp 1
		.amdhsa_ieee_mode 1
		.amdhsa_fp16_overflow 0
		.amdhsa_exception_fp_ieee_invalid_op 0
		.amdhsa_exception_fp_denorm_src 0
		.amdhsa_exception_fp_ieee_div_zero 0
		.amdhsa_exception_fp_ieee_overflow 0
		.amdhsa_exception_fp_ieee_underflow 0
		.amdhsa_exception_fp_ieee_inexact 0
		.amdhsa_exception_int_div_zero 0
	.end_amdhsa_kernel
	.section	.text._ZN7rocprim17ROCPRIM_400000_NS6detail17trampoline_kernelINS0_14default_configENS1_22reduce_config_selectorIlEEZNS1_11reduce_implILb1ES3_N6thrust23THRUST_200600_302600_NS11hip_rocprim26transform_input_iterator_tIlNS8_12zip_iteratorINS8_5tupleINS8_6detail15normal_iteratorINS8_10device_ptrItEEEESH_NS8_9null_typeESI_SI_SI_SI_SI_SI_SI_EEEENS9_21zip_adj_not_predicateI22is_equal_div_10_uniqueItEEEEEPllNS8_4plusIlEEEE10hipError_tPvRmT1_T2_T3_mT4_P12ihipStream_tbEUlT_E1_NS1_11comp_targetILNS1_3genE3ELNS1_11target_archE908ELNS1_3gpuE7ELNS1_3repE0EEENS1_30default_config_static_selectorELNS0_4arch9wavefront6targetE1EEEvSW_,"axG",@progbits,_ZN7rocprim17ROCPRIM_400000_NS6detail17trampoline_kernelINS0_14default_configENS1_22reduce_config_selectorIlEEZNS1_11reduce_implILb1ES3_N6thrust23THRUST_200600_302600_NS11hip_rocprim26transform_input_iterator_tIlNS8_12zip_iteratorINS8_5tupleINS8_6detail15normal_iteratorINS8_10device_ptrItEEEESH_NS8_9null_typeESI_SI_SI_SI_SI_SI_SI_EEEENS9_21zip_adj_not_predicateI22is_equal_div_10_uniqueItEEEEEPllNS8_4plusIlEEEE10hipError_tPvRmT1_T2_T3_mT4_P12ihipStream_tbEUlT_E1_NS1_11comp_targetILNS1_3genE3ELNS1_11target_archE908ELNS1_3gpuE7ELNS1_3repE0EEENS1_30default_config_static_selectorELNS0_4arch9wavefront6targetE1EEEvSW_,comdat
.Lfunc_end917:
	.size	_ZN7rocprim17ROCPRIM_400000_NS6detail17trampoline_kernelINS0_14default_configENS1_22reduce_config_selectorIlEEZNS1_11reduce_implILb1ES3_N6thrust23THRUST_200600_302600_NS11hip_rocprim26transform_input_iterator_tIlNS8_12zip_iteratorINS8_5tupleINS8_6detail15normal_iteratorINS8_10device_ptrItEEEESH_NS8_9null_typeESI_SI_SI_SI_SI_SI_SI_EEEENS9_21zip_adj_not_predicateI22is_equal_div_10_uniqueItEEEEEPllNS8_4plusIlEEEE10hipError_tPvRmT1_T2_T3_mT4_P12ihipStream_tbEUlT_E1_NS1_11comp_targetILNS1_3genE3ELNS1_11target_archE908ELNS1_3gpuE7ELNS1_3repE0EEENS1_30default_config_static_selectorELNS0_4arch9wavefront6targetE1EEEvSW_, .Lfunc_end917-_ZN7rocprim17ROCPRIM_400000_NS6detail17trampoline_kernelINS0_14default_configENS1_22reduce_config_selectorIlEEZNS1_11reduce_implILb1ES3_N6thrust23THRUST_200600_302600_NS11hip_rocprim26transform_input_iterator_tIlNS8_12zip_iteratorINS8_5tupleINS8_6detail15normal_iteratorINS8_10device_ptrItEEEESH_NS8_9null_typeESI_SI_SI_SI_SI_SI_SI_EEEENS9_21zip_adj_not_predicateI22is_equal_div_10_uniqueItEEEEEPllNS8_4plusIlEEEE10hipError_tPvRmT1_T2_T3_mT4_P12ihipStream_tbEUlT_E1_NS1_11comp_targetILNS1_3genE3ELNS1_11target_archE908ELNS1_3gpuE7ELNS1_3repE0EEENS1_30default_config_static_selectorELNS0_4arch9wavefront6targetE1EEEvSW_
                                        ; -- End function
	.set _ZN7rocprim17ROCPRIM_400000_NS6detail17trampoline_kernelINS0_14default_configENS1_22reduce_config_selectorIlEEZNS1_11reduce_implILb1ES3_N6thrust23THRUST_200600_302600_NS11hip_rocprim26transform_input_iterator_tIlNS8_12zip_iteratorINS8_5tupleINS8_6detail15normal_iteratorINS8_10device_ptrItEEEESH_NS8_9null_typeESI_SI_SI_SI_SI_SI_SI_EEEENS9_21zip_adj_not_predicateI22is_equal_div_10_uniqueItEEEEEPllNS8_4plusIlEEEE10hipError_tPvRmT1_T2_T3_mT4_P12ihipStream_tbEUlT_E1_NS1_11comp_targetILNS1_3genE3ELNS1_11target_archE908ELNS1_3gpuE7ELNS1_3repE0EEENS1_30default_config_static_selectorELNS0_4arch9wavefront6targetE1EEEvSW_.num_vgpr, 0
	.set _ZN7rocprim17ROCPRIM_400000_NS6detail17trampoline_kernelINS0_14default_configENS1_22reduce_config_selectorIlEEZNS1_11reduce_implILb1ES3_N6thrust23THRUST_200600_302600_NS11hip_rocprim26transform_input_iterator_tIlNS8_12zip_iteratorINS8_5tupleINS8_6detail15normal_iteratorINS8_10device_ptrItEEEESH_NS8_9null_typeESI_SI_SI_SI_SI_SI_SI_EEEENS9_21zip_adj_not_predicateI22is_equal_div_10_uniqueItEEEEEPllNS8_4plusIlEEEE10hipError_tPvRmT1_T2_T3_mT4_P12ihipStream_tbEUlT_E1_NS1_11comp_targetILNS1_3genE3ELNS1_11target_archE908ELNS1_3gpuE7ELNS1_3repE0EEENS1_30default_config_static_selectorELNS0_4arch9wavefront6targetE1EEEvSW_.num_agpr, 0
	.set _ZN7rocprim17ROCPRIM_400000_NS6detail17trampoline_kernelINS0_14default_configENS1_22reduce_config_selectorIlEEZNS1_11reduce_implILb1ES3_N6thrust23THRUST_200600_302600_NS11hip_rocprim26transform_input_iterator_tIlNS8_12zip_iteratorINS8_5tupleINS8_6detail15normal_iteratorINS8_10device_ptrItEEEESH_NS8_9null_typeESI_SI_SI_SI_SI_SI_SI_EEEENS9_21zip_adj_not_predicateI22is_equal_div_10_uniqueItEEEEEPllNS8_4plusIlEEEE10hipError_tPvRmT1_T2_T3_mT4_P12ihipStream_tbEUlT_E1_NS1_11comp_targetILNS1_3genE3ELNS1_11target_archE908ELNS1_3gpuE7ELNS1_3repE0EEENS1_30default_config_static_selectorELNS0_4arch9wavefront6targetE1EEEvSW_.numbered_sgpr, 0
	.set _ZN7rocprim17ROCPRIM_400000_NS6detail17trampoline_kernelINS0_14default_configENS1_22reduce_config_selectorIlEEZNS1_11reduce_implILb1ES3_N6thrust23THRUST_200600_302600_NS11hip_rocprim26transform_input_iterator_tIlNS8_12zip_iteratorINS8_5tupleINS8_6detail15normal_iteratorINS8_10device_ptrItEEEESH_NS8_9null_typeESI_SI_SI_SI_SI_SI_SI_EEEENS9_21zip_adj_not_predicateI22is_equal_div_10_uniqueItEEEEEPllNS8_4plusIlEEEE10hipError_tPvRmT1_T2_T3_mT4_P12ihipStream_tbEUlT_E1_NS1_11comp_targetILNS1_3genE3ELNS1_11target_archE908ELNS1_3gpuE7ELNS1_3repE0EEENS1_30default_config_static_selectorELNS0_4arch9wavefront6targetE1EEEvSW_.num_named_barrier, 0
	.set _ZN7rocprim17ROCPRIM_400000_NS6detail17trampoline_kernelINS0_14default_configENS1_22reduce_config_selectorIlEEZNS1_11reduce_implILb1ES3_N6thrust23THRUST_200600_302600_NS11hip_rocprim26transform_input_iterator_tIlNS8_12zip_iteratorINS8_5tupleINS8_6detail15normal_iteratorINS8_10device_ptrItEEEESH_NS8_9null_typeESI_SI_SI_SI_SI_SI_SI_EEEENS9_21zip_adj_not_predicateI22is_equal_div_10_uniqueItEEEEEPllNS8_4plusIlEEEE10hipError_tPvRmT1_T2_T3_mT4_P12ihipStream_tbEUlT_E1_NS1_11comp_targetILNS1_3genE3ELNS1_11target_archE908ELNS1_3gpuE7ELNS1_3repE0EEENS1_30default_config_static_selectorELNS0_4arch9wavefront6targetE1EEEvSW_.private_seg_size, 0
	.set _ZN7rocprim17ROCPRIM_400000_NS6detail17trampoline_kernelINS0_14default_configENS1_22reduce_config_selectorIlEEZNS1_11reduce_implILb1ES3_N6thrust23THRUST_200600_302600_NS11hip_rocprim26transform_input_iterator_tIlNS8_12zip_iteratorINS8_5tupleINS8_6detail15normal_iteratorINS8_10device_ptrItEEEESH_NS8_9null_typeESI_SI_SI_SI_SI_SI_SI_EEEENS9_21zip_adj_not_predicateI22is_equal_div_10_uniqueItEEEEEPllNS8_4plusIlEEEE10hipError_tPvRmT1_T2_T3_mT4_P12ihipStream_tbEUlT_E1_NS1_11comp_targetILNS1_3genE3ELNS1_11target_archE908ELNS1_3gpuE7ELNS1_3repE0EEENS1_30default_config_static_selectorELNS0_4arch9wavefront6targetE1EEEvSW_.uses_vcc, 0
	.set _ZN7rocprim17ROCPRIM_400000_NS6detail17trampoline_kernelINS0_14default_configENS1_22reduce_config_selectorIlEEZNS1_11reduce_implILb1ES3_N6thrust23THRUST_200600_302600_NS11hip_rocprim26transform_input_iterator_tIlNS8_12zip_iteratorINS8_5tupleINS8_6detail15normal_iteratorINS8_10device_ptrItEEEESH_NS8_9null_typeESI_SI_SI_SI_SI_SI_SI_EEEENS9_21zip_adj_not_predicateI22is_equal_div_10_uniqueItEEEEEPllNS8_4plusIlEEEE10hipError_tPvRmT1_T2_T3_mT4_P12ihipStream_tbEUlT_E1_NS1_11comp_targetILNS1_3genE3ELNS1_11target_archE908ELNS1_3gpuE7ELNS1_3repE0EEENS1_30default_config_static_selectorELNS0_4arch9wavefront6targetE1EEEvSW_.uses_flat_scratch, 0
	.set _ZN7rocprim17ROCPRIM_400000_NS6detail17trampoline_kernelINS0_14default_configENS1_22reduce_config_selectorIlEEZNS1_11reduce_implILb1ES3_N6thrust23THRUST_200600_302600_NS11hip_rocprim26transform_input_iterator_tIlNS8_12zip_iteratorINS8_5tupleINS8_6detail15normal_iteratorINS8_10device_ptrItEEEESH_NS8_9null_typeESI_SI_SI_SI_SI_SI_SI_EEEENS9_21zip_adj_not_predicateI22is_equal_div_10_uniqueItEEEEEPllNS8_4plusIlEEEE10hipError_tPvRmT1_T2_T3_mT4_P12ihipStream_tbEUlT_E1_NS1_11comp_targetILNS1_3genE3ELNS1_11target_archE908ELNS1_3gpuE7ELNS1_3repE0EEENS1_30default_config_static_selectorELNS0_4arch9wavefront6targetE1EEEvSW_.has_dyn_sized_stack, 0
	.set _ZN7rocprim17ROCPRIM_400000_NS6detail17trampoline_kernelINS0_14default_configENS1_22reduce_config_selectorIlEEZNS1_11reduce_implILb1ES3_N6thrust23THRUST_200600_302600_NS11hip_rocprim26transform_input_iterator_tIlNS8_12zip_iteratorINS8_5tupleINS8_6detail15normal_iteratorINS8_10device_ptrItEEEESH_NS8_9null_typeESI_SI_SI_SI_SI_SI_SI_EEEENS9_21zip_adj_not_predicateI22is_equal_div_10_uniqueItEEEEEPllNS8_4plusIlEEEE10hipError_tPvRmT1_T2_T3_mT4_P12ihipStream_tbEUlT_E1_NS1_11comp_targetILNS1_3genE3ELNS1_11target_archE908ELNS1_3gpuE7ELNS1_3repE0EEENS1_30default_config_static_selectorELNS0_4arch9wavefront6targetE1EEEvSW_.has_recursion, 0
	.set _ZN7rocprim17ROCPRIM_400000_NS6detail17trampoline_kernelINS0_14default_configENS1_22reduce_config_selectorIlEEZNS1_11reduce_implILb1ES3_N6thrust23THRUST_200600_302600_NS11hip_rocprim26transform_input_iterator_tIlNS8_12zip_iteratorINS8_5tupleINS8_6detail15normal_iteratorINS8_10device_ptrItEEEESH_NS8_9null_typeESI_SI_SI_SI_SI_SI_SI_EEEENS9_21zip_adj_not_predicateI22is_equal_div_10_uniqueItEEEEEPllNS8_4plusIlEEEE10hipError_tPvRmT1_T2_T3_mT4_P12ihipStream_tbEUlT_E1_NS1_11comp_targetILNS1_3genE3ELNS1_11target_archE908ELNS1_3gpuE7ELNS1_3repE0EEENS1_30default_config_static_selectorELNS0_4arch9wavefront6targetE1EEEvSW_.has_indirect_call, 0
	.section	.AMDGPU.csdata,"",@progbits
; Kernel info:
; codeLenInByte = 0
; TotalNumSgprs: 4
; NumVgprs: 0
; ScratchSize: 0
; MemoryBound: 0
; FloatMode: 240
; IeeeMode: 1
; LDSByteSize: 0 bytes/workgroup (compile time only)
; SGPRBlocks: 0
; VGPRBlocks: 0
; NumSGPRsForWavesPerEU: 4
; NumVGPRsForWavesPerEU: 1
; Occupancy: 10
; WaveLimiterHint : 0
; COMPUTE_PGM_RSRC2:SCRATCH_EN: 0
; COMPUTE_PGM_RSRC2:USER_SGPR: 6
; COMPUTE_PGM_RSRC2:TRAP_HANDLER: 0
; COMPUTE_PGM_RSRC2:TGID_X_EN: 1
; COMPUTE_PGM_RSRC2:TGID_Y_EN: 0
; COMPUTE_PGM_RSRC2:TGID_Z_EN: 0
; COMPUTE_PGM_RSRC2:TIDIG_COMP_CNT: 0
	.section	.text._ZN7rocprim17ROCPRIM_400000_NS6detail17trampoline_kernelINS0_14default_configENS1_22reduce_config_selectorIlEEZNS1_11reduce_implILb1ES3_N6thrust23THRUST_200600_302600_NS11hip_rocprim26transform_input_iterator_tIlNS8_12zip_iteratorINS8_5tupleINS8_6detail15normal_iteratorINS8_10device_ptrItEEEESH_NS8_9null_typeESI_SI_SI_SI_SI_SI_SI_EEEENS9_21zip_adj_not_predicateI22is_equal_div_10_uniqueItEEEEEPllNS8_4plusIlEEEE10hipError_tPvRmT1_T2_T3_mT4_P12ihipStream_tbEUlT_E1_NS1_11comp_targetILNS1_3genE2ELNS1_11target_archE906ELNS1_3gpuE6ELNS1_3repE0EEENS1_30default_config_static_selectorELNS0_4arch9wavefront6targetE1EEEvSW_,"axG",@progbits,_ZN7rocprim17ROCPRIM_400000_NS6detail17trampoline_kernelINS0_14default_configENS1_22reduce_config_selectorIlEEZNS1_11reduce_implILb1ES3_N6thrust23THRUST_200600_302600_NS11hip_rocprim26transform_input_iterator_tIlNS8_12zip_iteratorINS8_5tupleINS8_6detail15normal_iteratorINS8_10device_ptrItEEEESH_NS8_9null_typeESI_SI_SI_SI_SI_SI_SI_EEEENS9_21zip_adj_not_predicateI22is_equal_div_10_uniqueItEEEEEPllNS8_4plusIlEEEE10hipError_tPvRmT1_T2_T3_mT4_P12ihipStream_tbEUlT_E1_NS1_11comp_targetILNS1_3genE2ELNS1_11target_archE906ELNS1_3gpuE6ELNS1_3repE0EEENS1_30default_config_static_selectorELNS0_4arch9wavefront6targetE1EEEvSW_,comdat
	.protected	_ZN7rocprim17ROCPRIM_400000_NS6detail17trampoline_kernelINS0_14default_configENS1_22reduce_config_selectorIlEEZNS1_11reduce_implILb1ES3_N6thrust23THRUST_200600_302600_NS11hip_rocprim26transform_input_iterator_tIlNS8_12zip_iteratorINS8_5tupleINS8_6detail15normal_iteratorINS8_10device_ptrItEEEESH_NS8_9null_typeESI_SI_SI_SI_SI_SI_SI_EEEENS9_21zip_adj_not_predicateI22is_equal_div_10_uniqueItEEEEEPllNS8_4plusIlEEEE10hipError_tPvRmT1_T2_T3_mT4_P12ihipStream_tbEUlT_E1_NS1_11comp_targetILNS1_3genE2ELNS1_11target_archE906ELNS1_3gpuE6ELNS1_3repE0EEENS1_30default_config_static_selectorELNS0_4arch9wavefront6targetE1EEEvSW_ ; -- Begin function _ZN7rocprim17ROCPRIM_400000_NS6detail17trampoline_kernelINS0_14default_configENS1_22reduce_config_selectorIlEEZNS1_11reduce_implILb1ES3_N6thrust23THRUST_200600_302600_NS11hip_rocprim26transform_input_iterator_tIlNS8_12zip_iteratorINS8_5tupleINS8_6detail15normal_iteratorINS8_10device_ptrItEEEESH_NS8_9null_typeESI_SI_SI_SI_SI_SI_SI_EEEENS9_21zip_adj_not_predicateI22is_equal_div_10_uniqueItEEEEEPllNS8_4plusIlEEEE10hipError_tPvRmT1_T2_T3_mT4_P12ihipStream_tbEUlT_E1_NS1_11comp_targetILNS1_3genE2ELNS1_11target_archE906ELNS1_3gpuE6ELNS1_3repE0EEENS1_30default_config_static_selectorELNS0_4arch9wavefront6targetE1EEEvSW_
	.globl	_ZN7rocprim17ROCPRIM_400000_NS6detail17trampoline_kernelINS0_14default_configENS1_22reduce_config_selectorIlEEZNS1_11reduce_implILb1ES3_N6thrust23THRUST_200600_302600_NS11hip_rocprim26transform_input_iterator_tIlNS8_12zip_iteratorINS8_5tupleINS8_6detail15normal_iteratorINS8_10device_ptrItEEEESH_NS8_9null_typeESI_SI_SI_SI_SI_SI_SI_EEEENS9_21zip_adj_not_predicateI22is_equal_div_10_uniqueItEEEEEPllNS8_4plusIlEEEE10hipError_tPvRmT1_T2_T3_mT4_P12ihipStream_tbEUlT_E1_NS1_11comp_targetILNS1_3genE2ELNS1_11target_archE906ELNS1_3gpuE6ELNS1_3repE0EEENS1_30default_config_static_selectorELNS0_4arch9wavefront6targetE1EEEvSW_
	.p2align	8
	.type	_ZN7rocprim17ROCPRIM_400000_NS6detail17trampoline_kernelINS0_14default_configENS1_22reduce_config_selectorIlEEZNS1_11reduce_implILb1ES3_N6thrust23THRUST_200600_302600_NS11hip_rocprim26transform_input_iterator_tIlNS8_12zip_iteratorINS8_5tupleINS8_6detail15normal_iteratorINS8_10device_ptrItEEEESH_NS8_9null_typeESI_SI_SI_SI_SI_SI_SI_EEEENS9_21zip_adj_not_predicateI22is_equal_div_10_uniqueItEEEEEPllNS8_4plusIlEEEE10hipError_tPvRmT1_T2_T3_mT4_P12ihipStream_tbEUlT_E1_NS1_11comp_targetILNS1_3genE2ELNS1_11target_archE906ELNS1_3gpuE6ELNS1_3repE0EEENS1_30default_config_static_selectorELNS0_4arch9wavefront6targetE1EEEvSW_,@function
_ZN7rocprim17ROCPRIM_400000_NS6detail17trampoline_kernelINS0_14default_configENS1_22reduce_config_selectorIlEEZNS1_11reduce_implILb1ES3_N6thrust23THRUST_200600_302600_NS11hip_rocprim26transform_input_iterator_tIlNS8_12zip_iteratorINS8_5tupleINS8_6detail15normal_iteratorINS8_10device_ptrItEEEESH_NS8_9null_typeESI_SI_SI_SI_SI_SI_SI_EEEENS9_21zip_adj_not_predicateI22is_equal_div_10_uniqueItEEEEEPllNS8_4plusIlEEEE10hipError_tPvRmT1_T2_T3_mT4_P12ihipStream_tbEUlT_E1_NS1_11comp_targetILNS1_3genE2ELNS1_11target_archE906ELNS1_3gpuE6ELNS1_3repE0EEENS1_30default_config_static_selectorELNS0_4arch9wavefront6targetE1EEEvSW_: ; @_ZN7rocprim17ROCPRIM_400000_NS6detail17trampoline_kernelINS0_14default_configENS1_22reduce_config_selectorIlEEZNS1_11reduce_implILb1ES3_N6thrust23THRUST_200600_302600_NS11hip_rocprim26transform_input_iterator_tIlNS8_12zip_iteratorINS8_5tupleINS8_6detail15normal_iteratorINS8_10device_ptrItEEEESH_NS8_9null_typeESI_SI_SI_SI_SI_SI_SI_EEEENS9_21zip_adj_not_predicateI22is_equal_div_10_uniqueItEEEEEPllNS8_4plusIlEEEE10hipError_tPvRmT1_T2_T3_mT4_P12ihipStream_tbEUlT_E1_NS1_11comp_targetILNS1_3genE2ELNS1_11target_archE906ELNS1_3gpuE6ELNS1_3repE0EEENS1_30default_config_static_selectorELNS0_4arch9wavefront6targetE1EEEvSW_
; %bb.0:
	s_load_dword s30, s[4:5], 0x4
	s_load_dwordx4 s[24:27], s[4:5], 0x8
	s_load_dwordx4 s[20:23], s[4:5], 0x20
	s_waitcnt lgkmcnt(0)
	s_cmp_lt_i32 s30, 4
	s_cbranch_scc1 .LBB918_10
; %bb.1:
	s_cmp_gt_i32 s30, 7
	s_cbranch_scc0 .LBB918_11
; %bb.2:
	s_cmp_gt_i32 s30, 15
	s_cbranch_scc0 .LBB918_12
; %bb.3:
	s_mov_b64 s[2:3], 0
	s_cmp_eq_u32 s30, 16
	s_mov_b64 s[0:1], 0
                                        ; implicit-def: $vgpr1_vgpr2
                                        ; implicit-def: $vgpr3_vgpr4
	s_cbranch_scc0 .LBB918_13
; %bb.4:
	s_mov_b32 s7, 0
	s_lshl_b32 s12, s6, 12
	s_mov_b32 s13, s7
	s_lshr_b64 s[0:1], s[20:21], 12
	s_lshl_b64 s[10:11], s[12:13], 1
	s_add_u32 s8, s24, s10
	s_addc_u32 s9, s25, s11
	s_add_u32 s10, s26, s10
	s_addc_u32 s11, s27, s11
	s_cmp_lg_u64 s[0:1], s[6:7]
	s_cbranch_scc0 .LBB918_21
; %bb.5:
	v_lshlrev_b32_e32 v1, 1, v0
	global_load_ushort v5, v1, s[8:9] offset:2048
	global_load_ushort v6, v1, s[10:11] offset:2048
	global_load_ushort v7, v1, s[8:9]
	global_load_ushort v8, v1, s[8:9] offset:512
	global_load_ushort v9, v1, s[8:9] offset:1024
	;; [unrolled: 1-line block ×6, first 2 shown]
	global_load_ushort v14, v1, s[10:11]
	global_load_ushort v15, v1, s[10:11] offset:512
	global_load_ushort v16, v1, s[10:11] offset:1024
	;; [unrolled: 1-line block ×6, first 2 shown]
	v_mov_b32_e32 v2, s9
	v_add_co_u32_e32 v4, vcc, s8, v1
	v_addc_co_u32_e32 v2, vcc, 0, v2, vcc
	v_mov_b32_e32 v3, s11
	v_add_co_u32_e32 v21, vcc, s10, v1
	s_movk_i32 s0, 0x1000
	v_addc_co_u32_e32 v22, vcc, 0, v3, vcc
	v_add_co_u32_e32 v1, vcc, s0, v4
	v_addc_co_u32_e32 v2, vcc, 0, v2, vcc
	global_load_ushort v23, v[1:2], off
	v_add_co_u32_e32 v3, vcc, s0, v21
	v_addc_co_u32_e32 v4, vcc, 0, v22, vcc
	global_load_ushort v21, v[3:4], off
	global_load_ushort v22, v[1:2], off offset:512
	global_load_ushort v24, v[3:4], off offset:512
	;; [unrolled: 1-line block ×9, first 2 shown]
	s_waitcnt vmcnt(26)
	v_mul_u32_u24_e32 v5, 0xcccd, v5
	s_waitcnt vmcnt(25)
	v_mul_u32_u24_e32 v6, 0xcccd, v6
	v_lshrrev_b32_e32 v5, 19, v5
	v_lshrrev_b32_e32 v6, 19, v6
	v_cmp_ne_u16_e32 vcc, v5, v6
	global_load_ushort v5, v[3:4], off offset:2560
	global_load_ushort v6, v[1:2], off offset:3072
	;; [unrolled: 1-line block ×5, first 2 shown]
	s_waitcnt vmcnt(29)
	v_mul_u32_u24_e32 v2, 0xcccd, v7
	s_waitcnt vmcnt(26)
	v_mul_u32_u24_e32 v10, 0xcccd, v10
	;; [unrolled: 2-line block ×5, first 2 shown]
	v_lshrrev_b32_e32 v13, 19, v13
	s_waitcnt vmcnt(19)
	v_mul_u32_u24_e32 v15, 0xcccd, v17
	v_lshrrev_b32_e32 v10, 19, v10
	v_lshrrev_b32_e32 v15, 19, v15
	s_waitcnt vmcnt(16)
	v_mul_u32_u24_e32 v14, 0xcccd, v20
	v_lshrrev_b32_e32 v14, 19, v14
	v_mul_u32_u24_e32 v11, 0xcccd, v11
	v_cmp_ne_u16_e64 s[0:1], v13, v14
	v_cndmask_b32_e64 v14, 0, 1, vcc
	v_cmp_ne_u16_e32 vcc, v10, v15
	v_mul_u32_u24_e32 v15, 0xcccd, v18
	v_lshrrev_b32_e32 v11, 19, v11
	v_lshrrev_b32_e32 v15, 19, v15
	v_cndmask_b32_e64 v10, 0, 1, vcc
	v_cmp_ne_u16_e32 vcc, v11, v15
	v_mul_u32_u24_e32 v12, 0xcccd, v12
	v_mul_u32_u24_e32 v15, 0xcccd, v19
	v_lshrrev_b32_e32 v12, 19, v12
	v_lshrrev_b32_e32 v15, 19, v15
	v_mul_u32_u24_e32 v4, 0xcccd, v8
	v_mul_u32_u24_e32 v8, 0xcccd, v9
	;; [unrolled: 1-line block ×3, first 2 shown]
	v_cndmask_b32_e64 v11, 0, 1, vcc
	v_cmp_ne_u16_e32 vcc, v12, v15
	s_waitcnt vmcnt(15)
	v_mul_u32_u24_e32 v15, 0xcccd, v23
	s_waitcnt vmcnt(14)
	v_mul_u32_u24_e32 v16, 0xcccd, v21
	v_lshrrev_b32_e32 v15, 19, v15
	v_lshrrev_b32_e32 v16, 19, v16
	v_cndmask_b32_e64 v12, 0, 1, vcc
	v_cmp_ne_u16_e32 vcc, v15, v16
	s_waitcnt vmcnt(13)
	v_mul_u32_u24_e32 v16, 0xcccd, v22
	s_waitcnt vmcnt(12)
	v_mul_u32_u24_e32 v17, 0xcccd, v24
	v_lshrrev_b32_e32 v16, 19, v16
	v_lshrrev_b32_e32 v17, 19, v17
	;; [unrolled: 8-line block ×5, first 2 shown]
	v_cndmask_b32_e64 v18, 0, 1, vcc
	v_cmp_ne_u16_e32 vcc, v19, v20
	s_waitcnt vmcnt(5)
	v_mul_u32_u24_e32 v20, 0xcccd, v31
	v_lshrrev_b32_e32 v20, 19, v20
	v_cndmask_b32_e64 v19, 0, 1, vcc
	v_lshrrev_b32_e32 v4, 19, v4
	v_lshrrev_b32_e32 v7, 19, v7
	;; [unrolled: 1-line block ×6, first 2 shown]
	v_cndmask_b32_e64 v13, 0, 1, s[0:1]
	v_mov_b32_e32 v1, 0
	s_waitcnt vmcnt(4)
	v_mul_u32_u24_e32 v5, 0xcccd, v5
	v_lshrrev_b32_e32 v5, 19, v5
	v_cmp_ne_u16_e32 vcc, v20, v5
	s_waitcnt vmcnt(3)
	v_mul_u32_u24_e32 v6, 0xcccd, v6
	s_waitcnt vmcnt(1)
	v_mul_u32_u24_e32 v20, 0xcccd, v33
	v_lshrrev_b32_e32 v6, 19, v6
	v_lshrrev_b32_e32 v20, 19, v20
	v_cndmask_b32_e64 v5, 0, 1, vcc
	v_cmp_ne_u16_e32 vcc, v6, v20
	v_mul_u32_u24_e32 v20, 0xcccd, v32
	s_waitcnt vmcnt(0)
	v_mul_u32_u24_e32 v21, 0xcccd, v34
	v_lshrrev_b32_e32 v20, 19, v20
	v_lshrrev_b32_e32 v21, 19, v21
	v_cndmask_b32_e64 v6, 0, 1, vcc
	v_cmp_ne_u16_e32 vcc, v20, v21
	v_cndmask_b32_e64 v20, 0, 1, vcc
	v_cmp_ne_u16_e32 vcc, v4, v7
	;; [unrolled: 2-line block ×4, first 2 shown]
	v_addc_co_u32_e32 v2, vcc, v4, v2, vcc
	v_add_co_u32_e32 v2, vcc, v2, v13
	v_addc_co_u32_e64 v3, s[0:1], 0, 0, vcc
	v_add_co_u32_e32 v2, vcc, v2, v14
	v_addc_co_u32_e32 v3, vcc, 0, v3, vcc
	v_add_co_u32_e32 v2, vcc, v2, v10
	v_addc_co_u32_e32 v3, vcc, 0, v3, vcc
	;; [unrolled: 2-line block ×12, first 2 shown]
	s_nop 0
	v_mov_b32_dpp v5, v2 quad_perm:[1,0,3,2] row_mask:0xf bank_mask:0xf bound_ctrl:1
	v_add_co_u32_e32 v2, vcc, v2, v5
	v_addc_co_u32_e32 v4, vcc, 0, v4, vcc
	v_mov_b32_dpp v1, v1 quad_perm:[1,0,3,2] row_mask:0xf bank_mask:0xf bound_ctrl:1
	v_add_co_u32_e32 v5, vcc, 0, v2
	v_addc_co_u32_e32 v1, vcc, v1, v4, vcc
	v_mov_b32_dpp v2, v2 quad_perm:[2,3,0,1] row_mask:0xf bank_mask:0xf bound_ctrl:1
	v_add_co_u32_e32 v2, vcc, v5, v2
	v_mov_b32_dpp v4, v1 quad_perm:[2,3,0,1] row_mask:0xf bank_mask:0xf bound_ctrl:1
	v_addc_co_u32_e32 v1, vcc, 0, v1, vcc
	v_add_co_u32_e32 v5, vcc, 0, v2
	v_addc_co_u32_e32 v1, vcc, v1, v4, vcc
	v_mov_b32_dpp v2, v2 row_ror:4 row_mask:0xf bank_mask:0xf bound_ctrl:1
	v_add_co_u32_e32 v2, vcc, v5, v2
	v_mov_b32_dpp v4, v1 row_ror:4 row_mask:0xf bank_mask:0xf bound_ctrl:1
	v_addc_co_u32_e32 v1, vcc, 0, v1, vcc
	v_add_co_u32_e32 v5, vcc, 0, v2
	v_addc_co_u32_e32 v1, vcc, v1, v4, vcc
	v_mov_b32_dpp v2, v2 row_ror:8 row_mask:0xf bank_mask:0xf bound_ctrl:1
	v_add_co_u32_e32 v2, vcc, v5, v2
	v_mov_b32_dpp v4, v1 row_ror:8 row_mask:0xf bank_mask:0xf bound_ctrl:1
	v_addc_co_u32_e32 v1, vcc, 0, v1, vcc
	v_add_co_u32_e32 v5, vcc, 0, v2
	v_addc_co_u32_e32 v1, vcc, v1, v4, vcc
	v_mov_b32_dpp v2, v2 row_bcast:15 row_mask:0xf bank_mask:0xf bound_ctrl:1
	v_add_co_u32_e32 v2, vcc, v5, v2
	v_mov_b32_dpp v4, v1 row_bcast:15 row_mask:0xf bank_mask:0xf bound_ctrl:1
	v_addc_co_u32_e32 v1, vcc, 0, v1, vcc
	v_add_co_u32_e32 v5, vcc, 0, v2
	v_addc_co_u32_e32 v1, vcc, v1, v4, vcc
	v_mov_b32_dpp v2, v2 row_bcast:31 row_mask:0xf bank_mask:0xf bound_ctrl:1
	v_mbcnt_lo_u32_b32 v3, -1, 0
	v_add_co_u32_e32 v2, vcc, v5, v2
	v_mbcnt_hi_u32_b32 v3, -1, v3
	v_addc_co_u32_e32 v4, vcc, 0, v1, vcc
	v_cmp_eq_u32_e32 vcc, 0, v3
	s_nop 0
	v_add_u32_dpp v5, v1, v4 row_bcast:31 row_mask:0xf bank_mask:0xf bound_ctrl:1
	v_lshlrev_b32_e32 v4, 2, v3
	v_or_b32_e32 v6, 0xfc, v4
	ds_bpermute_b32 v1, v6, v2
	ds_bpermute_b32 v2, v6, v5
	s_and_saveexec_b64 s[0:1], vcc
	s_cbranch_execz .LBB918_7
; %bb.6:
	v_lshrrev_b32_e32 v5, 3, v0
	v_and_b32_e32 v5, 24, v5
	s_waitcnt lgkmcnt(0)
	ds_write_b64 v5, v[1:2]
.LBB918_7:
	s_or_b64 exec, exec, s[0:1]
	v_cmp_gt_u32_e32 vcc, 64, v0
	s_waitcnt lgkmcnt(0)
	s_barrier
	s_and_saveexec_b64 s[0:1], vcc
	s_cbranch_execz .LBB918_9
; %bb.8:
	v_and_b32_e32 v5, 3, v3
	v_lshlrev_b32_e32 v1, 3, v5
	ds_read_b64 v[1:2], v1
	v_cmp_ne_u32_e32 vcc, 3, v5
	v_addc_co_u32_e32 v3, vcc, 0, v3, vcc
	v_lshlrev_b32_e32 v3, 2, v3
	s_waitcnt lgkmcnt(0)
	ds_bpermute_b32 v5, v3, v1
	ds_bpermute_b32 v3, v3, v2
	v_or_b32_e32 v4, 8, v4
	s_waitcnt lgkmcnt(1)
	v_add_co_u32_e32 v1, vcc, v1, v5
	v_addc_co_u32_e32 v2, vcc, 0, v2, vcc
	ds_bpermute_b32 v5, v4, v1
	v_add_co_u32_e32 v1, vcc, 0, v1
	s_waitcnt lgkmcnt(1)
	v_addc_co_u32_e32 v2, vcc, v3, v2, vcc
	ds_bpermute_b32 v3, v4, v2
	s_waitcnt lgkmcnt(1)
	v_add_co_u32_e32 v1, vcc, v1, v5
	v_addc_co_u32_e32 v2, vcc, 0, v2, vcc
	v_add_co_u32_e32 v1, vcc, 0, v1
	s_waitcnt lgkmcnt(0)
	v_addc_co_u32_e32 v2, vcc, v2, v3, vcc
.LBB918_9:
	s_or_b64 exec, exec, s[0:1]
	s_mov_b64 s[0:1], 0
	s_branch .LBB918_22
.LBB918_10:
	s_mov_b64 s[0:1], 0
                                        ; implicit-def: $vgpr1_vgpr2
                                        ; implicit-def: $vgpr3_vgpr4
	s_cbranch_execnz .LBB918_145
	s_branch .LBB918_206
.LBB918_11:
	s_mov_b64 s[0:1], 0
                                        ; implicit-def: $vgpr1_vgpr2
                                        ; implicit-def: $vgpr3_vgpr4
	s_cbranch_execnz .LBB918_110
	s_branch .LBB918_144
.LBB918_12:
	s_mov_b64 s[2:3], -1
	s_mov_b64 s[0:1], 0
                                        ; implicit-def: $vgpr1_vgpr2
                                        ; implicit-def: $vgpr3_vgpr4
.LBB918_13:
	s_and_b64 vcc, exec, s[2:3]
	s_cbranch_vccz .LBB918_109
.LBB918_14:
	s_cmp_eq_u32 s30, 8
                                        ; implicit-def: $vgpr1_vgpr2
                                        ; implicit-def: $vgpr3_vgpr4
	s_cbranch_scc0 .LBB918_109
; %bb.15:
	s_mov_b32 s7, 0
	s_lshl_b32 s0, s6, 11
	s_mov_b32 s1, s7
	s_lshr_b64 s[2:3], s[20:21], 11
	s_lshl_b64 s[8:9], s[0:1], 1
	s_add_u32 s16, s24, s8
	s_addc_u32 s17, s25, s9
	s_add_u32 s18, s26, s8
	s_addc_u32 s19, s27, s9
	s_cmp_lg_u64 s[2:3], s[6:7]
	s_cbranch_scc0 .LBB918_73
; %bb.16:
	v_lshlrev_b32_e32 v1, 1, v0
	global_load_ushort v2, v1, s[16:17]
	global_load_ushort v4, v1, s[18:19]
	global_load_ushort v5, v1, s[16:17] offset:512
	global_load_ushort v6, v1, s[18:19] offset:512
	global_load_ushort v7, v1, s[16:17] offset:1024
	global_load_ushort v8, v1, s[18:19] offset:1024
	global_load_ushort v9, v1, s[16:17] offset:1536
	global_load_ushort v10, v1, s[18:19] offset:1536
	global_load_ushort v11, v1, s[16:17] offset:2048
	global_load_ushort v12, v1, s[18:19] offset:2048
	global_load_ushort v13, v1, s[16:17] offset:2560
	global_load_ushort v14, v1, s[18:19] offset:2560
	global_load_ushort v15, v1, s[16:17] offset:3072
	global_load_ushort v16, v1, s[18:19] offset:3072
	global_load_ushort v17, v1, s[16:17] offset:3584
	s_nop 0
	global_load_ushort v1, v1, s[18:19] offset:3584
	v_mov_b32_e32 v18, 0
	v_mbcnt_lo_u32_b32 v3, -1, 0
	v_mbcnt_hi_u32_b32 v3, -1, v3
	v_mov_b32_dpp v18, v18 quad_perm:[1,0,3,2] row_mask:0xf bank_mask:0xf bound_ctrl:1
	s_waitcnt vmcnt(15)
	v_mul_u32_u24_e32 v2, 0xcccd, v2
	s_waitcnt vmcnt(14)
	v_mul_u32_u24_e32 v4, 0xcccd, v4
	;; [unrolled: 2-line block ×4, first 2 shown]
	v_lshrrev_b32_e32 v5, 19, v5
	v_lshrrev_b32_e32 v6, 19, v6
	s_waitcnt vmcnt(9)
	v_mul_u32_u24_e32 v9, 0xcccd, v9
	s_waitcnt vmcnt(8)
	v_mul_u32_u24_e32 v10, 0xcccd, v10
	;; [unrolled: 2-line block ×4, first 2 shown]
	v_lshrrev_b32_e32 v9, 19, v9
	v_lshrrev_b32_e32 v10, 19, v10
	s_waitcnt vmcnt(5)
	v_mul_u32_u24_e32 v13, 0xcccd, v13
	s_waitcnt vmcnt(4)
	v_mul_u32_u24_e32 v14, 0xcccd, v14
	v_lshrrev_b32_e32 v11, 19, v11
	v_lshrrev_b32_e32 v12, 19, v12
	v_cmp_ne_u16_e32 vcc, v9, v10
	s_waitcnt vmcnt(3)
	v_mul_u32_u24_e32 v15, 0xcccd, v15
	s_waitcnt vmcnt(2)
	v_mul_u32_u24_e32 v16, 0xcccd, v16
	v_lshrrev_b32_e32 v13, 19, v13
	v_lshrrev_b32_e32 v14, 19, v14
	v_cndmask_b32_e64 v9, 0, 1, vcc
	v_cmp_ne_u16_e32 vcc, v11, v12
	s_waitcnt vmcnt(1)
	v_mul_u32_u24_e32 v17, 0xcccd, v17
	s_waitcnt vmcnt(0)
	v_mul_u32_u24_e32 v1, 0xcccd, v1
	v_lshrrev_b32_e32 v15, 19, v15
	v_lshrrev_b32_e32 v16, 19, v16
	v_cndmask_b32_e64 v10, 0, 1, vcc
	v_cmp_ne_u16_e32 vcc, v13, v14
	v_lshrrev_b32_e32 v17, 19, v17
	v_lshrrev_b32_e32 v1, 19, v1
	v_cndmask_b32_e64 v11, 0, 1, vcc
	v_cmp_ne_u16_e32 vcc, v15, v16
	v_cndmask_b32_e64 v12, 0, 1, vcc
	v_cmp_ne_u16_e32 vcc, v17, v1
	v_mul_u32_u24_e32 v7, 0xcccd, v7
	v_mul_u32_u24_e32 v8, 0xcccd, v8
	v_lshrrev_b32_e32 v2, 19, v2
	v_lshrrev_b32_e32 v4, 19, v4
	v_cndmask_b32_e64 v1, 0, 1, vcc
	v_cmp_ne_u16_e32 vcc, v5, v6
	v_lshrrev_b32_e32 v7, 19, v7
	v_lshrrev_b32_e32 v8, 19, v8
	v_cndmask_b32_e64 v5, 0, 1, vcc
	v_cmp_ne_u16_e32 vcc, v2, v4
	v_cndmask_b32_e64 v2, 0, 1, vcc
	v_cmp_ne_u16_e32 vcc, v7, v8
	v_addc_co_u32_e32 v2, vcc, v5, v2, vcc
	v_add_co_u32_e32 v2, vcc, v2, v9
	v_addc_co_u32_e64 v4, s[2:3], 0, 0, vcc
	v_add_co_u32_e32 v2, vcc, v2, v10
	v_addc_co_u32_e32 v4, vcc, 0, v4, vcc
	v_add_co_u32_e32 v2, vcc, v2, v11
	v_addc_co_u32_e32 v4, vcc, 0, v4, vcc
	;; [unrolled: 2-line block ×4, first 2 shown]
	s_nop 0
	v_mov_b32_dpp v4, v1 quad_perm:[1,0,3,2] row_mask:0xf bank_mask:0xf bound_ctrl:1
	v_add_co_u32_e32 v1, vcc, v1, v4
	v_addc_co_u32_e32 v2, vcc, 0, v2, vcc
	v_add_co_u32_e32 v4, vcc, 0, v1
	v_addc_co_u32_e32 v2, vcc, v18, v2, vcc
	v_mov_b32_dpp v1, v1 quad_perm:[2,3,0,1] row_mask:0xf bank_mask:0xf bound_ctrl:1
	v_add_co_u32_e32 v1, vcc, v4, v1
	v_mov_b32_dpp v5, v2 quad_perm:[2,3,0,1] row_mask:0xf bank_mask:0xf bound_ctrl:1
	v_addc_co_u32_e32 v2, vcc, 0, v2, vcc
	v_add_co_u32_e32 v4, vcc, 0, v1
	v_addc_co_u32_e32 v2, vcc, v2, v5, vcc
	v_mov_b32_dpp v1, v1 row_ror:4 row_mask:0xf bank_mask:0xf bound_ctrl:1
	v_add_co_u32_e32 v1, vcc, v4, v1
	v_mov_b32_dpp v5, v2 row_ror:4 row_mask:0xf bank_mask:0xf bound_ctrl:1
	v_addc_co_u32_e32 v2, vcc, 0, v2, vcc
	v_add_co_u32_e32 v4, vcc, 0, v1
	v_addc_co_u32_e32 v2, vcc, v2, v5, vcc
	v_mov_b32_dpp v1, v1 row_ror:8 row_mask:0xf bank_mask:0xf bound_ctrl:1
	v_add_co_u32_e32 v1, vcc, v4, v1
	v_mov_b32_dpp v5, v2 row_ror:8 row_mask:0xf bank_mask:0xf bound_ctrl:1
	v_addc_co_u32_e32 v2, vcc, 0, v2, vcc
	v_add_co_u32_e32 v4, vcc, 0, v1
	v_addc_co_u32_e32 v2, vcc, v2, v5, vcc
	v_mov_b32_dpp v1, v1 row_bcast:15 row_mask:0xf bank_mask:0xf bound_ctrl:1
	v_add_co_u32_e32 v1, vcc, v4, v1
	v_mov_b32_dpp v5, v2 row_bcast:15 row_mask:0xf bank_mask:0xf bound_ctrl:1
	v_addc_co_u32_e32 v2, vcc, 0, v2, vcc
	v_add_co_u32_e32 v4, vcc, 0, v1
	v_addc_co_u32_e32 v2, vcc, v2, v5, vcc
	v_mov_b32_dpp v1, v1 row_bcast:31 row_mask:0xf bank_mask:0xf bound_ctrl:1
	v_add_co_u32_e32 v1, vcc, v4, v1
	v_addc_co_u32_e32 v4, vcc, 0, v2, vcc
	v_cmp_eq_u32_e32 vcc, 0, v3
	s_nop 0
	v_add_u32_dpp v2, v2, v4 row_bcast:31 row_mask:0xf bank_mask:0xf bound_ctrl:1
	v_lshlrev_b32_e32 v4, 2, v3
	v_or_b32_e32 v5, 0xfc, v4
	ds_bpermute_b32 v1, v5, v1
	ds_bpermute_b32 v2, v5, v2
	s_and_saveexec_b64 s[2:3], vcc
	s_cbranch_execz .LBB918_18
; %bb.17:
	v_lshrrev_b32_e32 v5, 3, v0
	v_and_b32_e32 v5, 24, v5
	s_waitcnt lgkmcnt(0)
	ds_write_b64 v5, v[1:2] offset:128
.LBB918_18:
	s_or_b64 exec, exec, s[2:3]
	v_cmp_gt_u32_e32 vcc, 64, v0
	s_waitcnt lgkmcnt(0)
	s_barrier
	s_and_saveexec_b64 s[2:3], vcc
	s_cbranch_execz .LBB918_20
; %bb.19:
	v_and_b32_e32 v5, 3, v3
	v_lshlrev_b32_e32 v1, 3, v5
	ds_read_b64 v[1:2], v1 offset:128
	v_cmp_ne_u32_e32 vcc, 3, v5
	v_addc_co_u32_e32 v3, vcc, 0, v3, vcc
	v_lshlrev_b32_e32 v3, 2, v3
	s_waitcnt lgkmcnt(0)
	ds_bpermute_b32 v5, v3, v1
	ds_bpermute_b32 v3, v3, v2
	v_or_b32_e32 v4, 8, v4
	s_waitcnt lgkmcnt(1)
	v_add_co_u32_e32 v1, vcc, v1, v5
	v_addc_co_u32_e32 v2, vcc, 0, v2, vcc
	ds_bpermute_b32 v5, v4, v1
	v_add_co_u32_e32 v1, vcc, 0, v1
	s_waitcnt lgkmcnt(1)
	v_addc_co_u32_e32 v2, vcc, v3, v2, vcc
	ds_bpermute_b32 v3, v4, v2
	s_waitcnt lgkmcnt(1)
	v_add_co_u32_e32 v1, vcc, v1, v5
	v_addc_co_u32_e32 v2, vcc, 0, v2, vcc
	v_add_co_u32_e32 v1, vcc, 0, v1
	s_waitcnt lgkmcnt(0)
	v_addc_co_u32_e32 v2, vcc, v2, v3, vcc
.LBB918_20:
	s_or_b64 exec, exec, s[2:3]
	s_mov_b64 s[2:3], 0
	s_branch .LBB918_74
.LBB918_21:
	s_mov_b64 s[0:1], -1
                                        ; implicit-def: $vgpr1_vgpr2
.LBB918_22:
	s_and_b64 vcc, exec, s[0:1]
	s_cbranch_vccz .LBB918_72
; %bb.23:
	s_sub_i32 s12, s20, s12
	v_cmp_gt_u32_e32 vcc, s12, v0
                                        ; implicit-def: $vgpr1_vgpr2
	s_and_saveexec_b64 s[0:1], vcc
	s_cbranch_execz .LBB918_25
; %bb.24:
	v_lshlrev_b32_e32 v1, 1, v0
	global_load_ushort v2, v1, s[8:9]
	global_load_ushort v3, v1, s[10:11]
	s_mov_b32 s13, 0
	s_waitcnt vmcnt(1)
	v_mul_u32_u24_e32 v1, 0xcccd, v2
	s_waitcnt vmcnt(0)
	v_mul_u32_u24_e32 v2, 0xcccd, v3
	v_lshrrev_b32_e32 v1, 19, v1
	v_lshrrev_b32_e32 v2, 19, v2
	v_cmp_ne_u16_e32 vcc, v1, v2
	v_cndmask_b32_e64 v1, 0, 1, vcc
	v_mov_b32_e32 v2, s13
.LBB918_25:
	s_or_b64 exec, exec, s[0:1]
	v_or_b32_e32 v7, 0x100, v0
	v_mov_b32_e32 v3, 0
	v_mov_b32_e32 v5, 0
	v_mov_b32_e32 v4, 0
	v_mov_b32_e32 v6, 0
	v_cmp_gt_u32_e32 vcc, s12, v7
	s_and_saveexec_b64 s[0:1], vcc
	s_cbranch_execz .LBB918_27
; %bb.26:
	v_lshlrev_b32_e32 v5, 1, v0
	global_load_ushort v6, v5, s[8:9] offset:512
	global_load_ushort v7, v5, s[10:11] offset:512
	s_mov_b32 s13, 0
	s_waitcnt vmcnt(1)
	v_mul_u32_u24_e32 v5, 0xcccd, v6
	s_waitcnt vmcnt(0)
	v_mul_u32_u24_e32 v6, 0xcccd, v7
	v_lshrrev_b32_e32 v5, 19, v5
	v_lshrrev_b32_e32 v6, 19, v6
	v_cmp_ne_u16_e32 vcc, v5, v6
	v_cndmask_b32_e64 v5, 0, 1, vcc
	v_mov_b32_e32 v6, s13
.LBB918_27:
	s_or_b64 exec, exec, s[0:1]
	v_or_b32_e32 v7, 0x200, v0
	v_cmp_gt_u32_e32 vcc, s12, v7
	s_and_saveexec_b64 s[0:1], vcc
	s_cbranch_execz .LBB918_29
; %bb.28:
	v_lshlrev_b32_e32 v3, 1, v0
	global_load_ushort v4, v3, s[8:9] offset:1024
	global_load_ushort v7, v3, s[10:11] offset:1024
	s_mov_b32 s13, 0
	s_waitcnt vmcnt(1)
	v_mul_u32_u24_e32 v3, 0xcccd, v4
	s_waitcnt vmcnt(0)
	v_mul_u32_u24_e32 v4, 0xcccd, v7
	v_lshrrev_b32_e32 v3, 19, v3
	v_lshrrev_b32_e32 v4, 19, v4
	v_cmp_ne_u16_e32 vcc, v3, v4
	v_cndmask_b32_e64 v3, 0, 1, vcc
	v_mov_b32_e32 v4, s13
.LBB918_29:
	s_or_b64 exec, exec, s[0:1]
	v_or_b32_e32 v11, 0x300, v0
	v_mov_b32_e32 v7, 0
	v_mov_b32_e32 v9, 0
	v_mov_b32_e32 v8, 0
	v_mov_b32_e32 v10, 0
	v_cmp_gt_u32_e32 vcc, s12, v11
	s_and_saveexec_b64 s[0:1], vcc
	s_cbranch_execz .LBB918_31
; %bb.30:
	v_lshlrev_b32_e32 v9, 1, v0
	global_load_ushort v10, v9, s[8:9] offset:1536
	global_load_ushort v11, v9, s[10:11] offset:1536
	s_mov_b32 s13, 0
	s_waitcnt vmcnt(1)
	v_mul_u32_u24_e32 v9, 0xcccd, v10
	s_waitcnt vmcnt(0)
	v_mul_u32_u24_e32 v10, 0xcccd, v11
	v_lshrrev_b32_e32 v9, 19, v9
	v_lshrrev_b32_e32 v10, 19, v10
	v_cmp_ne_u16_e32 vcc, v9, v10
	v_cndmask_b32_e64 v9, 0, 1, vcc
	v_mov_b32_e32 v10, s13
.LBB918_31:
	s_or_b64 exec, exec, s[0:1]
	v_or_b32_e32 v11, 0x400, v0
	v_cmp_gt_u32_e32 vcc, s12, v11
	s_and_saveexec_b64 s[0:1], vcc
	s_cbranch_execz .LBB918_33
; %bb.32:
	v_lshlrev_b32_e32 v7, 1, v0
	global_load_ushort v8, v7, s[8:9] offset:2048
	global_load_ushort v11, v7, s[10:11] offset:2048
	s_mov_b32 s13, 0
	s_waitcnt vmcnt(1)
	v_mul_u32_u24_e32 v7, 0xcccd, v8
	s_waitcnt vmcnt(0)
	v_mul_u32_u24_e32 v8, 0xcccd, v11
	v_lshrrev_b32_e32 v7, 19, v7
	v_lshrrev_b32_e32 v8, 19, v8
	v_cmp_ne_u16_e32 vcc, v7, v8
	v_cndmask_b32_e64 v7, 0, 1, vcc
	v_mov_b32_e32 v8, s13
.LBB918_33:
	s_or_b64 exec, exec, s[0:1]
	v_or_b32_e32 v15, 0x500, v0
	v_mov_b32_e32 v11, 0
	v_mov_b32_e32 v13, 0
	v_mov_b32_e32 v12, 0
	v_mov_b32_e32 v14, 0
	v_cmp_gt_u32_e32 vcc, s12, v15
	s_and_saveexec_b64 s[0:1], vcc
	s_cbranch_execz .LBB918_35
; %bb.34:
	v_lshlrev_b32_e32 v13, 1, v0
	global_load_ushort v14, v13, s[8:9] offset:2560
	global_load_ushort v15, v13, s[10:11] offset:2560
	s_mov_b32 s13, 0
	s_waitcnt vmcnt(1)
	v_mul_u32_u24_e32 v13, 0xcccd, v14
	s_waitcnt vmcnt(0)
	v_mul_u32_u24_e32 v14, 0xcccd, v15
	v_lshrrev_b32_e32 v13, 19, v13
	v_lshrrev_b32_e32 v14, 19, v14
	v_cmp_ne_u16_e32 vcc, v13, v14
	v_cndmask_b32_e64 v13, 0, 1, vcc
	v_mov_b32_e32 v14, s13
.LBB918_35:
	s_or_b64 exec, exec, s[0:1]
	v_or_b32_e32 v15, 0x600, v0
	v_cmp_gt_u32_e32 vcc, s12, v15
	s_and_saveexec_b64 s[0:1], vcc
	s_cbranch_execz .LBB918_37
; %bb.36:
	v_lshlrev_b32_e32 v11, 1, v0
	global_load_ushort v12, v11, s[8:9] offset:3072
	global_load_ushort v15, v11, s[10:11] offset:3072
	s_mov_b32 s13, 0
	s_waitcnt vmcnt(1)
	v_mul_u32_u24_e32 v11, 0xcccd, v12
	s_waitcnt vmcnt(0)
	v_mul_u32_u24_e32 v12, 0xcccd, v15
	v_lshrrev_b32_e32 v11, 19, v11
	v_lshrrev_b32_e32 v12, 19, v12
	v_cmp_ne_u16_e32 vcc, v11, v12
	v_cndmask_b32_e64 v11, 0, 1, vcc
	v_mov_b32_e32 v12, s13
.LBB918_37:
	s_or_b64 exec, exec, s[0:1]
	v_or_b32_e32 v19, 0x700, v0
	v_mov_b32_e32 v15, 0
	v_mov_b32_e32 v17, 0
	;; [unrolled: 1-line block ×4, first 2 shown]
	v_cmp_gt_u32_e32 vcc, s12, v19
	s_and_saveexec_b64 s[0:1], vcc
	s_cbranch_execz .LBB918_39
; %bb.38:
	v_lshlrev_b32_e32 v17, 1, v0
	global_load_ushort v18, v17, s[8:9] offset:3584
	global_load_ushort v19, v17, s[10:11] offset:3584
	s_mov_b32 s13, 0
	s_waitcnt vmcnt(1)
	v_mul_u32_u24_e32 v17, 0xcccd, v18
	s_waitcnt vmcnt(0)
	v_mul_u32_u24_e32 v18, 0xcccd, v19
	v_lshrrev_b32_e32 v17, 19, v17
	v_lshrrev_b32_e32 v18, 19, v18
	v_cmp_ne_u16_e32 vcc, v17, v18
	v_cndmask_b32_e64 v17, 0, 1, vcc
	v_mov_b32_e32 v18, s13
.LBB918_39:
	s_or_b64 exec, exec, s[0:1]
	v_or_b32_e32 v19, 0x800, v0
	v_cmp_gt_u32_e32 vcc, s12, v19
	s_and_saveexec_b64 s[0:1], vcc
	s_cbranch_execz .LBB918_41
; %bb.40:
	v_lshlrev_b32_e32 v15, 1, v19
	global_load_ushort v16, v15, s[8:9]
	global_load_ushort v19, v15, s[10:11]
	s_mov_b32 s13, 0
	s_waitcnt vmcnt(1)
	v_mul_u32_u24_e32 v15, 0xcccd, v16
	s_waitcnt vmcnt(0)
	v_mul_u32_u24_e32 v16, 0xcccd, v19
	v_lshrrev_b32_e32 v15, 19, v15
	v_lshrrev_b32_e32 v16, 19, v16
	v_cmp_ne_u16_e32 vcc, v15, v16
	v_cndmask_b32_e64 v15, 0, 1, vcc
	v_mov_b32_e32 v16, s13
.LBB918_41:
	s_or_b64 exec, exec, s[0:1]
	v_or_b32_e32 v23, 0x900, v0
	v_mov_b32_e32 v19, 0
	v_mov_b32_e32 v21, 0
	v_mov_b32_e32 v20, 0
	v_mov_b32_e32 v22, 0
	v_cmp_gt_u32_e32 vcc, s12, v23
	s_and_saveexec_b64 s[0:1], vcc
	s_cbranch_execz .LBB918_43
; %bb.42:
	v_lshlrev_b32_e32 v21, 1, v23
	global_load_ushort v22, v21, s[8:9]
	global_load_ushort v23, v21, s[10:11]
	s_mov_b32 s13, 0
	s_waitcnt vmcnt(1)
	v_mul_u32_u24_e32 v21, 0xcccd, v22
	s_waitcnt vmcnt(0)
	v_mul_u32_u24_e32 v22, 0xcccd, v23
	v_lshrrev_b32_e32 v21, 19, v21
	v_lshrrev_b32_e32 v22, 19, v22
	v_cmp_ne_u16_e32 vcc, v21, v22
	v_cndmask_b32_e64 v21, 0, 1, vcc
	v_mov_b32_e32 v22, s13
.LBB918_43:
	s_or_b64 exec, exec, s[0:1]
	v_or_b32_e32 v23, 0xa00, v0
	v_cmp_gt_u32_e32 vcc, s12, v23
	s_and_saveexec_b64 s[0:1], vcc
	s_cbranch_execz .LBB918_45
; %bb.44:
	v_lshlrev_b32_e32 v19, 1, v23
	global_load_ushort v20, v19, s[8:9]
	global_load_ushort v23, v19, s[10:11]
	s_mov_b32 s13, 0
	s_waitcnt vmcnt(1)
	v_mul_u32_u24_e32 v19, 0xcccd, v20
	s_waitcnt vmcnt(0)
	v_mul_u32_u24_e32 v20, 0xcccd, v23
	v_lshrrev_b32_e32 v19, 19, v19
	v_lshrrev_b32_e32 v20, 19, v20
	v_cmp_ne_u16_e32 vcc, v19, v20
	v_cndmask_b32_e64 v19, 0, 1, vcc
	v_mov_b32_e32 v20, s13
.LBB918_45:
	s_or_b64 exec, exec, s[0:1]
	v_or_b32_e32 v27, 0xb00, v0
	v_mov_b32_e32 v23, 0
	v_mov_b32_e32 v25, 0
	v_mov_b32_e32 v24, 0
	v_mov_b32_e32 v26, 0
	v_cmp_gt_u32_e32 vcc, s12, v27
	s_and_saveexec_b64 s[0:1], vcc
	s_cbranch_execz .LBB918_47
; %bb.46:
	v_lshlrev_b32_e32 v25, 1, v27
	global_load_ushort v26, v25, s[8:9]
	global_load_ushort v27, v25, s[10:11]
	s_mov_b32 s13, 0
	s_waitcnt vmcnt(1)
	v_mul_u32_u24_e32 v25, 0xcccd, v26
	s_waitcnt vmcnt(0)
	v_mul_u32_u24_e32 v26, 0xcccd, v27
	v_lshrrev_b32_e32 v25, 19, v25
	v_lshrrev_b32_e32 v26, 19, v26
	v_cmp_ne_u16_e32 vcc, v25, v26
	v_cndmask_b32_e64 v25, 0, 1, vcc
	v_mov_b32_e32 v26, s13
.LBB918_47:
	;; [unrolled: 44-line block ×3, first 2 shown]
	s_or_b64 exec, exec, s[0:1]
	v_or_b32_e32 v31, 0xe00, v0
	v_cmp_gt_u32_e32 vcc, s12, v31
	s_and_saveexec_b64 s[0:1], vcc
	s_cbranch_execz .LBB918_53
; %bb.52:
	v_lshlrev_b32_e32 v27, 1, v31
	global_load_ushort v28, v27, s[8:9]
	global_load_ushort v31, v27, s[10:11]
	s_mov_b32 s13, 0
	s_waitcnt vmcnt(1)
	v_mul_u32_u24_e32 v27, 0xcccd, v28
	s_waitcnt vmcnt(0)
	v_mul_u32_u24_e32 v28, 0xcccd, v31
	v_lshrrev_b32_e32 v27, 19, v27
	v_lshrrev_b32_e32 v28, 19, v28
	v_cmp_ne_u16_e32 vcc, v27, v28
	v_cndmask_b32_e64 v27, 0, 1, vcc
	v_mov_b32_e32 v28, s13
.LBB918_53:
	s_or_b64 exec, exec, s[0:1]
	v_or_b32_e32 v33, 0xf00, v0
	v_mov_b32_e32 v31, 0
	v_mov_b32_e32 v32, 0
	v_cmp_gt_u32_e32 vcc, s12, v33
	s_and_saveexec_b64 s[0:1], vcc
	s_cbranch_execz .LBB918_55
; %bb.54:
	v_lshlrev_b32_e32 v31, 1, v33
	global_load_ushort v32, v31, s[8:9]
	global_load_ushort v33, v31, s[10:11]
	s_mov_b32 s8, 0
	s_waitcnt vmcnt(1)
	v_mul_u32_u24_e32 v31, 0xcccd, v32
	s_waitcnt vmcnt(0)
	v_mul_u32_u24_e32 v32, 0xcccd, v33
	v_lshrrev_b32_e32 v31, 19, v31
	v_lshrrev_b32_e32 v32, 19, v32
	v_cmp_ne_u16_e32 vcc, v31, v32
	v_cndmask_b32_e64 v31, 0, 1, vcc
	v_mov_b32_e32 v32, s8
.LBB918_55:
	s_or_b64 exec, exec, s[0:1]
	v_add_co_u32_e32 v1, vcc, v5, v1
	v_addc_co_u32_e32 v2, vcc, v6, v2, vcc
	v_add_co_u32_e32 v1, vcc, v1, v3
	v_addc_co_u32_e32 v2, vcc, v2, v4, vcc
	v_add_co_u32_e32 v1, vcc, v1, v9
	v_addc_co_u32_e32 v2, vcc, v2, v10, vcc
	v_add_co_u32_e32 v1, vcc, v1, v7
	v_addc_co_u32_e32 v2, vcc, v2, v8, vcc
	v_add_co_u32_e32 v1, vcc, v1, v13
	v_addc_co_u32_e32 v2, vcc, v2, v14, vcc
	v_add_co_u32_e32 v1, vcc, v1, v11
	v_addc_co_u32_e32 v2, vcc, v2, v12, vcc
	v_add_co_u32_e32 v1, vcc, v1, v17
	v_addc_co_u32_e32 v2, vcc, v2, v18, vcc
	v_add_co_u32_e32 v1, vcc, v1, v15
	v_addc_co_u32_e32 v2, vcc, v2, v16, vcc
	v_add_co_u32_e32 v1, vcc, v1, v21
	v_addc_co_u32_e32 v2, vcc, v2, v22, vcc
	v_add_co_u32_e32 v1, vcc, v1, v19
	v_addc_co_u32_e32 v2, vcc, v2, v20, vcc
	v_add_co_u32_e32 v1, vcc, v1, v25
	v_addc_co_u32_e32 v2, vcc, v2, v26, vcc
	v_add_co_u32_e32 v1, vcc, v1, v23
	v_addc_co_u32_e32 v2, vcc, v2, v24, vcc
	v_add_co_u32_e32 v1, vcc, v1, v29
	v_addc_co_u32_e32 v2, vcc, v2, v30, vcc
	v_add_co_u32_e32 v1, vcc, v1, v27
	v_addc_co_u32_e32 v2, vcc, v2, v28, vcc
	v_mbcnt_lo_u32_b32 v3, -1, 0
	v_add_co_u32_e32 v1, vcc, v1, v31
	v_mbcnt_hi_u32_b32 v3, -1, v3
	v_addc_co_u32_e32 v2, vcc, v2, v32, vcc
	v_and_b32_e32 v4, 63, v3
	v_cmp_ne_u32_e32 vcc, 63, v4
	v_addc_co_u32_e32 v6, vcc, 0, v3, vcc
	v_lshlrev_b32_e32 v6, 2, v6
	ds_bpermute_b32 v8, v6, v1
	ds_bpermute_b32 v7, v6, v2
	s_min_u32 s8, s12, 0x100
	v_and_b32_e32 v5, 0xc0, v0
	v_sub_u32_e64 v5, s8, v5 clamp
	v_add_u32_e32 v6, 1, v4
	v_cmp_lt_u32_e32 vcc, v6, v5
	v_mov_b32_e32 v6, v1
	s_and_saveexec_b64 s[0:1], vcc
	s_cbranch_execz .LBB918_57
; %bb.56:
	s_waitcnt lgkmcnt(1)
	v_add_co_u32_e32 v6, vcc, v1, v8
	v_addc_co_u32_e32 v2, vcc, 0, v2, vcc
	v_add_co_u32_e32 v1, vcc, 0, v6
	s_waitcnt lgkmcnt(0)
	v_addc_co_u32_e32 v2, vcc, v7, v2, vcc
.LBB918_57:
	s_or_b64 exec, exec, s[0:1]
	v_cmp_gt_u32_e32 vcc, 62, v4
	s_waitcnt lgkmcnt(0)
	v_cndmask_b32_e64 v7, 0, 2, vcc
	v_add_lshl_u32 v7, v7, v3, 2
	ds_bpermute_b32 v8, v7, v6
	ds_bpermute_b32 v7, v7, v2
	v_add_u32_e32 v9, 2, v4
	v_cmp_lt_u32_e32 vcc, v9, v5
	s_and_saveexec_b64 s[0:1], vcc
	s_cbranch_execz .LBB918_59
; %bb.58:
	s_waitcnt lgkmcnt(1)
	v_add_co_u32_e32 v6, vcc, v1, v8
	v_addc_co_u32_e32 v2, vcc, 0, v2, vcc
	v_add_co_u32_e32 v1, vcc, 0, v6
	s_waitcnt lgkmcnt(0)
	v_addc_co_u32_e32 v2, vcc, v7, v2, vcc
.LBB918_59:
	s_or_b64 exec, exec, s[0:1]
	v_cmp_gt_u32_e32 vcc, 60, v4
	s_waitcnt lgkmcnt(0)
	v_cndmask_b32_e64 v7, 0, 4, vcc
	v_add_lshl_u32 v7, v7, v3, 2
	ds_bpermute_b32 v8, v7, v6
	ds_bpermute_b32 v7, v7, v2
	v_add_u32_e32 v9, 4, v4
	v_cmp_lt_u32_e32 vcc, v9, v5
	;; [unrolled: 19-line block ×4, first 2 shown]
	s_and_saveexec_b64 s[0:1], vcc
	s_cbranch_execz .LBB918_65
; %bb.64:
	s_waitcnt lgkmcnt(1)
	v_add_co_u32_e32 v6, vcc, v1, v8
	v_addc_co_u32_e32 v2, vcc, 0, v2, vcc
	v_add_co_u32_e32 v1, vcc, 0, v6
	s_waitcnt lgkmcnt(0)
	v_addc_co_u32_e32 v2, vcc, v7, v2, vcc
.LBB918_65:
	s_or_b64 exec, exec, s[0:1]
	s_waitcnt lgkmcnt(0)
	v_lshlrev_b32_e32 v7, 2, v3
	v_or_b32_e32 v8, 0x80, v7
	ds_bpermute_b32 v6, v8, v6
	ds_bpermute_b32 v8, v8, v2
	v_add_u32_e32 v4, 32, v4
	s_waitcnt lgkmcnt(1)
	v_add_co_u32_e32 v6, vcc, v1, v6
	v_addc_co_u32_e32 v9, vcc, 0, v2, vcc
	v_add_co_u32_e32 v6, vcc, 0, v6
	s_waitcnt lgkmcnt(0)
	v_addc_co_u32_e32 v8, vcc, v9, v8, vcc
	v_cmp_lt_u32_e32 vcc, v4, v5
	v_cndmask_b32_e32 v2, v2, v8, vcc
	v_cndmask_b32_e32 v1, v1, v6, vcc
	v_cmp_eq_u32_e32 vcc, 0, v3
	s_and_saveexec_b64 s[0:1], vcc
; %bb.66:
	v_lshrrev_b32_e32 v4, 3, v0
	v_and_b32_e32 v4, 24, v4
	ds_write_b64 v4, v[1:2] offset:160
; %bb.67:
	s_or_b64 exec, exec, s[0:1]
	v_cmp_gt_u32_e32 vcc, 4, v0
	s_waitcnt lgkmcnt(0)
	s_barrier
	s_and_saveexec_b64 s[0:1], vcc
	s_cbranch_execz .LBB918_71
; %bb.68:
	v_lshlrev_b32_e32 v1, 3, v3
	ds_read_b64 v[1:2], v1 offset:160
	v_and_b32_e32 v4, 3, v3
	v_cmp_ne_u32_e32 vcc, 3, v4
	v_addc_co_u32_e32 v3, vcc, 0, v3, vcc
	v_lshlrev_b32_e32 v3, 2, v3
	s_waitcnt lgkmcnt(0)
	ds_bpermute_b32 v6, v3, v1
	ds_bpermute_b32 v5, v3, v2
	s_add_i32 s8, s8, 63
	s_lshr_b32 s10, s8, 6
	v_add_u32_e32 v3, 1, v4
	v_cmp_gt_u32_e32 vcc, s10, v3
	v_mov_b32_e32 v3, v1
	s_and_saveexec_b64 s[8:9], vcc
	s_cbranch_execz .LBB918_70
; %bb.69:
	s_waitcnt lgkmcnt(1)
	v_add_co_u32_e32 v3, vcc, v1, v6
	v_addc_co_u32_e32 v2, vcc, 0, v2, vcc
	v_add_co_u32_e32 v1, vcc, 0, v3
	s_waitcnt lgkmcnt(0)
	v_addc_co_u32_e32 v2, vcc, v5, v2, vcc
.LBB918_70:
	s_or_b64 exec, exec, s[8:9]
	s_waitcnt lgkmcnt(0)
	v_or_b32_e32 v5, 8, v7
	ds_bpermute_b32 v3, v5, v3
	ds_bpermute_b32 v5, v5, v2
	v_add_u32_e32 v4, 2, v4
	s_waitcnt lgkmcnt(1)
	v_add_co_u32_e32 v3, vcc, v1, v3
	v_addc_co_u32_e32 v6, vcc, 0, v2, vcc
	v_add_co_u32_e32 v3, vcc, 0, v3
	s_waitcnt lgkmcnt(0)
	v_addc_co_u32_e32 v5, vcc, v6, v5, vcc
	v_cmp_gt_u32_e32 vcc, s10, v4
	v_cndmask_b32_e32 v2, v2, v5, vcc
	v_cndmask_b32_e32 v1, v1, v3, vcc
.LBB918_71:
	s_or_b64 exec, exec, s[0:1]
.LBB918_72:
	v_mov_b32_e32 v3, s6
	v_cmp_eq_u32_e64 s[0:1], 0, v0
	v_mov_b32_e32 v4, s7
	s_and_b64 vcc, exec, s[2:3]
	s_cbranch_vccnz .LBB918_14
	s_branch .LBB918_109
.LBB918_73:
	s_mov_b64 s[2:3], -1
                                        ; implicit-def: $vgpr1_vgpr2
.LBB918_74:
	s_and_b64 vcc, exec, s[2:3]
	s_cbranch_vccz .LBB918_108
; %bb.75:
	s_sub_i32 s31, s20, s0
	v_mov_b32_e32 v1, 0
	v_cmp_gt_u32_e32 vcc, s31, v0
	v_mov_b32_e32 v2, v1
	v_mov_b32_e32 v3, v1
	;; [unrolled: 1-line block ×15, first 2 shown]
	s_and_saveexec_b64 s[0:1], vcc
	s_cbranch_execz .LBB918_77
; %bb.76:
	v_mov_b32_e32 v2, v1
	v_mov_b32_e32 v3, v1
	;; [unrolled: 1-line block ×15, first 2 shown]
	v_lshlrev_b32_e32 v1, 1, v0
	global_load_ushort v17, v1, s[16:17]
	global_load_ushort v18, v1, s[18:19]
	s_waitcnt vmcnt(1)
	v_mul_u32_u24_e32 v1, 0xcccd, v17
	s_waitcnt vmcnt(0)
	v_mul_u32_u24_e32 v17, 0xcccd, v18
	v_lshrrev_b32_e32 v1, 19, v1
	v_lshrrev_b32_e32 v17, 19, v17
	v_cmp_ne_u16_e32 vcc, v1, v17
	v_cndmask_b32_e64 v1, 0, 1, vcc
	v_and_b32_e32 v1, 0xffff, v1
.LBB918_77:
	s_or_b64 exec, exec, s[0:1]
	v_or_b32_e32 v17, 0x100, v0
	v_cmp_gt_u32_e32 vcc, s31, v17
	s_and_saveexec_b64 s[2:3], vcc
	s_cbranch_execz .LBB918_79
; %bb.78:
	v_lshlrev_b32_e32 v3, 1, v0
	global_load_ushort v4, v3, s[16:17] offset:512
	global_load_ushort v17, v3, s[18:19] offset:512
	s_mov_b32 s8, 0
	s_waitcnt vmcnt(1)
	v_mul_u32_u24_e32 v3, 0xcccd, v4
	s_waitcnt vmcnt(0)
	v_mul_u32_u24_e32 v4, 0xcccd, v17
	v_lshrrev_b32_e32 v3, 19, v3
	v_lshrrev_b32_e32 v4, 19, v4
	v_cmp_ne_u16_e64 s[0:1], v3, v4
	v_cndmask_b32_e64 v3, 0, 1, s[0:1]
	v_mov_b32_e32 v4, s8
.LBB918_79:
	s_or_b64 exec, exec, s[2:3]
	v_or_b32_e32 v17, 0x200, v0
	v_cmp_gt_u32_e64 s[0:1], s31, v17
	s_and_saveexec_b64 s[8:9], s[0:1]
	s_cbranch_execz .LBB918_81
; %bb.80:
	v_lshlrev_b32_e32 v5, 1, v0
	global_load_ushort v6, v5, s[16:17] offset:1024
	global_load_ushort v17, v5, s[18:19] offset:1024
	s_mov_b32 s10, 0
	s_waitcnt vmcnt(1)
	v_mul_u32_u24_e32 v5, 0xcccd, v6
	s_waitcnt vmcnt(0)
	v_mul_u32_u24_e32 v6, 0xcccd, v17
	v_lshrrev_b32_e32 v5, 19, v5
	v_lshrrev_b32_e32 v6, 19, v6
	v_cmp_ne_u16_e64 s[2:3], v5, v6
	v_cndmask_b32_e64 v5, 0, 1, s[2:3]
	v_mov_b32_e32 v6, s10
.LBB918_81:
	s_or_b64 exec, exec, s[8:9]
	v_or_b32_e32 v17, 0x300, v0
	v_cmp_gt_u32_e64 s[2:3], s31, v17
	s_and_saveexec_b64 s[10:11], s[2:3]
	;; [unrolled: 20-line block ×6, first 2 shown]
	s_cbranch_execz .LBB918_91
; %bb.90:
	v_lshlrev_b32_e32 v15, 1, v0
	global_load_ushort v16, v15, s[16:17] offset:3584
	global_load_ushort v17, v15, s[18:19] offset:3584
	s_mov_b32 s18, 0
	s_waitcnt vmcnt(1)
	v_mul_u32_u24_e32 v15, 0xcccd, v16
	s_waitcnt vmcnt(0)
	v_mul_u32_u24_e32 v16, 0xcccd, v17
	v_lshrrev_b32_e32 v15, 19, v15
	v_lshrrev_b32_e32 v16, 19, v16
	v_cmp_ne_u16_e64 s[16:17], v15, v16
	v_cndmask_b32_e64 v15, 0, 1, s[16:17]
	v_mov_b32_e32 v16, s18
.LBB918_91:
	s_or_b64 exec, exec, s[28:29]
	v_cndmask_b32_e32 v3, 0, v3, vcc
	v_cndmask_b32_e32 v4, 0, v4, vcc
	v_add_co_u32_e32 v1, vcc, v3, v1
	v_addc_co_u32_e32 v2, vcc, v4, v2, vcc
	v_cndmask_b32_e64 v4, 0, v5, s[0:1]
	v_cndmask_b32_e64 v3, 0, v6, s[0:1]
	v_add_co_u32_e32 v1, vcc, v1, v4
	v_addc_co_u32_e32 v2, vcc, v2, v3, vcc
	v_cndmask_b32_e64 v4, 0, v7, s[2:3]
	v_cndmask_b32_e64 v3, 0, v8, s[2:3]
	;; [unrolled: 4-line block ×6, first 2 shown]
	v_add_co_u32_e32 v1, vcc, v1, v4
	v_addc_co_u32_e32 v2, vcc, v2, v3, vcc
	v_mbcnt_lo_u32_b32 v3, -1, 0
	v_mbcnt_hi_u32_b32 v3, -1, v3
	v_and_b32_e32 v4, 63, v3
	v_cmp_ne_u32_e32 vcc, 63, v4
	v_addc_co_u32_e32 v6, vcc, 0, v3, vcc
	v_lshlrev_b32_e32 v6, 2, v6
	ds_bpermute_b32 v8, v6, v1
	ds_bpermute_b32 v7, v6, v2
	s_min_u32 s2, s31, 0x100
	v_and_b32_e32 v5, 0xc0, v0
	v_sub_u32_e64 v5, s2, v5 clamp
	v_add_u32_e32 v6, 1, v4
	v_cmp_lt_u32_e32 vcc, v6, v5
	v_mov_b32_e32 v6, v1
	s_and_saveexec_b64 s[0:1], vcc
	s_cbranch_execz .LBB918_93
; %bb.92:
	s_waitcnt lgkmcnt(1)
	v_add_co_u32_e32 v6, vcc, v1, v8
	v_addc_co_u32_e32 v2, vcc, 0, v2, vcc
	v_add_co_u32_e32 v1, vcc, 0, v6
	s_waitcnt lgkmcnt(0)
	v_addc_co_u32_e32 v2, vcc, v2, v7, vcc
.LBB918_93:
	s_or_b64 exec, exec, s[0:1]
	v_cmp_gt_u32_e32 vcc, 62, v4
	s_waitcnt lgkmcnt(0)
	v_cndmask_b32_e64 v7, 0, 2, vcc
	v_add_lshl_u32 v7, v7, v3, 2
	ds_bpermute_b32 v8, v7, v6
	ds_bpermute_b32 v7, v7, v2
	v_add_u32_e32 v9, 2, v4
	v_cmp_lt_u32_e32 vcc, v9, v5
	s_and_saveexec_b64 s[0:1], vcc
	s_cbranch_execz .LBB918_95
; %bb.94:
	s_waitcnt lgkmcnt(1)
	v_add_co_u32_e32 v6, vcc, v1, v8
	v_addc_co_u32_e32 v2, vcc, 0, v2, vcc
	v_add_co_u32_e32 v1, vcc, 0, v6
	s_waitcnt lgkmcnt(0)
	v_addc_co_u32_e32 v2, vcc, v7, v2, vcc
.LBB918_95:
	s_or_b64 exec, exec, s[0:1]
	v_cmp_gt_u32_e32 vcc, 60, v4
	s_waitcnt lgkmcnt(0)
	v_cndmask_b32_e64 v7, 0, 4, vcc
	v_add_lshl_u32 v7, v7, v3, 2
	ds_bpermute_b32 v8, v7, v6
	ds_bpermute_b32 v7, v7, v2
	v_add_u32_e32 v9, 4, v4
	v_cmp_lt_u32_e32 vcc, v9, v5
	;; [unrolled: 19-line block ×4, first 2 shown]
	s_and_saveexec_b64 s[0:1], vcc
	s_cbranch_execz .LBB918_101
; %bb.100:
	s_waitcnt lgkmcnt(1)
	v_add_co_u32_e32 v6, vcc, v1, v8
	v_addc_co_u32_e32 v2, vcc, 0, v2, vcc
	v_add_co_u32_e32 v1, vcc, 0, v6
	s_waitcnt lgkmcnt(0)
	v_addc_co_u32_e32 v2, vcc, v7, v2, vcc
.LBB918_101:
	s_or_b64 exec, exec, s[0:1]
	s_waitcnt lgkmcnt(0)
	v_lshlrev_b32_e32 v7, 2, v3
	v_or_b32_e32 v8, 0x80, v7
	ds_bpermute_b32 v6, v8, v6
	ds_bpermute_b32 v8, v8, v2
	v_add_u32_e32 v4, 32, v4
	s_waitcnt lgkmcnt(1)
	v_add_co_u32_e32 v6, vcc, v1, v6
	v_addc_co_u32_e32 v9, vcc, 0, v2, vcc
	v_add_co_u32_e32 v6, vcc, 0, v6
	s_waitcnt lgkmcnt(0)
	v_addc_co_u32_e32 v8, vcc, v9, v8, vcc
	v_cmp_lt_u32_e32 vcc, v4, v5
	v_cndmask_b32_e32 v2, v2, v8, vcc
	v_cndmask_b32_e32 v1, v1, v6, vcc
	v_cmp_eq_u32_e32 vcc, 0, v3
	s_and_saveexec_b64 s[0:1], vcc
; %bb.102:
	v_lshrrev_b32_e32 v4, 3, v0
	v_and_b32_e32 v4, 24, v4
	ds_write_b64 v4, v[1:2] offset:160
; %bb.103:
	s_or_b64 exec, exec, s[0:1]
	v_cmp_gt_u32_e32 vcc, 4, v0
	s_waitcnt lgkmcnt(0)
	s_barrier
	s_and_saveexec_b64 s[0:1], vcc
	s_cbranch_execz .LBB918_107
; %bb.104:
	v_lshlrev_b32_e32 v1, 3, v3
	ds_read_b64 v[1:2], v1 offset:160
	v_and_b32_e32 v4, 3, v3
	v_cmp_ne_u32_e32 vcc, 3, v4
	v_addc_co_u32_e32 v3, vcc, 0, v3, vcc
	v_lshlrev_b32_e32 v3, 2, v3
	s_waitcnt lgkmcnt(0)
	ds_bpermute_b32 v6, v3, v1
	ds_bpermute_b32 v5, v3, v2
	s_add_i32 s2, s2, 63
	s_lshr_b32 s8, s2, 6
	v_add_u32_e32 v3, 1, v4
	v_cmp_gt_u32_e32 vcc, s8, v3
	v_mov_b32_e32 v3, v1
	s_and_saveexec_b64 s[2:3], vcc
	s_cbranch_execz .LBB918_106
; %bb.105:
	s_waitcnt lgkmcnt(1)
	v_add_co_u32_e32 v3, vcc, v1, v6
	v_addc_co_u32_e32 v2, vcc, 0, v2, vcc
	v_add_co_u32_e32 v1, vcc, 0, v3
	s_waitcnt lgkmcnt(0)
	v_addc_co_u32_e32 v2, vcc, v5, v2, vcc
.LBB918_106:
	s_or_b64 exec, exec, s[2:3]
	s_waitcnt lgkmcnt(0)
	v_or_b32_e32 v5, 8, v7
	ds_bpermute_b32 v3, v5, v3
	ds_bpermute_b32 v5, v5, v2
	v_add_u32_e32 v4, 2, v4
	s_waitcnt lgkmcnt(1)
	v_add_co_u32_e32 v3, vcc, v1, v3
	v_addc_co_u32_e32 v6, vcc, 0, v2, vcc
	v_add_co_u32_e32 v3, vcc, 0, v3
	s_waitcnt lgkmcnt(0)
	v_addc_co_u32_e32 v5, vcc, v6, v5, vcc
	v_cmp_gt_u32_e32 vcc, s8, v4
	v_cndmask_b32_e32 v2, v2, v5, vcc
	v_cndmask_b32_e32 v1, v1, v3, vcc
.LBB918_107:
	s_or_b64 exec, exec, s[0:1]
.LBB918_108:
	v_mov_b32_e32 v3, s6
	v_cmp_eq_u32_e64 s[0:1], 0, v0
	v_mov_b32_e32 v4, s7
.LBB918_109:
	s_branch .LBB918_144
.LBB918_110:
	s_cmp_eq_u32 s30, 4
                                        ; implicit-def: $vgpr1_vgpr2
                                        ; implicit-def: $vgpr3_vgpr4
	s_cbranch_scc0 .LBB918_144
; %bb.111:
	s_mov_b32 s7, 0
	s_lshl_b32 s0, s6, 10
	s_mov_b32 s1, s7
	s_lshr_b64 s[2:3], s[20:21], 10
	s_lshl_b64 s[10:11], s[0:1], 1
	s_add_u32 s8, s24, s10
	s_addc_u32 s9, s25, s11
	s_add_u32 s10, s26, s10
	s_addc_u32 s11, s27, s11
	s_cmp_lg_u64 s[2:3], s[6:7]
	s_cbranch_scc0 .LBB918_117
; %bb.112:
	v_lshlrev_b32_e32 v1, 1, v0
	global_load_ushort v2, v1, s[8:9]
	global_load_ushort v5, v1, s[10:11]
	global_load_ushort v6, v1, s[8:9] offset:512
	global_load_ushort v7, v1, s[10:11] offset:512
	;; [unrolled: 1-line block ×6, first 2 shown]
	v_mov_b32_e32 v1, 0
	v_mbcnt_lo_u32_b32 v3, -1, 0
	v_mbcnt_hi_u32_b32 v3, -1, v3
	v_mov_b32_dpp v1, v1 quad_perm:[1,0,3,2] row_mask:0xf bank_mask:0xf bound_ctrl:1
	v_lshlrev_b32_e32 v4, 2, v3
	v_or_b32_e32 v12, 0xfc, v4
	s_waitcnt vmcnt(7)
	v_mul_u32_u24_e32 v2, 0xcccd, v2
	s_waitcnt vmcnt(6)
	v_mul_u32_u24_e32 v5, 0xcccd, v5
	s_waitcnt vmcnt(5)
	v_mul_u32_u24_e32 v6, 0xcccd, v6
	s_waitcnt vmcnt(4)
	v_mul_u32_u24_e32 v7, 0xcccd, v7
	v_lshrrev_b32_e32 v6, 19, v6
	v_lshrrev_b32_e32 v7, 19, v7
	s_waitcnt vmcnt(1)
	v_mul_u32_u24_e32 v10, 0xcccd, v10
	s_waitcnt vmcnt(0)
	v_mul_u32_u24_e32 v11, 0xcccd, v11
	v_lshrrev_b32_e32 v11, 19, v11
	v_lshrrev_b32_e32 v10, 19, v10
	v_cmp_ne_u16_e32 vcc, v11, v10
	v_mul_u32_u24_e32 v8, 0xcccd, v8
	v_mul_u32_u24_e32 v9, 0xcccd, v9
	v_lshrrev_b32_e32 v2, 19, v2
	v_lshrrev_b32_e32 v5, 19, v5
	v_cndmask_b32_e64 v10, 0, 1, vcc
	v_cmp_ne_u16_e32 vcc, v6, v7
	v_lshrrev_b32_e32 v8, 19, v8
	v_lshrrev_b32_e32 v9, 19, v9
	v_cndmask_b32_e64 v6, 0, 1, vcc
	v_cmp_ne_u16_e32 vcc, v2, v5
	v_cndmask_b32_e64 v2, 0, 1, vcc
	v_cmp_ne_u16_e32 vcc, v8, v9
	v_addc_co_u32_e32 v2, vcc, v6, v2, vcc
	v_add_co_u32_e32 v2, vcc, v2, v10
	v_addc_co_u32_e64 v5, s[2:3], 0, 0, vcc
	s_nop 0
	v_mov_b32_dpp v6, v2 quad_perm:[1,0,3,2] row_mask:0xf bank_mask:0xf bound_ctrl:1
	v_add_co_u32_e32 v2, vcc, v2, v6
	v_addc_co_u32_e32 v5, vcc, 0, v5, vcc
	v_add_co_u32_e32 v6, vcc, 0, v2
	v_addc_co_u32_e32 v1, vcc, v1, v5, vcc
	v_mov_b32_dpp v2, v2 quad_perm:[2,3,0,1] row_mask:0xf bank_mask:0xf bound_ctrl:1
	v_add_co_u32_e32 v2, vcc, v6, v2
	v_mov_b32_dpp v5, v1 quad_perm:[2,3,0,1] row_mask:0xf bank_mask:0xf bound_ctrl:1
	v_addc_co_u32_e32 v1, vcc, 0, v1, vcc
	v_add_co_u32_e32 v6, vcc, 0, v2
	v_addc_co_u32_e32 v1, vcc, v1, v5, vcc
	v_mov_b32_dpp v2, v2 row_ror:4 row_mask:0xf bank_mask:0xf bound_ctrl:1
	v_add_co_u32_e32 v2, vcc, v6, v2
	v_mov_b32_dpp v5, v1 row_ror:4 row_mask:0xf bank_mask:0xf bound_ctrl:1
	v_addc_co_u32_e32 v1, vcc, 0, v1, vcc
	v_add_co_u32_e32 v6, vcc, 0, v2
	v_addc_co_u32_e32 v1, vcc, v1, v5, vcc
	v_mov_b32_dpp v2, v2 row_ror:8 row_mask:0xf bank_mask:0xf bound_ctrl:1
	v_add_co_u32_e32 v2, vcc, v6, v2
	v_mov_b32_dpp v5, v1 row_ror:8 row_mask:0xf bank_mask:0xf bound_ctrl:1
	v_addc_co_u32_e32 v1, vcc, 0, v1, vcc
	v_add_co_u32_e32 v6, vcc, 0, v2
	v_addc_co_u32_e32 v1, vcc, v1, v5, vcc
	v_mov_b32_dpp v2, v2 row_bcast:15 row_mask:0xf bank_mask:0xf bound_ctrl:1
	v_add_co_u32_e32 v2, vcc, v6, v2
	v_mov_b32_dpp v5, v1 row_bcast:15 row_mask:0xf bank_mask:0xf bound_ctrl:1
	v_addc_co_u32_e32 v1, vcc, 0, v1, vcc
	v_add_co_u32_e32 v6, vcc, 0, v2
	v_addc_co_u32_e32 v1, vcc, v1, v5, vcc
	v_mov_b32_dpp v2, v2 row_bcast:31 row_mask:0xf bank_mask:0xf bound_ctrl:1
	v_add_co_u32_e32 v2, vcc, v6, v2
	v_addc_co_u32_e32 v5, vcc, 0, v1, vcc
	v_cmp_eq_u32_e32 vcc, 0, v3
	s_nop 0
	v_add_u32_dpp v5, v1, v5 row_bcast:31 row_mask:0xf bank_mask:0xf bound_ctrl:1
	ds_bpermute_b32 v1, v12, v2
	ds_bpermute_b32 v2, v12, v5
	s_and_saveexec_b64 s[2:3], vcc
	s_cbranch_execz .LBB918_114
; %bb.113:
	v_lshrrev_b32_e32 v5, 3, v0
	v_and_b32_e32 v5, 24, v5
	s_waitcnt lgkmcnt(0)
	ds_write_b64 v5, v[1:2] offset:96
.LBB918_114:
	s_or_b64 exec, exec, s[2:3]
	v_cmp_gt_u32_e32 vcc, 64, v0
	s_waitcnt lgkmcnt(0)
	s_barrier
	s_and_saveexec_b64 s[2:3], vcc
	s_cbranch_execz .LBB918_116
; %bb.115:
	v_and_b32_e32 v5, 3, v3
	v_lshlrev_b32_e32 v1, 3, v5
	ds_read_b64 v[1:2], v1 offset:96
	v_cmp_ne_u32_e32 vcc, 3, v5
	v_addc_co_u32_e32 v3, vcc, 0, v3, vcc
	v_lshlrev_b32_e32 v3, 2, v3
	s_waitcnt lgkmcnt(0)
	ds_bpermute_b32 v5, v3, v1
	ds_bpermute_b32 v3, v3, v2
	v_or_b32_e32 v4, 8, v4
	s_waitcnt lgkmcnt(1)
	v_add_co_u32_e32 v1, vcc, v1, v5
	v_addc_co_u32_e32 v2, vcc, 0, v2, vcc
	ds_bpermute_b32 v5, v4, v1
	v_add_co_u32_e32 v1, vcc, 0, v1
	s_waitcnt lgkmcnt(1)
	v_addc_co_u32_e32 v2, vcc, v3, v2, vcc
	ds_bpermute_b32 v3, v4, v2
	s_waitcnt lgkmcnt(1)
	v_add_co_u32_e32 v1, vcc, v1, v5
	v_addc_co_u32_e32 v2, vcc, 0, v2, vcc
	v_add_co_u32_e32 v1, vcc, 0, v1
	s_waitcnt lgkmcnt(0)
	v_addc_co_u32_e32 v2, vcc, v2, v3, vcc
.LBB918_116:
	s_or_b64 exec, exec, s[2:3]
	s_branch .LBB918_143
.LBB918_117:
                                        ; implicit-def: $vgpr1_vgpr2
	s_cbranch_execz .LBB918_143
; %bb.118:
	s_sub_i32 s14, s20, s0
	v_mov_b32_e32 v1, 0
	v_cmp_gt_u32_e32 vcc, s14, v0
	v_mov_b32_e32 v2, v1
	v_mov_b32_e32 v3, v1
	;; [unrolled: 1-line block ×7, first 2 shown]
	s_and_saveexec_b64 s[0:1], vcc
	s_cbranch_execz .LBB918_120
; %bb.119:
	v_lshlrev_b32_e32 v2, 1, v0
	global_load_ushort v9, v2, s[8:9]
	global_load_ushort v10, v2, s[10:11]
	v_mov_b32_e32 v3, v1
	v_mov_b32_e32 v4, v1
	v_mov_b32_e32 v5, v1
	v_mov_b32_e32 v6, v1
	v_mov_b32_e32 v7, v1
	v_mov_b32_e32 v8, v1
	s_waitcnt vmcnt(1)
	v_mul_u32_u24_e32 v2, 0xcccd, v9
	s_waitcnt vmcnt(0)
	v_mul_u32_u24_e32 v9, 0xcccd, v10
	v_lshrrev_b32_e32 v2, 19, v2
	v_lshrrev_b32_e32 v9, 19, v9
	v_cmp_ne_u16_e32 vcc, v2, v9
	v_cndmask_b32_e64 v2, 0, 1, vcc
	v_and_b32_e32 v2, 0xffff, v2
	v_mov_b32_e32 v9, v1
	v_mov_b32_e32 v1, v2
	;; [unrolled: 1-line block ×9, first 2 shown]
.LBB918_120:
	s_or_b64 exec, exec, s[0:1]
	v_or_b32_e32 v9, 0x100, v0
	v_cmp_gt_u32_e32 vcc, s14, v9
	s_and_saveexec_b64 s[2:3], vcc
	s_cbranch_execz .LBB918_122
; %bb.121:
	v_lshlrev_b32_e32 v3, 1, v0
	global_load_ushort v4, v3, s[8:9] offset:512
	global_load_ushort v9, v3, s[10:11] offset:512
	s_mov_b32 s12, 0
	s_waitcnt vmcnt(1)
	v_mul_u32_u24_e32 v3, 0xcccd, v4
	s_waitcnt vmcnt(0)
	v_mul_u32_u24_e32 v4, 0xcccd, v9
	v_lshrrev_b32_e32 v3, 19, v3
	v_lshrrev_b32_e32 v4, 19, v4
	v_cmp_ne_u16_e64 s[0:1], v3, v4
	v_cndmask_b32_e64 v3, 0, 1, s[0:1]
	v_mov_b32_e32 v4, s12
.LBB918_122:
	s_or_b64 exec, exec, s[2:3]
	v_or_b32_e32 v9, 0x200, v0
	v_cmp_gt_u32_e64 s[0:1], s14, v9
	s_and_saveexec_b64 s[12:13], s[0:1]
	s_cbranch_execz .LBB918_124
; %bb.123:
	v_lshlrev_b32_e32 v5, 1, v0
	global_load_ushort v6, v5, s[8:9] offset:1024
	global_load_ushort v9, v5, s[10:11] offset:1024
	s_mov_b32 s15, 0
	s_waitcnt vmcnt(1)
	v_mul_u32_u24_e32 v5, 0xcccd, v6
	s_waitcnt vmcnt(0)
	v_mul_u32_u24_e32 v6, 0xcccd, v9
	v_lshrrev_b32_e32 v5, 19, v5
	v_lshrrev_b32_e32 v6, 19, v6
	v_cmp_ne_u16_e64 s[2:3], v5, v6
	v_cndmask_b32_e64 v5, 0, 1, s[2:3]
	v_mov_b32_e32 v6, s15
.LBB918_124:
	s_or_b64 exec, exec, s[12:13]
	v_or_b32_e32 v9, 0x300, v0
	v_cmp_gt_u32_e64 s[2:3], s14, v9
	s_and_saveexec_b64 s[12:13], s[2:3]
	s_cbranch_execz .LBB918_126
; %bb.125:
	v_lshlrev_b32_e32 v7, 1, v0
	global_load_ushort v8, v7, s[8:9] offset:1536
	global_load_ushort v9, v7, s[10:11] offset:1536
	s_mov_b32 s10, 0
	s_waitcnt vmcnt(1)
	v_mul_u32_u24_e32 v7, 0xcccd, v8
	s_waitcnt vmcnt(0)
	v_mul_u32_u24_e32 v8, 0xcccd, v9
	v_lshrrev_b32_e32 v7, 19, v7
	v_lshrrev_b32_e32 v8, 19, v8
	v_cmp_ne_u16_e64 s[8:9], v7, v8
	v_cndmask_b32_e64 v7, 0, 1, s[8:9]
	v_mov_b32_e32 v8, s10
.LBB918_126:
	s_or_b64 exec, exec, s[12:13]
	v_cndmask_b32_e32 v3, 0, v3, vcc
	v_cndmask_b32_e32 v4, 0, v4, vcc
	v_add_co_u32_e32 v1, vcc, v3, v1
	v_addc_co_u32_e32 v2, vcc, v4, v2, vcc
	v_cndmask_b32_e64 v4, 0, v5, s[0:1]
	v_cndmask_b32_e64 v3, 0, v6, s[0:1]
	v_add_co_u32_e32 v1, vcc, v1, v4
	v_addc_co_u32_e32 v2, vcc, v2, v3, vcc
	v_cndmask_b32_e64 v4, 0, v7, s[2:3]
	v_cndmask_b32_e64 v3, 0, v8, s[2:3]
	v_add_co_u32_e32 v1, vcc, v1, v4
	v_addc_co_u32_e32 v2, vcc, v2, v3, vcc
	v_mbcnt_lo_u32_b32 v3, -1, 0
	v_mbcnt_hi_u32_b32 v3, -1, v3
	v_and_b32_e32 v4, 63, v3
	v_cmp_ne_u32_e32 vcc, 63, v4
	v_addc_co_u32_e32 v6, vcc, 0, v3, vcc
	v_lshlrev_b32_e32 v6, 2, v6
	ds_bpermute_b32 v8, v6, v1
	ds_bpermute_b32 v7, v6, v2
	s_min_u32 s2, s14, 0x100
	v_and_b32_e32 v5, 0xc0, v0
	v_sub_u32_e64 v5, s2, v5 clamp
	v_add_u32_e32 v6, 1, v4
	v_cmp_lt_u32_e32 vcc, v6, v5
	v_mov_b32_e32 v6, v1
	s_and_saveexec_b64 s[0:1], vcc
	s_cbranch_execz .LBB918_128
; %bb.127:
	s_waitcnt lgkmcnt(1)
	v_add_co_u32_e32 v6, vcc, v1, v8
	v_addc_co_u32_e32 v2, vcc, 0, v2, vcc
	v_add_co_u32_e32 v1, vcc, 0, v6
	s_waitcnt lgkmcnt(0)
	v_addc_co_u32_e32 v2, vcc, v7, v2, vcc
.LBB918_128:
	s_or_b64 exec, exec, s[0:1]
	v_cmp_gt_u32_e32 vcc, 62, v4
	s_waitcnt lgkmcnt(0)
	v_cndmask_b32_e64 v7, 0, 2, vcc
	v_add_lshl_u32 v7, v7, v3, 2
	ds_bpermute_b32 v8, v7, v6
	ds_bpermute_b32 v7, v7, v2
	v_add_u32_e32 v9, 2, v4
	v_cmp_lt_u32_e32 vcc, v9, v5
	s_and_saveexec_b64 s[0:1], vcc
	s_cbranch_execz .LBB918_130
; %bb.129:
	s_waitcnt lgkmcnt(1)
	v_add_co_u32_e32 v6, vcc, v1, v8
	v_addc_co_u32_e32 v2, vcc, 0, v2, vcc
	v_add_co_u32_e32 v1, vcc, 0, v6
	s_waitcnt lgkmcnt(0)
	v_addc_co_u32_e32 v2, vcc, v7, v2, vcc
.LBB918_130:
	s_or_b64 exec, exec, s[0:1]
	v_cmp_gt_u32_e32 vcc, 60, v4
	s_waitcnt lgkmcnt(0)
	v_cndmask_b32_e64 v7, 0, 4, vcc
	v_add_lshl_u32 v7, v7, v3, 2
	ds_bpermute_b32 v8, v7, v6
	ds_bpermute_b32 v7, v7, v2
	v_add_u32_e32 v9, 4, v4
	v_cmp_lt_u32_e32 vcc, v9, v5
	;; [unrolled: 19-line block ×4, first 2 shown]
	s_and_saveexec_b64 s[0:1], vcc
	s_cbranch_execz .LBB918_136
; %bb.135:
	s_waitcnt lgkmcnt(1)
	v_add_co_u32_e32 v6, vcc, v1, v8
	v_addc_co_u32_e32 v2, vcc, 0, v2, vcc
	v_add_co_u32_e32 v1, vcc, 0, v6
	s_waitcnt lgkmcnt(0)
	v_addc_co_u32_e32 v2, vcc, v7, v2, vcc
.LBB918_136:
	s_or_b64 exec, exec, s[0:1]
	s_waitcnt lgkmcnt(0)
	v_lshlrev_b32_e32 v7, 2, v3
	v_or_b32_e32 v8, 0x80, v7
	ds_bpermute_b32 v6, v8, v6
	ds_bpermute_b32 v8, v8, v2
	v_add_u32_e32 v4, 32, v4
	s_waitcnt lgkmcnt(1)
	v_add_co_u32_e32 v6, vcc, v1, v6
	v_addc_co_u32_e32 v9, vcc, 0, v2, vcc
	v_add_co_u32_e32 v6, vcc, 0, v6
	s_waitcnt lgkmcnt(0)
	v_addc_co_u32_e32 v8, vcc, v9, v8, vcc
	v_cmp_lt_u32_e32 vcc, v4, v5
	v_cndmask_b32_e32 v2, v2, v8, vcc
	v_cndmask_b32_e32 v1, v1, v6, vcc
	v_cmp_eq_u32_e32 vcc, 0, v3
	s_and_saveexec_b64 s[0:1], vcc
; %bb.137:
	v_lshrrev_b32_e32 v4, 3, v0
	v_and_b32_e32 v4, 24, v4
	ds_write_b64 v4, v[1:2] offset:160
; %bb.138:
	s_or_b64 exec, exec, s[0:1]
	v_cmp_gt_u32_e32 vcc, 4, v0
	s_waitcnt lgkmcnt(0)
	s_barrier
	s_and_saveexec_b64 s[0:1], vcc
	s_cbranch_execz .LBB918_142
; %bb.139:
	v_lshlrev_b32_e32 v1, 3, v3
	ds_read_b64 v[1:2], v1 offset:160
	v_and_b32_e32 v4, 3, v3
	v_cmp_ne_u32_e32 vcc, 3, v4
	v_addc_co_u32_e32 v3, vcc, 0, v3, vcc
	v_lshlrev_b32_e32 v3, 2, v3
	s_waitcnt lgkmcnt(0)
	ds_bpermute_b32 v6, v3, v1
	ds_bpermute_b32 v5, v3, v2
	s_add_i32 s2, s2, 63
	s_lshr_b32 s8, s2, 6
	v_add_u32_e32 v3, 1, v4
	v_cmp_gt_u32_e32 vcc, s8, v3
	v_mov_b32_e32 v3, v1
	s_and_saveexec_b64 s[2:3], vcc
	s_cbranch_execz .LBB918_141
; %bb.140:
	s_waitcnt lgkmcnt(1)
	v_add_co_u32_e32 v3, vcc, v1, v6
	v_addc_co_u32_e32 v2, vcc, 0, v2, vcc
	v_add_co_u32_e32 v1, vcc, 0, v3
	s_waitcnt lgkmcnt(0)
	v_addc_co_u32_e32 v2, vcc, v5, v2, vcc
.LBB918_141:
	s_or_b64 exec, exec, s[2:3]
	s_waitcnt lgkmcnt(0)
	v_or_b32_e32 v5, 8, v7
	ds_bpermute_b32 v3, v5, v3
	ds_bpermute_b32 v5, v5, v2
	v_add_u32_e32 v4, 2, v4
	s_waitcnt lgkmcnt(1)
	v_add_co_u32_e32 v3, vcc, v1, v3
	v_addc_co_u32_e32 v6, vcc, 0, v2, vcc
	v_add_co_u32_e32 v3, vcc, 0, v3
	s_waitcnt lgkmcnt(0)
	v_addc_co_u32_e32 v5, vcc, v6, v5, vcc
	v_cmp_gt_u32_e32 vcc, s8, v4
	v_cndmask_b32_e32 v2, v2, v5, vcc
	v_cndmask_b32_e32 v1, v1, v3, vcc
.LBB918_142:
	s_or_b64 exec, exec, s[0:1]
.LBB918_143:
	v_mov_b32_e32 v3, s6
	v_cmp_eq_u32_e64 s[0:1], 0, v0
	v_mov_b32_e32 v4, s7
.LBB918_144:
	s_branch .LBB918_206
.LBB918_145:
	s_cmp_gt_i32 s30, 1
	s_cbranch_scc0 .LBB918_153
; %bb.146:
	s_cmp_eq_u32 s30, 2
                                        ; implicit-def: $vgpr1_vgpr2
                                        ; implicit-def: $vgpr3_vgpr4
	s_cbranch_scc0 .LBB918_154
; %bb.147:
	s_mov_b32 s7, 0
	s_lshl_b32 s8, s6, 9
	s_mov_b32 s9, s7
	s_lshr_b64 s[10:11], s[20:21], 9
	s_lshl_b64 s[2:3], s[8:9], 1
	s_add_u32 s0, s24, s2
	s_addc_u32 s1, s25, s3
	s_add_u32 s2, s26, s2
	s_addc_u32 s3, s27, s3
	s_cmp_lg_u64 s[10:11], s[6:7]
	s_cbranch_scc0 .LBB918_155
; %bb.148:
	v_lshlrev_b32_e32 v1, 1, v0
	global_load_ushort v2, v1, s[0:1]
	global_load_ushort v5, v1, s[2:3]
	global_load_ushort v6, v1, s[2:3] offset:512
	global_load_ushort v7, v1, s[0:1] offset:512
	v_mov_b32_e32 v1, 0
	v_mbcnt_lo_u32_b32 v3, -1, 0
	v_mbcnt_hi_u32_b32 v3, -1, v3
	v_mov_b32_dpp v1, v1 quad_perm:[1,0,3,2] row_mask:0xf bank_mask:0xf bound_ctrl:1
	v_lshlrev_b32_e32 v4, 2, v3
	v_or_b32_e32 v8, 0xfc, v4
	s_waitcnt vmcnt(3)
	v_mul_u32_u24_e32 v2, 0xcccd, v2
	s_waitcnt vmcnt(2)
	v_mul_u32_u24_e32 v5, 0xcccd, v5
	;; [unrolled: 2-line block ×4, first 2 shown]
	v_lshrrev_b32_e32 v2, 19, v2
	v_lshrrev_b32_e32 v5, 19, v5
	;; [unrolled: 1-line block ×4, first 2 shown]
	v_cmp_ne_u16_e32 vcc, v2, v5
	v_cndmask_b32_e64 v2, 0, 1, vcc
	v_cmp_ne_u16_e32 vcc, v7, v6
	v_addc_co_u32_e32 v2, vcc, 0, v2, vcc
	s_nop 1
	v_mov_b32_dpp v5, v2 quad_perm:[1,0,3,2] row_mask:0xf bank_mask:0xf bound_ctrl:1
	v_add_co_u32_e32 v2, vcc, v2, v5
	v_addc_co_u32_e64 v5, s[10:11], 0, 0, vcc
	v_add_co_u32_e32 v6, vcc, 0, v2
	v_addc_co_u32_e32 v1, vcc, v1, v5, vcc
	v_mov_b32_dpp v2, v2 quad_perm:[2,3,0,1] row_mask:0xf bank_mask:0xf bound_ctrl:1
	v_add_co_u32_e32 v2, vcc, v6, v2
	v_mov_b32_dpp v5, v1 quad_perm:[2,3,0,1] row_mask:0xf bank_mask:0xf bound_ctrl:1
	v_addc_co_u32_e32 v1, vcc, 0, v1, vcc
	v_add_co_u32_e32 v6, vcc, 0, v2
	v_addc_co_u32_e32 v1, vcc, v1, v5, vcc
	v_mov_b32_dpp v2, v2 row_ror:4 row_mask:0xf bank_mask:0xf bound_ctrl:1
	v_add_co_u32_e32 v2, vcc, v6, v2
	v_mov_b32_dpp v5, v1 row_ror:4 row_mask:0xf bank_mask:0xf bound_ctrl:1
	v_addc_co_u32_e32 v1, vcc, 0, v1, vcc
	v_add_co_u32_e32 v6, vcc, 0, v2
	v_addc_co_u32_e32 v1, vcc, v1, v5, vcc
	v_mov_b32_dpp v2, v2 row_ror:8 row_mask:0xf bank_mask:0xf bound_ctrl:1
	v_add_co_u32_e32 v2, vcc, v6, v2
	v_mov_b32_dpp v5, v1 row_ror:8 row_mask:0xf bank_mask:0xf bound_ctrl:1
	v_addc_co_u32_e32 v1, vcc, 0, v1, vcc
	v_add_co_u32_e32 v6, vcc, 0, v2
	v_addc_co_u32_e32 v1, vcc, v1, v5, vcc
	v_mov_b32_dpp v2, v2 row_bcast:15 row_mask:0xf bank_mask:0xf bound_ctrl:1
	v_add_co_u32_e32 v2, vcc, v6, v2
	v_mov_b32_dpp v5, v1 row_bcast:15 row_mask:0xf bank_mask:0xf bound_ctrl:1
	v_addc_co_u32_e32 v1, vcc, 0, v1, vcc
	v_add_co_u32_e32 v6, vcc, 0, v2
	v_addc_co_u32_e32 v1, vcc, v1, v5, vcc
	v_mov_b32_dpp v2, v2 row_bcast:31 row_mask:0xf bank_mask:0xf bound_ctrl:1
	v_add_co_u32_e32 v2, vcc, v6, v2
	v_addc_co_u32_e32 v5, vcc, 0, v1, vcc
	v_cmp_eq_u32_e32 vcc, 0, v3
	s_nop 0
	v_add_u32_dpp v5, v1, v5 row_bcast:31 row_mask:0xf bank_mask:0xf bound_ctrl:1
	ds_bpermute_b32 v1, v8, v2
	ds_bpermute_b32 v2, v8, v5
	s_and_saveexec_b64 s[10:11], vcc
	s_cbranch_execz .LBB918_150
; %bb.149:
	v_lshrrev_b32_e32 v5, 3, v0
	v_and_b32_e32 v5, 24, v5
	s_waitcnt lgkmcnt(0)
	ds_write_b64 v5, v[1:2] offset:64
.LBB918_150:
	s_or_b64 exec, exec, s[10:11]
	v_cmp_gt_u32_e32 vcc, 64, v0
	s_waitcnt lgkmcnt(0)
	s_barrier
	s_and_saveexec_b64 s[10:11], vcc
	s_cbranch_execz .LBB918_152
; %bb.151:
	v_and_b32_e32 v5, 3, v3
	v_lshlrev_b32_e32 v1, 3, v5
	ds_read_b64 v[1:2], v1 offset:64
	v_cmp_ne_u32_e32 vcc, 3, v5
	v_addc_co_u32_e32 v3, vcc, 0, v3, vcc
	v_lshlrev_b32_e32 v3, 2, v3
	s_waitcnt lgkmcnt(0)
	ds_bpermute_b32 v5, v3, v1
	ds_bpermute_b32 v3, v3, v2
	v_or_b32_e32 v4, 8, v4
	s_waitcnt lgkmcnt(1)
	v_add_co_u32_e32 v1, vcc, v1, v5
	v_addc_co_u32_e32 v2, vcc, 0, v2, vcc
	ds_bpermute_b32 v5, v4, v1
	v_add_co_u32_e32 v1, vcc, 0, v1
	s_waitcnt lgkmcnt(1)
	v_addc_co_u32_e32 v2, vcc, v3, v2, vcc
	ds_bpermute_b32 v3, v4, v2
	s_waitcnt lgkmcnt(1)
	v_add_co_u32_e32 v1, vcc, v1, v5
	v_addc_co_u32_e32 v2, vcc, 0, v2, vcc
	v_add_co_u32_e32 v1, vcc, 0, v1
	s_waitcnt lgkmcnt(0)
	v_addc_co_u32_e32 v2, vcc, v2, v3, vcc
.LBB918_152:
	s_or_b64 exec, exec, s[10:11]
	s_branch .LBB918_177
.LBB918_153:
                                        ; implicit-def: $vgpr1_vgpr2
                                        ; implicit-def: $vgpr3_vgpr4
	s_cbranch_execnz .LBB918_178
	s_branch .LBB918_206
.LBB918_154:
	s_branch .LBB918_206
.LBB918_155:
                                        ; implicit-def: $vgpr1_vgpr2
	s_cbranch_execz .LBB918_177
; %bb.156:
	s_sub_i32 s10, s20, s8
	v_mov_b32_e32 v1, 0
	v_cmp_gt_u32_e32 vcc, s10, v0
	v_mov_b32_e32 v2, v1
	v_mov_b32_e32 v3, v1
	;; [unrolled: 1-line block ×3, first 2 shown]
	s_and_saveexec_b64 s[8:9], vcc
	s_cbranch_execz .LBB918_158
; %bb.157:
	v_lshlrev_b32_e32 v2, 1, v0
	global_load_ushort v5, v2, s[0:1]
	global_load_ushort v6, v2, s[2:3]
	v_mov_b32_e32 v3, v1
	v_mov_b32_e32 v4, v1
	s_waitcnt vmcnt(1)
	v_mul_u32_u24_e32 v2, 0xcccd, v5
	s_waitcnt vmcnt(0)
	v_mul_u32_u24_e32 v5, 0xcccd, v6
	v_lshrrev_b32_e32 v2, 19, v2
	v_lshrrev_b32_e32 v5, 19, v5
	v_cmp_ne_u16_e32 vcc, v2, v5
	v_cndmask_b32_e64 v2, 0, 1, vcc
	v_and_b32_e32 v2, 0xffff, v2
	v_mov_b32_e32 v5, v1
	v_mov_b32_e32 v1, v2
	;; [unrolled: 1-line block ×5, first 2 shown]
.LBB918_158:
	s_or_b64 exec, exec, s[8:9]
	v_or_b32_e32 v5, 0x100, v0
	v_cmp_gt_u32_e32 vcc, s10, v5
	s_and_saveexec_b64 s[8:9], vcc
	s_cbranch_execz .LBB918_160
; %bb.159:
	v_lshlrev_b32_e32 v3, 1, v0
	global_load_ushort v4, v3, s[0:1] offset:512
	global_load_ushort v5, v3, s[2:3] offset:512
	s_mov_b32 s2, 0
	s_waitcnt vmcnt(1)
	v_mul_u32_u24_e32 v3, 0xcccd, v4
	s_waitcnt vmcnt(0)
	v_mul_u32_u24_e32 v4, 0xcccd, v5
	v_lshrrev_b32_e32 v3, 19, v3
	v_lshrrev_b32_e32 v4, 19, v4
	v_cmp_ne_u16_e64 s[0:1], v3, v4
	v_cndmask_b32_e64 v3, 0, 1, s[0:1]
	v_mov_b32_e32 v4, s2
.LBB918_160:
	s_or_b64 exec, exec, s[8:9]
	v_cndmask_b32_e32 v3, 0, v3, vcc
	v_cndmask_b32_e32 v4, 0, v4, vcc
	v_add_co_u32_e32 v1, vcc, v3, v1
	v_mbcnt_lo_u32_b32 v3, -1, 0
	v_mbcnt_hi_u32_b32 v3, -1, v3
	v_addc_co_u32_e32 v2, vcc, v4, v2, vcc
	v_and_b32_e32 v4, 63, v3
	v_cmp_ne_u32_e32 vcc, 63, v4
	v_addc_co_u32_e32 v6, vcc, 0, v3, vcc
	v_lshlrev_b32_e32 v6, 2, v6
	ds_bpermute_b32 v8, v6, v1
	ds_bpermute_b32 v7, v6, v2
	s_min_u32 s2, s10, 0x100
	v_and_b32_e32 v5, 0xc0, v0
	v_sub_u32_e64 v5, s2, v5 clamp
	v_add_u32_e32 v6, 1, v4
	v_cmp_lt_u32_e32 vcc, v6, v5
	v_mov_b32_e32 v6, v1
	s_and_saveexec_b64 s[0:1], vcc
	s_cbranch_execz .LBB918_162
; %bb.161:
	s_waitcnt lgkmcnt(1)
	v_add_co_u32_e32 v6, vcc, v1, v8
	v_addc_co_u32_e32 v2, vcc, 0, v2, vcc
	v_add_co_u32_e32 v1, vcc, 0, v6
	s_waitcnt lgkmcnt(0)
	v_addc_co_u32_e32 v2, vcc, v7, v2, vcc
.LBB918_162:
	s_or_b64 exec, exec, s[0:1]
	v_cmp_gt_u32_e32 vcc, 62, v4
	s_waitcnt lgkmcnt(0)
	v_cndmask_b32_e64 v7, 0, 2, vcc
	v_add_lshl_u32 v7, v7, v3, 2
	ds_bpermute_b32 v8, v7, v6
	ds_bpermute_b32 v7, v7, v2
	v_add_u32_e32 v9, 2, v4
	v_cmp_lt_u32_e32 vcc, v9, v5
	s_and_saveexec_b64 s[0:1], vcc
	s_cbranch_execz .LBB918_164
; %bb.163:
	s_waitcnt lgkmcnt(1)
	v_add_co_u32_e32 v6, vcc, v1, v8
	v_addc_co_u32_e32 v2, vcc, 0, v2, vcc
	v_add_co_u32_e32 v1, vcc, 0, v6
	s_waitcnt lgkmcnt(0)
	v_addc_co_u32_e32 v2, vcc, v7, v2, vcc
.LBB918_164:
	s_or_b64 exec, exec, s[0:1]
	v_cmp_gt_u32_e32 vcc, 60, v4
	s_waitcnt lgkmcnt(0)
	v_cndmask_b32_e64 v7, 0, 4, vcc
	v_add_lshl_u32 v7, v7, v3, 2
	ds_bpermute_b32 v8, v7, v6
	ds_bpermute_b32 v7, v7, v2
	v_add_u32_e32 v9, 4, v4
	v_cmp_lt_u32_e32 vcc, v9, v5
	;; [unrolled: 19-line block ×4, first 2 shown]
	s_and_saveexec_b64 s[0:1], vcc
	s_cbranch_execz .LBB918_170
; %bb.169:
	s_waitcnt lgkmcnt(1)
	v_add_co_u32_e32 v6, vcc, v1, v8
	v_addc_co_u32_e32 v2, vcc, 0, v2, vcc
	v_add_co_u32_e32 v1, vcc, 0, v6
	s_waitcnt lgkmcnt(0)
	v_addc_co_u32_e32 v2, vcc, v7, v2, vcc
.LBB918_170:
	s_or_b64 exec, exec, s[0:1]
	s_waitcnt lgkmcnt(0)
	v_lshlrev_b32_e32 v7, 2, v3
	v_or_b32_e32 v8, 0x80, v7
	ds_bpermute_b32 v6, v8, v6
	ds_bpermute_b32 v8, v8, v2
	v_add_u32_e32 v4, 32, v4
	s_waitcnt lgkmcnt(1)
	v_add_co_u32_e32 v6, vcc, v1, v6
	v_addc_co_u32_e32 v9, vcc, 0, v2, vcc
	v_add_co_u32_e32 v6, vcc, 0, v6
	s_waitcnt lgkmcnt(0)
	v_addc_co_u32_e32 v8, vcc, v9, v8, vcc
	v_cmp_lt_u32_e32 vcc, v4, v5
	v_cndmask_b32_e32 v2, v2, v8, vcc
	v_cndmask_b32_e32 v1, v1, v6, vcc
	v_cmp_eq_u32_e32 vcc, 0, v3
	s_and_saveexec_b64 s[0:1], vcc
; %bb.171:
	v_lshrrev_b32_e32 v4, 3, v0
	v_and_b32_e32 v4, 24, v4
	ds_write_b64 v4, v[1:2] offset:160
; %bb.172:
	s_or_b64 exec, exec, s[0:1]
	v_cmp_gt_u32_e32 vcc, 4, v0
	s_waitcnt lgkmcnt(0)
	s_barrier
	s_and_saveexec_b64 s[0:1], vcc
	s_cbranch_execz .LBB918_176
; %bb.173:
	v_lshlrev_b32_e32 v1, 3, v3
	ds_read_b64 v[1:2], v1 offset:160
	v_and_b32_e32 v4, 3, v3
	v_cmp_ne_u32_e32 vcc, 3, v4
	v_addc_co_u32_e32 v3, vcc, 0, v3, vcc
	v_lshlrev_b32_e32 v3, 2, v3
	s_waitcnt lgkmcnt(0)
	ds_bpermute_b32 v6, v3, v1
	ds_bpermute_b32 v5, v3, v2
	s_add_i32 s2, s2, 63
	s_lshr_b32 s8, s2, 6
	v_add_u32_e32 v3, 1, v4
	v_cmp_gt_u32_e32 vcc, s8, v3
	v_mov_b32_e32 v3, v1
	s_and_saveexec_b64 s[2:3], vcc
	s_cbranch_execz .LBB918_175
; %bb.174:
	s_waitcnt lgkmcnt(1)
	v_add_co_u32_e32 v3, vcc, v1, v6
	v_addc_co_u32_e32 v2, vcc, 0, v2, vcc
	v_add_co_u32_e32 v1, vcc, 0, v3
	s_waitcnt lgkmcnt(0)
	v_addc_co_u32_e32 v2, vcc, v5, v2, vcc
.LBB918_175:
	s_or_b64 exec, exec, s[2:3]
	s_waitcnt lgkmcnt(0)
	v_or_b32_e32 v5, 8, v7
	ds_bpermute_b32 v3, v5, v3
	ds_bpermute_b32 v5, v5, v2
	v_add_u32_e32 v4, 2, v4
	s_waitcnt lgkmcnt(1)
	v_add_co_u32_e32 v3, vcc, v1, v3
	v_addc_co_u32_e32 v6, vcc, 0, v2, vcc
	v_add_co_u32_e32 v3, vcc, 0, v3
	s_waitcnt lgkmcnt(0)
	v_addc_co_u32_e32 v5, vcc, v6, v5, vcc
	v_cmp_gt_u32_e32 vcc, s8, v4
	v_cndmask_b32_e32 v2, v2, v5, vcc
	v_cndmask_b32_e32 v1, v1, v3, vcc
.LBB918_176:
	s_or_b64 exec, exec, s[0:1]
.LBB918_177:
	v_mov_b32_e32 v3, s6
	v_cmp_eq_u32_e64 s[0:1], 0, v0
	v_mov_b32_e32 v4, s7
	s_branch .LBB918_206
.LBB918_178:
	s_cmp_eq_u32 s30, 1
                                        ; implicit-def: $vgpr1_vgpr2
                                        ; implicit-def: $vgpr3_vgpr4
	s_cbranch_scc0 .LBB918_206
; %bb.179:
	s_mov_b32 s1, 0
	s_lshl_b32 s0, s6, 8
	s_mov_b32 s7, s1
	s_lshr_b64 s[2:3], s[20:21], 8
	s_cmp_lg_u64 s[2:3], s[6:7]
	v_mbcnt_lo_u32_b32 v3, -1, 0
	s_cbranch_scc0 .LBB918_185
; %bb.180:
	s_lshl_b64 s[2:3], s[0:1], 1
	s_add_u32 s8, s24, s2
	s_addc_u32 s9, s25, s3
	s_add_u32 s2, s26, s2
	v_lshlrev_b32_e32 v1, 1, v0
	s_addc_u32 s3, s27, s3
	global_load_ushort v2, v1, s[8:9]
	v_mov_b32_e32 v5, 0
	global_load_ushort v1, v1, s[2:3]
	v_mbcnt_hi_u32_b32 v4, -1, v3
	v_mov_b32_dpp v6, v5 quad_perm:[1,0,3,2] row_mask:0xf bank_mask:0xf bound_ctrl:1
	v_lshlrev_b32_e32 v5, 2, v4
	v_or_b32_e32 v7, 0xfc, v5
	s_waitcnt vmcnt(1)
	v_mul_u32_u24_e32 v2, 0xcccd, v2
	v_lshrrev_b32_e32 v2, 19, v2
	s_waitcnt vmcnt(0)
	v_mul_u32_u24_e32 v1, 0xcccd, v1
	v_lshrrev_b32_e32 v1, 19, v1
	v_cmp_ne_u16_e32 vcc, v2, v1
	v_cndmask_b32_e64 v1, 0, 1, vcc
	s_nop 1
	v_mov_b32_dpp v2, v1 quad_perm:[1,0,3,2] row_mask:0xf bank_mask:0xf bound_ctrl:1
	v_add_co_u32_e32 v1, vcc, v2, v1
	v_addc_co_u32_e64 v2, s[2:3], 0, 0, vcc
	v_add_co_u32_e32 v8, vcc, 0, v1
	v_addc_co_u32_e32 v2, vcc, v6, v2, vcc
	v_mov_b32_dpp v1, v1 quad_perm:[2,3,0,1] row_mask:0xf bank_mask:0xf bound_ctrl:1
	v_add_co_u32_e32 v1, vcc, v8, v1
	v_mov_b32_dpp v6, v2 quad_perm:[2,3,0,1] row_mask:0xf bank_mask:0xf bound_ctrl:1
	v_addc_co_u32_e32 v2, vcc, 0, v2, vcc
	v_add_co_u32_e32 v8, vcc, 0, v1
	v_addc_co_u32_e32 v2, vcc, v2, v6, vcc
	v_mov_b32_dpp v1, v1 row_ror:4 row_mask:0xf bank_mask:0xf bound_ctrl:1
	v_add_co_u32_e32 v1, vcc, v8, v1
	v_mov_b32_dpp v6, v2 row_ror:4 row_mask:0xf bank_mask:0xf bound_ctrl:1
	v_addc_co_u32_e32 v2, vcc, 0, v2, vcc
	v_add_co_u32_e32 v8, vcc, 0, v1
	v_addc_co_u32_e32 v2, vcc, v2, v6, vcc
	v_mov_b32_dpp v1, v1 row_ror:8 row_mask:0xf bank_mask:0xf bound_ctrl:1
	v_add_co_u32_e32 v1, vcc, v8, v1
	v_mov_b32_dpp v6, v2 row_ror:8 row_mask:0xf bank_mask:0xf bound_ctrl:1
	v_addc_co_u32_e32 v2, vcc, 0, v2, vcc
	v_add_co_u32_e32 v8, vcc, 0, v1
	v_addc_co_u32_e32 v2, vcc, v2, v6, vcc
	v_mov_b32_dpp v1, v1 row_bcast:15 row_mask:0xf bank_mask:0xf bound_ctrl:1
	v_add_co_u32_e32 v1, vcc, v8, v1
	v_mov_b32_dpp v6, v2 row_bcast:15 row_mask:0xf bank_mask:0xf bound_ctrl:1
	v_addc_co_u32_e32 v2, vcc, 0, v2, vcc
	v_add_co_u32_e32 v8, vcc, 0, v1
	v_addc_co_u32_e32 v2, vcc, v2, v6, vcc
	v_mov_b32_dpp v1, v1 row_bcast:31 row_mask:0xf bank_mask:0xf bound_ctrl:1
	v_add_co_u32_e32 v1, vcc, v8, v1
	v_addc_co_u32_e32 v6, vcc, 0, v2, vcc
	ds_bpermute_b32 v1, v7, v1
	s_nop 0
	v_add_u32_dpp v2, v2, v6 row_bcast:31 row_mask:0xf bank_mask:0xf bound_ctrl:1
	ds_bpermute_b32 v2, v7, v2
	v_cmp_eq_u32_e32 vcc, 0, v4
	s_and_saveexec_b64 s[2:3], vcc
	s_cbranch_execz .LBB918_182
; %bb.181:
	v_lshrrev_b32_e32 v6, 3, v0
	v_and_b32_e32 v6, 24, v6
	s_waitcnt lgkmcnt(0)
	ds_write_b64 v6, v[1:2] offset:32
.LBB918_182:
	s_or_b64 exec, exec, s[2:3]
	v_cmp_gt_u32_e32 vcc, 64, v0
	s_waitcnt lgkmcnt(0)
	s_barrier
	s_and_saveexec_b64 s[2:3], vcc
	s_cbranch_execz .LBB918_184
; %bb.183:
	v_and_b32_e32 v6, 3, v4
	v_lshlrev_b32_e32 v1, 3, v6
	ds_read_b64 v[1:2], v1 offset:32
	v_cmp_ne_u32_e32 vcc, 3, v6
	v_addc_co_u32_e32 v4, vcc, 0, v4, vcc
	v_lshlrev_b32_e32 v4, 2, v4
	s_waitcnt lgkmcnt(0)
	ds_bpermute_b32 v6, v4, v1
	ds_bpermute_b32 v4, v4, v2
	v_or_b32_e32 v5, 8, v5
	s_waitcnt lgkmcnt(1)
	v_add_co_u32_e32 v1, vcc, v1, v6
	v_addc_co_u32_e32 v2, vcc, 0, v2, vcc
	ds_bpermute_b32 v6, v5, v1
	v_add_co_u32_e32 v1, vcc, 0, v1
	s_waitcnt lgkmcnt(1)
	v_addc_co_u32_e32 v2, vcc, v4, v2, vcc
	ds_bpermute_b32 v4, v5, v2
	s_waitcnt lgkmcnt(1)
	v_add_co_u32_e32 v1, vcc, v1, v6
	v_addc_co_u32_e32 v2, vcc, 0, v2, vcc
	v_add_co_u32_e32 v1, vcc, 0, v1
	s_waitcnt lgkmcnt(0)
	v_addc_co_u32_e32 v2, vcc, v2, v4, vcc
.LBB918_184:
	s_or_b64 exec, exec, s[2:3]
	s_branch .LBB918_205
.LBB918_185:
                                        ; implicit-def: $vgpr1_vgpr2
	s_cbranch_execz .LBB918_205
; %bb.186:
	s_sub_i32 s8, s20, s0
	v_cmp_gt_u32_e32 vcc, s8, v0
                                        ; implicit-def: $vgpr1_vgpr2
	s_and_saveexec_b64 s[2:3], vcc
	s_cbranch_execz .LBB918_188
; %bb.187:
	s_lshl_b64 s[0:1], s[0:1], 1
	s_add_u32 s10, s26, s0
	s_addc_u32 s11, s27, s1
	s_add_u32 s0, s24, s0
	s_addc_u32 s1, s25, s1
	v_lshlrev_b32_e32 v1, 1, v0
	global_load_ushort v2, v1, s[0:1]
	global_load_ushort v4, v1, s[10:11]
	s_mov_b32 s0, 0
	s_waitcnt vmcnt(1)
	v_mul_u32_u24_e32 v1, 0xcccd, v2
	s_waitcnt vmcnt(0)
	v_mul_u32_u24_e32 v2, 0xcccd, v4
	v_lshrrev_b32_e32 v1, 19, v1
	v_lshrrev_b32_e32 v2, 19, v2
	v_cmp_ne_u16_e32 vcc, v1, v2
	v_cndmask_b32_e64 v1, 0, 1, vcc
	v_mov_b32_e32 v2, s0
.LBB918_188:
	s_or_b64 exec, exec, s[2:3]
	v_mbcnt_hi_u32_b32 v3, -1, v3
	v_and_b32_e32 v4, 63, v3
	v_cmp_ne_u32_e32 vcc, 63, v4
	v_addc_co_u32_e32 v6, vcc, 0, v3, vcc
	v_lshlrev_b32_e32 v6, 2, v6
	ds_bpermute_b32 v8, v6, v1
	ds_bpermute_b32 v7, v6, v2
	s_min_u32 s2, s8, 0x100
	v_and_b32_e32 v5, 0xc0, v0
	v_sub_u32_e64 v5, s2, v5 clamp
	v_add_u32_e32 v6, 1, v4
	v_cmp_lt_u32_e32 vcc, v6, v5
	v_mov_b32_e32 v6, v1
	s_and_saveexec_b64 s[0:1], vcc
	s_cbranch_execz .LBB918_190
; %bb.189:
	s_waitcnt lgkmcnt(1)
	v_add_co_u32_e32 v6, vcc, v1, v8
	v_addc_co_u32_e32 v2, vcc, 0, v2, vcc
	v_add_co_u32_e32 v1, vcc, 0, v6
	s_waitcnt lgkmcnt(0)
	v_addc_co_u32_e32 v2, vcc, v7, v2, vcc
.LBB918_190:
	s_or_b64 exec, exec, s[0:1]
	v_cmp_gt_u32_e32 vcc, 62, v4
	s_waitcnt lgkmcnt(0)
	v_cndmask_b32_e64 v7, 0, 2, vcc
	v_add_lshl_u32 v7, v7, v3, 2
	ds_bpermute_b32 v8, v7, v6
	ds_bpermute_b32 v7, v7, v2
	v_add_u32_e32 v9, 2, v4
	v_cmp_lt_u32_e32 vcc, v9, v5
	s_and_saveexec_b64 s[0:1], vcc
	s_cbranch_execz .LBB918_192
; %bb.191:
	s_waitcnt lgkmcnt(1)
	v_add_co_u32_e32 v6, vcc, v1, v8
	v_addc_co_u32_e32 v2, vcc, 0, v2, vcc
	v_add_co_u32_e32 v1, vcc, 0, v6
	s_waitcnt lgkmcnt(0)
	v_addc_co_u32_e32 v2, vcc, v7, v2, vcc
.LBB918_192:
	s_or_b64 exec, exec, s[0:1]
	v_cmp_gt_u32_e32 vcc, 60, v4
	s_waitcnt lgkmcnt(0)
	v_cndmask_b32_e64 v7, 0, 4, vcc
	v_add_lshl_u32 v7, v7, v3, 2
	ds_bpermute_b32 v8, v7, v6
	ds_bpermute_b32 v7, v7, v2
	v_add_u32_e32 v9, 4, v4
	v_cmp_lt_u32_e32 vcc, v9, v5
	s_and_saveexec_b64 s[0:1], vcc
	s_cbranch_execz .LBB918_194
; %bb.193:
	s_waitcnt lgkmcnt(1)
	v_add_co_u32_e32 v6, vcc, v1, v8
	v_addc_co_u32_e32 v2, vcc, 0, v2, vcc
	v_add_co_u32_e32 v1, vcc, 0, v6
	s_waitcnt lgkmcnt(0)
	v_addc_co_u32_e32 v2, vcc, v7, v2, vcc
.LBB918_194:
	s_or_b64 exec, exec, s[0:1]
	v_cmp_gt_u32_e32 vcc, 56, v4
	s_waitcnt lgkmcnt(0)
	v_cndmask_b32_e64 v7, 0, 8, vcc
	v_add_lshl_u32 v7, v7, v3, 2
	ds_bpermute_b32 v8, v7, v6
	ds_bpermute_b32 v7, v7, v2
	v_add_u32_e32 v9, 8, v4
	v_cmp_lt_u32_e32 vcc, v9, v5
	s_and_saveexec_b64 s[0:1], vcc
	s_cbranch_execz .LBB918_196
; %bb.195:
	s_waitcnt lgkmcnt(1)
	v_add_co_u32_e32 v6, vcc, v1, v8
	v_addc_co_u32_e32 v2, vcc, 0, v2, vcc
	v_add_co_u32_e32 v1, vcc, 0, v6
	s_waitcnt lgkmcnt(0)
	v_addc_co_u32_e32 v2, vcc, v7, v2, vcc
.LBB918_196:
	s_or_b64 exec, exec, s[0:1]
	v_cmp_gt_u32_e32 vcc, 48, v4
	s_waitcnt lgkmcnt(0)
	v_cndmask_b32_e64 v7, 0, 16, vcc
	v_add_lshl_u32 v7, v7, v3, 2
	ds_bpermute_b32 v8, v7, v6
	ds_bpermute_b32 v7, v7, v2
	v_add_u32_e32 v9, 16, v4
	v_cmp_lt_u32_e32 vcc, v9, v5
	s_and_saveexec_b64 s[0:1], vcc
	s_cbranch_execz .LBB918_198
; %bb.197:
	s_waitcnt lgkmcnt(1)
	v_add_co_u32_e32 v6, vcc, v1, v8
	v_addc_co_u32_e32 v2, vcc, 0, v2, vcc
	v_add_co_u32_e32 v1, vcc, 0, v6
	s_waitcnt lgkmcnt(0)
	v_addc_co_u32_e32 v2, vcc, v7, v2, vcc
.LBB918_198:
	s_or_b64 exec, exec, s[0:1]
	s_waitcnt lgkmcnt(0)
	v_lshlrev_b32_e32 v7, 2, v3
	v_or_b32_e32 v8, 0x80, v7
	ds_bpermute_b32 v6, v8, v6
	ds_bpermute_b32 v8, v8, v2
	v_add_u32_e32 v4, 32, v4
	s_waitcnt lgkmcnt(1)
	v_add_co_u32_e32 v6, vcc, v1, v6
	v_addc_co_u32_e32 v9, vcc, 0, v2, vcc
	v_add_co_u32_e32 v6, vcc, 0, v6
	s_waitcnt lgkmcnt(0)
	v_addc_co_u32_e32 v8, vcc, v9, v8, vcc
	v_cmp_lt_u32_e32 vcc, v4, v5
	v_cndmask_b32_e32 v2, v2, v8, vcc
	v_cndmask_b32_e32 v1, v1, v6, vcc
	v_cmp_eq_u32_e32 vcc, 0, v3
	s_and_saveexec_b64 s[0:1], vcc
; %bb.199:
	v_lshrrev_b32_e32 v4, 3, v0
	v_and_b32_e32 v4, 24, v4
	ds_write_b64 v4, v[1:2] offset:160
; %bb.200:
	s_or_b64 exec, exec, s[0:1]
	v_cmp_gt_u32_e32 vcc, 4, v0
	s_waitcnt lgkmcnt(0)
	s_barrier
	s_and_saveexec_b64 s[0:1], vcc
	s_cbranch_execz .LBB918_204
; %bb.201:
	v_lshlrev_b32_e32 v1, 3, v3
	ds_read_b64 v[1:2], v1 offset:160
	v_and_b32_e32 v4, 3, v3
	v_cmp_ne_u32_e32 vcc, 3, v4
	v_addc_co_u32_e32 v3, vcc, 0, v3, vcc
	v_lshlrev_b32_e32 v3, 2, v3
	s_waitcnt lgkmcnt(0)
	ds_bpermute_b32 v6, v3, v1
	ds_bpermute_b32 v5, v3, v2
	s_add_i32 s2, s2, 63
	s_lshr_b32 s8, s2, 6
	v_add_u32_e32 v3, 1, v4
	v_cmp_gt_u32_e32 vcc, s8, v3
	v_mov_b32_e32 v3, v1
	s_and_saveexec_b64 s[2:3], vcc
	s_cbranch_execz .LBB918_203
; %bb.202:
	s_waitcnt lgkmcnt(1)
	v_add_co_u32_e32 v3, vcc, v1, v6
	v_addc_co_u32_e32 v2, vcc, 0, v2, vcc
	v_add_co_u32_e32 v1, vcc, 0, v3
	s_waitcnt lgkmcnt(0)
	v_addc_co_u32_e32 v2, vcc, v5, v2, vcc
.LBB918_203:
	s_or_b64 exec, exec, s[2:3]
	s_waitcnt lgkmcnt(0)
	v_or_b32_e32 v5, 8, v7
	ds_bpermute_b32 v3, v5, v3
	ds_bpermute_b32 v5, v5, v2
	v_add_u32_e32 v4, 2, v4
	s_waitcnt lgkmcnt(1)
	v_add_co_u32_e32 v3, vcc, v1, v3
	v_addc_co_u32_e32 v6, vcc, 0, v2, vcc
	v_add_co_u32_e32 v3, vcc, 0, v3
	s_waitcnt lgkmcnt(0)
	v_addc_co_u32_e32 v5, vcc, v6, v5, vcc
	v_cmp_gt_u32_e32 vcc, s8, v4
	v_cndmask_b32_e32 v2, v2, v5, vcc
	v_cndmask_b32_e32 v1, v1, v3, vcc
.LBB918_204:
	s_or_b64 exec, exec, s[0:1]
.LBB918_205:
	v_mov_b32_e32 v3, s6
	v_cmp_eq_u32_e64 s[0:1], 0, v0
	v_mov_b32_e32 v4, s7
.LBB918_206:
	s_and_saveexec_b64 s[2:3], s[0:1]
	s_cbranch_execz .LBB918_208
; %bb.207:
	v_lshlrev_b64 v[3:4], 3, v[3:4]
	s_load_dwordx2 s[0:1], s[4:5], 0x30
	v_mov_b32_e32 v0, s23
	v_add_co_u32_e32 v3, vcc, s22, v3
	v_addc_co_u32_e32 v4, vcc, v0, v4, vcc
	s_cmp_lg_u64 s[20:21], 0
	s_cselect_b64 vcc, -1, 0
	v_cndmask_b32_e32 v0, 0, v1, vcc
	v_cndmask_b32_e32 v2, 0, v2, vcc
	s_waitcnt lgkmcnt(0)
	v_mov_b32_e32 v1, s1
	v_add_co_u32_e32 v0, vcc, s0, v0
	v_addc_co_u32_e32 v1, vcc, v2, v1, vcc
	global_store_dwordx2 v[3:4], v[0:1], off
.LBB918_208:
	s_endpgm
	.section	.rodata,"a",@progbits
	.p2align	6, 0x0
	.amdhsa_kernel _ZN7rocprim17ROCPRIM_400000_NS6detail17trampoline_kernelINS0_14default_configENS1_22reduce_config_selectorIlEEZNS1_11reduce_implILb1ES3_N6thrust23THRUST_200600_302600_NS11hip_rocprim26transform_input_iterator_tIlNS8_12zip_iteratorINS8_5tupleINS8_6detail15normal_iteratorINS8_10device_ptrItEEEESH_NS8_9null_typeESI_SI_SI_SI_SI_SI_SI_EEEENS9_21zip_adj_not_predicateI22is_equal_div_10_uniqueItEEEEEPllNS8_4plusIlEEEE10hipError_tPvRmT1_T2_T3_mT4_P12ihipStream_tbEUlT_E1_NS1_11comp_targetILNS1_3genE2ELNS1_11target_archE906ELNS1_3gpuE6ELNS1_3repE0EEENS1_30default_config_static_selectorELNS0_4arch9wavefront6targetE1EEEvSW_
		.amdhsa_group_segment_fixed_size 192
		.amdhsa_private_segment_fixed_size 0
		.amdhsa_kernarg_size 64
		.amdhsa_user_sgpr_count 6
		.amdhsa_user_sgpr_private_segment_buffer 1
		.amdhsa_user_sgpr_dispatch_ptr 0
		.amdhsa_user_sgpr_queue_ptr 0
		.amdhsa_user_sgpr_kernarg_segment_ptr 1
		.amdhsa_user_sgpr_dispatch_id 0
		.amdhsa_user_sgpr_flat_scratch_init 0
		.amdhsa_user_sgpr_private_segment_size 0
		.amdhsa_uses_dynamic_stack 0
		.amdhsa_system_sgpr_private_segment_wavefront_offset 0
		.amdhsa_system_sgpr_workgroup_id_x 1
		.amdhsa_system_sgpr_workgroup_id_y 0
		.amdhsa_system_sgpr_workgroup_id_z 0
		.amdhsa_system_sgpr_workgroup_info 0
		.amdhsa_system_vgpr_workitem_id 0
		.amdhsa_next_free_vgpr 35
		.amdhsa_next_free_sgpr 34
		.amdhsa_reserve_vcc 1
		.amdhsa_reserve_flat_scratch 0
		.amdhsa_float_round_mode_32 0
		.amdhsa_float_round_mode_16_64 0
		.amdhsa_float_denorm_mode_32 3
		.amdhsa_float_denorm_mode_16_64 3
		.amdhsa_dx10_clamp 1
		.amdhsa_ieee_mode 1
		.amdhsa_fp16_overflow 0
		.amdhsa_exception_fp_ieee_invalid_op 0
		.amdhsa_exception_fp_denorm_src 0
		.amdhsa_exception_fp_ieee_div_zero 0
		.amdhsa_exception_fp_ieee_overflow 0
		.amdhsa_exception_fp_ieee_underflow 0
		.amdhsa_exception_fp_ieee_inexact 0
		.amdhsa_exception_int_div_zero 0
	.end_amdhsa_kernel
	.section	.text._ZN7rocprim17ROCPRIM_400000_NS6detail17trampoline_kernelINS0_14default_configENS1_22reduce_config_selectorIlEEZNS1_11reduce_implILb1ES3_N6thrust23THRUST_200600_302600_NS11hip_rocprim26transform_input_iterator_tIlNS8_12zip_iteratorINS8_5tupleINS8_6detail15normal_iteratorINS8_10device_ptrItEEEESH_NS8_9null_typeESI_SI_SI_SI_SI_SI_SI_EEEENS9_21zip_adj_not_predicateI22is_equal_div_10_uniqueItEEEEEPllNS8_4plusIlEEEE10hipError_tPvRmT1_T2_T3_mT4_P12ihipStream_tbEUlT_E1_NS1_11comp_targetILNS1_3genE2ELNS1_11target_archE906ELNS1_3gpuE6ELNS1_3repE0EEENS1_30default_config_static_selectorELNS0_4arch9wavefront6targetE1EEEvSW_,"axG",@progbits,_ZN7rocprim17ROCPRIM_400000_NS6detail17trampoline_kernelINS0_14default_configENS1_22reduce_config_selectorIlEEZNS1_11reduce_implILb1ES3_N6thrust23THRUST_200600_302600_NS11hip_rocprim26transform_input_iterator_tIlNS8_12zip_iteratorINS8_5tupleINS8_6detail15normal_iteratorINS8_10device_ptrItEEEESH_NS8_9null_typeESI_SI_SI_SI_SI_SI_SI_EEEENS9_21zip_adj_not_predicateI22is_equal_div_10_uniqueItEEEEEPllNS8_4plusIlEEEE10hipError_tPvRmT1_T2_T3_mT4_P12ihipStream_tbEUlT_E1_NS1_11comp_targetILNS1_3genE2ELNS1_11target_archE906ELNS1_3gpuE6ELNS1_3repE0EEENS1_30default_config_static_selectorELNS0_4arch9wavefront6targetE1EEEvSW_,comdat
.Lfunc_end918:
	.size	_ZN7rocprim17ROCPRIM_400000_NS6detail17trampoline_kernelINS0_14default_configENS1_22reduce_config_selectorIlEEZNS1_11reduce_implILb1ES3_N6thrust23THRUST_200600_302600_NS11hip_rocprim26transform_input_iterator_tIlNS8_12zip_iteratorINS8_5tupleINS8_6detail15normal_iteratorINS8_10device_ptrItEEEESH_NS8_9null_typeESI_SI_SI_SI_SI_SI_SI_EEEENS9_21zip_adj_not_predicateI22is_equal_div_10_uniqueItEEEEEPllNS8_4plusIlEEEE10hipError_tPvRmT1_T2_T3_mT4_P12ihipStream_tbEUlT_E1_NS1_11comp_targetILNS1_3genE2ELNS1_11target_archE906ELNS1_3gpuE6ELNS1_3repE0EEENS1_30default_config_static_selectorELNS0_4arch9wavefront6targetE1EEEvSW_, .Lfunc_end918-_ZN7rocprim17ROCPRIM_400000_NS6detail17trampoline_kernelINS0_14default_configENS1_22reduce_config_selectorIlEEZNS1_11reduce_implILb1ES3_N6thrust23THRUST_200600_302600_NS11hip_rocprim26transform_input_iterator_tIlNS8_12zip_iteratorINS8_5tupleINS8_6detail15normal_iteratorINS8_10device_ptrItEEEESH_NS8_9null_typeESI_SI_SI_SI_SI_SI_SI_EEEENS9_21zip_adj_not_predicateI22is_equal_div_10_uniqueItEEEEEPllNS8_4plusIlEEEE10hipError_tPvRmT1_T2_T3_mT4_P12ihipStream_tbEUlT_E1_NS1_11comp_targetILNS1_3genE2ELNS1_11target_archE906ELNS1_3gpuE6ELNS1_3repE0EEENS1_30default_config_static_selectorELNS0_4arch9wavefront6targetE1EEEvSW_
                                        ; -- End function
	.set _ZN7rocprim17ROCPRIM_400000_NS6detail17trampoline_kernelINS0_14default_configENS1_22reduce_config_selectorIlEEZNS1_11reduce_implILb1ES3_N6thrust23THRUST_200600_302600_NS11hip_rocprim26transform_input_iterator_tIlNS8_12zip_iteratorINS8_5tupleINS8_6detail15normal_iteratorINS8_10device_ptrItEEEESH_NS8_9null_typeESI_SI_SI_SI_SI_SI_SI_EEEENS9_21zip_adj_not_predicateI22is_equal_div_10_uniqueItEEEEEPllNS8_4plusIlEEEE10hipError_tPvRmT1_T2_T3_mT4_P12ihipStream_tbEUlT_E1_NS1_11comp_targetILNS1_3genE2ELNS1_11target_archE906ELNS1_3gpuE6ELNS1_3repE0EEENS1_30default_config_static_selectorELNS0_4arch9wavefront6targetE1EEEvSW_.num_vgpr, 35
	.set _ZN7rocprim17ROCPRIM_400000_NS6detail17trampoline_kernelINS0_14default_configENS1_22reduce_config_selectorIlEEZNS1_11reduce_implILb1ES3_N6thrust23THRUST_200600_302600_NS11hip_rocprim26transform_input_iterator_tIlNS8_12zip_iteratorINS8_5tupleINS8_6detail15normal_iteratorINS8_10device_ptrItEEEESH_NS8_9null_typeESI_SI_SI_SI_SI_SI_SI_EEEENS9_21zip_adj_not_predicateI22is_equal_div_10_uniqueItEEEEEPllNS8_4plusIlEEEE10hipError_tPvRmT1_T2_T3_mT4_P12ihipStream_tbEUlT_E1_NS1_11comp_targetILNS1_3genE2ELNS1_11target_archE906ELNS1_3gpuE6ELNS1_3repE0EEENS1_30default_config_static_selectorELNS0_4arch9wavefront6targetE1EEEvSW_.num_agpr, 0
	.set _ZN7rocprim17ROCPRIM_400000_NS6detail17trampoline_kernelINS0_14default_configENS1_22reduce_config_selectorIlEEZNS1_11reduce_implILb1ES3_N6thrust23THRUST_200600_302600_NS11hip_rocprim26transform_input_iterator_tIlNS8_12zip_iteratorINS8_5tupleINS8_6detail15normal_iteratorINS8_10device_ptrItEEEESH_NS8_9null_typeESI_SI_SI_SI_SI_SI_SI_EEEENS9_21zip_adj_not_predicateI22is_equal_div_10_uniqueItEEEEEPllNS8_4plusIlEEEE10hipError_tPvRmT1_T2_T3_mT4_P12ihipStream_tbEUlT_E1_NS1_11comp_targetILNS1_3genE2ELNS1_11target_archE906ELNS1_3gpuE6ELNS1_3repE0EEENS1_30default_config_static_selectorELNS0_4arch9wavefront6targetE1EEEvSW_.numbered_sgpr, 34
	.set _ZN7rocprim17ROCPRIM_400000_NS6detail17trampoline_kernelINS0_14default_configENS1_22reduce_config_selectorIlEEZNS1_11reduce_implILb1ES3_N6thrust23THRUST_200600_302600_NS11hip_rocprim26transform_input_iterator_tIlNS8_12zip_iteratorINS8_5tupleINS8_6detail15normal_iteratorINS8_10device_ptrItEEEESH_NS8_9null_typeESI_SI_SI_SI_SI_SI_SI_EEEENS9_21zip_adj_not_predicateI22is_equal_div_10_uniqueItEEEEEPllNS8_4plusIlEEEE10hipError_tPvRmT1_T2_T3_mT4_P12ihipStream_tbEUlT_E1_NS1_11comp_targetILNS1_3genE2ELNS1_11target_archE906ELNS1_3gpuE6ELNS1_3repE0EEENS1_30default_config_static_selectorELNS0_4arch9wavefront6targetE1EEEvSW_.num_named_barrier, 0
	.set _ZN7rocprim17ROCPRIM_400000_NS6detail17trampoline_kernelINS0_14default_configENS1_22reduce_config_selectorIlEEZNS1_11reduce_implILb1ES3_N6thrust23THRUST_200600_302600_NS11hip_rocprim26transform_input_iterator_tIlNS8_12zip_iteratorINS8_5tupleINS8_6detail15normal_iteratorINS8_10device_ptrItEEEESH_NS8_9null_typeESI_SI_SI_SI_SI_SI_SI_EEEENS9_21zip_adj_not_predicateI22is_equal_div_10_uniqueItEEEEEPllNS8_4plusIlEEEE10hipError_tPvRmT1_T2_T3_mT4_P12ihipStream_tbEUlT_E1_NS1_11comp_targetILNS1_3genE2ELNS1_11target_archE906ELNS1_3gpuE6ELNS1_3repE0EEENS1_30default_config_static_selectorELNS0_4arch9wavefront6targetE1EEEvSW_.private_seg_size, 0
	.set _ZN7rocprim17ROCPRIM_400000_NS6detail17trampoline_kernelINS0_14default_configENS1_22reduce_config_selectorIlEEZNS1_11reduce_implILb1ES3_N6thrust23THRUST_200600_302600_NS11hip_rocprim26transform_input_iterator_tIlNS8_12zip_iteratorINS8_5tupleINS8_6detail15normal_iteratorINS8_10device_ptrItEEEESH_NS8_9null_typeESI_SI_SI_SI_SI_SI_SI_EEEENS9_21zip_adj_not_predicateI22is_equal_div_10_uniqueItEEEEEPllNS8_4plusIlEEEE10hipError_tPvRmT1_T2_T3_mT4_P12ihipStream_tbEUlT_E1_NS1_11comp_targetILNS1_3genE2ELNS1_11target_archE906ELNS1_3gpuE6ELNS1_3repE0EEENS1_30default_config_static_selectorELNS0_4arch9wavefront6targetE1EEEvSW_.uses_vcc, 1
	.set _ZN7rocprim17ROCPRIM_400000_NS6detail17trampoline_kernelINS0_14default_configENS1_22reduce_config_selectorIlEEZNS1_11reduce_implILb1ES3_N6thrust23THRUST_200600_302600_NS11hip_rocprim26transform_input_iterator_tIlNS8_12zip_iteratorINS8_5tupleINS8_6detail15normal_iteratorINS8_10device_ptrItEEEESH_NS8_9null_typeESI_SI_SI_SI_SI_SI_SI_EEEENS9_21zip_adj_not_predicateI22is_equal_div_10_uniqueItEEEEEPllNS8_4plusIlEEEE10hipError_tPvRmT1_T2_T3_mT4_P12ihipStream_tbEUlT_E1_NS1_11comp_targetILNS1_3genE2ELNS1_11target_archE906ELNS1_3gpuE6ELNS1_3repE0EEENS1_30default_config_static_selectorELNS0_4arch9wavefront6targetE1EEEvSW_.uses_flat_scratch, 0
	.set _ZN7rocprim17ROCPRIM_400000_NS6detail17trampoline_kernelINS0_14default_configENS1_22reduce_config_selectorIlEEZNS1_11reduce_implILb1ES3_N6thrust23THRUST_200600_302600_NS11hip_rocprim26transform_input_iterator_tIlNS8_12zip_iteratorINS8_5tupleINS8_6detail15normal_iteratorINS8_10device_ptrItEEEESH_NS8_9null_typeESI_SI_SI_SI_SI_SI_SI_EEEENS9_21zip_adj_not_predicateI22is_equal_div_10_uniqueItEEEEEPllNS8_4plusIlEEEE10hipError_tPvRmT1_T2_T3_mT4_P12ihipStream_tbEUlT_E1_NS1_11comp_targetILNS1_3genE2ELNS1_11target_archE906ELNS1_3gpuE6ELNS1_3repE0EEENS1_30default_config_static_selectorELNS0_4arch9wavefront6targetE1EEEvSW_.has_dyn_sized_stack, 0
	.set _ZN7rocprim17ROCPRIM_400000_NS6detail17trampoline_kernelINS0_14default_configENS1_22reduce_config_selectorIlEEZNS1_11reduce_implILb1ES3_N6thrust23THRUST_200600_302600_NS11hip_rocprim26transform_input_iterator_tIlNS8_12zip_iteratorINS8_5tupleINS8_6detail15normal_iteratorINS8_10device_ptrItEEEESH_NS8_9null_typeESI_SI_SI_SI_SI_SI_SI_EEEENS9_21zip_adj_not_predicateI22is_equal_div_10_uniqueItEEEEEPllNS8_4plusIlEEEE10hipError_tPvRmT1_T2_T3_mT4_P12ihipStream_tbEUlT_E1_NS1_11comp_targetILNS1_3genE2ELNS1_11target_archE906ELNS1_3gpuE6ELNS1_3repE0EEENS1_30default_config_static_selectorELNS0_4arch9wavefront6targetE1EEEvSW_.has_recursion, 0
	.set _ZN7rocprim17ROCPRIM_400000_NS6detail17trampoline_kernelINS0_14default_configENS1_22reduce_config_selectorIlEEZNS1_11reduce_implILb1ES3_N6thrust23THRUST_200600_302600_NS11hip_rocprim26transform_input_iterator_tIlNS8_12zip_iteratorINS8_5tupleINS8_6detail15normal_iteratorINS8_10device_ptrItEEEESH_NS8_9null_typeESI_SI_SI_SI_SI_SI_SI_EEEENS9_21zip_adj_not_predicateI22is_equal_div_10_uniqueItEEEEEPllNS8_4plusIlEEEE10hipError_tPvRmT1_T2_T3_mT4_P12ihipStream_tbEUlT_E1_NS1_11comp_targetILNS1_3genE2ELNS1_11target_archE906ELNS1_3gpuE6ELNS1_3repE0EEENS1_30default_config_static_selectorELNS0_4arch9wavefront6targetE1EEEvSW_.has_indirect_call, 0
	.section	.AMDGPU.csdata,"",@progbits
; Kernel info:
; codeLenInByte = 12272
; TotalNumSgprs: 38
; NumVgprs: 35
; ScratchSize: 0
; MemoryBound: 0
; FloatMode: 240
; IeeeMode: 1
; LDSByteSize: 192 bytes/workgroup (compile time only)
; SGPRBlocks: 4
; VGPRBlocks: 8
; NumSGPRsForWavesPerEU: 38
; NumVGPRsForWavesPerEU: 35
; Occupancy: 7
; WaveLimiterHint : 0
; COMPUTE_PGM_RSRC2:SCRATCH_EN: 0
; COMPUTE_PGM_RSRC2:USER_SGPR: 6
; COMPUTE_PGM_RSRC2:TRAP_HANDLER: 0
; COMPUTE_PGM_RSRC2:TGID_X_EN: 1
; COMPUTE_PGM_RSRC2:TGID_Y_EN: 0
; COMPUTE_PGM_RSRC2:TGID_Z_EN: 0
; COMPUTE_PGM_RSRC2:TIDIG_COMP_CNT: 0
	.section	.text._ZN7rocprim17ROCPRIM_400000_NS6detail17trampoline_kernelINS0_14default_configENS1_22reduce_config_selectorIlEEZNS1_11reduce_implILb1ES3_N6thrust23THRUST_200600_302600_NS11hip_rocprim26transform_input_iterator_tIlNS8_12zip_iteratorINS8_5tupleINS8_6detail15normal_iteratorINS8_10device_ptrItEEEESH_NS8_9null_typeESI_SI_SI_SI_SI_SI_SI_EEEENS9_21zip_adj_not_predicateI22is_equal_div_10_uniqueItEEEEEPllNS8_4plusIlEEEE10hipError_tPvRmT1_T2_T3_mT4_P12ihipStream_tbEUlT_E1_NS1_11comp_targetILNS1_3genE10ELNS1_11target_archE1201ELNS1_3gpuE5ELNS1_3repE0EEENS1_30default_config_static_selectorELNS0_4arch9wavefront6targetE1EEEvSW_,"axG",@progbits,_ZN7rocprim17ROCPRIM_400000_NS6detail17trampoline_kernelINS0_14default_configENS1_22reduce_config_selectorIlEEZNS1_11reduce_implILb1ES3_N6thrust23THRUST_200600_302600_NS11hip_rocprim26transform_input_iterator_tIlNS8_12zip_iteratorINS8_5tupleINS8_6detail15normal_iteratorINS8_10device_ptrItEEEESH_NS8_9null_typeESI_SI_SI_SI_SI_SI_SI_EEEENS9_21zip_adj_not_predicateI22is_equal_div_10_uniqueItEEEEEPllNS8_4plusIlEEEE10hipError_tPvRmT1_T2_T3_mT4_P12ihipStream_tbEUlT_E1_NS1_11comp_targetILNS1_3genE10ELNS1_11target_archE1201ELNS1_3gpuE5ELNS1_3repE0EEENS1_30default_config_static_selectorELNS0_4arch9wavefront6targetE1EEEvSW_,comdat
	.protected	_ZN7rocprim17ROCPRIM_400000_NS6detail17trampoline_kernelINS0_14default_configENS1_22reduce_config_selectorIlEEZNS1_11reduce_implILb1ES3_N6thrust23THRUST_200600_302600_NS11hip_rocprim26transform_input_iterator_tIlNS8_12zip_iteratorINS8_5tupleINS8_6detail15normal_iteratorINS8_10device_ptrItEEEESH_NS8_9null_typeESI_SI_SI_SI_SI_SI_SI_EEEENS9_21zip_adj_not_predicateI22is_equal_div_10_uniqueItEEEEEPllNS8_4plusIlEEEE10hipError_tPvRmT1_T2_T3_mT4_P12ihipStream_tbEUlT_E1_NS1_11comp_targetILNS1_3genE10ELNS1_11target_archE1201ELNS1_3gpuE5ELNS1_3repE0EEENS1_30default_config_static_selectorELNS0_4arch9wavefront6targetE1EEEvSW_ ; -- Begin function _ZN7rocprim17ROCPRIM_400000_NS6detail17trampoline_kernelINS0_14default_configENS1_22reduce_config_selectorIlEEZNS1_11reduce_implILb1ES3_N6thrust23THRUST_200600_302600_NS11hip_rocprim26transform_input_iterator_tIlNS8_12zip_iteratorINS8_5tupleINS8_6detail15normal_iteratorINS8_10device_ptrItEEEESH_NS8_9null_typeESI_SI_SI_SI_SI_SI_SI_EEEENS9_21zip_adj_not_predicateI22is_equal_div_10_uniqueItEEEEEPllNS8_4plusIlEEEE10hipError_tPvRmT1_T2_T3_mT4_P12ihipStream_tbEUlT_E1_NS1_11comp_targetILNS1_3genE10ELNS1_11target_archE1201ELNS1_3gpuE5ELNS1_3repE0EEENS1_30default_config_static_selectorELNS0_4arch9wavefront6targetE1EEEvSW_
	.globl	_ZN7rocprim17ROCPRIM_400000_NS6detail17trampoline_kernelINS0_14default_configENS1_22reduce_config_selectorIlEEZNS1_11reduce_implILb1ES3_N6thrust23THRUST_200600_302600_NS11hip_rocprim26transform_input_iterator_tIlNS8_12zip_iteratorINS8_5tupleINS8_6detail15normal_iteratorINS8_10device_ptrItEEEESH_NS8_9null_typeESI_SI_SI_SI_SI_SI_SI_EEEENS9_21zip_adj_not_predicateI22is_equal_div_10_uniqueItEEEEEPllNS8_4plusIlEEEE10hipError_tPvRmT1_T2_T3_mT4_P12ihipStream_tbEUlT_E1_NS1_11comp_targetILNS1_3genE10ELNS1_11target_archE1201ELNS1_3gpuE5ELNS1_3repE0EEENS1_30default_config_static_selectorELNS0_4arch9wavefront6targetE1EEEvSW_
	.p2align	8
	.type	_ZN7rocprim17ROCPRIM_400000_NS6detail17trampoline_kernelINS0_14default_configENS1_22reduce_config_selectorIlEEZNS1_11reduce_implILb1ES3_N6thrust23THRUST_200600_302600_NS11hip_rocprim26transform_input_iterator_tIlNS8_12zip_iteratorINS8_5tupleINS8_6detail15normal_iteratorINS8_10device_ptrItEEEESH_NS8_9null_typeESI_SI_SI_SI_SI_SI_SI_EEEENS9_21zip_adj_not_predicateI22is_equal_div_10_uniqueItEEEEEPllNS8_4plusIlEEEE10hipError_tPvRmT1_T2_T3_mT4_P12ihipStream_tbEUlT_E1_NS1_11comp_targetILNS1_3genE10ELNS1_11target_archE1201ELNS1_3gpuE5ELNS1_3repE0EEENS1_30default_config_static_selectorELNS0_4arch9wavefront6targetE1EEEvSW_,@function
_ZN7rocprim17ROCPRIM_400000_NS6detail17trampoline_kernelINS0_14default_configENS1_22reduce_config_selectorIlEEZNS1_11reduce_implILb1ES3_N6thrust23THRUST_200600_302600_NS11hip_rocprim26transform_input_iterator_tIlNS8_12zip_iteratorINS8_5tupleINS8_6detail15normal_iteratorINS8_10device_ptrItEEEESH_NS8_9null_typeESI_SI_SI_SI_SI_SI_SI_EEEENS9_21zip_adj_not_predicateI22is_equal_div_10_uniqueItEEEEEPllNS8_4plusIlEEEE10hipError_tPvRmT1_T2_T3_mT4_P12ihipStream_tbEUlT_E1_NS1_11comp_targetILNS1_3genE10ELNS1_11target_archE1201ELNS1_3gpuE5ELNS1_3repE0EEENS1_30default_config_static_selectorELNS0_4arch9wavefront6targetE1EEEvSW_: ; @_ZN7rocprim17ROCPRIM_400000_NS6detail17trampoline_kernelINS0_14default_configENS1_22reduce_config_selectorIlEEZNS1_11reduce_implILb1ES3_N6thrust23THRUST_200600_302600_NS11hip_rocprim26transform_input_iterator_tIlNS8_12zip_iteratorINS8_5tupleINS8_6detail15normal_iteratorINS8_10device_ptrItEEEESH_NS8_9null_typeESI_SI_SI_SI_SI_SI_SI_EEEENS9_21zip_adj_not_predicateI22is_equal_div_10_uniqueItEEEEEPllNS8_4plusIlEEEE10hipError_tPvRmT1_T2_T3_mT4_P12ihipStream_tbEUlT_E1_NS1_11comp_targetILNS1_3genE10ELNS1_11target_archE1201ELNS1_3gpuE5ELNS1_3repE0EEENS1_30default_config_static_selectorELNS0_4arch9wavefront6targetE1EEEvSW_
; %bb.0:
	.section	.rodata,"a",@progbits
	.p2align	6, 0x0
	.amdhsa_kernel _ZN7rocprim17ROCPRIM_400000_NS6detail17trampoline_kernelINS0_14default_configENS1_22reduce_config_selectorIlEEZNS1_11reduce_implILb1ES3_N6thrust23THRUST_200600_302600_NS11hip_rocprim26transform_input_iterator_tIlNS8_12zip_iteratorINS8_5tupleINS8_6detail15normal_iteratorINS8_10device_ptrItEEEESH_NS8_9null_typeESI_SI_SI_SI_SI_SI_SI_EEEENS9_21zip_adj_not_predicateI22is_equal_div_10_uniqueItEEEEEPllNS8_4plusIlEEEE10hipError_tPvRmT1_T2_T3_mT4_P12ihipStream_tbEUlT_E1_NS1_11comp_targetILNS1_3genE10ELNS1_11target_archE1201ELNS1_3gpuE5ELNS1_3repE0EEENS1_30default_config_static_selectorELNS0_4arch9wavefront6targetE1EEEvSW_
		.amdhsa_group_segment_fixed_size 0
		.amdhsa_private_segment_fixed_size 0
		.amdhsa_kernarg_size 64
		.amdhsa_user_sgpr_count 6
		.amdhsa_user_sgpr_private_segment_buffer 1
		.amdhsa_user_sgpr_dispatch_ptr 0
		.amdhsa_user_sgpr_queue_ptr 0
		.amdhsa_user_sgpr_kernarg_segment_ptr 1
		.amdhsa_user_sgpr_dispatch_id 0
		.amdhsa_user_sgpr_flat_scratch_init 0
		.amdhsa_user_sgpr_private_segment_size 0
		.amdhsa_uses_dynamic_stack 0
		.amdhsa_system_sgpr_private_segment_wavefront_offset 0
		.amdhsa_system_sgpr_workgroup_id_x 1
		.amdhsa_system_sgpr_workgroup_id_y 0
		.amdhsa_system_sgpr_workgroup_id_z 0
		.amdhsa_system_sgpr_workgroup_info 0
		.amdhsa_system_vgpr_workitem_id 0
		.amdhsa_next_free_vgpr 1
		.amdhsa_next_free_sgpr 0
		.amdhsa_reserve_vcc 0
		.amdhsa_reserve_flat_scratch 0
		.amdhsa_float_round_mode_32 0
		.amdhsa_float_round_mode_16_64 0
		.amdhsa_float_denorm_mode_32 3
		.amdhsa_float_denorm_mode_16_64 3
		.amdhsa_dx10_clamp 1
		.amdhsa_ieee_mode 1
		.amdhsa_fp16_overflow 0
		.amdhsa_exception_fp_ieee_invalid_op 0
		.amdhsa_exception_fp_denorm_src 0
		.amdhsa_exception_fp_ieee_div_zero 0
		.amdhsa_exception_fp_ieee_overflow 0
		.amdhsa_exception_fp_ieee_underflow 0
		.amdhsa_exception_fp_ieee_inexact 0
		.amdhsa_exception_int_div_zero 0
	.end_amdhsa_kernel
	.section	.text._ZN7rocprim17ROCPRIM_400000_NS6detail17trampoline_kernelINS0_14default_configENS1_22reduce_config_selectorIlEEZNS1_11reduce_implILb1ES3_N6thrust23THRUST_200600_302600_NS11hip_rocprim26transform_input_iterator_tIlNS8_12zip_iteratorINS8_5tupleINS8_6detail15normal_iteratorINS8_10device_ptrItEEEESH_NS8_9null_typeESI_SI_SI_SI_SI_SI_SI_EEEENS9_21zip_adj_not_predicateI22is_equal_div_10_uniqueItEEEEEPllNS8_4plusIlEEEE10hipError_tPvRmT1_T2_T3_mT4_P12ihipStream_tbEUlT_E1_NS1_11comp_targetILNS1_3genE10ELNS1_11target_archE1201ELNS1_3gpuE5ELNS1_3repE0EEENS1_30default_config_static_selectorELNS0_4arch9wavefront6targetE1EEEvSW_,"axG",@progbits,_ZN7rocprim17ROCPRIM_400000_NS6detail17trampoline_kernelINS0_14default_configENS1_22reduce_config_selectorIlEEZNS1_11reduce_implILb1ES3_N6thrust23THRUST_200600_302600_NS11hip_rocprim26transform_input_iterator_tIlNS8_12zip_iteratorINS8_5tupleINS8_6detail15normal_iteratorINS8_10device_ptrItEEEESH_NS8_9null_typeESI_SI_SI_SI_SI_SI_SI_EEEENS9_21zip_adj_not_predicateI22is_equal_div_10_uniqueItEEEEEPllNS8_4plusIlEEEE10hipError_tPvRmT1_T2_T3_mT4_P12ihipStream_tbEUlT_E1_NS1_11comp_targetILNS1_3genE10ELNS1_11target_archE1201ELNS1_3gpuE5ELNS1_3repE0EEENS1_30default_config_static_selectorELNS0_4arch9wavefront6targetE1EEEvSW_,comdat
.Lfunc_end919:
	.size	_ZN7rocprim17ROCPRIM_400000_NS6detail17trampoline_kernelINS0_14default_configENS1_22reduce_config_selectorIlEEZNS1_11reduce_implILb1ES3_N6thrust23THRUST_200600_302600_NS11hip_rocprim26transform_input_iterator_tIlNS8_12zip_iteratorINS8_5tupleINS8_6detail15normal_iteratorINS8_10device_ptrItEEEESH_NS8_9null_typeESI_SI_SI_SI_SI_SI_SI_EEEENS9_21zip_adj_not_predicateI22is_equal_div_10_uniqueItEEEEEPllNS8_4plusIlEEEE10hipError_tPvRmT1_T2_T3_mT4_P12ihipStream_tbEUlT_E1_NS1_11comp_targetILNS1_3genE10ELNS1_11target_archE1201ELNS1_3gpuE5ELNS1_3repE0EEENS1_30default_config_static_selectorELNS0_4arch9wavefront6targetE1EEEvSW_, .Lfunc_end919-_ZN7rocprim17ROCPRIM_400000_NS6detail17trampoline_kernelINS0_14default_configENS1_22reduce_config_selectorIlEEZNS1_11reduce_implILb1ES3_N6thrust23THRUST_200600_302600_NS11hip_rocprim26transform_input_iterator_tIlNS8_12zip_iteratorINS8_5tupleINS8_6detail15normal_iteratorINS8_10device_ptrItEEEESH_NS8_9null_typeESI_SI_SI_SI_SI_SI_SI_EEEENS9_21zip_adj_not_predicateI22is_equal_div_10_uniqueItEEEEEPllNS8_4plusIlEEEE10hipError_tPvRmT1_T2_T3_mT4_P12ihipStream_tbEUlT_E1_NS1_11comp_targetILNS1_3genE10ELNS1_11target_archE1201ELNS1_3gpuE5ELNS1_3repE0EEENS1_30default_config_static_selectorELNS0_4arch9wavefront6targetE1EEEvSW_
                                        ; -- End function
	.set _ZN7rocprim17ROCPRIM_400000_NS6detail17trampoline_kernelINS0_14default_configENS1_22reduce_config_selectorIlEEZNS1_11reduce_implILb1ES3_N6thrust23THRUST_200600_302600_NS11hip_rocprim26transform_input_iterator_tIlNS8_12zip_iteratorINS8_5tupleINS8_6detail15normal_iteratorINS8_10device_ptrItEEEESH_NS8_9null_typeESI_SI_SI_SI_SI_SI_SI_EEEENS9_21zip_adj_not_predicateI22is_equal_div_10_uniqueItEEEEEPllNS8_4plusIlEEEE10hipError_tPvRmT1_T2_T3_mT4_P12ihipStream_tbEUlT_E1_NS1_11comp_targetILNS1_3genE10ELNS1_11target_archE1201ELNS1_3gpuE5ELNS1_3repE0EEENS1_30default_config_static_selectorELNS0_4arch9wavefront6targetE1EEEvSW_.num_vgpr, 0
	.set _ZN7rocprim17ROCPRIM_400000_NS6detail17trampoline_kernelINS0_14default_configENS1_22reduce_config_selectorIlEEZNS1_11reduce_implILb1ES3_N6thrust23THRUST_200600_302600_NS11hip_rocprim26transform_input_iterator_tIlNS8_12zip_iteratorINS8_5tupleINS8_6detail15normal_iteratorINS8_10device_ptrItEEEESH_NS8_9null_typeESI_SI_SI_SI_SI_SI_SI_EEEENS9_21zip_adj_not_predicateI22is_equal_div_10_uniqueItEEEEEPllNS8_4plusIlEEEE10hipError_tPvRmT1_T2_T3_mT4_P12ihipStream_tbEUlT_E1_NS1_11comp_targetILNS1_3genE10ELNS1_11target_archE1201ELNS1_3gpuE5ELNS1_3repE0EEENS1_30default_config_static_selectorELNS0_4arch9wavefront6targetE1EEEvSW_.num_agpr, 0
	.set _ZN7rocprim17ROCPRIM_400000_NS6detail17trampoline_kernelINS0_14default_configENS1_22reduce_config_selectorIlEEZNS1_11reduce_implILb1ES3_N6thrust23THRUST_200600_302600_NS11hip_rocprim26transform_input_iterator_tIlNS8_12zip_iteratorINS8_5tupleINS8_6detail15normal_iteratorINS8_10device_ptrItEEEESH_NS8_9null_typeESI_SI_SI_SI_SI_SI_SI_EEEENS9_21zip_adj_not_predicateI22is_equal_div_10_uniqueItEEEEEPllNS8_4plusIlEEEE10hipError_tPvRmT1_T2_T3_mT4_P12ihipStream_tbEUlT_E1_NS1_11comp_targetILNS1_3genE10ELNS1_11target_archE1201ELNS1_3gpuE5ELNS1_3repE0EEENS1_30default_config_static_selectorELNS0_4arch9wavefront6targetE1EEEvSW_.numbered_sgpr, 0
	.set _ZN7rocprim17ROCPRIM_400000_NS6detail17trampoline_kernelINS0_14default_configENS1_22reduce_config_selectorIlEEZNS1_11reduce_implILb1ES3_N6thrust23THRUST_200600_302600_NS11hip_rocprim26transform_input_iterator_tIlNS8_12zip_iteratorINS8_5tupleINS8_6detail15normal_iteratorINS8_10device_ptrItEEEESH_NS8_9null_typeESI_SI_SI_SI_SI_SI_SI_EEEENS9_21zip_adj_not_predicateI22is_equal_div_10_uniqueItEEEEEPllNS8_4plusIlEEEE10hipError_tPvRmT1_T2_T3_mT4_P12ihipStream_tbEUlT_E1_NS1_11comp_targetILNS1_3genE10ELNS1_11target_archE1201ELNS1_3gpuE5ELNS1_3repE0EEENS1_30default_config_static_selectorELNS0_4arch9wavefront6targetE1EEEvSW_.num_named_barrier, 0
	.set _ZN7rocprim17ROCPRIM_400000_NS6detail17trampoline_kernelINS0_14default_configENS1_22reduce_config_selectorIlEEZNS1_11reduce_implILb1ES3_N6thrust23THRUST_200600_302600_NS11hip_rocprim26transform_input_iterator_tIlNS8_12zip_iteratorINS8_5tupleINS8_6detail15normal_iteratorINS8_10device_ptrItEEEESH_NS8_9null_typeESI_SI_SI_SI_SI_SI_SI_EEEENS9_21zip_adj_not_predicateI22is_equal_div_10_uniqueItEEEEEPllNS8_4plusIlEEEE10hipError_tPvRmT1_T2_T3_mT4_P12ihipStream_tbEUlT_E1_NS1_11comp_targetILNS1_3genE10ELNS1_11target_archE1201ELNS1_3gpuE5ELNS1_3repE0EEENS1_30default_config_static_selectorELNS0_4arch9wavefront6targetE1EEEvSW_.private_seg_size, 0
	.set _ZN7rocprim17ROCPRIM_400000_NS6detail17trampoline_kernelINS0_14default_configENS1_22reduce_config_selectorIlEEZNS1_11reduce_implILb1ES3_N6thrust23THRUST_200600_302600_NS11hip_rocprim26transform_input_iterator_tIlNS8_12zip_iteratorINS8_5tupleINS8_6detail15normal_iteratorINS8_10device_ptrItEEEESH_NS8_9null_typeESI_SI_SI_SI_SI_SI_SI_EEEENS9_21zip_adj_not_predicateI22is_equal_div_10_uniqueItEEEEEPllNS8_4plusIlEEEE10hipError_tPvRmT1_T2_T3_mT4_P12ihipStream_tbEUlT_E1_NS1_11comp_targetILNS1_3genE10ELNS1_11target_archE1201ELNS1_3gpuE5ELNS1_3repE0EEENS1_30default_config_static_selectorELNS0_4arch9wavefront6targetE1EEEvSW_.uses_vcc, 0
	.set _ZN7rocprim17ROCPRIM_400000_NS6detail17trampoline_kernelINS0_14default_configENS1_22reduce_config_selectorIlEEZNS1_11reduce_implILb1ES3_N6thrust23THRUST_200600_302600_NS11hip_rocprim26transform_input_iterator_tIlNS8_12zip_iteratorINS8_5tupleINS8_6detail15normal_iteratorINS8_10device_ptrItEEEESH_NS8_9null_typeESI_SI_SI_SI_SI_SI_SI_EEEENS9_21zip_adj_not_predicateI22is_equal_div_10_uniqueItEEEEEPllNS8_4plusIlEEEE10hipError_tPvRmT1_T2_T3_mT4_P12ihipStream_tbEUlT_E1_NS1_11comp_targetILNS1_3genE10ELNS1_11target_archE1201ELNS1_3gpuE5ELNS1_3repE0EEENS1_30default_config_static_selectorELNS0_4arch9wavefront6targetE1EEEvSW_.uses_flat_scratch, 0
	.set _ZN7rocprim17ROCPRIM_400000_NS6detail17trampoline_kernelINS0_14default_configENS1_22reduce_config_selectorIlEEZNS1_11reduce_implILb1ES3_N6thrust23THRUST_200600_302600_NS11hip_rocprim26transform_input_iterator_tIlNS8_12zip_iteratorINS8_5tupleINS8_6detail15normal_iteratorINS8_10device_ptrItEEEESH_NS8_9null_typeESI_SI_SI_SI_SI_SI_SI_EEEENS9_21zip_adj_not_predicateI22is_equal_div_10_uniqueItEEEEEPllNS8_4plusIlEEEE10hipError_tPvRmT1_T2_T3_mT4_P12ihipStream_tbEUlT_E1_NS1_11comp_targetILNS1_3genE10ELNS1_11target_archE1201ELNS1_3gpuE5ELNS1_3repE0EEENS1_30default_config_static_selectorELNS0_4arch9wavefront6targetE1EEEvSW_.has_dyn_sized_stack, 0
	.set _ZN7rocprim17ROCPRIM_400000_NS6detail17trampoline_kernelINS0_14default_configENS1_22reduce_config_selectorIlEEZNS1_11reduce_implILb1ES3_N6thrust23THRUST_200600_302600_NS11hip_rocprim26transform_input_iterator_tIlNS8_12zip_iteratorINS8_5tupleINS8_6detail15normal_iteratorINS8_10device_ptrItEEEESH_NS8_9null_typeESI_SI_SI_SI_SI_SI_SI_EEEENS9_21zip_adj_not_predicateI22is_equal_div_10_uniqueItEEEEEPllNS8_4plusIlEEEE10hipError_tPvRmT1_T2_T3_mT4_P12ihipStream_tbEUlT_E1_NS1_11comp_targetILNS1_3genE10ELNS1_11target_archE1201ELNS1_3gpuE5ELNS1_3repE0EEENS1_30default_config_static_selectorELNS0_4arch9wavefront6targetE1EEEvSW_.has_recursion, 0
	.set _ZN7rocprim17ROCPRIM_400000_NS6detail17trampoline_kernelINS0_14default_configENS1_22reduce_config_selectorIlEEZNS1_11reduce_implILb1ES3_N6thrust23THRUST_200600_302600_NS11hip_rocprim26transform_input_iterator_tIlNS8_12zip_iteratorINS8_5tupleINS8_6detail15normal_iteratorINS8_10device_ptrItEEEESH_NS8_9null_typeESI_SI_SI_SI_SI_SI_SI_EEEENS9_21zip_adj_not_predicateI22is_equal_div_10_uniqueItEEEEEPllNS8_4plusIlEEEE10hipError_tPvRmT1_T2_T3_mT4_P12ihipStream_tbEUlT_E1_NS1_11comp_targetILNS1_3genE10ELNS1_11target_archE1201ELNS1_3gpuE5ELNS1_3repE0EEENS1_30default_config_static_selectorELNS0_4arch9wavefront6targetE1EEEvSW_.has_indirect_call, 0
	.section	.AMDGPU.csdata,"",@progbits
; Kernel info:
; codeLenInByte = 0
; TotalNumSgprs: 4
; NumVgprs: 0
; ScratchSize: 0
; MemoryBound: 0
; FloatMode: 240
; IeeeMode: 1
; LDSByteSize: 0 bytes/workgroup (compile time only)
; SGPRBlocks: 0
; VGPRBlocks: 0
; NumSGPRsForWavesPerEU: 4
; NumVGPRsForWavesPerEU: 1
; Occupancy: 10
; WaveLimiterHint : 0
; COMPUTE_PGM_RSRC2:SCRATCH_EN: 0
; COMPUTE_PGM_RSRC2:USER_SGPR: 6
; COMPUTE_PGM_RSRC2:TRAP_HANDLER: 0
; COMPUTE_PGM_RSRC2:TGID_X_EN: 1
; COMPUTE_PGM_RSRC2:TGID_Y_EN: 0
; COMPUTE_PGM_RSRC2:TGID_Z_EN: 0
; COMPUTE_PGM_RSRC2:TIDIG_COMP_CNT: 0
	.section	.text._ZN7rocprim17ROCPRIM_400000_NS6detail17trampoline_kernelINS0_14default_configENS1_22reduce_config_selectorIlEEZNS1_11reduce_implILb1ES3_N6thrust23THRUST_200600_302600_NS11hip_rocprim26transform_input_iterator_tIlNS8_12zip_iteratorINS8_5tupleINS8_6detail15normal_iteratorINS8_10device_ptrItEEEESH_NS8_9null_typeESI_SI_SI_SI_SI_SI_SI_EEEENS9_21zip_adj_not_predicateI22is_equal_div_10_uniqueItEEEEEPllNS8_4plusIlEEEE10hipError_tPvRmT1_T2_T3_mT4_P12ihipStream_tbEUlT_E1_NS1_11comp_targetILNS1_3genE10ELNS1_11target_archE1200ELNS1_3gpuE4ELNS1_3repE0EEENS1_30default_config_static_selectorELNS0_4arch9wavefront6targetE1EEEvSW_,"axG",@progbits,_ZN7rocprim17ROCPRIM_400000_NS6detail17trampoline_kernelINS0_14default_configENS1_22reduce_config_selectorIlEEZNS1_11reduce_implILb1ES3_N6thrust23THRUST_200600_302600_NS11hip_rocprim26transform_input_iterator_tIlNS8_12zip_iteratorINS8_5tupleINS8_6detail15normal_iteratorINS8_10device_ptrItEEEESH_NS8_9null_typeESI_SI_SI_SI_SI_SI_SI_EEEENS9_21zip_adj_not_predicateI22is_equal_div_10_uniqueItEEEEEPllNS8_4plusIlEEEE10hipError_tPvRmT1_T2_T3_mT4_P12ihipStream_tbEUlT_E1_NS1_11comp_targetILNS1_3genE10ELNS1_11target_archE1200ELNS1_3gpuE4ELNS1_3repE0EEENS1_30default_config_static_selectorELNS0_4arch9wavefront6targetE1EEEvSW_,comdat
	.protected	_ZN7rocprim17ROCPRIM_400000_NS6detail17trampoline_kernelINS0_14default_configENS1_22reduce_config_selectorIlEEZNS1_11reduce_implILb1ES3_N6thrust23THRUST_200600_302600_NS11hip_rocprim26transform_input_iterator_tIlNS8_12zip_iteratorINS8_5tupleINS8_6detail15normal_iteratorINS8_10device_ptrItEEEESH_NS8_9null_typeESI_SI_SI_SI_SI_SI_SI_EEEENS9_21zip_adj_not_predicateI22is_equal_div_10_uniqueItEEEEEPllNS8_4plusIlEEEE10hipError_tPvRmT1_T2_T3_mT4_P12ihipStream_tbEUlT_E1_NS1_11comp_targetILNS1_3genE10ELNS1_11target_archE1200ELNS1_3gpuE4ELNS1_3repE0EEENS1_30default_config_static_selectorELNS0_4arch9wavefront6targetE1EEEvSW_ ; -- Begin function _ZN7rocprim17ROCPRIM_400000_NS6detail17trampoline_kernelINS0_14default_configENS1_22reduce_config_selectorIlEEZNS1_11reduce_implILb1ES3_N6thrust23THRUST_200600_302600_NS11hip_rocprim26transform_input_iterator_tIlNS8_12zip_iteratorINS8_5tupleINS8_6detail15normal_iteratorINS8_10device_ptrItEEEESH_NS8_9null_typeESI_SI_SI_SI_SI_SI_SI_EEEENS9_21zip_adj_not_predicateI22is_equal_div_10_uniqueItEEEEEPllNS8_4plusIlEEEE10hipError_tPvRmT1_T2_T3_mT4_P12ihipStream_tbEUlT_E1_NS1_11comp_targetILNS1_3genE10ELNS1_11target_archE1200ELNS1_3gpuE4ELNS1_3repE0EEENS1_30default_config_static_selectorELNS0_4arch9wavefront6targetE1EEEvSW_
	.globl	_ZN7rocprim17ROCPRIM_400000_NS6detail17trampoline_kernelINS0_14default_configENS1_22reduce_config_selectorIlEEZNS1_11reduce_implILb1ES3_N6thrust23THRUST_200600_302600_NS11hip_rocprim26transform_input_iterator_tIlNS8_12zip_iteratorINS8_5tupleINS8_6detail15normal_iteratorINS8_10device_ptrItEEEESH_NS8_9null_typeESI_SI_SI_SI_SI_SI_SI_EEEENS9_21zip_adj_not_predicateI22is_equal_div_10_uniqueItEEEEEPllNS8_4plusIlEEEE10hipError_tPvRmT1_T2_T3_mT4_P12ihipStream_tbEUlT_E1_NS1_11comp_targetILNS1_3genE10ELNS1_11target_archE1200ELNS1_3gpuE4ELNS1_3repE0EEENS1_30default_config_static_selectorELNS0_4arch9wavefront6targetE1EEEvSW_
	.p2align	8
	.type	_ZN7rocprim17ROCPRIM_400000_NS6detail17trampoline_kernelINS0_14default_configENS1_22reduce_config_selectorIlEEZNS1_11reduce_implILb1ES3_N6thrust23THRUST_200600_302600_NS11hip_rocprim26transform_input_iterator_tIlNS8_12zip_iteratorINS8_5tupleINS8_6detail15normal_iteratorINS8_10device_ptrItEEEESH_NS8_9null_typeESI_SI_SI_SI_SI_SI_SI_EEEENS9_21zip_adj_not_predicateI22is_equal_div_10_uniqueItEEEEEPllNS8_4plusIlEEEE10hipError_tPvRmT1_T2_T3_mT4_P12ihipStream_tbEUlT_E1_NS1_11comp_targetILNS1_3genE10ELNS1_11target_archE1200ELNS1_3gpuE4ELNS1_3repE0EEENS1_30default_config_static_selectorELNS0_4arch9wavefront6targetE1EEEvSW_,@function
_ZN7rocprim17ROCPRIM_400000_NS6detail17trampoline_kernelINS0_14default_configENS1_22reduce_config_selectorIlEEZNS1_11reduce_implILb1ES3_N6thrust23THRUST_200600_302600_NS11hip_rocprim26transform_input_iterator_tIlNS8_12zip_iteratorINS8_5tupleINS8_6detail15normal_iteratorINS8_10device_ptrItEEEESH_NS8_9null_typeESI_SI_SI_SI_SI_SI_SI_EEEENS9_21zip_adj_not_predicateI22is_equal_div_10_uniqueItEEEEEPllNS8_4plusIlEEEE10hipError_tPvRmT1_T2_T3_mT4_P12ihipStream_tbEUlT_E1_NS1_11comp_targetILNS1_3genE10ELNS1_11target_archE1200ELNS1_3gpuE4ELNS1_3repE0EEENS1_30default_config_static_selectorELNS0_4arch9wavefront6targetE1EEEvSW_: ; @_ZN7rocprim17ROCPRIM_400000_NS6detail17trampoline_kernelINS0_14default_configENS1_22reduce_config_selectorIlEEZNS1_11reduce_implILb1ES3_N6thrust23THRUST_200600_302600_NS11hip_rocprim26transform_input_iterator_tIlNS8_12zip_iteratorINS8_5tupleINS8_6detail15normal_iteratorINS8_10device_ptrItEEEESH_NS8_9null_typeESI_SI_SI_SI_SI_SI_SI_EEEENS9_21zip_adj_not_predicateI22is_equal_div_10_uniqueItEEEEEPllNS8_4plusIlEEEE10hipError_tPvRmT1_T2_T3_mT4_P12ihipStream_tbEUlT_E1_NS1_11comp_targetILNS1_3genE10ELNS1_11target_archE1200ELNS1_3gpuE4ELNS1_3repE0EEENS1_30default_config_static_selectorELNS0_4arch9wavefront6targetE1EEEvSW_
; %bb.0:
	.section	.rodata,"a",@progbits
	.p2align	6, 0x0
	.amdhsa_kernel _ZN7rocprim17ROCPRIM_400000_NS6detail17trampoline_kernelINS0_14default_configENS1_22reduce_config_selectorIlEEZNS1_11reduce_implILb1ES3_N6thrust23THRUST_200600_302600_NS11hip_rocprim26transform_input_iterator_tIlNS8_12zip_iteratorINS8_5tupleINS8_6detail15normal_iteratorINS8_10device_ptrItEEEESH_NS8_9null_typeESI_SI_SI_SI_SI_SI_SI_EEEENS9_21zip_adj_not_predicateI22is_equal_div_10_uniqueItEEEEEPllNS8_4plusIlEEEE10hipError_tPvRmT1_T2_T3_mT4_P12ihipStream_tbEUlT_E1_NS1_11comp_targetILNS1_3genE10ELNS1_11target_archE1200ELNS1_3gpuE4ELNS1_3repE0EEENS1_30default_config_static_selectorELNS0_4arch9wavefront6targetE1EEEvSW_
		.amdhsa_group_segment_fixed_size 0
		.amdhsa_private_segment_fixed_size 0
		.amdhsa_kernarg_size 64
		.amdhsa_user_sgpr_count 6
		.amdhsa_user_sgpr_private_segment_buffer 1
		.amdhsa_user_sgpr_dispatch_ptr 0
		.amdhsa_user_sgpr_queue_ptr 0
		.amdhsa_user_sgpr_kernarg_segment_ptr 1
		.amdhsa_user_sgpr_dispatch_id 0
		.amdhsa_user_sgpr_flat_scratch_init 0
		.amdhsa_user_sgpr_private_segment_size 0
		.amdhsa_uses_dynamic_stack 0
		.amdhsa_system_sgpr_private_segment_wavefront_offset 0
		.amdhsa_system_sgpr_workgroup_id_x 1
		.amdhsa_system_sgpr_workgroup_id_y 0
		.amdhsa_system_sgpr_workgroup_id_z 0
		.amdhsa_system_sgpr_workgroup_info 0
		.amdhsa_system_vgpr_workitem_id 0
		.amdhsa_next_free_vgpr 1
		.amdhsa_next_free_sgpr 0
		.amdhsa_reserve_vcc 0
		.amdhsa_reserve_flat_scratch 0
		.amdhsa_float_round_mode_32 0
		.amdhsa_float_round_mode_16_64 0
		.amdhsa_float_denorm_mode_32 3
		.amdhsa_float_denorm_mode_16_64 3
		.amdhsa_dx10_clamp 1
		.amdhsa_ieee_mode 1
		.amdhsa_fp16_overflow 0
		.amdhsa_exception_fp_ieee_invalid_op 0
		.amdhsa_exception_fp_denorm_src 0
		.amdhsa_exception_fp_ieee_div_zero 0
		.amdhsa_exception_fp_ieee_overflow 0
		.amdhsa_exception_fp_ieee_underflow 0
		.amdhsa_exception_fp_ieee_inexact 0
		.amdhsa_exception_int_div_zero 0
	.end_amdhsa_kernel
	.section	.text._ZN7rocprim17ROCPRIM_400000_NS6detail17trampoline_kernelINS0_14default_configENS1_22reduce_config_selectorIlEEZNS1_11reduce_implILb1ES3_N6thrust23THRUST_200600_302600_NS11hip_rocprim26transform_input_iterator_tIlNS8_12zip_iteratorINS8_5tupleINS8_6detail15normal_iteratorINS8_10device_ptrItEEEESH_NS8_9null_typeESI_SI_SI_SI_SI_SI_SI_EEEENS9_21zip_adj_not_predicateI22is_equal_div_10_uniqueItEEEEEPllNS8_4plusIlEEEE10hipError_tPvRmT1_T2_T3_mT4_P12ihipStream_tbEUlT_E1_NS1_11comp_targetILNS1_3genE10ELNS1_11target_archE1200ELNS1_3gpuE4ELNS1_3repE0EEENS1_30default_config_static_selectorELNS0_4arch9wavefront6targetE1EEEvSW_,"axG",@progbits,_ZN7rocprim17ROCPRIM_400000_NS6detail17trampoline_kernelINS0_14default_configENS1_22reduce_config_selectorIlEEZNS1_11reduce_implILb1ES3_N6thrust23THRUST_200600_302600_NS11hip_rocprim26transform_input_iterator_tIlNS8_12zip_iteratorINS8_5tupleINS8_6detail15normal_iteratorINS8_10device_ptrItEEEESH_NS8_9null_typeESI_SI_SI_SI_SI_SI_SI_EEEENS9_21zip_adj_not_predicateI22is_equal_div_10_uniqueItEEEEEPllNS8_4plusIlEEEE10hipError_tPvRmT1_T2_T3_mT4_P12ihipStream_tbEUlT_E1_NS1_11comp_targetILNS1_3genE10ELNS1_11target_archE1200ELNS1_3gpuE4ELNS1_3repE0EEENS1_30default_config_static_selectorELNS0_4arch9wavefront6targetE1EEEvSW_,comdat
.Lfunc_end920:
	.size	_ZN7rocprim17ROCPRIM_400000_NS6detail17trampoline_kernelINS0_14default_configENS1_22reduce_config_selectorIlEEZNS1_11reduce_implILb1ES3_N6thrust23THRUST_200600_302600_NS11hip_rocprim26transform_input_iterator_tIlNS8_12zip_iteratorINS8_5tupleINS8_6detail15normal_iteratorINS8_10device_ptrItEEEESH_NS8_9null_typeESI_SI_SI_SI_SI_SI_SI_EEEENS9_21zip_adj_not_predicateI22is_equal_div_10_uniqueItEEEEEPllNS8_4plusIlEEEE10hipError_tPvRmT1_T2_T3_mT4_P12ihipStream_tbEUlT_E1_NS1_11comp_targetILNS1_3genE10ELNS1_11target_archE1200ELNS1_3gpuE4ELNS1_3repE0EEENS1_30default_config_static_selectorELNS0_4arch9wavefront6targetE1EEEvSW_, .Lfunc_end920-_ZN7rocprim17ROCPRIM_400000_NS6detail17trampoline_kernelINS0_14default_configENS1_22reduce_config_selectorIlEEZNS1_11reduce_implILb1ES3_N6thrust23THRUST_200600_302600_NS11hip_rocprim26transform_input_iterator_tIlNS8_12zip_iteratorINS8_5tupleINS8_6detail15normal_iteratorINS8_10device_ptrItEEEESH_NS8_9null_typeESI_SI_SI_SI_SI_SI_SI_EEEENS9_21zip_adj_not_predicateI22is_equal_div_10_uniqueItEEEEEPllNS8_4plusIlEEEE10hipError_tPvRmT1_T2_T3_mT4_P12ihipStream_tbEUlT_E1_NS1_11comp_targetILNS1_3genE10ELNS1_11target_archE1200ELNS1_3gpuE4ELNS1_3repE0EEENS1_30default_config_static_selectorELNS0_4arch9wavefront6targetE1EEEvSW_
                                        ; -- End function
	.set _ZN7rocprim17ROCPRIM_400000_NS6detail17trampoline_kernelINS0_14default_configENS1_22reduce_config_selectorIlEEZNS1_11reduce_implILb1ES3_N6thrust23THRUST_200600_302600_NS11hip_rocprim26transform_input_iterator_tIlNS8_12zip_iteratorINS8_5tupleINS8_6detail15normal_iteratorINS8_10device_ptrItEEEESH_NS8_9null_typeESI_SI_SI_SI_SI_SI_SI_EEEENS9_21zip_adj_not_predicateI22is_equal_div_10_uniqueItEEEEEPllNS8_4plusIlEEEE10hipError_tPvRmT1_T2_T3_mT4_P12ihipStream_tbEUlT_E1_NS1_11comp_targetILNS1_3genE10ELNS1_11target_archE1200ELNS1_3gpuE4ELNS1_3repE0EEENS1_30default_config_static_selectorELNS0_4arch9wavefront6targetE1EEEvSW_.num_vgpr, 0
	.set _ZN7rocprim17ROCPRIM_400000_NS6detail17trampoline_kernelINS0_14default_configENS1_22reduce_config_selectorIlEEZNS1_11reduce_implILb1ES3_N6thrust23THRUST_200600_302600_NS11hip_rocprim26transform_input_iterator_tIlNS8_12zip_iteratorINS8_5tupleINS8_6detail15normal_iteratorINS8_10device_ptrItEEEESH_NS8_9null_typeESI_SI_SI_SI_SI_SI_SI_EEEENS9_21zip_adj_not_predicateI22is_equal_div_10_uniqueItEEEEEPllNS8_4plusIlEEEE10hipError_tPvRmT1_T2_T3_mT4_P12ihipStream_tbEUlT_E1_NS1_11comp_targetILNS1_3genE10ELNS1_11target_archE1200ELNS1_3gpuE4ELNS1_3repE0EEENS1_30default_config_static_selectorELNS0_4arch9wavefront6targetE1EEEvSW_.num_agpr, 0
	.set _ZN7rocprim17ROCPRIM_400000_NS6detail17trampoline_kernelINS0_14default_configENS1_22reduce_config_selectorIlEEZNS1_11reduce_implILb1ES3_N6thrust23THRUST_200600_302600_NS11hip_rocprim26transform_input_iterator_tIlNS8_12zip_iteratorINS8_5tupleINS8_6detail15normal_iteratorINS8_10device_ptrItEEEESH_NS8_9null_typeESI_SI_SI_SI_SI_SI_SI_EEEENS9_21zip_adj_not_predicateI22is_equal_div_10_uniqueItEEEEEPllNS8_4plusIlEEEE10hipError_tPvRmT1_T2_T3_mT4_P12ihipStream_tbEUlT_E1_NS1_11comp_targetILNS1_3genE10ELNS1_11target_archE1200ELNS1_3gpuE4ELNS1_3repE0EEENS1_30default_config_static_selectorELNS0_4arch9wavefront6targetE1EEEvSW_.numbered_sgpr, 0
	.set _ZN7rocprim17ROCPRIM_400000_NS6detail17trampoline_kernelINS0_14default_configENS1_22reduce_config_selectorIlEEZNS1_11reduce_implILb1ES3_N6thrust23THRUST_200600_302600_NS11hip_rocprim26transform_input_iterator_tIlNS8_12zip_iteratorINS8_5tupleINS8_6detail15normal_iteratorINS8_10device_ptrItEEEESH_NS8_9null_typeESI_SI_SI_SI_SI_SI_SI_EEEENS9_21zip_adj_not_predicateI22is_equal_div_10_uniqueItEEEEEPllNS8_4plusIlEEEE10hipError_tPvRmT1_T2_T3_mT4_P12ihipStream_tbEUlT_E1_NS1_11comp_targetILNS1_3genE10ELNS1_11target_archE1200ELNS1_3gpuE4ELNS1_3repE0EEENS1_30default_config_static_selectorELNS0_4arch9wavefront6targetE1EEEvSW_.num_named_barrier, 0
	.set _ZN7rocprim17ROCPRIM_400000_NS6detail17trampoline_kernelINS0_14default_configENS1_22reduce_config_selectorIlEEZNS1_11reduce_implILb1ES3_N6thrust23THRUST_200600_302600_NS11hip_rocprim26transform_input_iterator_tIlNS8_12zip_iteratorINS8_5tupleINS8_6detail15normal_iteratorINS8_10device_ptrItEEEESH_NS8_9null_typeESI_SI_SI_SI_SI_SI_SI_EEEENS9_21zip_adj_not_predicateI22is_equal_div_10_uniqueItEEEEEPllNS8_4plusIlEEEE10hipError_tPvRmT1_T2_T3_mT4_P12ihipStream_tbEUlT_E1_NS1_11comp_targetILNS1_3genE10ELNS1_11target_archE1200ELNS1_3gpuE4ELNS1_3repE0EEENS1_30default_config_static_selectorELNS0_4arch9wavefront6targetE1EEEvSW_.private_seg_size, 0
	.set _ZN7rocprim17ROCPRIM_400000_NS6detail17trampoline_kernelINS0_14default_configENS1_22reduce_config_selectorIlEEZNS1_11reduce_implILb1ES3_N6thrust23THRUST_200600_302600_NS11hip_rocprim26transform_input_iterator_tIlNS8_12zip_iteratorINS8_5tupleINS8_6detail15normal_iteratorINS8_10device_ptrItEEEESH_NS8_9null_typeESI_SI_SI_SI_SI_SI_SI_EEEENS9_21zip_adj_not_predicateI22is_equal_div_10_uniqueItEEEEEPllNS8_4plusIlEEEE10hipError_tPvRmT1_T2_T3_mT4_P12ihipStream_tbEUlT_E1_NS1_11comp_targetILNS1_3genE10ELNS1_11target_archE1200ELNS1_3gpuE4ELNS1_3repE0EEENS1_30default_config_static_selectorELNS0_4arch9wavefront6targetE1EEEvSW_.uses_vcc, 0
	.set _ZN7rocprim17ROCPRIM_400000_NS6detail17trampoline_kernelINS0_14default_configENS1_22reduce_config_selectorIlEEZNS1_11reduce_implILb1ES3_N6thrust23THRUST_200600_302600_NS11hip_rocprim26transform_input_iterator_tIlNS8_12zip_iteratorINS8_5tupleINS8_6detail15normal_iteratorINS8_10device_ptrItEEEESH_NS8_9null_typeESI_SI_SI_SI_SI_SI_SI_EEEENS9_21zip_adj_not_predicateI22is_equal_div_10_uniqueItEEEEEPllNS8_4plusIlEEEE10hipError_tPvRmT1_T2_T3_mT4_P12ihipStream_tbEUlT_E1_NS1_11comp_targetILNS1_3genE10ELNS1_11target_archE1200ELNS1_3gpuE4ELNS1_3repE0EEENS1_30default_config_static_selectorELNS0_4arch9wavefront6targetE1EEEvSW_.uses_flat_scratch, 0
	.set _ZN7rocprim17ROCPRIM_400000_NS6detail17trampoline_kernelINS0_14default_configENS1_22reduce_config_selectorIlEEZNS1_11reduce_implILb1ES3_N6thrust23THRUST_200600_302600_NS11hip_rocprim26transform_input_iterator_tIlNS8_12zip_iteratorINS8_5tupleINS8_6detail15normal_iteratorINS8_10device_ptrItEEEESH_NS8_9null_typeESI_SI_SI_SI_SI_SI_SI_EEEENS9_21zip_adj_not_predicateI22is_equal_div_10_uniqueItEEEEEPllNS8_4plusIlEEEE10hipError_tPvRmT1_T2_T3_mT4_P12ihipStream_tbEUlT_E1_NS1_11comp_targetILNS1_3genE10ELNS1_11target_archE1200ELNS1_3gpuE4ELNS1_3repE0EEENS1_30default_config_static_selectorELNS0_4arch9wavefront6targetE1EEEvSW_.has_dyn_sized_stack, 0
	.set _ZN7rocprim17ROCPRIM_400000_NS6detail17trampoline_kernelINS0_14default_configENS1_22reduce_config_selectorIlEEZNS1_11reduce_implILb1ES3_N6thrust23THRUST_200600_302600_NS11hip_rocprim26transform_input_iterator_tIlNS8_12zip_iteratorINS8_5tupleINS8_6detail15normal_iteratorINS8_10device_ptrItEEEESH_NS8_9null_typeESI_SI_SI_SI_SI_SI_SI_EEEENS9_21zip_adj_not_predicateI22is_equal_div_10_uniqueItEEEEEPllNS8_4plusIlEEEE10hipError_tPvRmT1_T2_T3_mT4_P12ihipStream_tbEUlT_E1_NS1_11comp_targetILNS1_3genE10ELNS1_11target_archE1200ELNS1_3gpuE4ELNS1_3repE0EEENS1_30default_config_static_selectorELNS0_4arch9wavefront6targetE1EEEvSW_.has_recursion, 0
	.set _ZN7rocprim17ROCPRIM_400000_NS6detail17trampoline_kernelINS0_14default_configENS1_22reduce_config_selectorIlEEZNS1_11reduce_implILb1ES3_N6thrust23THRUST_200600_302600_NS11hip_rocprim26transform_input_iterator_tIlNS8_12zip_iteratorINS8_5tupleINS8_6detail15normal_iteratorINS8_10device_ptrItEEEESH_NS8_9null_typeESI_SI_SI_SI_SI_SI_SI_EEEENS9_21zip_adj_not_predicateI22is_equal_div_10_uniqueItEEEEEPllNS8_4plusIlEEEE10hipError_tPvRmT1_T2_T3_mT4_P12ihipStream_tbEUlT_E1_NS1_11comp_targetILNS1_3genE10ELNS1_11target_archE1200ELNS1_3gpuE4ELNS1_3repE0EEENS1_30default_config_static_selectorELNS0_4arch9wavefront6targetE1EEEvSW_.has_indirect_call, 0
	.section	.AMDGPU.csdata,"",@progbits
; Kernel info:
; codeLenInByte = 0
; TotalNumSgprs: 4
; NumVgprs: 0
; ScratchSize: 0
; MemoryBound: 0
; FloatMode: 240
; IeeeMode: 1
; LDSByteSize: 0 bytes/workgroup (compile time only)
; SGPRBlocks: 0
; VGPRBlocks: 0
; NumSGPRsForWavesPerEU: 4
; NumVGPRsForWavesPerEU: 1
; Occupancy: 10
; WaveLimiterHint : 0
; COMPUTE_PGM_RSRC2:SCRATCH_EN: 0
; COMPUTE_PGM_RSRC2:USER_SGPR: 6
; COMPUTE_PGM_RSRC2:TRAP_HANDLER: 0
; COMPUTE_PGM_RSRC2:TGID_X_EN: 1
; COMPUTE_PGM_RSRC2:TGID_Y_EN: 0
; COMPUTE_PGM_RSRC2:TGID_Z_EN: 0
; COMPUTE_PGM_RSRC2:TIDIG_COMP_CNT: 0
	.section	.text._ZN7rocprim17ROCPRIM_400000_NS6detail17trampoline_kernelINS0_14default_configENS1_22reduce_config_selectorIlEEZNS1_11reduce_implILb1ES3_N6thrust23THRUST_200600_302600_NS11hip_rocprim26transform_input_iterator_tIlNS8_12zip_iteratorINS8_5tupleINS8_6detail15normal_iteratorINS8_10device_ptrItEEEESH_NS8_9null_typeESI_SI_SI_SI_SI_SI_SI_EEEENS9_21zip_adj_not_predicateI22is_equal_div_10_uniqueItEEEEEPllNS8_4plusIlEEEE10hipError_tPvRmT1_T2_T3_mT4_P12ihipStream_tbEUlT_E1_NS1_11comp_targetILNS1_3genE9ELNS1_11target_archE1100ELNS1_3gpuE3ELNS1_3repE0EEENS1_30default_config_static_selectorELNS0_4arch9wavefront6targetE1EEEvSW_,"axG",@progbits,_ZN7rocprim17ROCPRIM_400000_NS6detail17trampoline_kernelINS0_14default_configENS1_22reduce_config_selectorIlEEZNS1_11reduce_implILb1ES3_N6thrust23THRUST_200600_302600_NS11hip_rocprim26transform_input_iterator_tIlNS8_12zip_iteratorINS8_5tupleINS8_6detail15normal_iteratorINS8_10device_ptrItEEEESH_NS8_9null_typeESI_SI_SI_SI_SI_SI_SI_EEEENS9_21zip_adj_not_predicateI22is_equal_div_10_uniqueItEEEEEPllNS8_4plusIlEEEE10hipError_tPvRmT1_T2_T3_mT4_P12ihipStream_tbEUlT_E1_NS1_11comp_targetILNS1_3genE9ELNS1_11target_archE1100ELNS1_3gpuE3ELNS1_3repE0EEENS1_30default_config_static_selectorELNS0_4arch9wavefront6targetE1EEEvSW_,comdat
	.protected	_ZN7rocprim17ROCPRIM_400000_NS6detail17trampoline_kernelINS0_14default_configENS1_22reduce_config_selectorIlEEZNS1_11reduce_implILb1ES3_N6thrust23THRUST_200600_302600_NS11hip_rocprim26transform_input_iterator_tIlNS8_12zip_iteratorINS8_5tupleINS8_6detail15normal_iteratorINS8_10device_ptrItEEEESH_NS8_9null_typeESI_SI_SI_SI_SI_SI_SI_EEEENS9_21zip_adj_not_predicateI22is_equal_div_10_uniqueItEEEEEPllNS8_4plusIlEEEE10hipError_tPvRmT1_T2_T3_mT4_P12ihipStream_tbEUlT_E1_NS1_11comp_targetILNS1_3genE9ELNS1_11target_archE1100ELNS1_3gpuE3ELNS1_3repE0EEENS1_30default_config_static_selectorELNS0_4arch9wavefront6targetE1EEEvSW_ ; -- Begin function _ZN7rocprim17ROCPRIM_400000_NS6detail17trampoline_kernelINS0_14default_configENS1_22reduce_config_selectorIlEEZNS1_11reduce_implILb1ES3_N6thrust23THRUST_200600_302600_NS11hip_rocprim26transform_input_iterator_tIlNS8_12zip_iteratorINS8_5tupleINS8_6detail15normal_iteratorINS8_10device_ptrItEEEESH_NS8_9null_typeESI_SI_SI_SI_SI_SI_SI_EEEENS9_21zip_adj_not_predicateI22is_equal_div_10_uniqueItEEEEEPllNS8_4plusIlEEEE10hipError_tPvRmT1_T2_T3_mT4_P12ihipStream_tbEUlT_E1_NS1_11comp_targetILNS1_3genE9ELNS1_11target_archE1100ELNS1_3gpuE3ELNS1_3repE0EEENS1_30default_config_static_selectorELNS0_4arch9wavefront6targetE1EEEvSW_
	.globl	_ZN7rocprim17ROCPRIM_400000_NS6detail17trampoline_kernelINS0_14default_configENS1_22reduce_config_selectorIlEEZNS1_11reduce_implILb1ES3_N6thrust23THRUST_200600_302600_NS11hip_rocprim26transform_input_iterator_tIlNS8_12zip_iteratorINS8_5tupleINS8_6detail15normal_iteratorINS8_10device_ptrItEEEESH_NS8_9null_typeESI_SI_SI_SI_SI_SI_SI_EEEENS9_21zip_adj_not_predicateI22is_equal_div_10_uniqueItEEEEEPllNS8_4plusIlEEEE10hipError_tPvRmT1_T2_T3_mT4_P12ihipStream_tbEUlT_E1_NS1_11comp_targetILNS1_3genE9ELNS1_11target_archE1100ELNS1_3gpuE3ELNS1_3repE0EEENS1_30default_config_static_selectorELNS0_4arch9wavefront6targetE1EEEvSW_
	.p2align	8
	.type	_ZN7rocprim17ROCPRIM_400000_NS6detail17trampoline_kernelINS0_14default_configENS1_22reduce_config_selectorIlEEZNS1_11reduce_implILb1ES3_N6thrust23THRUST_200600_302600_NS11hip_rocprim26transform_input_iterator_tIlNS8_12zip_iteratorINS8_5tupleINS8_6detail15normal_iteratorINS8_10device_ptrItEEEESH_NS8_9null_typeESI_SI_SI_SI_SI_SI_SI_EEEENS9_21zip_adj_not_predicateI22is_equal_div_10_uniqueItEEEEEPllNS8_4plusIlEEEE10hipError_tPvRmT1_T2_T3_mT4_P12ihipStream_tbEUlT_E1_NS1_11comp_targetILNS1_3genE9ELNS1_11target_archE1100ELNS1_3gpuE3ELNS1_3repE0EEENS1_30default_config_static_selectorELNS0_4arch9wavefront6targetE1EEEvSW_,@function
_ZN7rocprim17ROCPRIM_400000_NS6detail17trampoline_kernelINS0_14default_configENS1_22reduce_config_selectorIlEEZNS1_11reduce_implILb1ES3_N6thrust23THRUST_200600_302600_NS11hip_rocprim26transform_input_iterator_tIlNS8_12zip_iteratorINS8_5tupleINS8_6detail15normal_iteratorINS8_10device_ptrItEEEESH_NS8_9null_typeESI_SI_SI_SI_SI_SI_SI_EEEENS9_21zip_adj_not_predicateI22is_equal_div_10_uniqueItEEEEEPllNS8_4plusIlEEEE10hipError_tPvRmT1_T2_T3_mT4_P12ihipStream_tbEUlT_E1_NS1_11comp_targetILNS1_3genE9ELNS1_11target_archE1100ELNS1_3gpuE3ELNS1_3repE0EEENS1_30default_config_static_selectorELNS0_4arch9wavefront6targetE1EEEvSW_: ; @_ZN7rocprim17ROCPRIM_400000_NS6detail17trampoline_kernelINS0_14default_configENS1_22reduce_config_selectorIlEEZNS1_11reduce_implILb1ES3_N6thrust23THRUST_200600_302600_NS11hip_rocprim26transform_input_iterator_tIlNS8_12zip_iteratorINS8_5tupleINS8_6detail15normal_iteratorINS8_10device_ptrItEEEESH_NS8_9null_typeESI_SI_SI_SI_SI_SI_SI_EEEENS9_21zip_adj_not_predicateI22is_equal_div_10_uniqueItEEEEEPllNS8_4plusIlEEEE10hipError_tPvRmT1_T2_T3_mT4_P12ihipStream_tbEUlT_E1_NS1_11comp_targetILNS1_3genE9ELNS1_11target_archE1100ELNS1_3gpuE3ELNS1_3repE0EEENS1_30default_config_static_selectorELNS0_4arch9wavefront6targetE1EEEvSW_
; %bb.0:
	.section	.rodata,"a",@progbits
	.p2align	6, 0x0
	.amdhsa_kernel _ZN7rocprim17ROCPRIM_400000_NS6detail17trampoline_kernelINS0_14default_configENS1_22reduce_config_selectorIlEEZNS1_11reduce_implILb1ES3_N6thrust23THRUST_200600_302600_NS11hip_rocprim26transform_input_iterator_tIlNS8_12zip_iteratorINS8_5tupleINS8_6detail15normal_iteratorINS8_10device_ptrItEEEESH_NS8_9null_typeESI_SI_SI_SI_SI_SI_SI_EEEENS9_21zip_adj_not_predicateI22is_equal_div_10_uniqueItEEEEEPllNS8_4plusIlEEEE10hipError_tPvRmT1_T2_T3_mT4_P12ihipStream_tbEUlT_E1_NS1_11comp_targetILNS1_3genE9ELNS1_11target_archE1100ELNS1_3gpuE3ELNS1_3repE0EEENS1_30default_config_static_selectorELNS0_4arch9wavefront6targetE1EEEvSW_
		.amdhsa_group_segment_fixed_size 0
		.amdhsa_private_segment_fixed_size 0
		.amdhsa_kernarg_size 64
		.amdhsa_user_sgpr_count 6
		.amdhsa_user_sgpr_private_segment_buffer 1
		.amdhsa_user_sgpr_dispatch_ptr 0
		.amdhsa_user_sgpr_queue_ptr 0
		.amdhsa_user_sgpr_kernarg_segment_ptr 1
		.amdhsa_user_sgpr_dispatch_id 0
		.amdhsa_user_sgpr_flat_scratch_init 0
		.amdhsa_user_sgpr_private_segment_size 0
		.amdhsa_uses_dynamic_stack 0
		.amdhsa_system_sgpr_private_segment_wavefront_offset 0
		.amdhsa_system_sgpr_workgroup_id_x 1
		.amdhsa_system_sgpr_workgroup_id_y 0
		.amdhsa_system_sgpr_workgroup_id_z 0
		.amdhsa_system_sgpr_workgroup_info 0
		.amdhsa_system_vgpr_workitem_id 0
		.amdhsa_next_free_vgpr 1
		.amdhsa_next_free_sgpr 0
		.amdhsa_reserve_vcc 0
		.amdhsa_reserve_flat_scratch 0
		.amdhsa_float_round_mode_32 0
		.amdhsa_float_round_mode_16_64 0
		.amdhsa_float_denorm_mode_32 3
		.amdhsa_float_denorm_mode_16_64 3
		.amdhsa_dx10_clamp 1
		.amdhsa_ieee_mode 1
		.amdhsa_fp16_overflow 0
		.amdhsa_exception_fp_ieee_invalid_op 0
		.amdhsa_exception_fp_denorm_src 0
		.amdhsa_exception_fp_ieee_div_zero 0
		.amdhsa_exception_fp_ieee_overflow 0
		.amdhsa_exception_fp_ieee_underflow 0
		.amdhsa_exception_fp_ieee_inexact 0
		.amdhsa_exception_int_div_zero 0
	.end_amdhsa_kernel
	.section	.text._ZN7rocprim17ROCPRIM_400000_NS6detail17trampoline_kernelINS0_14default_configENS1_22reduce_config_selectorIlEEZNS1_11reduce_implILb1ES3_N6thrust23THRUST_200600_302600_NS11hip_rocprim26transform_input_iterator_tIlNS8_12zip_iteratorINS8_5tupleINS8_6detail15normal_iteratorINS8_10device_ptrItEEEESH_NS8_9null_typeESI_SI_SI_SI_SI_SI_SI_EEEENS9_21zip_adj_not_predicateI22is_equal_div_10_uniqueItEEEEEPllNS8_4plusIlEEEE10hipError_tPvRmT1_T2_T3_mT4_P12ihipStream_tbEUlT_E1_NS1_11comp_targetILNS1_3genE9ELNS1_11target_archE1100ELNS1_3gpuE3ELNS1_3repE0EEENS1_30default_config_static_selectorELNS0_4arch9wavefront6targetE1EEEvSW_,"axG",@progbits,_ZN7rocprim17ROCPRIM_400000_NS6detail17trampoline_kernelINS0_14default_configENS1_22reduce_config_selectorIlEEZNS1_11reduce_implILb1ES3_N6thrust23THRUST_200600_302600_NS11hip_rocprim26transform_input_iterator_tIlNS8_12zip_iteratorINS8_5tupleINS8_6detail15normal_iteratorINS8_10device_ptrItEEEESH_NS8_9null_typeESI_SI_SI_SI_SI_SI_SI_EEEENS9_21zip_adj_not_predicateI22is_equal_div_10_uniqueItEEEEEPllNS8_4plusIlEEEE10hipError_tPvRmT1_T2_T3_mT4_P12ihipStream_tbEUlT_E1_NS1_11comp_targetILNS1_3genE9ELNS1_11target_archE1100ELNS1_3gpuE3ELNS1_3repE0EEENS1_30default_config_static_selectorELNS0_4arch9wavefront6targetE1EEEvSW_,comdat
.Lfunc_end921:
	.size	_ZN7rocprim17ROCPRIM_400000_NS6detail17trampoline_kernelINS0_14default_configENS1_22reduce_config_selectorIlEEZNS1_11reduce_implILb1ES3_N6thrust23THRUST_200600_302600_NS11hip_rocprim26transform_input_iterator_tIlNS8_12zip_iteratorINS8_5tupleINS8_6detail15normal_iteratorINS8_10device_ptrItEEEESH_NS8_9null_typeESI_SI_SI_SI_SI_SI_SI_EEEENS9_21zip_adj_not_predicateI22is_equal_div_10_uniqueItEEEEEPllNS8_4plusIlEEEE10hipError_tPvRmT1_T2_T3_mT4_P12ihipStream_tbEUlT_E1_NS1_11comp_targetILNS1_3genE9ELNS1_11target_archE1100ELNS1_3gpuE3ELNS1_3repE0EEENS1_30default_config_static_selectorELNS0_4arch9wavefront6targetE1EEEvSW_, .Lfunc_end921-_ZN7rocprim17ROCPRIM_400000_NS6detail17trampoline_kernelINS0_14default_configENS1_22reduce_config_selectorIlEEZNS1_11reduce_implILb1ES3_N6thrust23THRUST_200600_302600_NS11hip_rocprim26transform_input_iterator_tIlNS8_12zip_iteratorINS8_5tupleINS8_6detail15normal_iteratorINS8_10device_ptrItEEEESH_NS8_9null_typeESI_SI_SI_SI_SI_SI_SI_EEEENS9_21zip_adj_not_predicateI22is_equal_div_10_uniqueItEEEEEPllNS8_4plusIlEEEE10hipError_tPvRmT1_T2_T3_mT4_P12ihipStream_tbEUlT_E1_NS1_11comp_targetILNS1_3genE9ELNS1_11target_archE1100ELNS1_3gpuE3ELNS1_3repE0EEENS1_30default_config_static_selectorELNS0_4arch9wavefront6targetE1EEEvSW_
                                        ; -- End function
	.set _ZN7rocprim17ROCPRIM_400000_NS6detail17trampoline_kernelINS0_14default_configENS1_22reduce_config_selectorIlEEZNS1_11reduce_implILb1ES3_N6thrust23THRUST_200600_302600_NS11hip_rocprim26transform_input_iterator_tIlNS8_12zip_iteratorINS8_5tupleINS8_6detail15normal_iteratorINS8_10device_ptrItEEEESH_NS8_9null_typeESI_SI_SI_SI_SI_SI_SI_EEEENS9_21zip_adj_not_predicateI22is_equal_div_10_uniqueItEEEEEPllNS8_4plusIlEEEE10hipError_tPvRmT1_T2_T3_mT4_P12ihipStream_tbEUlT_E1_NS1_11comp_targetILNS1_3genE9ELNS1_11target_archE1100ELNS1_3gpuE3ELNS1_3repE0EEENS1_30default_config_static_selectorELNS0_4arch9wavefront6targetE1EEEvSW_.num_vgpr, 0
	.set _ZN7rocprim17ROCPRIM_400000_NS6detail17trampoline_kernelINS0_14default_configENS1_22reduce_config_selectorIlEEZNS1_11reduce_implILb1ES3_N6thrust23THRUST_200600_302600_NS11hip_rocprim26transform_input_iterator_tIlNS8_12zip_iteratorINS8_5tupleINS8_6detail15normal_iteratorINS8_10device_ptrItEEEESH_NS8_9null_typeESI_SI_SI_SI_SI_SI_SI_EEEENS9_21zip_adj_not_predicateI22is_equal_div_10_uniqueItEEEEEPllNS8_4plusIlEEEE10hipError_tPvRmT1_T2_T3_mT4_P12ihipStream_tbEUlT_E1_NS1_11comp_targetILNS1_3genE9ELNS1_11target_archE1100ELNS1_3gpuE3ELNS1_3repE0EEENS1_30default_config_static_selectorELNS0_4arch9wavefront6targetE1EEEvSW_.num_agpr, 0
	.set _ZN7rocprim17ROCPRIM_400000_NS6detail17trampoline_kernelINS0_14default_configENS1_22reduce_config_selectorIlEEZNS1_11reduce_implILb1ES3_N6thrust23THRUST_200600_302600_NS11hip_rocprim26transform_input_iterator_tIlNS8_12zip_iteratorINS8_5tupleINS8_6detail15normal_iteratorINS8_10device_ptrItEEEESH_NS8_9null_typeESI_SI_SI_SI_SI_SI_SI_EEEENS9_21zip_adj_not_predicateI22is_equal_div_10_uniqueItEEEEEPllNS8_4plusIlEEEE10hipError_tPvRmT1_T2_T3_mT4_P12ihipStream_tbEUlT_E1_NS1_11comp_targetILNS1_3genE9ELNS1_11target_archE1100ELNS1_3gpuE3ELNS1_3repE0EEENS1_30default_config_static_selectorELNS0_4arch9wavefront6targetE1EEEvSW_.numbered_sgpr, 0
	.set _ZN7rocprim17ROCPRIM_400000_NS6detail17trampoline_kernelINS0_14default_configENS1_22reduce_config_selectorIlEEZNS1_11reduce_implILb1ES3_N6thrust23THRUST_200600_302600_NS11hip_rocprim26transform_input_iterator_tIlNS8_12zip_iteratorINS8_5tupleINS8_6detail15normal_iteratorINS8_10device_ptrItEEEESH_NS8_9null_typeESI_SI_SI_SI_SI_SI_SI_EEEENS9_21zip_adj_not_predicateI22is_equal_div_10_uniqueItEEEEEPllNS8_4plusIlEEEE10hipError_tPvRmT1_T2_T3_mT4_P12ihipStream_tbEUlT_E1_NS1_11comp_targetILNS1_3genE9ELNS1_11target_archE1100ELNS1_3gpuE3ELNS1_3repE0EEENS1_30default_config_static_selectorELNS0_4arch9wavefront6targetE1EEEvSW_.num_named_barrier, 0
	.set _ZN7rocprim17ROCPRIM_400000_NS6detail17trampoline_kernelINS0_14default_configENS1_22reduce_config_selectorIlEEZNS1_11reduce_implILb1ES3_N6thrust23THRUST_200600_302600_NS11hip_rocprim26transform_input_iterator_tIlNS8_12zip_iteratorINS8_5tupleINS8_6detail15normal_iteratorINS8_10device_ptrItEEEESH_NS8_9null_typeESI_SI_SI_SI_SI_SI_SI_EEEENS9_21zip_adj_not_predicateI22is_equal_div_10_uniqueItEEEEEPllNS8_4plusIlEEEE10hipError_tPvRmT1_T2_T3_mT4_P12ihipStream_tbEUlT_E1_NS1_11comp_targetILNS1_3genE9ELNS1_11target_archE1100ELNS1_3gpuE3ELNS1_3repE0EEENS1_30default_config_static_selectorELNS0_4arch9wavefront6targetE1EEEvSW_.private_seg_size, 0
	.set _ZN7rocprim17ROCPRIM_400000_NS6detail17trampoline_kernelINS0_14default_configENS1_22reduce_config_selectorIlEEZNS1_11reduce_implILb1ES3_N6thrust23THRUST_200600_302600_NS11hip_rocprim26transform_input_iterator_tIlNS8_12zip_iteratorINS8_5tupleINS8_6detail15normal_iteratorINS8_10device_ptrItEEEESH_NS8_9null_typeESI_SI_SI_SI_SI_SI_SI_EEEENS9_21zip_adj_not_predicateI22is_equal_div_10_uniqueItEEEEEPllNS8_4plusIlEEEE10hipError_tPvRmT1_T2_T3_mT4_P12ihipStream_tbEUlT_E1_NS1_11comp_targetILNS1_3genE9ELNS1_11target_archE1100ELNS1_3gpuE3ELNS1_3repE0EEENS1_30default_config_static_selectorELNS0_4arch9wavefront6targetE1EEEvSW_.uses_vcc, 0
	.set _ZN7rocprim17ROCPRIM_400000_NS6detail17trampoline_kernelINS0_14default_configENS1_22reduce_config_selectorIlEEZNS1_11reduce_implILb1ES3_N6thrust23THRUST_200600_302600_NS11hip_rocprim26transform_input_iterator_tIlNS8_12zip_iteratorINS8_5tupleINS8_6detail15normal_iteratorINS8_10device_ptrItEEEESH_NS8_9null_typeESI_SI_SI_SI_SI_SI_SI_EEEENS9_21zip_adj_not_predicateI22is_equal_div_10_uniqueItEEEEEPllNS8_4plusIlEEEE10hipError_tPvRmT1_T2_T3_mT4_P12ihipStream_tbEUlT_E1_NS1_11comp_targetILNS1_3genE9ELNS1_11target_archE1100ELNS1_3gpuE3ELNS1_3repE0EEENS1_30default_config_static_selectorELNS0_4arch9wavefront6targetE1EEEvSW_.uses_flat_scratch, 0
	.set _ZN7rocprim17ROCPRIM_400000_NS6detail17trampoline_kernelINS0_14default_configENS1_22reduce_config_selectorIlEEZNS1_11reduce_implILb1ES3_N6thrust23THRUST_200600_302600_NS11hip_rocprim26transform_input_iterator_tIlNS8_12zip_iteratorINS8_5tupleINS8_6detail15normal_iteratorINS8_10device_ptrItEEEESH_NS8_9null_typeESI_SI_SI_SI_SI_SI_SI_EEEENS9_21zip_adj_not_predicateI22is_equal_div_10_uniqueItEEEEEPllNS8_4plusIlEEEE10hipError_tPvRmT1_T2_T3_mT4_P12ihipStream_tbEUlT_E1_NS1_11comp_targetILNS1_3genE9ELNS1_11target_archE1100ELNS1_3gpuE3ELNS1_3repE0EEENS1_30default_config_static_selectorELNS0_4arch9wavefront6targetE1EEEvSW_.has_dyn_sized_stack, 0
	.set _ZN7rocprim17ROCPRIM_400000_NS6detail17trampoline_kernelINS0_14default_configENS1_22reduce_config_selectorIlEEZNS1_11reduce_implILb1ES3_N6thrust23THRUST_200600_302600_NS11hip_rocprim26transform_input_iterator_tIlNS8_12zip_iteratorINS8_5tupleINS8_6detail15normal_iteratorINS8_10device_ptrItEEEESH_NS8_9null_typeESI_SI_SI_SI_SI_SI_SI_EEEENS9_21zip_adj_not_predicateI22is_equal_div_10_uniqueItEEEEEPllNS8_4plusIlEEEE10hipError_tPvRmT1_T2_T3_mT4_P12ihipStream_tbEUlT_E1_NS1_11comp_targetILNS1_3genE9ELNS1_11target_archE1100ELNS1_3gpuE3ELNS1_3repE0EEENS1_30default_config_static_selectorELNS0_4arch9wavefront6targetE1EEEvSW_.has_recursion, 0
	.set _ZN7rocprim17ROCPRIM_400000_NS6detail17trampoline_kernelINS0_14default_configENS1_22reduce_config_selectorIlEEZNS1_11reduce_implILb1ES3_N6thrust23THRUST_200600_302600_NS11hip_rocprim26transform_input_iterator_tIlNS8_12zip_iteratorINS8_5tupleINS8_6detail15normal_iteratorINS8_10device_ptrItEEEESH_NS8_9null_typeESI_SI_SI_SI_SI_SI_SI_EEEENS9_21zip_adj_not_predicateI22is_equal_div_10_uniqueItEEEEEPllNS8_4plusIlEEEE10hipError_tPvRmT1_T2_T3_mT4_P12ihipStream_tbEUlT_E1_NS1_11comp_targetILNS1_3genE9ELNS1_11target_archE1100ELNS1_3gpuE3ELNS1_3repE0EEENS1_30default_config_static_selectorELNS0_4arch9wavefront6targetE1EEEvSW_.has_indirect_call, 0
	.section	.AMDGPU.csdata,"",@progbits
; Kernel info:
; codeLenInByte = 0
; TotalNumSgprs: 4
; NumVgprs: 0
; ScratchSize: 0
; MemoryBound: 0
; FloatMode: 240
; IeeeMode: 1
; LDSByteSize: 0 bytes/workgroup (compile time only)
; SGPRBlocks: 0
; VGPRBlocks: 0
; NumSGPRsForWavesPerEU: 4
; NumVGPRsForWavesPerEU: 1
; Occupancy: 10
; WaveLimiterHint : 0
; COMPUTE_PGM_RSRC2:SCRATCH_EN: 0
; COMPUTE_PGM_RSRC2:USER_SGPR: 6
; COMPUTE_PGM_RSRC2:TRAP_HANDLER: 0
; COMPUTE_PGM_RSRC2:TGID_X_EN: 1
; COMPUTE_PGM_RSRC2:TGID_Y_EN: 0
; COMPUTE_PGM_RSRC2:TGID_Z_EN: 0
; COMPUTE_PGM_RSRC2:TIDIG_COMP_CNT: 0
	.section	.text._ZN7rocprim17ROCPRIM_400000_NS6detail17trampoline_kernelINS0_14default_configENS1_22reduce_config_selectorIlEEZNS1_11reduce_implILb1ES3_N6thrust23THRUST_200600_302600_NS11hip_rocprim26transform_input_iterator_tIlNS8_12zip_iteratorINS8_5tupleINS8_6detail15normal_iteratorINS8_10device_ptrItEEEESH_NS8_9null_typeESI_SI_SI_SI_SI_SI_SI_EEEENS9_21zip_adj_not_predicateI22is_equal_div_10_uniqueItEEEEEPllNS8_4plusIlEEEE10hipError_tPvRmT1_T2_T3_mT4_P12ihipStream_tbEUlT_E1_NS1_11comp_targetILNS1_3genE8ELNS1_11target_archE1030ELNS1_3gpuE2ELNS1_3repE0EEENS1_30default_config_static_selectorELNS0_4arch9wavefront6targetE1EEEvSW_,"axG",@progbits,_ZN7rocprim17ROCPRIM_400000_NS6detail17trampoline_kernelINS0_14default_configENS1_22reduce_config_selectorIlEEZNS1_11reduce_implILb1ES3_N6thrust23THRUST_200600_302600_NS11hip_rocprim26transform_input_iterator_tIlNS8_12zip_iteratorINS8_5tupleINS8_6detail15normal_iteratorINS8_10device_ptrItEEEESH_NS8_9null_typeESI_SI_SI_SI_SI_SI_SI_EEEENS9_21zip_adj_not_predicateI22is_equal_div_10_uniqueItEEEEEPllNS8_4plusIlEEEE10hipError_tPvRmT1_T2_T3_mT4_P12ihipStream_tbEUlT_E1_NS1_11comp_targetILNS1_3genE8ELNS1_11target_archE1030ELNS1_3gpuE2ELNS1_3repE0EEENS1_30default_config_static_selectorELNS0_4arch9wavefront6targetE1EEEvSW_,comdat
	.protected	_ZN7rocprim17ROCPRIM_400000_NS6detail17trampoline_kernelINS0_14default_configENS1_22reduce_config_selectorIlEEZNS1_11reduce_implILb1ES3_N6thrust23THRUST_200600_302600_NS11hip_rocprim26transform_input_iterator_tIlNS8_12zip_iteratorINS8_5tupleINS8_6detail15normal_iteratorINS8_10device_ptrItEEEESH_NS8_9null_typeESI_SI_SI_SI_SI_SI_SI_EEEENS9_21zip_adj_not_predicateI22is_equal_div_10_uniqueItEEEEEPllNS8_4plusIlEEEE10hipError_tPvRmT1_T2_T3_mT4_P12ihipStream_tbEUlT_E1_NS1_11comp_targetILNS1_3genE8ELNS1_11target_archE1030ELNS1_3gpuE2ELNS1_3repE0EEENS1_30default_config_static_selectorELNS0_4arch9wavefront6targetE1EEEvSW_ ; -- Begin function _ZN7rocprim17ROCPRIM_400000_NS6detail17trampoline_kernelINS0_14default_configENS1_22reduce_config_selectorIlEEZNS1_11reduce_implILb1ES3_N6thrust23THRUST_200600_302600_NS11hip_rocprim26transform_input_iterator_tIlNS8_12zip_iteratorINS8_5tupleINS8_6detail15normal_iteratorINS8_10device_ptrItEEEESH_NS8_9null_typeESI_SI_SI_SI_SI_SI_SI_EEEENS9_21zip_adj_not_predicateI22is_equal_div_10_uniqueItEEEEEPllNS8_4plusIlEEEE10hipError_tPvRmT1_T2_T3_mT4_P12ihipStream_tbEUlT_E1_NS1_11comp_targetILNS1_3genE8ELNS1_11target_archE1030ELNS1_3gpuE2ELNS1_3repE0EEENS1_30default_config_static_selectorELNS0_4arch9wavefront6targetE1EEEvSW_
	.globl	_ZN7rocprim17ROCPRIM_400000_NS6detail17trampoline_kernelINS0_14default_configENS1_22reduce_config_selectorIlEEZNS1_11reduce_implILb1ES3_N6thrust23THRUST_200600_302600_NS11hip_rocprim26transform_input_iterator_tIlNS8_12zip_iteratorINS8_5tupleINS8_6detail15normal_iteratorINS8_10device_ptrItEEEESH_NS8_9null_typeESI_SI_SI_SI_SI_SI_SI_EEEENS9_21zip_adj_not_predicateI22is_equal_div_10_uniqueItEEEEEPllNS8_4plusIlEEEE10hipError_tPvRmT1_T2_T3_mT4_P12ihipStream_tbEUlT_E1_NS1_11comp_targetILNS1_3genE8ELNS1_11target_archE1030ELNS1_3gpuE2ELNS1_3repE0EEENS1_30default_config_static_selectorELNS0_4arch9wavefront6targetE1EEEvSW_
	.p2align	8
	.type	_ZN7rocprim17ROCPRIM_400000_NS6detail17trampoline_kernelINS0_14default_configENS1_22reduce_config_selectorIlEEZNS1_11reduce_implILb1ES3_N6thrust23THRUST_200600_302600_NS11hip_rocprim26transform_input_iterator_tIlNS8_12zip_iteratorINS8_5tupleINS8_6detail15normal_iteratorINS8_10device_ptrItEEEESH_NS8_9null_typeESI_SI_SI_SI_SI_SI_SI_EEEENS9_21zip_adj_not_predicateI22is_equal_div_10_uniqueItEEEEEPllNS8_4plusIlEEEE10hipError_tPvRmT1_T2_T3_mT4_P12ihipStream_tbEUlT_E1_NS1_11comp_targetILNS1_3genE8ELNS1_11target_archE1030ELNS1_3gpuE2ELNS1_3repE0EEENS1_30default_config_static_selectorELNS0_4arch9wavefront6targetE1EEEvSW_,@function
_ZN7rocprim17ROCPRIM_400000_NS6detail17trampoline_kernelINS0_14default_configENS1_22reduce_config_selectorIlEEZNS1_11reduce_implILb1ES3_N6thrust23THRUST_200600_302600_NS11hip_rocprim26transform_input_iterator_tIlNS8_12zip_iteratorINS8_5tupleINS8_6detail15normal_iteratorINS8_10device_ptrItEEEESH_NS8_9null_typeESI_SI_SI_SI_SI_SI_SI_EEEENS9_21zip_adj_not_predicateI22is_equal_div_10_uniqueItEEEEEPllNS8_4plusIlEEEE10hipError_tPvRmT1_T2_T3_mT4_P12ihipStream_tbEUlT_E1_NS1_11comp_targetILNS1_3genE8ELNS1_11target_archE1030ELNS1_3gpuE2ELNS1_3repE0EEENS1_30default_config_static_selectorELNS0_4arch9wavefront6targetE1EEEvSW_: ; @_ZN7rocprim17ROCPRIM_400000_NS6detail17trampoline_kernelINS0_14default_configENS1_22reduce_config_selectorIlEEZNS1_11reduce_implILb1ES3_N6thrust23THRUST_200600_302600_NS11hip_rocprim26transform_input_iterator_tIlNS8_12zip_iteratorINS8_5tupleINS8_6detail15normal_iteratorINS8_10device_ptrItEEEESH_NS8_9null_typeESI_SI_SI_SI_SI_SI_SI_EEEENS9_21zip_adj_not_predicateI22is_equal_div_10_uniqueItEEEEEPllNS8_4plusIlEEEE10hipError_tPvRmT1_T2_T3_mT4_P12ihipStream_tbEUlT_E1_NS1_11comp_targetILNS1_3genE8ELNS1_11target_archE1030ELNS1_3gpuE2ELNS1_3repE0EEENS1_30default_config_static_selectorELNS0_4arch9wavefront6targetE1EEEvSW_
; %bb.0:
	.section	.rodata,"a",@progbits
	.p2align	6, 0x0
	.amdhsa_kernel _ZN7rocprim17ROCPRIM_400000_NS6detail17trampoline_kernelINS0_14default_configENS1_22reduce_config_selectorIlEEZNS1_11reduce_implILb1ES3_N6thrust23THRUST_200600_302600_NS11hip_rocprim26transform_input_iterator_tIlNS8_12zip_iteratorINS8_5tupleINS8_6detail15normal_iteratorINS8_10device_ptrItEEEESH_NS8_9null_typeESI_SI_SI_SI_SI_SI_SI_EEEENS9_21zip_adj_not_predicateI22is_equal_div_10_uniqueItEEEEEPllNS8_4plusIlEEEE10hipError_tPvRmT1_T2_T3_mT4_P12ihipStream_tbEUlT_E1_NS1_11comp_targetILNS1_3genE8ELNS1_11target_archE1030ELNS1_3gpuE2ELNS1_3repE0EEENS1_30default_config_static_selectorELNS0_4arch9wavefront6targetE1EEEvSW_
		.amdhsa_group_segment_fixed_size 0
		.amdhsa_private_segment_fixed_size 0
		.amdhsa_kernarg_size 64
		.amdhsa_user_sgpr_count 6
		.amdhsa_user_sgpr_private_segment_buffer 1
		.amdhsa_user_sgpr_dispatch_ptr 0
		.amdhsa_user_sgpr_queue_ptr 0
		.amdhsa_user_sgpr_kernarg_segment_ptr 1
		.amdhsa_user_sgpr_dispatch_id 0
		.amdhsa_user_sgpr_flat_scratch_init 0
		.amdhsa_user_sgpr_private_segment_size 0
		.amdhsa_uses_dynamic_stack 0
		.amdhsa_system_sgpr_private_segment_wavefront_offset 0
		.amdhsa_system_sgpr_workgroup_id_x 1
		.amdhsa_system_sgpr_workgroup_id_y 0
		.amdhsa_system_sgpr_workgroup_id_z 0
		.amdhsa_system_sgpr_workgroup_info 0
		.amdhsa_system_vgpr_workitem_id 0
		.amdhsa_next_free_vgpr 1
		.amdhsa_next_free_sgpr 0
		.amdhsa_reserve_vcc 0
		.amdhsa_reserve_flat_scratch 0
		.amdhsa_float_round_mode_32 0
		.amdhsa_float_round_mode_16_64 0
		.amdhsa_float_denorm_mode_32 3
		.amdhsa_float_denorm_mode_16_64 3
		.amdhsa_dx10_clamp 1
		.amdhsa_ieee_mode 1
		.amdhsa_fp16_overflow 0
		.amdhsa_exception_fp_ieee_invalid_op 0
		.amdhsa_exception_fp_denorm_src 0
		.amdhsa_exception_fp_ieee_div_zero 0
		.amdhsa_exception_fp_ieee_overflow 0
		.amdhsa_exception_fp_ieee_underflow 0
		.amdhsa_exception_fp_ieee_inexact 0
		.amdhsa_exception_int_div_zero 0
	.end_amdhsa_kernel
	.section	.text._ZN7rocprim17ROCPRIM_400000_NS6detail17trampoline_kernelINS0_14default_configENS1_22reduce_config_selectorIlEEZNS1_11reduce_implILb1ES3_N6thrust23THRUST_200600_302600_NS11hip_rocprim26transform_input_iterator_tIlNS8_12zip_iteratorINS8_5tupleINS8_6detail15normal_iteratorINS8_10device_ptrItEEEESH_NS8_9null_typeESI_SI_SI_SI_SI_SI_SI_EEEENS9_21zip_adj_not_predicateI22is_equal_div_10_uniqueItEEEEEPllNS8_4plusIlEEEE10hipError_tPvRmT1_T2_T3_mT4_P12ihipStream_tbEUlT_E1_NS1_11comp_targetILNS1_3genE8ELNS1_11target_archE1030ELNS1_3gpuE2ELNS1_3repE0EEENS1_30default_config_static_selectorELNS0_4arch9wavefront6targetE1EEEvSW_,"axG",@progbits,_ZN7rocprim17ROCPRIM_400000_NS6detail17trampoline_kernelINS0_14default_configENS1_22reduce_config_selectorIlEEZNS1_11reduce_implILb1ES3_N6thrust23THRUST_200600_302600_NS11hip_rocprim26transform_input_iterator_tIlNS8_12zip_iteratorINS8_5tupleINS8_6detail15normal_iteratorINS8_10device_ptrItEEEESH_NS8_9null_typeESI_SI_SI_SI_SI_SI_SI_EEEENS9_21zip_adj_not_predicateI22is_equal_div_10_uniqueItEEEEEPllNS8_4plusIlEEEE10hipError_tPvRmT1_T2_T3_mT4_P12ihipStream_tbEUlT_E1_NS1_11comp_targetILNS1_3genE8ELNS1_11target_archE1030ELNS1_3gpuE2ELNS1_3repE0EEENS1_30default_config_static_selectorELNS0_4arch9wavefront6targetE1EEEvSW_,comdat
.Lfunc_end922:
	.size	_ZN7rocprim17ROCPRIM_400000_NS6detail17trampoline_kernelINS0_14default_configENS1_22reduce_config_selectorIlEEZNS1_11reduce_implILb1ES3_N6thrust23THRUST_200600_302600_NS11hip_rocprim26transform_input_iterator_tIlNS8_12zip_iteratorINS8_5tupleINS8_6detail15normal_iteratorINS8_10device_ptrItEEEESH_NS8_9null_typeESI_SI_SI_SI_SI_SI_SI_EEEENS9_21zip_adj_not_predicateI22is_equal_div_10_uniqueItEEEEEPllNS8_4plusIlEEEE10hipError_tPvRmT1_T2_T3_mT4_P12ihipStream_tbEUlT_E1_NS1_11comp_targetILNS1_3genE8ELNS1_11target_archE1030ELNS1_3gpuE2ELNS1_3repE0EEENS1_30default_config_static_selectorELNS0_4arch9wavefront6targetE1EEEvSW_, .Lfunc_end922-_ZN7rocprim17ROCPRIM_400000_NS6detail17trampoline_kernelINS0_14default_configENS1_22reduce_config_selectorIlEEZNS1_11reduce_implILb1ES3_N6thrust23THRUST_200600_302600_NS11hip_rocprim26transform_input_iterator_tIlNS8_12zip_iteratorINS8_5tupleINS8_6detail15normal_iteratorINS8_10device_ptrItEEEESH_NS8_9null_typeESI_SI_SI_SI_SI_SI_SI_EEEENS9_21zip_adj_not_predicateI22is_equal_div_10_uniqueItEEEEEPllNS8_4plusIlEEEE10hipError_tPvRmT1_T2_T3_mT4_P12ihipStream_tbEUlT_E1_NS1_11comp_targetILNS1_3genE8ELNS1_11target_archE1030ELNS1_3gpuE2ELNS1_3repE0EEENS1_30default_config_static_selectorELNS0_4arch9wavefront6targetE1EEEvSW_
                                        ; -- End function
	.set _ZN7rocprim17ROCPRIM_400000_NS6detail17trampoline_kernelINS0_14default_configENS1_22reduce_config_selectorIlEEZNS1_11reduce_implILb1ES3_N6thrust23THRUST_200600_302600_NS11hip_rocprim26transform_input_iterator_tIlNS8_12zip_iteratorINS8_5tupleINS8_6detail15normal_iteratorINS8_10device_ptrItEEEESH_NS8_9null_typeESI_SI_SI_SI_SI_SI_SI_EEEENS9_21zip_adj_not_predicateI22is_equal_div_10_uniqueItEEEEEPllNS8_4plusIlEEEE10hipError_tPvRmT1_T2_T3_mT4_P12ihipStream_tbEUlT_E1_NS1_11comp_targetILNS1_3genE8ELNS1_11target_archE1030ELNS1_3gpuE2ELNS1_3repE0EEENS1_30default_config_static_selectorELNS0_4arch9wavefront6targetE1EEEvSW_.num_vgpr, 0
	.set _ZN7rocprim17ROCPRIM_400000_NS6detail17trampoline_kernelINS0_14default_configENS1_22reduce_config_selectorIlEEZNS1_11reduce_implILb1ES3_N6thrust23THRUST_200600_302600_NS11hip_rocprim26transform_input_iterator_tIlNS8_12zip_iteratorINS8_5tupleINS8_6detail15normal_iteratorINS8_10device_ptrItEEEESH_NS8_9null_typeESI_SI_SI_SI_SI_SI_SI_EEEENS9_21zip_adj_not_predicateI22is_equal_div_10_uniqueItEEEEEPllNS8_4plusIlEEEE10hipError_tPvRmT1_T2_T3_mT4_P12ihipStream_tbEUlT_E1_NS1_11comp_targetILNS1_3genE8ELNS1_11target_archE1030ELNS1_3gpuE2ELNS1_3repE0EEENS1_30default_config_static_selectorELNS0_4arch9wavefront6targetE1EEEvSW_.num_agpr, 0
	.set _ZN7rocprim17ROCPRIM_400000_NS6detail17trampoline_kernelINS0_14default_configENS1_22reduce_config_selectorIlEEZNS1_11reduce_implILb1ES3_N6thrust23THRUST_200600_302600_NS11hip_rocprim26transform_input_iterator_tIlNS8_12zip_iteratorINS8_5tupleINS8_6detail15normal_iteratorINS8_10device_ptrItEEEESH_NS8_9null_typeESI_SI_SI_SI_SI_SI_SI_EEEENS9_21zip_adj_not_predicateI22is_equal_div_10_uniqueItEEEEEPllNS8_4plusIlEEEE10hipError_tPvRmT1_T2_T3_mT4_P12ihipStream_tbEUlT_E1_NS1_11comp_targetILNS1_3genE8ELNS1_11target_archE1030ELNS1_3gpuE2ELNS1_3repE0EEENS1_30default_config_static_selectorELNS0_4arch9wavefront6targetE1EEEvSW_.numbered_sgpr, 0
	.set _ZN7rocprim17ROCPRIM_400000_NS6detail17trampoline_kernelINS0_14default_configENS1_22reduce_config_selectorIlEEZNS1_11reduce_implILb1ES3_N6thrust23THRUST_200600_302600_NS11hip_rocprim26transform_input_iterator_tIlNS8_12zip_iteratorINS8_5tupleINS8_6detail15normal_iteratorINS8_10device_ptrItEEEESH_NS8_9null_typeESI_SI_SI_SI_SI_SI_SI_EEEENS9_21zip_adj_not_predicateI22is_equal_div_10_uniqueItEEEEEPllNS8_4plusIlEEEE10hipError_tPvRmT1_T2_T3_mT4_P12ihipStream_tbEUlT_E1_NS1_11comp_targetILNS1_3genE8ELNS1_11target_archE1030ELNS1_3gpuE2ELNS1_3repE0EEENS1_30default_config_static_selectorELNS0_4arch9wavefront6targetE1EEEvSW_.num_named_barrier, 0
	.set _ZN7rocprim17ROCPRIM_400000_NS6detail17trampoline_kernelINS0_14default_configENS1_22reduce_config_selectorIlEEZNS1_11reduce_implILb1ES3_N6thrust23THRUST_200600_302600_NS11hip_rocprim26transform_input_iterator_tIlNS8_12zip_iteratorINS8_5tupleINS8_6detail15normal_iteratorINS8_10device_ptrItEEEESH_NS8_9null_typeESI_SI_SI_SI_SI_SI_SI_EEEENS9_21zip_adj_not_predicateI22is_equal_div_10_uniqueItEEEEEPllNS8_4plusIlEEEE10hipError_tPvRmT1_T2_T3_mT4_P12ihipStream_tbEUlT_E1_NS1_11comp_targetILNS1_3genE8ELNS1_11target_archE1030ELNS1_3gpuE2ELNS1_3repE0EEENS1_30default_config_static_selectorELNS0_4arch9wavefront6targetE1EEEvSW_.private_seg_size, 0
	.set _ZN7rocprim17ROCPRIM_400000_NS6detail17trampoline_kernelINS0_14default_configENS1_22reduce_config_selectorIlEEZNS1_11reduce_implILb1ES3_N6thrust23THRUST_200600_302600_NS11hip_rocprim26transform_input_iterator_tIlNS8_12zip_iteratorINS8_5tupleINS8_6detail15normal_iteratorINS8_10device_ptrItEEEESH_NS8_9null_typeESI_SI_SI_SI_SI_SI_SI_EEEENS9_21zip_adj_not_predicateI22is_equal_div_10_uniqueItEEEEEPllNS8_4plusIlEEEE10hipError_tPvRmT1_T2_T3_mT4_P12ihipStream_tbEUlT_E1_NS1_11comp_targetILNS1_3genE8ELNS1_11target_archE1030ELNS1_3gpuE2ELNS1_3repE0EEENS1_30default_config_static_selectorELNS0_4arch9wavefront6targetE1EEEvSW_.uses_vcc, 0
	.set _ZN7rocprim17ROCPRIM_400000_NS6detail17trampoline_kernelINS0_14default_configENS1_22reduce_config_selectorIlEEZNS1_11reduce_implILb1ES3_N6thrust23THRUST_200600_302600_NS11hip_rocprim26transform_input_iterator_tIlNS8_12zip_iteratorINS8_5tupleINS8_6detail15normal_iteratorINS8_10device_ptrItEEEESH_NS8_9null_typeESI_SI_SI_SI_SI_SI_SI_EEEENS9_21zip_adj_not_predicateI22is_equal_div_10_uniqueItEEEEEPllNS8_4plusIlEEEE10hipError_tPvRmT1_T2_T3_mT4_P12ihipStream_tbEUlT_E1_NS1_11comp_targetILNS1_3genE8ELNS1_11target_archE1030ELNS1_3gpuE2ELNS1_3repE0EEENS1_30default_config_static_selectorELNS0_4arch9wavefront6targetE1EEEvSW_.uses_flat_scratch, 0
	.set _ZN7rocprim17ROCPRIM_400000_NS6detail17trampoline_kernelINS0_14default_configENS1_22reduce_config_selectorIlEEZNS1_11reduce_implILb1ES3_N6thrust23THRUST_200600_302600_NS11hip_rocprim26transform_input_iterator_tIlNS8_12zip_iteratorINS8_5tupleINS8_6detail15normal_iteratorINS8_10device_ptrItEEEESH_NS8_9null_typeESI_SI_SI_SI_SI_SI_SI_EEEENS9_21zip_adj_not_predicateI22is_equal_div_10_uniqueItEEEEEPllNS8_4plusIlEEEE10hipError_tPvRmT1_T2_T3_mT4_P12ihipStream_tbEUlT_E1_NS1_11comp_targetILNS1_3genE8ELNS1_11target_archE1030ELNS1_3gpuE2ELNS1_3repE0EEENS1_30default_config_static_selectorELNS0_4arch9wavefront6targetE1EEEvSW_.has_dyn_sized_stack, 0
	.set _ZN7rocprim17ROCPRIM_400000_NS6detail17trampoline_kernelINS0_14default_configENS1_22reduce_config_selectorIlEEZNS1_11reduce_implILb1ES3_N6thrust23THRUST_200600_302600_NS11hip_rocprim26transform_input_iterator_tIlNS8_12zip_iteratorINS8_5tupleINS8_6detail15normal_iteratorINS8_10device_ptrItEEEESH_NS8_9null_typeESI_SI_SI_SI_SI_SI_SI_EEEENS9_21zip_adj_not_predicateI22is_equal_div_10_uniqueItEEEEEPllNS8_4plusIlEEEE10hipError_tPvRmT1_T2_T3_mT4_P12ihipStream_tbEUlT_E1_NS1_11comp_targetILNS1_3genE8ELNS1_11target_archE1030ELNS1_3gpuE2ELNS1_3repE0EEENS1_30default_config_static_selectorELNS0_4arch9wavefront6targetE1EEEvSW_.has_recursion, 0
	.set _ZN7rocprim17ROCPRIM_400000_NS6detail17trampoline_kernelINS0_14default_configENS1_22reduce_config_selectorIlEEZNS1_11reduce_implILb1ES3_N6thrust23THRUST_200600_302600_NS11hip_rocprim26transform_input_iterator_tIlNS8_12zip_iteratorINS8_5tupleINS8_6detail15normal_iteratorINS8_10device_ptrItEEEESH_NS8_9null_typeESI_SI_SI_SI_SI_SI_SI_EEEENS9_21zip_adj_not_predicateI22is_equal_div_10_uniqueItEEEEEPllNS8_4plusIlEEEE10hipError_tPvRmT1_T2_T3_mT4_P12ihipStream_tbEUlT_E1_NS1_11comp_targetILNS1_3genE8ELNS1_11target_archE1030ELNS1_3gpuE2ELNS1_3repE0EEENS1_30default_config_static_selectorELNS0_4arch9wavefront6targetE1EEEvSW_.has_indirect_call, 0
	.section	.AMDGPU.csdata,"",@progbits
; Kernel info:
; codeLenInByte = 0
; TotalNumSgprs: 4
; NumVgprs: 0
; ScratchSize: 0
; MemoryBound: 0
; FloatMode: 240
; IeeeMode: 1
; LDSByteSize: 0 bytes/workgroup (compile time only)
; SGPRBlocks: 0
; VGPRBlocks: 0
; NumSGPRsForWavesPerEU: 4
; NumVGPRsForWavesPerEU: 1
; Occupancy: 10
; WaveLimiterHint : 0
; COMPUTE_PGM_RSRC2:SCRATCH_EN: 0
; COMPUTE_PGM_RSRC2:USER_SGPR: 6
; COMPUTE_PGM_RSRC2:TRAP_HANDLER: 0
; COMPUTE_PGM_RSRC2:TGID_X_EN: 1
; COMPUTE_PGM_RSRC2:TGID_Y_EN: 0
; COMPUTE_PGM_RSRC2:TGID_Z_EN: 0
; COMPUTE_PGM_RSRC2:TIDIG_COMP_CNT: 0
	.section	.text._ZN7rocprim17ROCPRIM_400000_NS6detail17trampoline_kernelINS0_14default_configENS1_22reduce_config_selectorIlEEZNS1_11reduce_implILb1ES3_N6thrust23THRUST_200600_302600_NS11hip_rocprim26transform_input_iterator_tIlNS8_12zip_iteratorINS8_5tupleINS8_6detail15normal_iteratorINS8_10device_ptrIxEEEESH_NS8_9null_typeESI_SI_SI_SI_SI_SI_SI_EEEENS9_21zip_adj_not_predicateINS8_8equal_toIxEEEEEEPllNS8_4plusIlEEEE10hipError_tPvRmT1_T2_T3_mT4_P12ihipStream_tbEUlT_E0_NS1_11comp_targetILNS1_3genE0ELNS1_11target_archE4294967295ELNS1_3gpuE0ELNS1_3repE0EEENS1_30default_config_static_selectorELNS0_4arch9wavefront6targetE1EEEvSW_,"axG",@progbits,_ZN7rocprim17ROCPRIM_400000_NS6detail17trampoline_kernelINS0_14default_configENS1_22reduce_config_selectorIlEEZNS1_11reduce_implILb1ES3_N6thrust23THRUST_200600_302600_NS11hip_rocprim26transform_input_iterator_tIlNS8_12zip_iteratorINS8_5tupleINS8_6detail15normal_iteratorINS8_10device_ptrIxEEEESH_NS8_9null_typeESI_SI_SI_SI_SI_SI_SI_EEEENS9_21zip_adj_not_predicateINS8_8equal_toIxEEEEEEPllNS8_4plusIlEEEE10hipError_tPvRmT1_T2_T3_mT4_P12ihipStream_tbEUlT_E0_NS1_11comp_targetILNS1_3genE0ELNS1_11target_archE4294967295ELNS1_3gpuE0ELNS1_3repE0EEENS1_30default_config_static_selectorELNS0_4arch9wavefront6targetE1EEEvSW_,comdat
	.protected	_ZN7rocprim17ROCPRIM_400000_NS6detail17trampoline_kernelINS0_14default_configENS1_22reduce_config_selectorIlEEZNS1_11reduce_implILb1ES3_N6thrust23THRUST_200600_302600_NS11hip_rocprim26transform_input_iterator_tIlNS8_12zip_iteratorINS8_5tupleINS8_6detail15normal_iteratorINS8_10device_ptrIxEEEESH_NS8_9null_typeESI_SI_SI_SI_SI_SI_SI_EEEENS9_21zip_adj_not_predicateINS8_8equal_toIxEEEEEEPllNS8_4plusIlEEEE10hipError_tPvRmT1_T2_T3_mT4_P12ihipStream_tbEUlT_E0_NS1_11comp_targetILNS1_3genE0ELNS1_11target_archE4294967295ELNS1_3gpuE0ELNS1_3repE0EEENS1_30default_config_static_selectorELNS0_4arch9wavefront6targetE1EEEvSW_ ; -- Begin function _ZN7rocprim17ROCPRIM_400000_NS6detail17trampoline_kernelINS0_14default_configENS1_22reduce_config_selectorIlEEZNS1_11reduce_implILb1ES3_N6thrust23THRUST_200600_302600_NS11hip_rocprim26transform_input_iterator_tIlNS8_12zip_iteratorINS8_5tupleINS8_6detail15normal_iteratorINS8_10device_ptrIxEEEESH_NS8_9null_typeESI_SI_SI_SI_SI_SI_SI_EEEENS9_21zip_adj_not_predicateINS8_8equal_toIxEEEEEEPllNS8_4plusIlEEEE10hipError_tPvRmT1_T2_T3_mT4_P12ihipStream_tbEUlT_E0_NS1_11comp_targetILNS1_3genE0ELNS1_11target_archE4294967295ELNS1_3gpuE0ELNS1_3repE0EEENS1_30default_config_static_selectorELNS0_4arch9wavefront6targetE1EEEvSW_
	.globl	_ZN7rocprim17ROCPRIM_400000_NS6detail17trampoline_kernelINS0_14default_configENS1_22reduce_config_selectorIlEEZNS1_11reduce_implILb1ES3_N6thrust23THRUST_200600_302600_NS11hip_rocprim26transform_input_iterator_tIlNS8_12zip_iteratorINS8_5tupleINS8_6detail15normal_iteratorINS8_10device_ptrIxEEEESH_NS8_9null_typeESI_SI_SI_SI_SI_SI_SI_EEEENS9_21zip_adj_not_predicateINS8_8equal_toIxEEEEEEPllNS8_4plusIlEEEE10hipError_tPvRmT1_T2_T3_mT4_P12ihipStream_tbEUlT_E0_NS1_11comp_targetILNS1_3genE0ELNS1_11target_archE4294967295ELNS1_3gpuE0ELNS1_3repE0EEENS1_30default_config_static_selectorELNS0_4arch9wavefront6targetE1EEEvSW_
	.p2align	8
	.type	_ZN7rocprim17ROCPRIM_400000_NS6detail17trampoline_kernelINS0_14default_configENS1_22reduce_config_selectorIlEEZNS1_11reduce_implILb1ES3_N6thrust23THRUST_200600_302600_NS11hip_rocprim26transform_input_iterator_tIlNS8_12zip_iteratorINS8_5tupleINS8_6detail15normal_iteratorINS8_10device_ptrIxEEEESH_NS8_9null_typeESI_SI_SI_SI_SI_SI_SI_EEEENS9_21zip_adj_not_predicateINS8_8equal_toIxEEEEEEPllNS8_4plusIlEEEE10hipError_tPvRmT1_T2_T3_mT4_P12ihipStream_tbEUlT_E0_NS1_11comp_targetILNS1_3genE0ELNS1_11target_archE4294967295ELNS1_3gpuE0ELNS1_3repE0EEENS1_30default_config_static_selectorELNS0_4arch9wavefront6targetE1EEEvSW_,@function
_ZN7rocprim17ROCPRIM_400000_NS6detail17trampoline_kernelINS0_14default_configENS1_22reduce_config_selectorIlEEZNS1_11reduce_implILb1ES3_N6thrust23THRUST_200600_302600_NS11hip_rocprim26transform_input_iterator_tIlNS8_12zip_iteratorINS8_5tupleINS8_6detail15normal_iteratorINS8_10device_ptrIxEEEESH_NS8_9null_typeESI_SI_SI_SI_SI_SI_SI_EEEENS9_21zip_adj_not_predicateINS8_8equal_toIxEEEEEEPllNS8_4plusIlEEEE10hipError_tPvRmT1_T2_T3_mT4_P12ihipStream_tbEUlT_E0_NS1_11comp_targetILNS1_3genE0ELNS1_11target_archE4294967295ELNS1_3gpuE0ELNS1_3repE0EEENS1_30default_config_static_selectorELNS0_4arch9wavefront6targetE1EEEvSW_: ; @_ZN7rocprim17ROCPRIM_400000_NS6detail17trampoline_kernelINS0_14default_configENS1_22reduce_config_selectorIlEEZNS1_11reduce_implILb1ES3_N6thrust23THRUST_200600_302600_NS11hip_rocprim26transform_input_iterator_tIlNS8_12zip_iteratorINS8_5tupleINS8_6detail15normal_iteratorINS8_10device_ptrIxEEEESH_NS8_9null_typeESI_SI_SI_SI_SI_SI_SI_EEEENS9_21zip_adj_not_predicateINS8_8equal_toIxEEEEEEPllNS8_4plusIlEEEE10hipError_tPvRmT1_T2_T3_mT4_P12ihipStream_tbEUlT_E0_NS1_11comp_targetILNS1_3genE0ELNS1_11target_archE4294967295ELNS1_3gpuE0ELNS1_3repE0EEENS1_30default_config_static_selectorELNS0_4arch9wavefront6targetE1EEEvSW_
; %bb.0:
	.section	.rodata,"a",@progbits
	.p2align	6, 0x0
	.amdhsa_kernel _ZN7rocprim17ROCPRIM_400000_NS6detail17trampoline_kernelINS0_14default_configENS1_22reduce_config_selectorIlEEZNS1_11reduce_implILb1ES3_N6thrust23THRUST_200600_302600_NS11hip_rocprim26transform_input_iterator_tIlNS8_12zip_iteratorINS8_5tupleINS8_6detail15normal_iteratorINS8_10device_ptrIxEEEESH_NS8_9null_typeESI_SI_SI_SI_SI_SI_SI_EEEENS9_21zip_adj_not_predicateINS8_8equal_toIxEEEEEEPllNS8_4plusIlEEEE10hipError_tPvRmT1_T2_T3_mT4_P12ihipStream_tbEUlT_E0_NS1_11comp_targetILNS1_3genE0ELNS1_11target_archE4294967295ELNS1_3gpuE0ELNS1_3repE0EEENS1_30default_config_static_selectorELNS0_4arch9wavefront6targetE1EEEvSW_
		.amdhsa_group_segment_fixed_size 0
		.amdhsa_private_segment_fixed_size 0
		.amdhsa_kernarg_size 80
		.amdhsa_user_sgpr_count 6
		.amdhsa_user_sgpr_private_segment_buffer 1
		.amdhsa_user_sgpr_dispatch_ptr 0
		.amdhsa_user_sgpr_queue_ptr 0
		.amdhsa_user_sgpr_kernarg_segment_ptr 1
		.amdhsa_user_sgpr_dispatch_id 0
		.amdhsa_user_sgpr_flat_scratch_init 0
		.amdhsa_user_sgpr_private_segment_size 0
		.amdhsa_uses_dynamic_stack 0
		.amdhsa_system_sgpr_private_segment_wavefront_offset 0
		.amdhsa_system_sgpr_workgroup_id_x 1
		.amdhsa_system_sgpr_workgroup_id_y 0
		.amdhsa_system_sgpr_workgroup_id_z 0
		.amdhsa_system_sgpr_workgroup_info 0
		.amdhsa_system_vgpr_workitem_id 0
		.amdhsa_next_free_vgpr 1
		.amdhsa_next_free_sgpr 0
		.amdhsa_reserve_vcc 0
		.amdhsa_reserve_flat_scratch 0
		.amdhsa_float_round_mode_32 0
		.amdhsa_float_round_mode_16_64 0
		.amdhsa_float_denorm_mode_32 3
		.amdhsa_float_denorm_mode_16_64 3
		.amdhsa_dx10_clamp 1
		.amdhsa_ieee_mode 1
		.amdhsa_fp16_overflow 0
		.amdhsa_exception_fp_ieee_invalid_op 0
		.amdhsa_exception_fp_denorm_src 0
		.amdhsa_exception_fp_ieee_div_zero 0
		.amdhsa_exception_fp_ieee_overflow 0
		.amdhsa_exception_fp_ieee_underflow 0
		.amdhsa_exception_fp_ieee_inexact 0
		.amdhsa_exception_int_div_zero 0
	.end_amdhsa_kernel
	.section	.text._ZN7rocprim17ROCPRIM_400000_NS6detail17trampoline_kernelINS0_14default_configENS1_22reduce_config_selectorIlEEZNS1_11reduce_implILb1ES3_N6thrust23THRUST_200600_302600_NS11hip_rocprim26transform_input_iterator_tIlNS8_12zip_iteratorINS8_5tupleINS8_6detail15normal_iteratorINS8_10device_ptrIxEEEESH_NS8_9null_typeESI_SI_SI_SI_SI_SI_SI_EEEENS9_21zip_adj_not_predicateINS8_8equal_toIxEEEEEEPllNS8_4plusIlEEEE10hipError_tPvRmT1_T2_T3_mT4_P12ihipStream_tbEUlT_E0_NS1_11comp_targetILNS1_3genE0ELNS1_11target_archE4294967295ELNS1_3gpuE0ELNS1_3repE0EEENS1_30default_config_static_selectorELNS0_4arch9wavefront6targetE1EEEvSW_,"axG",@progbits,_ZN7rocprim17ROCPRIM_400000_NS6detail17trampoline_kernelINS0_14default_configENS1_22reduce_config_selectorIlEEZNS1_11reduce_implILb1ES3_N6thrust23THRUST_200600_302600_NS11hip_rocprim26transform_input_iterator_tIlNS8_12zip_iteratorINS8_5tupleINS8_6detail15normal_iteratorINS8_10device_ptrIxEEEESH_NS8_9null_typeESI_SI_SI_SI_SI_SI_SI_EEEENS9_21zip_adj_not_predicateINS8_8equal_toIxEEEEEEPllNS8_4plusIlEEEE10hipError_tPvRmT1_T2_T3_mT4_P12ihipStream_tbEUlT_E0_NS1_11comp_targetILNS1_3genE0ELNS1_11target_archE4294967295ELNS1_3gpuE0ELNS1_3repE0EEENS1_30default_config_static_selectorELNS0_4arch9wavefront6targetE1EEEvSW_,comdat
.Lfunc_end923:
	.size	_ZN7rocprim17ROCPRIM_400000_NS6detail17trampoline_kernelINS0_14default_configENS1_22reduce_config_selectorIlEEZNS1_11reduce_implILb1ES3_N6thrust23THRUST_200600_302600_NS11hip_rocprim26transform_input_iterator_tIlNS8_12zip_iteratorINS8_5tupleINS8_6detail15normal_iteratorINS8_10device_ptrIxEEEESH_NS8_9null_typeESI_SI_SI_SI_SI_SI_SI_EEEENS9_21zip_adj_not_predicateINS8_8equal_toIxEEEEEEPllNS8_4plusIlEEEE10hipError_tPvRmT1_T2_T3_mT4_P12ihipStream_tbEUlT_E0_NS1_11comp_targetILNS1_3genE0ELNS1_11target_archE4294967295ELNS1_3gpuE0ELNS1_3repE0EEENS1_30default_config_static_selectorELNS0_4arch9wavefront6targetE1EEEvSW_, .Lfunc_end923-_ZN7rocprim17ROCPRIM_400000_NS6detail17trampoline_kernelINS0_14default_configENS1_22reduce_config_selectorIlEEZNS1_11reduce_implILb1ES3_N6thrust23THRUST_200600_302600_NS11hip_rocprim26transform_input_iterator_tIlNS8_12zip_iteratorINS8_5tupleINS8_6detail15normal_iteratorINS8_10device_ptrIxEEEESH_NS8_9null_typeESI_SI_SI_SI_SI_SI_SI_EEEENS9_21zip_adj_not_predicateINS8_8equal_toIxEEEEEEPllNS8_4plusIlEEEE10hipError_tPvRmT1_T2_T3_mT4_P12ihipStream_tbEUlT_E0_NS1_11comp_targetILNS1_3genE0ELNS1_11target_archE4294967295ELNS1_3gpuE0ELNS1_3repE0EEENS1_30default_config_static_selectorELNS0_4arch9wavefront6targetE1EEEvSW_
                                        ; -- End function
	.set _ZN7rocprim17ROCPRIM_400000_NS6detail17trampoline_kernelINS0_14default_configENS1_22reduce_config_selectorIlEEZNS1_11reduce_implILb1ES3_N6thrust23THRUST_200600_302600_NS11hip_rocprim26transform_input_iterator_tIlNS8_12zip_iteratorINS8_5tupleINS8_6detail15normal_iteratorINS8_10device_ptrIxEEEESH_NS8_9null_typeESI_SI_SI_SI_SI_SI_SI_EEEENS9_21zip_adj_not_predicateINS8_8equal_toIxEEEEEEPllNS8_4plusIlEEEE10hipError_tPvRmT1_T2_T3_mT4_P12ihipStream_tbEUlT_E0_NS1_11comp_targetILNS1_3genE0ELNS1_11target_archE4294967295ELNS1_3gpuE0ELNS1_3repE0EEENS1_30default_config_static_selectorELNS0_4arch9wavefront6targetE1EEEvSW_.num_vgpr, 0
	.set _ZN7rocprim17ROCPRIM_400000_NS6detail17trampoline_kernelINS0_14default_configENS1_22reduce_config_selectorIlEEZNS1_11reduce_implILb1ES3_N6thrust23THRUST_200600_302600_NS11hip_rocprim26transform_input_iterator_tIlNS8_12zip_iteratorINS8_5tupleINS8_6detail15normal_iteratorINS8_10device_ptrIxEEEESH_NS8_9null_typeESI_SI_SI_SI_SI_SI_SI_EEEENS9_21zip_adj_not_predicateINS8_8equal_toIxEEEEEEPllNS8_4plusIlEEEE10hipError_tPvRmT1_T2_T3_mT4_P12ihipStream_tbEUlT_E0_NS1_11comp_targetILNS1_3genE0ELNS1_11target_archE4294967295ELNS1_3gpuE0ELNS1_3repE0EEENS1_30default_config_static_selectorELNS0_4arch9wavefront6targetE1EEEvSW_.num_agpr, 0
	.set _ZN7rocprim17ROCPRIM_400000_NS6detail17trampoline_kernelINS0_14default_configENS1_22reduce_config_selectorIlEEZNS1_11reduce_implILb1ES3_N6thrust23THRUST_200600_302600_NS11hip_rocprim26transform_input_iterator_tIlNS8_12zip_iteratorINS8_5tupleINS8_6detail15normal_iteratorINS8_10device_ptrIxEEEESH_NS8_9null_typeESI_SI_SI_SI_SI_SI_SI_EEEENS9_21zip_adj_not_predicateINS8_8equal_toIxEEEEEEPllNS8_4plusIlEEEE10hipError_tPvRmT1_T2_T3_mT4_P12ihipStream_tbEUlT_E0_NS1_11comp_targetILNS1_3genE0ELNS1_11target_archE4294967295ELNS1_3gpuE0ELNS1_3repE0EEENS1_30default_config_static_selectorELNS0_4arch9wavefront6targetE1EEEvSW_.numbered_sgpr, 0
	.set _ZN7rocprim17ROCPRIM_400000_NS6detail17trampoline_kernelINS0_14default_configENS1_22reduce_config_selectorIlEEZNS1_11reduce_implILb1ES3_N6thrust23THRUST_200600_302600_NS11hip_rocprim26transform_input_iterator_tIlNS8_12zip_iteratorINS8_5tupleINS8_6detail15normal_iteratorINS8_10device_ptrIxEEEESH_NS8_9null_typeESI_SI_SI_SI_SI_SI_SI_EEEENS9_21zip_adj_not_predicateINS8_8equal_toIxEEEEEEPllNS8_4plusIlEEEE10hipError_tPvRmT1_T2_T3_mT4_P12ihipStream_tbEUlT_E0_NS1_11comp_targetILNS1_3genE0ELNS1_11target_archE4294967295ELNS1_3gpuE0ELNS1_3repE0EEENS1_30default_config_static_selectorELNS0_4arch9wavefront6targetE1EEEvSW_.num_named_barrier, 0
	.set _ZN7rocprim17ROCPRIM_400000_NS6detail17trampoline_kernelINS0_14default_configENS1_22reduce_config_selectorIlEEZNS1_11reduce_implILb1ES3_N6thrust23THRUST_200600_302600_NS11hip_rocprim26transform_input_iterator_tIlNS8_12zip_iteratorINS8_5tupleINS8_6detail15normal_iteratorINS8_10device_ptrIxEEEESH_NS8_9null_typeESI_SI_SI_SI_SI_SI_SI_EEEENS9_21zip_adj_not_predicateINS8_8equal_toIxEEEEEEPllNS8_4plusIlEEEE10hipError_tPvRmT1_T2_T3_mT4_P12ihipStream_tbEUlT_E0_NS1_11comp_targetILNS1_3genE0ELNS1_11target_archE4294967295ELNS1_3gpuE0ELNS1_3repE0EEENS1_30default_config_static_selectorELNS0_4arch9wavefront6targetE1EEEvSW_.private_seg_size, 0
	.set _ZN7rocprim17ROCPRIM_400000_NS6detail17trampoline_kernelINS0_14default_configENS1_22reduce_config_selectorIlEEZNS1_11reduce_implILb1ES3_N6thrust23THRUST_200600_302600_NS11hip_rocprim26transform_input_iterator_tIlNS8_12zip_iteratorINS8_5tupleINS8_6detail15normal_iteratorINS8_10device_ptrIxEEEESH_NS8_9null_typeESI_SI_SI_SI_SI_SI_SI_EEEENS9_21zip_adj_not_predicateINS8_8equal_toIxEEEEEEPllNS8_4plusIlEEEE10hipError_tPvRmT1_T2_T3_mT4_P12ihipStream_tbEUlT_E0_NS1_11comp_targetILNS1_3genE0ELNS1_11target_archE4294967295ELNS1_3gpuE0ELNS1_3repE0EEENS1_30default_config_static_selectorELNS0_4arch9wavefront6targetE1EEEvSW_.uses_vcc, 0
	.set _ZN7rocprim17ROCPRIM_400000_NS6detail17trampoline_kernelINS0_14default_configENS1_22reduce_config_selectorIlEEZNS1_11reduce_implILb1ES3_N6thrust23THRUST_200600_302600_NS11hip_rocprim26transform_input_iterator_tIlNS8_12zip_iteratorINS8_5tupleINS8_6detail15normal_iteratorINS8_10device_ptrIxEEEESH_NS8_9null_typeESI_SI_SI_SI_SI_SI_SI_EEEENS9_21zip_adj_not_predicateINS8_8equal_toIxEEEEEEPllNS8_4plusIlEEEE10hipError_tPvRmT1_T2_T3_mT4_P12ihipStream_tbEUlT_E0_NS1_11comp_targetILNS1_3genE0ELNS1_11target_archE4294967295ELNS1_3gpuE0ELNS1_3repE0EEENS1_30default_config_static_selectorELNS0_4arch9wavefront6targetE1EEEvSW_.uses_flat_scratch, 0
	.set _ZN7rocprim17ROCPRIM_400000_NS6detail17trampoline_kernelINS0_14default_configENS1_22reduce_config_selectorIlEEZNS1_11reduce_implILb1ES3_N6thrust23THRUST_200600_302600_NS11hip_rocprim26transform_input_iterator_tIlNS8_12zip_iteratorINS8_5tupleINS8_6detail15normal_iteratorINS8_10device_ptrIxEEEESH_NS8_9null_typeESI_SI_SI_SI_SI_SI_SI_EEEENS9_21zip_adj_not_predicateINS8_8equal_toIxEEEEEEPllNS8_4plusIlEEEE10hipError_tPvRmT1_T2_T3_mT4_P12ihipStream_tbEUlT_E0_NS1_11comp_targetILNS1_3genE0ELNS1_11target_archE4294967295ELNS1_3gpuE0ELNS1_3repE0EEENS1_30default_config_static_selectorELNS0_4arch9wavefront6targetE1EEEvSW_.has_dyn_sized_stack, 0
	.set _ZN7rocprim17ROCPRIM_400000_NS6detail17trampoline_kernelINS0_14default_configENS1_22reduce_config_selectorIlEEZNS1_11reduce_implILb1ES3_N6thrust23THRUST_200600_302600_NS11hip_rocprim26transform_input_iterator_tIlNS8_12zip_iteratorINS8_5tupleINS8_6detail15normal_iteratorINS8_10device_ptrIxEEEESH_NS8_9null_typeESI_SI_SI_SI_SI_SI_SI_EEEENS9_21zip_adj_not_predicateINS8_8equal_toIxEEEEEEPllNS8_4plusIlEEEE10hipError_tPvRmT1_T2_T3_mT4_P12ihipStream_tbEUlT_E0_NS1_11comp_targetILNS1_3genE0ELNS1_11target_archE4294967295ELNS1_3gpuE0ELNS1_3repE0EEENS1_30default_config_static_selectorELNS0_4arch9wavefront6targetE1EEEvSW_.has_recursion, 0
	.set _ZN7rocprim17ROCPRIM_400000_NS6detail17trampoline_kernelINS0_14default_configENS1_22reduce_config_selectorIlEEZNS1_11reduce_implILb1ES3_N6thrust23THRUST_200600_302600_NS11hip_rocprim26transform_input_iterator_tIlNS8_12zip_iteratorINS8_5tupleINS8_6detail15normal_iteratorINS8_10device_ptrIxEEEESH_NS8_9null_typeESI_SI_SI_SI_SI_SI_SI_EEEENS9_21zip_adj_not_predicateINS8_8equal_toIxEEEEEEPllNS8_4plusIlEEEE10hipError_tPvRmT1_T2_T3_mT4_P12ihipStream_tbEUlT_E0_NS1_11comp_targetILNS1_3genE0ELNS1_11target_archE4294967295ELNS1_3gpuE0ELNS1_3repE0EEENS1_30default_config_static_selectorELNS0_4arch9wavefront6targetE1EEEvSW_.has_indirect_call, 0
	.section	.AMDGPU.csdata,"",@progbits
; Kernel info:
; codeLenInByte = 0
; TotalNumSgprs: 4
; NumVgprs: 0
; ScratchSize: 0
; MemoryBound: 0
; FloatMode: 240
; IeeeMode: 1
; LDSByteSize: 0 bytes/workgroup (compile time only)
; SGPRBlocks: 0
; VGPRBlocks: 0
; NumSGPRsForWavesPerEU: 4
; NumVGPRsForWavesPerEU: 1
; Occupancy: 10
; WaveLimiterHint : 0
; COMPUTE_PGM_RSRC2:SCRATCH_EN: 0
; COMPUTE_PGM_RSRC2:USER_SGPR: 6
; COMPUTE_PGM_RSRC2:TRAP_HANDLER: 0
; COMPUTE_PGM_RSRC2:TGID_X_EN: 1
; COMPUTE_PGM_RSRC2:TGID_Y_EN: 0
; COMPUTE_PGM_RSRC2:TGID_Z_EN: 0
; COMPUTE_PGM_RSRC2:TIDIG_COMP_CNT: 0
	.section	.text._ZN7rocprim17ROCPRIM_400000_NS6detail17trampoline_kernelINS0_14default_configENS1_22reduce_config_selectorIlEEZNS1_11reduce_implILb1ES3_N6thrust23THRUST_200600_302600_NS11hip_rocprim26transform_input_iterator_tIlNS8_12zip_iteratorINS8_5tupleINS8_6detail15normal_iteratorINS8_10device_ptrIxEEEESH_NS8_9null_typeESI_SI_SI_SI_SI_SI_SI_EEEENS9_21zip_adj_not_predicateINS8_8equal_toIxEEEEEEPllNS8_4plusIlEEEE10hipError_tPvRmT1_T2_T3_mT4_P12ihipStream_tbEUlT_E0_NS1_11comp_targetILNS1_3genE5ELNS1_11target_archE942ELNS1_3gpuE9ELNS1_3repE0EEENS1_30default_config_static_selectorELNS0_4arch9wavefront6targetE1EEEvSW_,"axG",@progbits,_ZN7rocprim17ROCPRIM_400000_NS6detail17trampoline_kernelINS0_14default_configENS1_22reduce_config_selectorIlEEZNS1_11reduce_implILb1ES3_N6thrust23THRUST_200600_302600_NS11hip_rocprim26transform_input_iterator_tIlNS8_12zip_iteratorINS8_5tupleINS8_6detail15normal_iteratorINS8_10device_ptrIxEEEESH_NS8_9null_typeESI_SI_SI_SI_SI_SI_SI_EEEENS9_21zip_adj_not_predicateINS8_8equal_toIxEEEEEEPllNS8_4plusIlEEEE10hipError_tPvRmT1_T2_T3_mT4_P12ihipStream_tbEUlT_E0_NS1_11comp_targetILNS1_3genE5ELNS1_11target_archE942ELNS1_3gpuE9ELNS1_3repE0EEENS1_30default_config_static_selectorELNS0_4arch9wavefront6targetE1EEEvSW_,comdat
	.protected	_ZN7rocprim17ROCPRIM_400000_NS6detail17trampoline_kernelINS0_14default_configENS1_22reduce_config_selectorIlEEZNS1_11reduce_implILb1ES3_N6thrust23THRUST_200600_302600_NS11hip_rocprim26transform_input_iterator_tIlNS8_12zip_iteratorINS8_5tupleINS8_6detail15normal_iteratorINS8_10device_ptrIxEEEESH_NS8_9null_typeESI_SI_SI_SI_SI_SI_SI_EEEENS9_21zip_adj_not_predicateINS8_8equal_toIxEEEEEEPllNS8_4plusIlEEEE10hipError_tPvRmT1_T2_T3_mT4_P12ihipStream_tbEUlT_E0_NS1_11comp_targetILNS1_3genE5ELNS1_11target_archE942ELNS1_3gpuE9ELNS1_3repE0EEENS1_30default_config_static_selectorELNS0_4arch9wavefront6targetE1EEEvSW_ ; -- Begin function _ZN7rocprim17ROCPRIM_400000_NS6detail17trampoline_kernelINS0_14default_configENS1_22reduce_config_selectorIlEEZNS1_11reduce_implILb1ES3_N6thrust23THRUST_200600_302600_NS11hip_rocprim26transform_input_iterator_tIlNS8_12zip_iteratorINS8_5tupleINS8_6detail15normal_iteratorINS8_10device_ptrIxEEEESH_NS8_9null_typeESI_SI_SI_SI_SI_SI_SI_EEEENS9_21zip_adj_not_predicateINS8_8equal_toIxEEEEEEPllNS8_4plusIlEEEE10hipError_tPvRmT1_T2_T3_mT4_P12ihipStream_tbEUlT_E0_NS1_11comp_targetILNS1_3genE5ELNS1_11target_archE942ELNS1_3gpuE9ELNS1_3repE0EEENS1_30default_config_static_selectorELNS0_4arch9wavefront6targetE1EEEvSW_
	.globl	_ZN7rocprim17ROCPRIM_400000_NS6detail17trampoline_kernelINS0_14default_configENS1_22reduce_config_selectorIlEEZNS1_11reduce_implILb1ES3_N6thrust23THRUST_200600_302600_NS11hip_rocprim26transform_input_iterator_tIlNS8_12zip_iteratorINS8_5tupleINS8_6detail15normal_iteratorINS8_10device_ptrIxEEEESH_NS8_9null_typeESI_SI_SI_SI_SI_SI_SI_EEEENS9_21zip_adj_not_predicateINS8_8equal_toIxEEEEEEPllNS8_4plusIlEEEE10hipError_tPvRmT1_T2_T3_mT4_P12ihipStream_tbEUlT_E0_NS1_11comp_targetILNS1_3genE5ELNS1_11target_archE942ELNS1_3gpuE9ELNS1_3repE0EEENS1_30default_config_static_selectorELNS0_4arch9wavefront6targetE1EEEvSW_
	.p2align	8
	.type	_ZN7rocprim17ROCPRIM_400000_NS6detail17trampoline_kernelINS0_14default_configENS1_22reduce_config_selectorIlEEZNS1_11reduce_implILb1ES3_N6thrust23THRUST_200600_302600_NS11hip_rocprim26transform_input_iterator_tIlNS8_12zip_iteratorINS8_5tupleINS8_6detail15normal_iteratorINS8_10device_ptrIxEEEESH_NS8_9null_typeESI_SI_SI_SI_SI_SI_SI_EEEENS9_21zip_adj_not_predicateINS8_8equal_toIxEEEEEEPllNS8_4plusIlEEEE10hipError_tPvRmT1_T2_T3_mT4_P12ihipStream_tbEUlT_E0_NS1_11comp_targetILNS1_3genE5ELNS1_11target_archE942ELNS1_3gpuE9ELNS1_3repE0EEENS1_30default_config_static_selectorELNS0_4arch9wavefront6targetE1EEEvSW_,@function
_ZN7rocprim17ROCPRIM_400000_NS6detail17trampoline_kernelINS0_14default_configENS1_22reduce_config_selectorIlEEZNS1_11reduce_implILb1ES3_N6thrust23THRUST_200600_302600_NS11hip_rocprim26transform_input_iterator_tIlNS8_12zip_iteratorINS8_5tupleINS8_6detail15normal_iteratorINS8_10device_ptrIxEEEESH_NS8_9null_typeESI_SI_SI_SI_SI_SI_SI_EEEENS9_21zip_adj_not_predicateINS8_8equal_toIxEEEEEEPllNS8_4plusIlEEEE10hipError_tPvRmT1_T2_T3_mT4_P12ihipStream_tbEUlT_E0_NS1_11comp_targetILNS1_3genE5ELNS1_11target_archE942ELNS1_3gpuE9ELNS1_3repE0EEENS1_30default_config_static_selectorELNS0_4arch9wavefront6targetE1EEEvSW_: ; @_ZN7rocprim17ROCPRIM_400000_NS6detail17trampoline_kernelINS0_14default_configENS1_22reduce_config_selectorIlEEZNS1_11reduce_implILb1ES3_N6thrust23THRUST_200600_302600_NS11hip_rocprim26transform_input_iterator_tIlNS8_12zip_iteratorINS8_5tupleINS8_6detail15normal_iteratorINS8_10device_ptrIxEEEESH_NS8_9null_typeESI_SI_SI_SI_SI_SI_SI_EEEENS9_21zip_adj_not_predicateINS8_8equal_toIxEEEEEEPllNS8_4plusIlEEEE10hipError_tPvRmT1_T2_T3_mT4_P12ihipStream_tbEUlT_E0_NS1_11comp_targetILNS1_3genE5ELNS1_11target_archE942ELNS1_3gpuE9ELNS1_3repE0EEENS1_30default_config_static_selectorELNS0_4arch9wavefront6targetE1EEEvSW_
; %bb.0:
	.section	.rodata,"a",@progbits
	.p2align	6, 0x0
	.amdhsa_kernel _ZN7rocprim17ROCPRIM_400000_NS6detail17trampoline_kernelINS0_14default_configENS1_22reduce_config_selectorIlEEZNS1_11reduce_implILb1ES3_N6thrust23THRUST_200600_302600_NS11hip_rocprim26transform_input_iterator_tIlNS8_12zip_iteratorINS8_5tupleINS8_6detail15normal_iteratorINS8_10device_ptrIxEEEESH_NS8_9null_typeESI_SI_SI_SI_SI_SI_SI_EEEENS9_21zip_adj_not_predicateINS8_8equal_toIxEEEEEEPllNS8_4plusIlEEEE10hipError_tPvRmT1_T2_T3_mT4_P12ihipStream_tbEUlT_E0_NS1_11comp_targetILNS1_3genE5ELNS1_11target_archE942ELNS1_3gpuE9ELNS1_3repE0EEENS1_30default_config_static_selectorELNS0_4arch9wavefront6targetE1EEEvSW_
		.amdhsa_group_segment_fixed_size 0
		.amdhsa_private_segment_fixed_size 0
		.amdhsa_kernarg_size 80
		.amdhsa_user_sgpr_count 6
		.amdhsa_user_sgpr_private_segment_buffer 1
		.amdhsa_user_sgpr_dispatch_ptr 0
		.amdhsa_user_sgpr_queue_ptr 0
		.amdhsa_user_sgpr_kernarg_segment_ptr 1
		.amdhsa_user_sgpr_dispatch_id 0
		.amdhsa_user_sgpr_flat_scratch_init 0
		.amdhsa_user_sgpr_private_segment_size 0
		.amdhsa_uses_dynamic_stack 0
		.amdhsa_system_sgpr_private_segment_wavefront_offset 0
		.amdhsa_system_sgpr_workgroup_id_x 1
		.amdhsa_system_sgpr_workgroup_id_y 0
		.amdhsa_system_sgpr_workgroup_id_z 0
		.amdhsa_system_sgpr_workgroup_info 0
		.amdhsa_system_vgpr_workitem_id 0
		.amdhsa_next_free_vgpr 1
		.amdhsa_next_free_sgpr 0
		.amdhsa_reserve_vcc 0
		.amdhsa_reserve_flat_scratch 0
		.amdhsa_float_round_mode_32 0
		.amdhsa_float_round_mode_16_64 0
		.amdhsa_float_denorm_mode_32 3
		.amdhsa_float_denorm_mode_16_64 3
		.amdhsa_dx10_clamp 1
		.amdhsa_ieee_mode 1
		.amdhsa_fp16_overflow 0
		.amdhsa_exception_fp_ieee_invalid_op 0
		.amdhsa_exception_fp_denorm_src 0
		.amdhsa_exception_fp_ieee_div_zero 0
		.amdhsa_exception_fp_ieee_overflow 0
		.amdhsa_exception_fp_ieee_underflow 0
		.amdhsa_exception_fp_ieee_inexact 0
		.amdhsa_exception_int_div_zero 0
	.end_amdhsa_kernel
	.section	.text._ZN7rocprim17ROCPRIM_400000_NS6detail17trampoline_kernelINS0_14default_configENS1_22reduce_config_selectorIlEEZNS1_11reduce_implILb1ES3_N6thrust23THRUST_200600_302600_NS11hip_rocprim26transform_input_iterator_tIlNS8_12zip_iteratorINS8_5tupleINS8_6detail15normal_iteratorINS8_10device_ptrIxEEEESH_NS8_9null_typeESI_SI_SI_SI_SI_SI_SI_EEEENS9_21zip_adj_not_predicateINS8_8equal_toIxEEEEEEPllNS8_4plusIlEEEE10hipError_tPvRmT1_T2_T3_mT4_P12ihipStream_tbEUlT_E0_NS1_11comp_targetILNS1_3genE5ELNS1_11target_archE942ELNS1_3gpuE9ELNS1_3repE0EEENS1_30default_config_static_selectorELNS0_4arch9wavefront6targetE1EEEvSW_,"axG",@progbits,_ZN7rocprim17ROCPRIM_400000_NS6detail17trampoline_kernelINS0_14default_configENS1_22reduce_config_selectorIlEEZNS1_11reduce_implILb1ES3_N6thrust23THRUST_200600_302600_NS11hip_rocprim26transform_input_iterator_tIlNS8_12zip_iteratorINS8_5tupleINS8_6detail15normal_iteratorINS8_10device_ptrIxEEEESH_NS8_9null_typeESI_SI_SI_SI_SI_SI_SI_EEEENS9_21zip_adj_not_predicateINS8_8equal_toIxEEEEEEPllNS8_4plusIlEEEE10hipError_tPvRmT1_T2_T3_mT4_P12ihipStream_tbEUlT_E0_NS1_11comp_targetILNS1_3genE5ELNS1_11target_archE942ELNS1_3gpuE9ELNS1_3repE0EEENS1_30default_config_static_selectorELNS0_4arch9wavefront6targetE1EEEvSW_,comdat
.Lfunc_end924:
	.size	_ZN7rocprim17ROCPRIM_400000_NS6detail17trampoline_kernelINS0_14default_configENS1_22reduce_config_selectorIlEEZNS1_11reduce_implILb1ES3_N6thrust23THRUST_200600_302600_NS11hip_rocprim26transform_input_iterator_tIlNS8_12zip_iteratorINS8_5tupleINS8_6detail15normal_iteratorINS8_10device_ptrIxEEEESH_NS8_9null_typeESI_SI_SI_SI_SI_SI_SI_EEEENS9_21zip_adj_not_predicateINS8_8equal_toIxEEEEEEPllNS8_4plusIlEEEE10hipError_tPvRmT1_T2_T3_mT4_P12ihipStream_tbEUlT_E0_NS1_11comp_targetILNS1_3genE5ELNS1_11target_archE942ELNS1_3gpuE9ELNS1_3repE0EEENS1_30default_config_static_selectorELNS0_4arch9wavefront6targetE1EEEvSW_, .Lfunc_end924-_ZN7rocprim17ROCPRIM_400000_NS6detail17trampoline_kernelINS0_14default_configENS1_22reduce_config_selectorIlEEZNS1_11reduce_implILb1ES3_N6thrust23THRUST_200600_302600_NS11hip_rocprim26transform_input_iterator_tIlNS8_12zip_iteratorINS8_5tupleINS8_6detail15normal_iteratorINS8_10device_ptrIxEEEESH_NS8_9null_typeESI_SI_SI_SI_SI_SI_SI_EEEENS9_21zip_adj_not_predicateINS8_8equal_toIxEEEEEEPllNS8_4plusIlEEEE10hipError_tPvRmT1_T2_T3_mT4_P12ihipStream_tbEUlT_E0_NS1_11comp_targetILNS1_3genE5ELNS1_11target_archE942ELNS1_3gpuE9ELNS1_3repE0EEENS1_30default_config_static_selectorELNS0_4arch9wavefront6targetE1EEEvSW_
                                        ; -- End function
	.set _ZN7rocprim17ROCPRIM_400000_NS6detail17trampoline_kernelINS0_14default_configENS1_22reduce_config_selectorIlEEZNS1_11reduce_implILb1ES3_N6thrust23THRUST_200600_302600_NS11hip_rocprim26transform_input_iterator_tIlNS8_12zip_iteratorINS8_5tupleINS8_6detail15normal_iteratorINS8_10device_ptrIxEEEESH_NS8_9null_typeESI_SI_SI_SI_SI_SI_SI_EEEENS9_21zip_adj_not_predicateINS8_8equal_toIxEEEEEEPllNS8_4plusIlEEEE10hipError_tPvRmT1_T2_T3_mT4_P12ihipStream_tbEUlT_E0_NS1_11comp_targetILNS1_3genE5ELNS1_11target_archE942ELNS1_3gpuE9ELNS1_3repE0EEENS1_30default_config_static_selectorELNS0_4arch9wavefront6targetE1EEEvSW_.num_vgpr, 0
	.set _ZN7rocprim17ROCPRIM_400000_NS6detail17trampoline_kernelINS0_14default_configENS1_22reduce_config_selectorIlEEZNS1_11reduce_implILb1ES3_N6thrust23THRUST_200600_302600_NS11hip_rocprim26transform_input_iterator_tIlNS8_12zip_iteratorINS8_5tupleINS8_6detail15normal_iteratorINS8_10device_ptrIxEEEESH_NS8_9null_typeESI_SI_SI_SI_SI_SI_SI_EEEENS9_21zip_adj_not_predicateINS8_8equal_toIxEEEEEEPllNS8_4plusIlEEEE10hipError_tPvRmT1_T2_T3_mT4_P12ihipStream_tbEUlT_E0_NS1_11comp_targetILNS1_3genE5ELNS1_11target_archE942ELNS1_3gpuE9ELNS1_3repE0EEENS1_30default_config_static_selectorELNS0_4arch9wavefront6targetE1EEEvSW_.num_agpr, 0
	.set _ZN7rocprim17ROCPRIM_400000_NS6detail17trampoline_kernelINS0_14default_configENS1_22reduce_config_selectorIlEEZNS1_11reduce_implILb1ES3_N6thrust23THRUST_200600_302600_NS11hip_rocprim26transform_input_iterator_tIlNS8_12zip_iteratorINS8_5tupleINS8_6detail15normal_iteratorINS8_10device_ptrIxEEEESH_NS8_9null_typeESI_SI_SI_SI_SI_SI_SI_EEEENS9_21zip_adj_not_predicateINS8_8equal_toIxEEEEEEPllNS8_4plusIlEEEE10hipError_tPvRmT1_T2_T3_mT4_P12ihipStream_tbEUlT_E0_NS1_11comp_targetILNS1_3genE5ELNS1_11target_archE942ELNS1_3gpuE9ELNS1_3repE0EEENS1_30default_config_static_selectorELNS0_4arch9wavefront6targetE1EEEvSW_.numbered_sgpr, 0
	.set _ZN7rocprim17ROCPRIM_400000_NS6detail17trampoline_kernelINS0_14default_configENS1_22reduce_config_selectorIlEEZNS1_11reduce_implILb1ES3_N6thrust23THRUST_200600_302600_NS11hip_rocprim26transform_input_iterator_tIlNS8_12zip_iteratorINS8_5tupleINS8_6detail15normal_iteratorINS8_10device_ptrIxEEEESH_NS8_9null_typeESI_SI_SI_SI_SI_SI_SI_EEEENS9_21zip_adj_not_predicateINS8_8equal_toIxEEEEEEPllNS8_4plusIlEEEE10hipError_tPvRmT1_T2_T3_mT4_P12ihipStream_tbEUlT_E0_NS1_11comp_targetILNS1_3genE5ELNS1_11target_archE942ELNS1_3gpuE9ELNS1_3repE0EEENS1_30default_config_static_selectorELNS0_4arch9wavefront6targetE1EEEvSW_.num_named_barrier, 0
	.set _ZN7rocprim17ROCPRIM_400000_NS6detail17trampoline_kernelINS0_14default_configENS1_22reduce_config_selectorIlEEZNS1_11reduce_implILb1ES3_N6thrust23THRUST_200600_302600_NS11hip_rocprim26transform_input_iterator_tIlNS8_12zip_iteratorINS8_5tupleINS8_6detail15normal_iteratorINS8_10device_ptrIxEEEESH_NS8_9null_typeESI_SI_SI_SI_SI_SI_SI_EEEENS9_21zip_adj_not_predicateINS8_8equal_toIxEEEEEEPllNS8_4plusIlEEEE10hipError_tPvRmT1_T2_T3_mT4_P12ihipStream_tbEUlT_E0_NS1_11comp_targetILNS1_3genE5ELNS1_11target_archE942ELNS1_3gpuE9ELNS1_3repE0EEENS1_30default_config_static_selectorELNS0_4arch9wavefront6targetE1EEEvSW_.private_seg_size, 0
	.set _ZN7rocprim17ROCPRIM_400000_NS6detail17trampoline_kernelINS0_14default_configENS1_22reduce_config_selectorIlEEZNS1_11reduce_implILb1ES3_N6thrust23THRUST_200600_302600_NS11hip_rocprim26transform_input_iterator_tIlNS8_12zip_iteratorINS8_5tupleINS8_6detail15normal_iteratorINS8_10device_ptrIxEEEESH_NS8_9null_typeESI_SI_SI_SI_SI_SI_SI_EEEENS9_21zip_adj_not_predicateINS8_8equal_toIxEEEEEEPllNS8_4plusIlEEEE10hipError_tPvRmT1_T2_T3_mT4_P12ihipStream_tbEUlT_E0_NS1_11comp_targetILNS1_3genE5ELNS1_11target_archE942ELNS1_3gpuE9ELNS1_3repE0EEENS1_30default_config_static_selectorELNS0_4arch9wavefront6targetE1EEEvSW_.uses_vcc, 0
	.set _ZN7rocprim17ROCPRIM_400000_NS6detail17trampoline_kernelINS0_14default_configENS1_22reduce_config_selectorIlEEZNS1_11reduce_implILb1ES3_N6thrust23THRUST_200600_302600_NS11hip_rocprim26transform_input_iterator_tIlNS8_12zip_iteratorINS8_5tupleINS8_6detail15normal_iteratorINS8_10device_ptrIxEEEESH_NS8_9null_typeESI_SI_SI_SI_SI_SI_SI_EEEENS9_21zip_adj_not_predicateINS8_8equal_toIxEEEEEEPllNS8_4plusIlEEEE10hipError_tPvRmT1_T2_T3_mT4_P12ihipStream_tbEUlT_E0_NS1_11comp_targetILNS1_3genE5ELNS1_11target_archE942ELNS1_3gpuE9ELNS1_3repE0EEENS1_30default_config_static_selectorELNS0_4arch9wavefront6targetE1EEEvSW_.uses_flat_scratch, 0
	.set _ZN7rocprim17ROCPRIM_400000_NS6detail17trampoline_kernelINS0_14default_configENS1_22reduce_config_selectorIlEEZNS1_11reduce_implILb1ES3_N6thrust23THRUST_200600_302600_NS11hip_rocprim26transform_input_iterator_tIlNS8_12zip_iteratorINS8_5tupleINS8_6detail15normal_iteratorINS8_10device_ptrIxEEEESH_NS8_9null_typeESI_SI_SI_SI_SI_SI_SI_EEEENS9_21zip_adj_not_predicateINS8_8equal_toIxEEEEEEPllNS8_4plusIlEEEE10hipError_tPvRmT1_T2_T3_mT4_P12ihipStream_tbEUlT_E0_NS1_11comp_targetILNS1_3genE5ELNS1_11target_archE942ELNS1_3gpuE9ELNS1_3repE0EEENS1_30default_config_static_selectorELNS0_4arch9wavefront6targetE1EEEvSW_.has_dyn_sized_stack, 0
	.set _ZN7rocprim17ROCPRIM_400000_NS6detail17trampoline_kernelINS0_14default_configENS1_22reduce_config_selectorIlEEZNS1_11reduce_implILb1ES3_N6thrust23THRUST_200600_302600_NS11hip_rocprim26transform_input_iterator_tIlNS8_12zip_iteratorINS8_5tupleINS8_6detail15normal_iteratorINS8_10device_ptrIxEEEESH_NS8_9null_typeESI_SI_SI_SI_SI_SI_SI_EEEENS9_21zip_adj_not_predicateINS8_8equal_toIxEEEEEEPllNS8_4plusIlEEEE10hipError_tPvRmT1_T2_T3_mT4_P12ihipStream_tbEUlT_E0_NS1_11comp_targetILNS1_3genE5ELNS1_11target_archE942ELNS1_3gpuE9ELNS1_3repE0EEENS1_30default_config_static_selectorELNS0_4arch9wavefront6targetE1EEEvSW_.has_recursion, 0
	.set _ZN7rocprim17ROCPRIM_400000_NS6detail17trampoline_kernelINS0_14default_configENS1_22reduce_config_selectorIlEEZNS1_11reduce_implILb1ES3_N6thrust23THRUST_200600_302600_NS11hip_rocprim26transform_input_iterator_tIlNS8_12zip_iteratorINS8_5tupleINS8_6detail15normal_iteratorINS8_10device_ptrIxEEEESH_NS8_9null_typeESI_SI_SI_SI_SI_SI_SI_EEEENS9_21zip_adj_not_predicateINS8_8equal_toIxEEEEEEPllNS8_4plusIlEEEE10hipError_tPvRmT1_T2_T3_mT4_P12ihipStream_tbEUlT_E0_NS1_11comp_targetILNS1_3genE5ELNS1_11target_archE942ELNS1_3gpuE9ELNS1_3repE0EEENS1_30default_config_static_selectorELNS0_4arch9wavefront6targetE1EEEvSW_.has_indirect_call, 0
	.section	.AMDGPU.csdata,"",@progbits
; Kernel info:
; codeLenInByte = 0
; TotalNumSgprs: 4
; NumVgprs: 0
; ScratchSize: 0
; MemoryBound: 0
; FloatMode: 240
; IeeeMode: 1
; LDSByteSize: 0 bytes/workgroup (compile time only)
; SGPRBlocks: 0
; VGPRBlocks: 0
; NumSGPRsForWavesPerEU: 4
; NumVGPRsForWavesPerEU: 1
; Occupancy: 10
; WaveLimiterHint : 0
; COMPUTE_PGM_RSRC2:SCRATCH_EN: 0
; COMPUTE_PGM_RSRC2:USER_SGPR: 6
; COMPUTE_PGM_RSRC2:TRAP_HANDLER: 0
; COMPUTE_PGM_RSRC2:TGID_X_EN: 1
; COMPUTE_PGM_RSRC2:TGID_Y_EN: 0
; COMPUTE_PGM_RSRC2:TGID_Z_EN: 0
; COMPUTE_PGM_RSRC2:TIDIG_COMP_CNT: 0
	.section	.text._ZN7rocprim17ROCPRIM_400000_NS6detail17trampoline_kernelINS0_14default_configENS1_22reduce_config_selectorIlEEZNS1_11reduce_implILb1ES3_N6thrust23THRUST_200600_302600_NS11hip_rocprim26transform_input_iterator_tIlNS8_12zip_iteratorINS8_5tupleINS8_6detail15normal_iteratorINS8_10device_ptrIxEEEESH_NS8_9null_typeESI_SI_SI_SI_SI_SI_SI_EEEENS9_21zip_adj_not_predicateINS8_8equal_toIxEEEEEEPllNS8_4plusIlEEEE10hipError_tPvRmT1_T2_T3_mT4_P12ihipStream_tbEUlT_E0_NS1_11comp_targetILNS1_3genE4ELNS1_11target_archE910ELNS1_3gpuE8ELNS1_3repE0EEENS1_30default_config_static_selectorELNS0_4arch9wavefront6targetE1EEEvSW_,"axG",@progbits,_ZN7rocprim17ROCPRIM_400000_NS6detail17trampoline_kernelINS0_14default_configENS1_22reduce_config_selectorIlEEZNS1_11reduce_implILb1ES3_N6thrust23THRUST_200600_302600_NS11hip_rocprim26transform_input_iterator_tIlNS8_12zip_iteratorINS8_5tupleINS8_6detail15normal_iteratorINS8_10device_ptrIxEEEESH_NS8_9null_typeESI_SI_SI_SI_SI_SI_SI_EEEENS9_21zip_adj_not_predicateINS8_8equal_toIxEEEEEEPllNS8_4plusIlEEEE10hipError_tPvRmT1_T2_T3_mT4_P12ihipStream_tbEUlT_E0_NS1_11comp_targetILNS1_3genE4ELNS1_11target_archE910ELNS1_3gpuE8ELNS1_3repE0EEENS1_30default_config_static_selectorELNS0_4arch9wavefront6targetE1EEEvSW_,comdat
	.protected	_ZN7rocprim17ROCPRIM_400000_NS6detail17trampoline_kernelINS0_14default_configENS1_22reduce_config_selectorIlEEZNS1_11reduce_implILb1ES3_N6thrust23THRUST_200600_302600_NS11hip_rocprim26transform_input_iterator_tIlNS8_12zip_iteratorINS8_5tupleINS8_6detail15normal_iteratorINS8_10device_ptrIxEEEESH_NS8_9null_typeESI_SI_SI_SI_SI_SI_SI_EEEENS9_21zip_adj_not_predicateINS8_8equal_toIxEEEEEEPllNS8_4plusIlEEEE10hipError_tPvRmT1_T2_T3_mT4_P12ihipStream_tbEUlT_E0_NS1_11comp_targetILNS1_3genE4ELNS1_11target_archE910ELNS1_3gpuE8ELNS1_3repE0EEENS1_30default_config_static_selectorELNS0_4arch9wavefront6targetE1EEEvSW_ ; -- Begin function _ZN7rocprim17ROCPRIM_400000_NS6detail17trampoline_kernelINS0_14default_configENS1_22reduce_config_selectorIlEEZNS1_11reduce_implILb1ES3_N6thrust23THRUST_200600_302600_NS11hip_rocprim26transform_input_iterator_tIlNS8_12zip_iteratorINS8_5tupleINS8_6detail15normal_iteratorINS8_10device_ptrIxEEEESH_NS8_9null_typeESI_SI_SI_SI_SI_SI_SI_EEEENS9_21zip_adj_not_predicateINS8_8equal_toIxEEEEEEPllNS8_4plusIlEEEE10hipError_tPvRmT1_T2_T3_mT4_P12ihipStream_tbEUlT_E0_NS1_11comp_targetILNS1_3genE4ELNS1_11target_archE910ELNS1_3gpuE8ELNS1_3repE0EEENS1_30default_config_static_selectorELNS0_4arch9wavefront6targetE1EEEvSW_
	.globl	_ZN7rocprim17ROCPRIM_400000_NS6detail17trampoline_kernelINS0_14default_configENS1_22reduce_config_selectorIlEEZNS1_11reduce_implILb1ES3_N6thrust23THRUST_200600_302600_NS11hip_rocprim26transform_input_iterator_tIlNS8_12zip_iteratorINS8_5tupleINS8_6detail15normal_iteratorINS8_10device_ptrIxEEEESH_NS8_9null_typeESI_SI_SI_SI_SI_SI_SI_EEEENS9_21zip_adj_not_predicateINS8_8equal_toIxEEEEEEPllNS8_4plusIlEEEE10hipError_tPvRmT1_T2_T3_mT4_P12ihipStream_tbEUlT_E0_NS1_11comp_targetILNS1_3genE4ELNS1_11target_archE910ELNS1_3gpuE8ELNS1_3repE0EEENS1_30default_config_static_selectorELNS0_4arch9wavefront6targetE1EEEvSW_
	.p2align	8
	.type	_ZN7rocprim17ROCPRIM_400000_NS6detail17trampoline_kernelINS0_14default_configENS1_22reduce_config_selectorIlEEZNS1_11reduce_implILb1ES3_N6thrust23THRUST_200600_302600_NS11hip_rocprim26transform_input_iterator_tIlNS8_12zip_iteratorINS8_5tupleINS8_6detail15normal_iteratorINS8_10device_ptrIxEEEESH_NS8_9null_typeESI_SI_SI_SI_SI_SI_SI_EEEENS9_21zip_adj_not_predicateINS8_8equal_toIxEEEEEEPllNS8_4plusIlEEEE10hipError_tPvRmT1_T2_T3_mT4_P12ihipStream_tbEUlT_E0_NS1_11comp_targetILNS1_3genE4ELNS1_11target_archE910ELNS1_3gpuE8ELNS1_3repE0EEENS1_30default_config_static_selectorELNS0_4arch9wavefront6targetE1EEEvSW_,@function
_ZN7rocprim17ROCPRIM_400000_NS6detail17trampoline_kernelINS0_14default_configENS1_22reduce_config_selectorIlEEZNS1_11reduce_implILb1ES3_N6thrust23THRUST_200600_302600_NS11hip_rocprim26transform_input_iterator_tIlNS8_12zip_iteratorINS8_5tupleINS8_6detail15normal_iteratorINS8_10device_ptrIxEEEESH_NS8_9null_typeESI_SI_SI_SI_SI_SI_SI_EEEENS9_21zip_adj_not_predicateINS8_8equal_toIxEEEEEEPllNS8_4plusIlEEEE10hipError_tPvRmT1_T2_T3_mT4_P12ihipStream_tbEUlT_E0_NS1_11comp_targetILNS1_3genE4ELNS1_11target_archE910ELNS1_3gpuE8ELNS1_3repE0EEENS1_30default_config_static_selectorELNS0_4arch9wavefront6targetE1EEEvSW_: ; @_ZN7rocprim17ROCPRIM_400000_NS6detail17trampoline_kernelINS0_14default_configENS1_22reduce_config_selectorIlEEZNS1_11reduce_implILb1ES3_N6thrust23THRUST_200600_302600_NS11hip_rocprim26transform_input_iterator_tIlNS8_12zip_iteratorINS8_5tupleINS8_6detail15normal_iteratorINS8_10device_ptrIxEEEESH_NS8_9null_typeESI_SI_SI_SI_SI_SI_SI_EEEENS9_21zip_adj_not_predicateINS8_8equal_toIxEEEEEEPllNS8_4plusIlEEEE10hipError_tPvRmT1_T2_T3_mT4_P12ihipStream_tbEUlT_E0_NS1_11comp_targetILNS1_3genE4ELNS1_11target_archE910ELNS1_3gpuE8ELNS1_3repE0EEENS1_30default_config_static_selectorELNS0_4arch9wavefront6targetE1EEEvSW_
; %bb.0:
	.section	.rodata,"a",@progbits
	.p2align	6, 0x0
	.amdhsa_kernel _ZN7rocprim17ROCPRIM_400000_NS6detail17trampoline_kernelINS0_14default_configENS1_22reduce_config_selectorIlEEZNS1_11reduce_implILb1ES3_N6thrust23THRUST_200600_302600_NS11hip_rocprim26transform_input_iterator_tIlNS8_12zip_iteratorINS8_5tupleINS8_6detail15normal_iteratorINS8_10device_ptrIxEEEESH_NS8_9null_typeESI_SI_SI_SI_SI_SI_SI_EEEENS9_21zip_adj_not_predicateINS8_8equal_toIxEEEEEEPllNS8_4plusIlEEEE10hipError_tPvRmT1_T2_T3_mT4_P12ihipStream_tbEUlT_E0_NS1_11comp_targetILNS1_3genE4ELNS1_11target_archE910ELNS1_3gpuE8ELNS1_3repE0EEENS1_30default_config_static_selectorELNS0_4arch9wavefront6targetE1EEEvSW_
		.amdhsa_group_segment_fixed_size 0
		.amdhsa_private_segment_fixed_size 0
		.amdhsa_kernarg_size 80
		.amdhsa_user_sgpr_count 6
		.amdhsa_user_sgpr_private_segment_buffer 1
		.amdhsa_user_sgpr_dispatch_ptr 0
		.amdhsa_user_sgpr_queue_ptr 0
		.amdhsa_user_sgpr_kernarg_segment_ptr 1
		.amdhsa_user_sgpr_dispatch_id 0
		.amdhsa_user_sgpr_flat_scratch_init 0
		.amdhsa_user_sgpr_private_segment_size 0
		.amdhsa_uses_dynamic_stack 0
		.amdhsa_system_sgpr_private_segment_wavefront_offset 0
		.amdhsa_system_sgpr_workgroup_id_x 1
		.amdhsa_system_sgpr_workgroup_id_y 0
		.amdhsa_system_sgpr_workgroup_id_z 0
		.amdhsa_system_sgpr_workgroup_info 0
		.amdhsa_system_vgpr_workitem_id 0
		.amdhsa_next_free_vgpr 1
		.amdhsa_next_free_sgpr 0
		.amdhsa_reserve_vcc 0
		.amdhsa_reserve_flat_scratch 0
		.amdhsa_float_round_mode_32 0
		.amdhsa_float_round_mode_16_64 0
		.amdhsa_float_denorm_mode_32 3
		.amdhsa_float_denorm_mode_16_64 3
		.amdhsa_dx10_clamp 1
		.amdhsa_ieee_mode 1
		.amdhsa_fp16_overflow 0
		.amdhsa_exception_fp_ieee_invalid_op 0
		.amdhsa_exception_fp_denorm_src 0
		.amdhsa_exception_fp_ieee_div_zero 0
		.amdhsa_exception_fp_ieee_overflow 0
		.amdhsa_exception_fp_ieee_underflow 0
		.amdhsa_exception_fp_ieee_inexact 0
		.amdhsa_exception_int_div_zero 0
	.end_amdhsa_kernel
	.section	.text._ZN7rocprim17ROCPRIM_400000_NS6detail17trampoline_kernelINS0_14default_configENS1_22reduce_config_selectorIlEEZNS1_11reduce_implILb1ES3_N6thrust23THRUST_200600_302600_NS11hip_rocprim26transform_input_iterator_tIlNS8_12zip_iteratorINS8_5tupleINS8_6detail15normal_iteratorINS8_10device_ptrIxEEEESH_NS8_9null_typeESI_SI_SI_SI_SI_SI_SI_EEEENS9_21zip_adj_not_predicateINS8_8equal_toIxEEEEEEPllNS8_4plusIlEEEE10hipError_tPvRmT1_T2_T3_mT4_P12ihipStream_tbEUlT_E0_NS1_11comp_targetILNS1_3genE4ELNS1_11target_archE910ELNS1_3gpuE8ELNS1_3repE0EEENS1_30default_config_static_selectorELNS0_4arch9wavefront6targetE1EEEvSW_,"axG",@progbits,_ZN7rocprim17ROCPRIM_400000_NS6detail17trampoline_kernelINS0_14default_configENS1_22reduce_config_selectorIlEEZNS1_11reduce_implILb1ES3_N6thrust23THRUST_200600_302600_NS11hip_rocprim26transform_input_iterator_tIlNS8_12zip_iteratorINS8_5tupleINS8_6detail15normal_iteratorINS8_10device_ptrIxEEEESH_NS8_9null_typeESI_SI_SI_SI_SI_SI_SI_EEEENS9_21zip_adj_not_predicateINS8_8equal_toIxEEEEEEPllNS8_4plusIlEEEE10hipError_tPvRmT1_T2_T3_mT4_P12ihipStream_tbEUlT_E0_NS1_11comp_targetILNS1_3genE4ELNS1_11target_archE910ELNS1_3gpuE8ELNS1_3repE0EEENS1_30default_config_static_selectorELNS0_4arch9wavefront6targetE1EEEvSW_,comdat
.Lfunc_end925:
	.size	_ZN7rocprim17ROCPRIM_400000_NS6detail17trampoline_kernelINS0_14default_configENS1_22reduce_config_selectorIlEEZNS1_11reduce_implILb1ES3_N6thrust23THRUST_200600_302600_NS11hip_rocprim26transform_input_iterator_tIlNS8_12zip_iteratorINS8_5tupleINS8_6detail15normal_iteratorINS8_10device_ptrIxEEEESH_NS8_9null_typeESI_SI_SI_SI_SI_SI_SI_EEEENS9_21zip_adj_not_predicateINS8_8equal_toIxEEEEEEPllNS8_4plusIlEEEE10hipError_tPvRmT1_T2_T3_mT4_P12ihipStream_tbEUlT_E0_NS1_11comp_targetILNS1_3genE4ELNS1_11target_archE910ELNS1_3gpuE8ELNS1_3repE0EEENS1_30default_config_static_selectorELNS0_4arch9wavefront6targetE1EEEvSW_, .Lfunc_end925-_ZN7rocprim17ROCPRIM_400000_NS6detail17trampoline_kernelINS0_14default_configENS1_22reduce_config_selectorIlEEZNS1_11reduce_implILb1ES3_N6thrust23THRUST_200600_302600_NS11hip_rocprim26transform_input_iterator_tIlNS8_12zip_iteratorINS8_5tupleINS8_6detail15normal_iteratorINS8_10device_ptrIxEEEESH_NS8_9null_typeESI_SI_SI_SI_SI_SI_SI_EEEENS9_21zip_adj_not_predicateINS8_8equal_toIxEEEEEEPllNS8_4plusIlEEEE10hipError_tPvRmT1_T2_T3_mT4_P12ihipStream_tbEUlT_E0_NS1_11comp_targetILNS1_3genE4ELNS1_11target_archE910ELNS1_3gpuE8ELNS1_3repE0EEENS1_30default_config_static_selectorELNS0_4arch9wavefront6targetE1EEEvSW_
                                        ; -- End function
	.set _ZN7rocprim17ROCPRIM_400000_NS6detail17trampoline_kernelINS0_14default_configENS1_22reduce_config_selectorIlEEZNS1_11reduce_implILb1ES3_N6thrust23THRUST_200600_302600_NS11hip_rocprim26transform_input_iterator_tIlNS8_12zip_iteratorINS8_5tupleINS8_6detail15normal_iteratorINS8_10device_ptrIxEEEESH_NS8_9null_typeESI_SI_SI_SI_SI_SI_SI_EEEENS9_21zip_adj_not_predicateINS8_8equal_toIxEEEEEEPllNS8_4plusIlEEEE10hipError_tPvRmT1_T2_T3_mT4_P12ihipStream_tbEUlT_E0_NS1_11comp_targetILNS1_3genE4ELNS1_11target_archE910ELNS1_3gpuE8ELNS1_3repE0EEENS1_30default_config_static_selectorELNS0_4arch9wavefront6targetE1EEEvSW_.num_vgpr, 0
	.set _ZN7rocprim17ROCPRIM_400000_NS6detail17trampoline_kernelINS0_14default_configENS1_22reduce_config_selectorIlEEZNS1_11reduce_implILb1ES3_N6thrust23THRUST_200600_302600_NS11hip_rocprim26transform_input_iterator_tIlNS8_12zip_iteratorINS8_5tupleINS8_6detail15normal_iteratorINS8_10device_ptrIxEEEESH_NS8_9null_typeESI_SI_SI_SI_SI_SI_SI_EEEENS9_21zip_adj_not_predicateINS8_8equal_toIxEEEEEEPllNS8_4plusIlEEEE10hipError_tPvRmT1_T2_T3_mT4_P12ihipStream_tbEUlT_E0_NS1_11comp_targetILNS1_3genE4ELNS1_11target_archE910ELNS1_3gpuE8ELNS1_3repE0EEENS1_30default_config_static_selectorELNS0_4arch9wavefront6targetE1EEEvSW_.num_agpr, 0
	.set _ZN7rocprim17ROCPRIM_400000_NS6detail17trampoline_kernelINS0_14default_configENS1_22reduce_config_selectorIlEEZNS1_11reduce_implILb1ES3_N6thrust23THRUST_200600_302600_NS11hip_rocprim26transform_input_iterator_tIlNS8_12zip_iteratorINS8_5tupleINS8_6detail15normal_iteratorINS8_10device_ptrIxEEEESH_NS8_9null_typeESI_SI_SI_SI_SI_SI_SI_EEEENS9_21zip_adj_not_predicateINS8_8equal_toIxEEEEEEPllNS8_4plusIlEEEE10hipError_tPvRmT1_T2_T3_mT4_P12ihipStream_tbEUlT_E0_NS1_11comp_targetILNS1_3genE4ELNS1_11target_archE910ELNS1_3gpuE8ELNS1_3repE0EEENS1_30default_config_static_selectorELNS0_4arch9wavefront6targetE1EEEvSW_.numbered_sgpr, 0
	.set _ZN7rocprim17ROCPRIM_400000_NS6detail17trampoline_kernelINS0_14default_configENS1_22reduce_config_selectorIlEEZNS1_11reduce_implILb1ES3_N6thrust23THRUST_200600_302600_NS11hip_rocprim26transform_input_iterator_tIlNS8_12zip_iteratorINS8_5tupleINS8_6detail15normal_iteratorINS8_10device_ptrIxEEEESH_NS8_9null_typeESI_SI_SI_SI_SI_SI_SI_EEEENS9_21zip_adj_not_predicateINS8_8equal_toIxEEEEEEPllNS8_4plusIlEEEE10hipError_tPvRmT1_T2_T3_mT4_P12ihipStream_tbEUlT_E0_NS1_11comp_targetILNS1_3genE4ELNS1_11target_archE910ELNS1_3gpuE8ELNS1_3repE0EEENS1_30default_config_static_selectorELNS0_4arch9wavefront6targetE1EEEvSW_.num_named_barrier, 0
	.set _ZN7rocprim17ROCPRIM_400000_NS6detail17trampoline_kernelINS0_14default_configENS1_22reduce_config_selectorIlEEZNS1_11reduce_implILb1ES3_N6thrust23THRUST_200600_302600_NS11hip_rocprim26transform_input_iterator_tIlNS8_12zip_iteratorINS8_5tupleINS8_6detail15normal_iteratorINS8_10device_ptrIxEEEESH_NS8_9null_typeESI_SI_SI_SI_SI_SI_SI_EEEENS9_21zip_adj_not_predicateINS8_8equal_toIxEEEEEEPllNS8_4plusIlEEEE10hipError_tPvRmT1_T2_T3_mT4_P12ihipStream_tbEUlT_E0_NS1_11comp_targetILNS1_3genE4ELNS1_11target_archE910ELNS1_3gpuE8ELNS1_3repE0EEENS1_30default_config_static_selectorELNS0_4arch9wavefront6targetE1EEEvSW_.private_seg_size, 0
	.set _ZN7rocprim17ROCPRIM_400000_NS6detail17trampoline_kernelINS0_14default_configENS1_22reduce_config_selectorIlEEZNS1_11reduce_implILb1ES3_N6thrust23THRUST_200600_302600_NS11hip_rocprim26transform_input_iterator_tIlNS8_12zip_iteratorINS8_5tupleINS8_6detail15normal_iteratorINS8_10device_ptrIxEEEESH_NS8_9null_typeESI_SI_SI_SI_SI_SI_SI_EEEENS9_21zip_adj_not_predicateINS8_8equal_toIxEEEEEEPllNS8_4plusIlEEEE10hipError_tPvRmT1_T2_T3_mT4_P12ihipStream_tbEUlT_E0_NS1_11comp_targetILNS1_3genE4ELNS1_11target_archE910ELNS1_3gpuE8ELNS1_3repE0EEENS1_30default_config_static_selectorELNS0_4arch9wavefront6targetE1EEEvSW_.uses_vcc, 0
	.set _ZN7rocprim17ROCPRIM_400000_NS6detail17trampoline_kernelINS0_14default_configENS1_22reduce_config_selectorIlEEZNS1_11reduce_implILb1ES3_N6thrust23THRUST_200600_302600_NS11hip_rocprim26transform_input_iterator_tIlNS8_12zip_iteratorINS8_5tupleINS8_6detail15normal_iteratorINS8_10device_ptrIxEEEESH_NS8_9null_typeESI_SI_SI_SI_SI_SI_SI_EEEENS9_21zip_adj_not_predicateINS8_8equal_toIxEEEEEEPllNS8_4plusIlEEEE10hipError_tPvRmT1_T2_T3_mT4_P12ihipStream_tbEUlT_E0_NS1_11comp_targetILNS1_3genE4ELNS1_11target_archE910ELNS1_3gpuE8ELNS1_3repE0EEENS1_30default_config_static_selectorELNS0_4arch9wavefront6targetE1EEEvSW_.uses_flat_scratch, 0
	.set _ZN7rocprim17ROCPRIM_400000_NS6detail17trampoline_kernelINS0_14default_configENS1_22reduce_config_selectorIlEEZNS1_11reduce_implILb1ES3_N6thrust23THRUST_200600_302600_NS11hip_rocprim26transform_input_iterator_tIlNS8_12zip_iteratorINS8_5tupleINS8_6detail15normal_iteratorINS8_10device_ptrIxEEEESH_NS8_9null_typeESI_SI_SI_SI_SI_SI_SI_EEEENS9_21zip_adj_not_predicateINS8_8equal_toIxEEEEEEPllNS8_4plusIlEEEE10hipError_tPvRmT1_T2_T3_mT4_P12ihipStream_tbEUlT_E0_NS1_11comp_targetILNS1_3genE4ELNS1_11target_archE910ELNS1_3gpuE8ELNS1_3repE0EEENS1_30default_config_static_selectorELNS0_4arch9wavefront6targetE1EEEvSW_.has_dyn_sized_stack, 0
	.set _ZN7rocprim17ROCPRIM_400000_NS6detail17trampoline_kernelINS0_14default_configENS1_22reduce_config_selectorIlEEZNS1_11reduce_implILb1ES3_N6thrust23THRUST_200600_302600_NS11hip_rocprim26transform_input_iterator_tIlNS8_12zip_iteratorINS8_5tupleINS8_6detail15normal_iteratorINS8_10device_ptrIxEEEESH_NS8_9null_typeESI_SI_SI_SI_SI_SI_SI_EEEENS9_21zip_adj_not_predicateINS8_8equal_toIxEEEEEEPllNS8_4plusIlEEEE10hipError_tPvRmT1_T2_T3_mT4_P12ihipStream_tbEUlT_E0_NS1_11comp_targetILNS1_3genE4ELNS1_11target_archE910ELNS1_3gpuE8ELNS1_3repE0EEENS1_30default_config_static_selectorELNS0_4arch9wavefront6targetE1EEEvSW_.has_recursion, 0
	.set _ZN7rocprim17ROCPRIM_400000_NS6detail17trampoline_kernelINS0_14default_configENS1_22reduce_config_selectorIlEEZNS1_11reduce_implILb1ES3_N6thrust23THRUST_200600_302600_NS11hip_rocprim26transform_input_iterator_tIlNS8_12zip_iteratorINS8_5tupleINS8_6detail15normal_iteratorINS8_10device_ptrIxEEEESH_NS8_9null_typeESI_SI_SI_SI_SI_SI_SI_EEEENS9_21zip_adj_not_predicateINS8_8equal_toIxEEEEEEPllNS8_4plusIlEEEE10hipError_tPvRmT1_T2_T3_mT4_P12ihipStream_tbEUlT_E0_NS1_11comp_targetILNS1_3genE4ELNS1_11target_archE910ELNS1_3gpuE8ELNS1_3repE0EEENS1_30default_config_static_selectorELNS0_4arch9wavefront6targetE1EEEvSW_.has_indirect_call, 0
	.section	.AMDGPU.csdata,"",@progbits
; Kernel info:
; codeLenInByte = 0
; TotalNumSgprs: 4
; NumVgprs: 0
; ScratchSize: 0
; MemoryBound: 0
; FloatMode: 240
; IeeeMode: 1
; LDSByteSize: 0 bytes/workgroup (compile time only)
; SGPRBlocks: 0
; VGPRBlocks: 0
; NumSGPRsForWavesPerEU: 4
; NumVGPRsForWavesPerEU: 1
; Occupancy: 10
; WaveLimiterHint : 0
; COMPUTE_PGM_RSRC2:SCRATCH_EN: 0
; COMPUTE_PGM_RSRC2:USER_SGPR: 6
; COMPUTE_PGM_RSRC2:TRAP_HANDLER: 0
; COMPUTE_PGM_RSRC2:TGID_X_EN: 1
; COMPUTE_PGM_RSRC2:TGID_Y_EN: 0
; COMPUTE_PGM_RSRC2:TGID_Z_EN: 0
; COMPUTE_PGM_RSRC2:TIDIG_COMP_CNT: 0
	.section	.text._ZN7rocprim17ROCPRIM_400000_NS6detail17trampoline_kernelINS0_14default_configENS1_22reduce_config_selectorIlEEZNS1_11reduce_implILb1ES3_N6thrust23THRUST_200600_302600_NS11hip_rocprim26transform_input_iterator_tIlNS8_12zip_iteratorINS8_5tupleINS8_6detail15normal_iteratorINS8_10device_ptrIxEEEESH_NS8_9null_typeESI_SI_SI_SI_SI_SI_SI_EEEENS9_21zip_adj_not_predicateINS8_8equal_toIxEEEEEEPllNS8_4plusIlEEEE10hipError_tPvRmT1_T2_T3_mT4_P12ihipStream_tbEUlT_E0_NS1_11comp_targetILNS1_3genE3ELNS1_11target_archE908ELNS1_3gpuE7ELNS1_3repE0EEENS1_30default_config_static_selectorELNS0_4arch9wavefront6targetE1EEEvSW_,"axG",@progbits,_ZN7rocprim17ROCPRIM_400000_NS6detail17trampoline_kernelINS0_14default_configENS1_22reduce_config_selectorIlEEZNS1_11reduce_implILb1ES3_N6thrust23THRUST_200600_302600_NS11hip_rocprim26transform_input_iterator_tIlNS8_12zip_iteratorINS8_5tupleINS8_6detail15normal_iteratorINS8_10device_ptrIxEEEESH_NS8_9null_typeESI_SI_SI_SI_SI_SI_SI_EEEENS9_21zip_adj_not_predicateINS8_8equal_toIxEEEEEEPllNS8_4plusIlEEEE10hipError_tPvRmT1_T2_T3_mT4_P12ihipStream_tbEUlT_E0_NS1_11comp_targetILNS1_3genE3ELNS1_11target_archE908ELNS1_3gpuE7ELNS1_3repE0EEENS1_30default_config_static_selectorELNS0_4arch9wavefront6targetE1EEEvSW_,comdat
	.protected	_ZN7rocprim17ROCPRIM_400000_NS6detail17trampoline_kernelINS0_14default_configENS1_22reduce_config_selectorIlEEZNS1_11reduce_implILb1ES3_N6thrust23THRUST_200600_302600_NS11hip_rocprim26transform_input_iterator_tIlNS8_12zip_iteratorINS8_5tupleINS8_6detail15normal_iteratorINS8_10device_ptrIxEEEESH_NS8_9null_typeESI_SI_SI_SI_SI_SI_SI_EEEENS9_21zip_adj_not_predicateINS8_8equal_toIxEEEEEEPllNS8_4plusIlEEEE10hipError_tPvRmT1_T2_T3_mT4_P12ihipStream_tbEUlT_E0_NS1_11comp_targetILNS1_3genE3ELNS1_11target_archE908ELNS1_3gpuE7ELNS1_3repE0EEENS1_30default_config_static_selectorELNS0_4arch9wavefront6targetE1EEEvSW_ ; -- Begin function _ZN7rocprim17ROCPRIM_400000_NS6detail17trampoline_kernelINS0_14default_configENS1_22reduce_config_selectorIlEEZNS1_11reduce_implILb1ES3_N6thrust23THRUST_200600_302600_NS11hip_rocprim26transform_input_iterator_tIlNS8_12zip_iteratorINS8_5tupleINS8_6detail15normal_iteratorINS8_10device_ptrIxEEEESH_NS8_9null_typeESI_SI_SI_SI_SI_SI_SI_EEEENS9_21zip_adj_not_predicateINS8_8equal_toIxEEEEEEPllNS8_4plusIlEEEE10hipError_tPvRmT1_T2_T3_mT4_P12ihipStream_tbEUlT_E0_NS1_11comp_targetILNS1_3genE3ELNS1_11target_archE908ELNS1_3gpuE7ELNS1_3repE0EEENS1_30default_config_static_selectorELNS0_4arch9wavefront6targetE1EEEvSW_
	.globl	_ZN7rocprim17ROCPRIM_400000_NS6detail17trampoline_kernelINS0_14default_configENS1_22reduce_config_selectorIlEEZNS1_11reduce_implILb1ES3_N6thrust23THRUST_200600_302600_NS11hip_rocprim26transform_input_iterator_tIlNS8_12zip_iteratorINS8_5tupleINS8_6detail15normal_iteratorINS8_10device_ptrIxEEEESH_NS8_9null_typeESI_SI_SI_SI_SI_SI_SI_EEEENS9_21zip_adj_not_predicateINS8_8equal_toIxEEEEEEPllNS8_4plusIlEEEE10hipError_tPvRmT1_T2_T3_mT4_P12ihipStream_tbEUlT_E0_NS1_11comp_targetILNS1_3genE3ELNS1_11target_archE908ELNS1_3gpuE7ELNS1_3repE0EEENS1_30default_config_static_selectorELNS0_4arch9wavefront6targetE1EEEvSW_
	.p2align	8
	.type	_ZN7rocprim17ROCPRIM_400000_NS6detail17trampoline_kernelINS0_14default_configENS1_22reduce_config_selectorIlEEZNS1_11reduce_implILb1ES3_N6thrust23THRUST_200600_302600_NS11hip_rocprim26transform_input_iterator_tIlNS8_12zip_iteratorINS8_5tupleINS8_6detail15normal_iteratorINS8_10device_ptrIxEEEESH_NS8_9null_typeESI_SI_SI_SI_SI_SI_SI_EEEENS9_21zip_adj_not_predicateINS8_8equal_toIxEEEEEEPllNS8_4plusIlEEEE10hipError_tPvRmT1_T2_T3_mT4_P12ihipStream_tbEUlT_E0_NS1_11comp_targetILNS1_3genE3ELNS1_11target_archE908ELNS1_3gpuE7ELNS1_3repE0EEENS1_30default_config_static_selectorELNS0_4arch9wavefront6targetE1EEEvSW_,@function
_ZN7rocprim17ROCPRIM_400000_NS6detail17trampoline_kernelINS0_14default_configENS1_22reduce_config_selectorIlEEZNS1_11reduce_implILb1ES3_N6thrust23THRUST_200600_302600_NS11hip_rocprim26transform_input_iterator_tIlNS8_12zip_iteratorINS8_5tupleINS8_6detail15normal_iteratorINS8_10device_ptrIxEEEESH_NS8_9null_typeESI_SI_SI_SI_SI_SI_SI_EEEENS9_21zip_adj_not_predicateINS8_8equal_toIxEEEEEEPllNS8_4plusIlEEEE10hipError_tPvRmT1_T2_T3_mT4_P12ihipStream_tbEUlT_E0_NS1_11comp_targetILNS1_3genE3ELNS1_11target_archE908ELNS1_3gpuE7ELNS1_3repE0EEENS1_30default_config_static_selectorELNS0_4arch9wavefront6targetE1EEEvSW_: ; @_ZN7rocprim17ROCPRIM_400000_NS6detail17trampoline_kernelINS0_14default_configENS1_22reduce_config_selectorIlEEZNS1_11reduce_implILb1ES3_N6thrust23THRUST_200600_302600_NS11hip_rocprim26transform_input_iterator_tIlNS8_12zip_iteratorINS8_5tupleINS8_6detail15normal_iteratorINS8_10device_ptrIxEEEESH_NS8_9null_typeESI_SI_SI_SI_SI_SI_SI_EEEENS9_21zip_adj_not_predicateINS8_8equal_toIxEEEEEEPllNS8_4plusIlEEEE10hipError_tPvRmT1_T2_T3_mT4_P12ihipStream_tbEUlT_E0_NS1_11comp_targetILNS1_3genE3ELNS1_11target_archE908ELNS1_3gpuE7ELNS1_3repE0EEENS1_30default_config_static_selectorELNS0_4arch9wavefront6targetE1EEEvSW_
; %bb.0:
	.section	.rodata,"a",@progbits
	.p2align	6, 0x0
	.amdhsa_kernel _ZN7rocprim17ROCPRIM_400000_NS6detail17trampoline_kernelINS0_14default_configENS1_22reduce_config_selectorIlEEZNS1_11reduce_implILb1ES3_N6thrust23THRUST_200600_302600_NS11hip_rocprim26transform_input_iterator_tIlNS8_12zip_iteratorINS8_5tupleINS8_6detail15normal_iteratorINS8_10device_ptrIxEEEESH_NS8_9null_typeESI_SI_SI_SI_SI_SI_SI_EEEENS9_21zip_adj_not_predicateINS8_8equal_toIxEEEEEEPllNS8_4plusIlEEEE10hipError_tPvRmT1_T2_T3_mT4_P12ihipStream_tbEUlT_E0_NS1_11comp_targetILNS1_3genE3ELNS1_11target_archE908ELNS1_3gpuE7ELNS1_3repE0EEENS1_30default_config_static_selectorELNS0_4arch9wavefront6targetE1EEEvSW_
		.amdhsa_group_segment_fixed_size 0
		.amdhsa_private_segment_fixed_size 0
		.amdhsa_kernarg_size 80
		.amdhsa_user_sgpr_count 6
		.amdhsa_user_sgpr_private_segment_buffer 1
		.amdhsa_user_sgpr_dispatch_ptr 0
		.amdhsa_user_sgpr_queue_ptr 0
		.amdhsa_user_sgpr_kernarg_segment_ptr 1
		.amdhsa_user_sgpr_dispatch_id 0
		.amdhsa_user_sgpr_flat_scratch_init 0
		.amdhsa_user_sgpr_private_segment_size 0
		.amdhsa_uses_dynamic_stack 0
		.amdhsa_system_sgpr_private_segment_wavefront_offset 0
		.amdhsa_system_sgpr_workgroup_id_x 1
		.amdhsa_system_sgpr_workgroup_id_y 0
		.amdhsa_system_sgpr_workgroup_id_z 0
		.amdhsa_system_sgpr_workgroup_info 0
		.amdhsa_system_vgpr_workitem_id 0
		.amdhsa_next_free_vgpr 1
		.amdhsa_next_free_sgpr 0
		.amdhsa_reserve_vcc 0
		.amdhsa_reserve_flat_scratch 0
		.amdhsa_float_round_mode_32 0
		.amdhsa_float_round_mode_16_64 0
		.amdhsa_float_denorm_mode_32 3
		.amdhsa_float_denorm_mode_16_64 3
		.amdhsa_dx10_clamp 1
		.amdhsa_ieee_mode 1
		.amdhsa_fp16_overflow 0
		.amdhsa_exception_fp_ieee_invalid_op 0
		.amdhsa_exception_fp_denorm_src 0
		.amdhsa_exception_fp_ieee_div_zero 0
		.amdhsa_exception_fp_ieee_overflow 0
		.amdhsa_exception_fp_ieee_underflow 0
		.amdhsa_exception_fp_ieee_inexact 0
		.amdhsa_exception_int_div_zero 0
	.end_amdhsa_kernel
	.section	.text._ZN7rocprim17ROCPRIM_400000_NS6detail17trampoline_kernelINS0_14default_configENS1_22reduce_config_selectorIlEEZNS1_11reduce_implILb1ES3_N6thrust23THRUST_200600_302600_NS11hip_rocprim26transform_input_iterator_tIlNS8_12zip_iteratorINS8_5tupleINS8_6detail15normal_iteratorINS8_10device_ptrIxEEEESH_NS8_9null_typeESI_SI_SI_SI_SI_SI_SI_EEEENS9_21zip_adj_not_predicateINS8_8equal_toIxEEEEEEPllNS8_4plusIlEEEE10hipError_tPvRmT1_T2_T3_mT4_P12ihipStream_tbEUlT_E0_NS1_11comp_targetILNS1_3genE3ELNS1_11target_archE908ELNS1_3gpuE7ELNS1_3repE0EEENS1_30default_config_static_selectorELNS0_4arch9wavefront6targetE1EEEvSW_,"axG",@progbits,_ZN7rocprim17ROCPRIM_400000_NS6detail17trampoline_kernelINS0_14default_configENS1_22reduce_config_selectorIlEEZNS1_11reduce_implILb1ES3_N6thrust23THRUST_200600_302600_NS11hip_rocprim26transform_input_iterator_tIlNS8_12zip_iteratorINS8_5tupleINS8_6detail15normal_iteratorINS8_10device_ptrIxEEEESH_NS8_9null_typeESI_SI_SI_SI_SI_SI_SI_EEEENS9_21zip_adj_not_predicateINS8_8equal_toIxEEEEEEPllNS8_4plusIlEEEE10hipError_tPvRmT1_T2_T3_mT4_P12ihipStream_tbEUlT_E0_NS1_11comp_targetILNS1_3genE3ELNS1_11target_archE908ELNS1_3gpuE7ELNS1_3repE0EEENS1_30default_config_static_selectorELNS0_4arch9wavefront6targetE1EEEvSW_,comdat
.Lfunc_end926:
	.size	_ZN7rocprim17ROCPRIM_400000_NS6detail17trampoline_kernelINS0_14default_configENS1_22reduce_config_selectorIlEEZNS1_11reduce_implILb1ES3_N6thrust23THRUST_200600_302600_NS11hip_rocprim26transform_input_iterator_tIlNS8_12zip_iteratorINS8_5tupleINS8_6detail15normal_iteratorINS8_10device_ptrIxEEEESH_NS8_9null_typeESI_SI_SI_SI_SI_SI_SI_EEEENS9_21zip_adj_not_predicateINS8_8equal_toIxEEEEEEPllNS8_4plusIlEEEE10hipError_tPvRmT1_T2_T3_mT4_P12ihipStream_tbEUlT_E0_NS1_11comp_targetILNS1_3genE3ELNS1_11target_archE908ELNS1_3gpuE7ELNS1_3repE0EEENS1_30default_config_static_selectorELNS0_4arch9wavefront6targetE1EEEvSW_, .Lfunc_end926-_ZN7rocprim17ROCPRIM_400000_NS6detail17trampoline_kernelINS0_14default_configENS1_22reduce_config_selectorIlEEZNS1_11reduce_implILb1ES3_N6thrust23THRUST_200600_302600_NS11hip_rocprim26transform_input_iterator_tIlNS8_12zip_iteratorINS8_5tupleINS8_6detail15normal_iteratorINS8_10device_ptrIxEEEESH_NS8_9null_typeESI_SI_SI_SI_SI_SI_SI_EEEENS9_21zip_adj_not_predicateINS8_8equal_toIxEEEEEEPllNS8_4plusIlEEEE10hipError_tPvRmT1_T2_T3_mT4_P12ihipStream_tbEUlT_E0_NS1_11comp_targetILNS1_3genE3ELNS1_11target_archE908ELNS1_3gpuE7ELNS1_3repE0EEENS1_30default_config_static_selectorELNS0_4arch9wavefront6targetE1EEEvSW_
                                        ; -- End function
	.set _ZN7rocprim17ROCPRIM_400000_NS6detail17trampoline_kernelINS0_14default_configENS1_22reduce_config_selectorIlEEZNS1_11reduce_implILb1ES3_N6thrust23THRUST_200600_302600_NS11hip_rocprim26transform_input_iterator_tIlNS8_12zip_iteratorINS8_5tupleINS8_6detail15normal_iteratorINS8_10device_ptrIxEEEESH_NS8_9null_typeESI_SI_SI_SI_SI_SI_SI_EEEENS9_21zip_adj_not_predicateINS8_8equal_toIxEEEEEEPllNS8_4plusIlEEEE10hipError_tPvRmT1_T2_T3_mT4_P12ihipStream_tbEUlT_E0_NS1_11comp_targetILNS1_3genE3ELNS1_11target_archE908ELNS1_3gpuE7ELNS1_3repE0EEENS1_30default_config_static_selectorELNS0_4arch9wavefront6targetE1EEEvSW_.num_vgpr, 0
	.set _ZN7rocprim17ROCPRIM_400000_NS6detail17trampoline_kernelINS0_14default_configENS1_22reduce_config_selectorIlEEZNS1_11reduce_implILb1ES3_N6thrust23THRUST_200600_302600_NS11hip_rocprim26transform_input_iterator_tIlNS8_12zip_iteratorINS8_5tupleINS8_6detail15normal_iteratorINS8_10device_ptrIxEEEESH_NS8_9null_typeESI_SI_SI_SI_SI_SI_SI_EEEENS9_21zip_adj_not_predicateINS8_8equal_toIxEEEEEEPllNS8_4plusIlEEEE10hipError_tPvRmT1_T2_T3_mT4_P12ihipStream_tbEUlT_E0_NS1_11comp_targetILNS1_3genE3ELNS1_11target_archE908ELNS1_3gpuE7ELNS1_3repE0EEENS1_30default_config_static_selectorELNS0_4arch9wavefront6targetE1EEEvSW_.num_agpr, 0
	.set _ZN7rocprim17ROCPRIM_400000_NS6detail17trampoline_kernelINS0_14default_configENS1_22reduce_config_selectorIlEEZNS1_11reduce_implILb1ES3_N6thrust23THRUST_200600_302600_NS11hip_rocprim26transform_input_iterator_tIlNS8_12zip_iteratorINS8_5tupleINS8_6detail15normal_iteratorINS8_10device_ptrIxEEEESH_NS8_9null_typeESI_SI_SI_SI_SI_SI_SI_EEEENS9_21zip_adj_not_predicateINS8_8equal_toIxEEEEEEPllNS8_4plusIlEEEE10hipError_tPvRmT1_T2_T3_mT4_P12ihipStream_tbEUlT_E0_NS1_11comp_targetILNS1_3genE3ELNS1_11target_archE908ELNS1_3gpuE7ELNS1_3repE0EEENS1_30default_config_static_selectorELNS0_4arch9wavefront6targetE1EEEvSW_.numbered_sgpr, 0
	.set _ZN7rocprim17ROCPRIM_400000_NS6detail17trampoline_kernelINS0_14default_configENS1_22reduce_config_selectorIlEEZNS1_11reduce_implILb1ES3_N6thrust23THRUST_200600_302600_NS11hip_rocprim26transform_input_iterator_tIlNS8_12zip_iteratorINS8_5tupleINS8_6detail15normal_iteratorINS8_10device_ptrIxEEEESH_NS8_9null_typeESI_SI_SI_SI_SI_SI_SI_EEEENS9_21zip_adj_not_predicateINS8_8equal_toIxEEEEEEPllNS8_4plusIlEEEE10hipError_tPvRmT1_T2_T3_mT4_P12ihipStream_tbEUlT_E0_NS1_11comp_targetILNS1_3genE3ELNS1_11target_archE908ELNS1_3gpuE7ELNS1_3repE0EEENS1_30default_config_static_selectorELNS0_4arch9wavefront6targetE1EEEvSW_.num_named_barrier, 0
	.set _ZN7rocprim17ROCPRIM_400000_NS6detail17trampoline_kernelINS0_14default_configENS1_22reduce_config_selectorIlEEZNS1_11reduce_implILb1ES3_N6thrust23THRUST_200600_302600_NS11hip_rocprim26transform_input_iterator_tIlNS8_12zip_iteratorINS8_5tupleINS8_6detail15normal_iteratorINS8_10device_ptrIxEEEESH_NS8_9null_typeESI_SI_SI_SI_SI_SI_SI_EEEENS9_21zip_adj_not_predicateINS8_8equal_toIxEEEEEEPllNS8_4plusIlEEEE10hipError_tPvRmT1_T2_T3_mT4_P12ihipStream_tbEUlT_E0_NS1_11comp_targetILNS1_3genE3ELNS1_11target_archE908ELNS1_3gpuE7ELNS1_3repE0EEENS1_30default_config_static_selectorELNS0_4arch9wavefront6targetE1EEEvSW_.private_seg_size, 0
	.set _ZN7rocprim17ROCPRIM_400000_NS6detail17trampoline_kernelINS0_14default_configENS1_22reduce_config_selectorIlEEZNS1_11reduce_implILb1ES3_N6thrust23THRUST_200600_302600_NS11hip_rocprim26transform_input_iterator_tIlNS8_12zip_iteratorINS8_5tupleINS8_6detail15normal_iteratorINS8_10device_ptrIxEEEESH_NS8_9null_typeESI_SI_SI_SI_SI_SI_SI_EEEENS9_21zip_adj_not_predicateINS8_8equal_toIxEEEEEEPllNS8_4plusIlEEEE10hipError_tPvRmT1_T2_T3_mT4_P12ihipStream_tbEUlT_E0_NS1_11comp_targetILNS1_3genE3ELNS1_11target_archE908ELNS1_3gpuE7ELNS1_3repE0EEENS1_30default_config_static_selectorELNS0_4arch9wavefront6targetE1EEEvSW_.uses_vcc, 0
	.set _ZN7rocprim17ROCPRIM_400000_NS6detail17trampoline_kernelINS0_14default_configENS1_22reduce_config_selectorIlEEZNS1_11reduce_implILb1ES3_N6thrust23THRUST_200600_302600_NS11hip_rocprim26transform_input_iterator_tIlNS8_12zip_iteratorINS8_5tupleINS8_6detail15normal_iteratorINS8_10device_ptrIxEEEESH_NS8_9null_typeESI_SI_SI_SI_SI_SI_SI_EEEENS9_21zip_adj_not_predicateINS8_8equal_toIxEEEEEEPllNS8_4plusIlEEEE10hipError_tPvRmT1_T2_T3_mT4_P12ihipStream_tbEUlT_E0_NS1_11comp_targetILNS1_3genE3ELNS1_11target_archE908ELNS1_3gpuE7ELNS1_3repE0EEENS1_30default_config_static_selectorELNS0_4arch9wavefront6targetE1EEEvSW_.uses_flat_scratch, 0
	.set _ZN7rocprim17ROCPRIM_400000_NS6detail17trampoline_kernelINS0_14default_configENS1_22reduce_config_selectorIlEEZNS1_11reduce_implILb1ES3_N6thrust23THRUST_200600_302600_NS11hip_rocprim26transform_input_iterator_tIlNS8_12zip_iteratorINS8_5tupleINS8_6detail15normal_iteratorINS8_10device_ptrIxEEEESH_NS8_9null_typeESI_SI_SI_SI_SI_SI_SI_EEEENS9_21zip_adj_not_predicateINS8_8equal_toIxEEEEEEPllNS8_4plusIlEEEE10hipError_tPvRmT1_T2_T3_mT4_P12ihipStream_tbEUlT_E0_NS1_11comp_targetILNS1_3genE3ELNS1_11target_archE908ELNS1_3gpuE7ELNS1_3repE0EEENS1_30default_config_static_selectorELNS0_4arch9wavefront6targetE1EEEvSW_.has_dyn_sized_stack, 0
	.set _ZN7rocprim17ROCPRIM_400000_NS6detail17trampoline_kernelINS0_14default_configENS1_22reduce_config_selectorIlEEZNS1_11reduce_implILb1ES3_N6thrust23THRUST_200600_302600_NS11hip_rocprim26transform_input_iterator_tIlNS8_12zip_iteratorINS8_5tupleINS8_6detail15normal_iteratorINS8_10device_ptrIxEEEESH_NS8_9null_typeESI_SI_SI_SI_SI_SI_SI_EEEENS9_21zip_adj_not_predicateINS8_8equal_toIxEEEEEEPllNS8_4plusIlEEEE10hipError_tPvRmT1_T2_T3_mT4_P12ihipStream_tbEUlT_E0_NS1_11comp_targetILNS1_3genE3ELNS1_11target_archE908ELNS1_3gpuE7ELNS1_3repE0EEENS1_30default_config_static_selectorELNS0_4arch9wavefront6targetE1EEEvSW_.has_recursion, 0
	.set _ZN7rocprim17ROCPRIM_400000_NS6detail17trampoline_kernelINS0_14default_configENS1_22reduce_config_selectorIlEEZNS1_11reduce_implILb1ES3_N6thrust23THRUST_200600_302600_NS11hip_rocprim26transform_input_iterator_tIlNS8_12zip_iteratorINS8_5tupleINS8_6detail15normal_iteratorINS8_10device_ptrIxEEEESH_NS8_9null_typeESI_SI_SI_SI_SI_SI_SI_EEEENS9_21zip_adj_not_predicateINS8_8equal_toIxEEEEEEPllNS8_4plusIlEEEE10hipError_tPvRmT1_T2_T3_mT4_P12ihipStream_tbEUlT_E0_NS1_11comp_targetILNS1_3genE3ELNS1_11target_archE908ELNS1_3gpuE7ELNS1_3repE0EEENS1_30default_config_static_selectorELNS0_4arch9wavefront6targetE1EEEvSW_.has_indirect_call, 0
	.section	.AMDGPU.csdata,"",@progbits
; Kernel info:
; codeLenInByte = 0
; TotalNumSgprs: 4
; NumVgprs: 0
; ScratchSize: 0
; MemoryBound: 0
; FloatMode: 240
; IeeeMode: 1
; LDSByteSize: 0 bytes/workgroup (compile time only)
; SGPRBlocks: 0
; VGPRBlocks: 0
; NumSGPRsForWavesPerEU: 4
; NumVGPRsForWavesPerEU: 1
; Occupancy: 10
; WaveLimiterHint : 0
; COMPUTE_PGM_RSRC2:SCRATCH_EN: 0
; COMPUTE_PGM_RSRC2:USER_SGPR: 6
; COMPUTE_PGM_RSRC2:TRAP_HANDLER: 0
; COMPUTE_PGM_RSRC2:TGID_X_EN: 1
; COMPUTE_PGM_RSRC2:TGID_Y_EN: 0
; COMPUTE_PGM_RSRC2:TGID_Z_EN: 0
; COMPUTE_PGM_RSRC2:TIDIG_COMP_CNT: 0
	.section	.text._ZN7rocprim17ROCPRIM_400000_NS6detail17trampoline_kernelINS0_14default_configENS1_22reduce_config_selectorIlEEZNS1_11reduce_implILb1ES3_N6thrust23THRUST_200600_302600_NS11hip_rocprim26transform_input_iterator_tIlNS8_12zip_iteratorINS8_5tupleINS8_6detail15normal_iteratorINS8_10device_ptrIxEEEESH_NS8_9null_typeESI_SI_SI_SI_SI_SI_SI_EEEENS9_21zip_adj_not_predicateINS8_8equal_toIxEEEEEEPllNS8_4plusIlEEEE10hipError_tPvRmT1_T2_T3_mT4_P12ihipStream_tbEUlT_E0_NS1_11comp_targetILNS1_3genE2ELNS1_11target_archE906ELNS1_3gpuE6ELNS1_3repE0EEENS1_30default_config_static_selectorELNS0_4arch9wavefront6targetE1EEEvSW_,"axG",@progbits,_ZN7rocprim17ROCPRIM_400000_NS6detail17trampoline_kernelINS0_14default_configENS1_22reduce_config_selectorIlEEZNS1_11reduce_implILb1ES3_N6thrust23THRUST_200600_302600_NS11hip_rocprim26transform_input_iterator_tIlNS8_12zip_iteratorINS8_5tupleINS8_6detail15normal_iteratorINS8_10device_ptrIxEEEESH_NS8_9null_typeESI_SI_SI_SI_SI_SI_SI_EEEENS9_21zip_adj_not_predicateINS8_8equal_toIxEEEEEEPllNS8_4plusIlEEEE10hipError_tPvRmT1_T2_T3_mT4_P12ihipStream_tbEUlT_E0_NS1_11comp_targetILNS1_3genE2ELNS1_11target_archE906ELNS1_3gpuE6ELNS1_3repE0EEENS1_30default_config_static_selectorELNS0_4arch9wavefront6targetE1EEEvSW_,comdat
	.protected	_ZN7rocprim17ROCPRIM_400000_NS6detail17trampoline_kernelINS0_14default_configENS1_22reduce_config_selectorIlEEZNS1_11reduce_implILb1ES3_N6thrust23THRUST_200600_302600_NS11hip_rocprim26transform_input_iterator_tIlNS8_12zip_iteratorINS8_5tupleINS8_6detail15normal_iteratorINS8_10device_ptrIxEEEESH_NS8_9null_typeESI_SI_SI_SI_SI_SI_SI_EEEENS9_21zip_adj_not_predicateINS8_8equal_toIxEEEEEEPllNS8_4plusIlEEEE10hipError_tPvRmT1_T2_T3_mT4_P12ihipStream_tbEUlT_E0_NS1_11comp_targetILNS1_3genE2ELNS1_11target_archE906ELNS1_3gpuE6ELNS1_3repE0EEENS1_30default_config_static_selectorELNS0_4arch9wavefront6targetE1EEEvSW_ ; -- Begin function _ZN7rocprim17ROCPRIM_400000_NS6detail17trampoline_kernelINS0_14default_configENS1_22reduce_config_selectorIlEEZNS1_11reduce_implILb1ES3_N6thrust23THRUST_200600_302600_NS11hip_rocprim26transform_input_iterator_tIlNS8_12zip_iteratorINS8_5tupleINS8_6detail15normal_iteratorINS8_10device_ptrIxEEEESH_NS8_9null_typeESI_SI_SI_SI_SI_SI_SI_EEEENS9_21zip_adj_not_predicateINS8_8equal_toIxEEEEEEPllNS8_4plusIlEEEE10hipError_tPvRmT1_T2_T3_mT4_P12ihipStream_tbEUlT_E0_NS1_11comp_targetILNS1_3genE2ELNS1_11target_archE906ELNS1_3gpuE6ELNS1_3repE0EEENS1_30default_config_static_selectorELNS0_4arch9wavefront6targetE1EEEvSW_
	.globl	_ZN7rocprim17ROCPRIM_400000_NS6detail17trampoline_kernelINS0_14default_configENS1_22reduce_config_selectorIlEEZNS1_11reduce_implILb1ES3_N6thrust23THRUST_200600_302600_NS11hip_rocprim26transform_input_iterator_tIlNS8_12zip_iteratorINS8_5tupleINS8_6detail15normal_iteratorINS8_10device_ptrIxEEEESH_NS8_9null_typeESI_SI_SI_SI_SI_SI_SI_EEEENS9_21zip_adj_not_predicateINS8_8equal_toIxEEEEEEPllNS8_4plusIlEEEE10hipError_tPvRmT1_T2_T3_mT4_P12ihipStream_tbEUlT_E0_NS1_11comp_targetILNS1_3genE2ELNS1_11target_archE906ELNS1_3gpuE6ELNS1_3repE0EEENS1_30default_config_static_selectorELNS0_4arch9wavefront6targetE1EEEvSW_
	.p2align	8
	.type	_ZN7rocprim17ROCPRIM_400000_NS6detail17trampoline_kernelINS0_14default_configENS1_22reduce_config_selectorIlEEZNS1_11reduce_implILb1ES3_N6thrust23THRUST_200600_302600_NS11hip_rocprim26transform_input_iterator_tIlNS8_12zip_iteratorINS8_5tupleINS8_6detail15normal_iteratorINS8_10device_ptrIxEEEESH_NS8_9null_typeESI_SI_SI_SI_SI_SI_SI_EEEENS9_21zip_adj_not_predicateINS8_8equal_toIxEEEEEEPllNS8_4plusIlEEEE10hipError_tPvRmT1_T2_T3_mT4_P12ihipStream_tbEUlT_E0_NS1_11comp_targetILNS1_3genE2ELNS1_11target_archE906ELNS1_3gpuE6ELNS1_3repE0EEENS1_30default_config_static_selectorELNS0_4arch9wavefront6targetE1EEEvSW_,@function
_ZN7rocprim17ROCPRIM_400000_NS6detail17trampoline_kernelINS0_14default_configENS1_22reduce_config_selectorIlEEZNS1_11reduce_implILb1ES3_N6thrust23THRUST_200600_302600_NS11hip_rocprim26transform_input_iterator_tIlNS8_12zip_iteratorINS8_5tupleINS8_6detail15normal_iteratorINS8_10device_ptrIxEEEESH_NS8_9null_typeESI_SI_SI_SI_SI_SI_SI_EEEENS9_21zip_adj_not_predicateINS8_8equal_toIxEEEEEEPllNS8_4plusIlEEEE10hipError_tPvRmT1_T2_T3_mT4_P12ihipStream_tbEUlT_E0_NS1_11comp_targetILNS1_3genE2ELNS1_11target_archE906ELNS1_3gpuE6ELNS1_3repE0EEENS1_30default_config_static_selectorELNS0_4arch9wavefront6targetE1EEEvSW_: ; @_ZN7rocprim17ROCPRIM_400000_NS6detail17trampoline_kernelINS0_14default_configENS1_22reduce_config_selectorIlEEZNS1_11reduce_implILb1ES3_N6thrust23THRUST_200600_302600_NS11hip_rocprim26transform_input_iterator_tIlNS8_12zip_iteratorINS8_5tupleINS8_6detail15normal_iteratorINS8_10device_ptrIxEEEESH_NS8_9null_typeESI_SI_SI_SI_SI_SI_SI_EEEENS9_21zip_adj_not_predicateINS8_8equal_toIxEEEEEEPllNS8_4plusIlEEEE10hipError_tPvRmT1_T2_T3_mT4_P12ihipStream_tbEUlT_E0_NS1_11comp_targetILNS1_3genE2ELNS1_11target_archE906ELNS1_3gpuE6ELNS1_3repE0EEENS1_30default_config_static_selectorELNS0_4arch9wavefront6targetE1EEEvSW_
; %bb.0:
	s_load_dwordx8 s[8:15], s[4:5], 0x18
	s_load_dwordx4 s[0:3], s[4:5], 0x0
	s_load_dwordx4 s[16:19], s[4:5], 0x38
	v_lshlrev_b32_e32 v6, 3, v0
	v_mbcnt_lo_u32_b32 v5, -1, 0
	s_waitcnt lgkmcnt(0)
	s_lshl_b64 s[4:5], s[8:9], 3
	s_add_u32 s0, s0, s4
	s_addc_u32 s1, s1, s5
	s_add_u32 s20, s2, s4
	s_addc_u32 s21, s3, s5
	s_lshl_b32 s4, s6, 9
	s_mov_b32 s5, 0
	s_lshr_b64 s[8:9], s[10:11], 9
	s_lshl_b64 s[2:3], s[4:5], 3
	s_add_u32 s0, s0, s2
	s_addc_u32 s1, s1, s3
	s_add_u32 s2, s20, s2
	s_mov_b32 s7, s5
	s_addc_u32 s3, s21, s3
	s_cmp_lg_u64 s[8:9], s[6:7]
	s_cbranch_scc0 .LBB927_6
; %bb.1:
	global_load_dwordx2 v[1:2], v6, s[0:1]
	global_load_dwordx2 v[7:8], v6, s[2:3]
	global_load_dwordx2 v[9:10], v6, s[2:3] offset:2048
	global_load_dwordx2 v[11:12], v6, s[0:1] offset:2048
	v_mov_b32_e32 v4, 0
	v_mbcnt_hi_u32_b32 v3, -1, v5
	s_waitcnt vmcnt(2)
	v_cmp_ne_u64_e32 vcc, v[1:2], v[7:8]
	v_mov_b32_dpp v13, v4 quad_perm:[1,0,3,2] row_mask:0xf bank_mask:0xf bound_ctrl:1
	v_cndmask_b32_e64 v1, 0, 1, vcc
	s_waitcnt vmcnt(0)
	v_cmp_ne_u64_e32 vcc, v[11:12], v[9:10]
	v_lshlrev_b32_e32 v4, 2, v3
	v_addc_co_u32_e32 v1, vcc, 0, v1, vcc
	v_or_b32_e32 v14, 0xfc, v4
	s_nop 0
	v_mov_b32_dpp v2, v1 quad_perm:[1,0,3,2] row_mask:0xf bank_mask:0xf bound_ctrl:1
	v_add_co_u32_e32 v1, vcc, v1, v2
	v_addc_co_u32_e64 v2, s[8:9], 0, 0, vcc
	v_add_co_u32_e32 v7, vcc, 0, v1
	v_addc_co_u32_e32 v2, vcc, v13, v2, vcc
	v_mov_b32_dpp v1, v1 quad_perm:[2,3,0,1] row_mask:0xf bank_mask:0xf bound_ctrl:1
	v_add_co_u32_e32 v1, vcc, v7, v1
	v_mov_b32_dpp v8, v2 quad_perm:[2,3,0,1] row_mask:0xf bank_mask:0xf bound_ctrl:1
	v_addc_co_u32_e32 v2, vcc, 0, v2, vcc
	v_add_co_u32_e32 v7, vcc, 0, v1
	v_addc_co_u32_e32 v2, vcc, v2, v8, vcc
	v_mov_b32_dpp v1, v1 row_ror:4 row_mask:0xf bank_mask:0xf bound_ctrl:1
	v_add_co_u32_e32 v1, vcc, v7, v1
	v_mov_b32_dpp v8, v2 row_ror:4 row_mask:0xf bank_mask:0xf bound_ctrl:1
	v_addc_co_u32_e32 v2, vcc, 0, v2, vcc
	v_add_co_u32_e32 v7, vcc, 0, v1
	v_addc_co_u32_e32 v2, vcc, v2, v8, vcc
	v_mov_b32_dpp v1, v1 row_ror:8 row_mask:0xf bank_mask:0xf bound_ctrl:1
	v_add_co_u32_e32 v1, vcc, v7, v1
	v_mov_b32_dpp v8, v2 row_ror:8 row_mask:0xf bank_mask:0xf bound_ctrl:1
	v_addc_co_u32_e32 v2, vcc, 0, v2, vcc
	v_add_co_u32_e32 v7, vcc, 0, v1
	v_addc_co_u32_e32 v2, vcc, v2, v8, vcc
	v_mov_b32_dpp v1, v1 row_bcast:15 row_mask:0xf bank_mask:0xf bound_ctrl:1
	v_add_co_u32_e32 v1, vcc, v7, v1
	v_mov_b32_dpp v8, v2 row_bcast:15 row_mask:0xf bank_mask:0xf bound_ctrl:1
	v_addc_co_u32_e32 v2, vcc, 0, v2, vcc
	v_add_co_u32_e32 v7, vcc, 0, v1
	v_addc_co_u32_e32 v2, vcc, v2, v8, vcc
	v_mov_b32_dpp v1, v1 row_bcast:31 row_mask:0xf bank_mask:0xf bound_ctrl:1
	v_add_co_u32_e32 v1, vcc, v7, v1
	v_addc_co_u32_e32 v7, vcc, 0, v2, vcc
	ds_bpermute_b32 v1, v14, v1
	s_nop 0
	v_add_u32_dpp v2, v2, v7 row_bcast:31 row_mask:0xf bank_mask:0xf bound_ctrl:1
	ds_bpermute_b32 v2, v14, v2
	v_cmp_eq_u32_e32 vcc, 0, v3
	s_and_saveexec_b64 s[8:9], vcc
	s_cbranch_execz .LBB927_3
; %bb.2:
	v_lshrrev_b32_e32 v7, 3, v0
	v_and_b32_e32 v7, 24, v7
	s_waitcnt lgkmcnt(0)
	ds_write_b64 v7, v[1:2]
.LBB927_3:
	s_or_b64 exec, exec, s[8:9]
	v_cmp_gt_u32_e32 vcc, 64, v0
	s_waitcnt lgkmcnt(0)
	s_barrier
	s_and_saveexec_b64 s[8:9], vcc
	s_cbranch_execz .LBB927_5
; %bb.4:
	v_and_b32_e32 v7, 3, v3
	v_lshlrev_b32_e32 v1, 3, v7
	ds_read_b64 v[1:2], v1
	v_cmp_ne_u32_e32 vcc, 3, v7
	v_addc_co_u32_e32 v3, vcc, 0, v3, vcc
	v_lshlrev_b32_e32 v3, 2, v3
	s_waitcnt lgkmcnt(0)
	ds_bpermute_b32 v7, v3, v1
	ds_bpermute_b32 v3, v3, v2
	v_or_b32_e32 v4, 8, v4
	s_waitcnt lgkmcnt(1)
	v_add_co_u32_e32 v1, vcc, v1, v7
	v_addc_co_u32_e32 v2, vcc, 0, v2, vcc
	ds_bpermute_b32 v7, v4, v1
	v_add_co_u32_e32 v1, vcc, 0, v1
	s_waitcnt lgkmcnt(1)
	v_addc_co_u32_e32 v2, vcc, v3, v2, vcc
	ds_bpermute_b32 v3, v4, v2
	s_waitcnt lgkmcnt(1)
	v_add_co_u32_e32 v1, vcc, v1, v7
	v_addc_co_u32_e32 v2, vcc, 0, v2, vcc
	v_add_co_u32_e32 v1, vcc, 0, v1
	s_waitcnt lgkmcnt(0)
	v_addc_co_u32_e32 v2, vcc, v2, v3, vcc
.LBB927_5:
	s_or_b64 exec, exec, s[8:9]
	s_branch .LBB927_28
.LBB927_6:
                                        ; implicit-def: $vgpr1_vgpr2
	s_cbranch_execz .LBB927_28
; %bb.7:
	s_sub_i32 s8, s10, s4
	v_mov_b32_e32 v1, 0
	v_cmp_gt_u32_e32 vcc, s8, v0
	v_mov_b32_e32 v2, v1
	v_mov_b32_e32 v3, v1
	v_mov_b32_e32 v4, v1
	s_and_saveexec_b64 s[4:5], vcc
	s_cbranch_execz .LBB927_9
; %bb.8:
	global_load_dwordx2 v[2:3], v6, s[0:1]
	global_load_dwordx2 v[10:11], v6, s[2:3]
	v_mov_b32_e32 v8, v1
	v_mov_b32_e32 v9, v1
	s_waitcnt vmcnt(0)
	v_cmp_ne_u64_e32 vcc, v[2:3], v[10:11]
	v_mov_b32_e32 v10, v1
	v_cndmask_b32_e64 v2, 0, 1, vcc
	v_and_b32_e32 v7, 0xffff, v2
	v_mov_b32_e32 v1, v7
	v_mov_b32_e32 v2, v8
	v_mov_b32_e32 v3, v9
	v_mov_b32_e32 v4, v10
.LBB927_9:
	s_or_b64 exec, exec, s[4:5]
	v_or_b32_e32 v7, 0x100, v0
	v_cmp_gt_u32_e32 vcc, s8, v7
	s_and_saveexec_b64 s[4:5], vcc
	s_cbranch_execz .LBB927_11
; %bb.10:
	global_load_dwordx2 v[3:4], v6, s[0:1] offset:2048
	global_load_dwordx2 v[7:8], v6, s[2:3] offset:2048
	s_mov_b32 s2, 0
	s_waitcnt vmcnt(0)
	v_cmp_ne_u64_e64 s[0:1], v[3:4], v[7:8]
	v_mov_b32_e32 v4, s2
	v_cndmask_b32_e64 v3, 0, 1, s[0:1]
.LBB927_11:
	s_or_b64 exec, exec, s[4:5]
	v_cndmask_b32_e32 v3, 0, v3, vcc
	v_cndmask_b32_e32 v4, 0, v4, vcc
	v_add_co_u32_e32 v1, vcc, v3, v1
	v_mbcnt_hi_u32_b32 v3, -1, v5
	v_addc_co_u32_e32 v2, vcc, v4, v2, vcc
	v_and_b32_e32 v4, 63, v3
	v_cmp_ne_u32_e32 vcc, 63, v4
	v_addc_co_u32_e32 v6, vcc, 0, v3, vcc
	v_lshlrev_b32_e32 v6, 2, v6
	ds_bpermute_b32 v8, v6, v1
	ds_bpermute_b32 v7, v6, v2
	s_min_u32 s2, s8, 0x100
	v_and_b32_e32 v5, 0xc0, v0
	v_sub_u32_e64 v5, s2, v5 clamp
	v_add_u32_e32 v6, 1, v4
	v_cmp_lt_u32_e32 vcc, v6, v5
	v_mov_b32_e32 v6, v1
	s_and_saveexec_b64 s[0:1], vcc
	s_cbranch_execz .LBB927_13
; %bb.12:
	s_waitcnt lgkmcnt(1)
	v_add_co_u32_e32 v6, vcc, v1, v8
	v_addc_co_u32_e32 v2, vcc, 0, v2, vcc
	v_add_co_u32_e32 v1, vcc, 0, v6
	s_waitcnt lgkmcnt(0)
	v_addc_co_u32_e32 v2, vcc, v7, v2, vcc
.LBB927_13:
	s_or_b64 exec, exec, s[0:1]
	v_cmp_gt_u32_e32 vcc, 62, v4
	s_waitcnt lgkmcnt(0)
	v_cndmask_b32_e64 v7, 0, 2, vcc
	v_add_lshl_u32 v7, v7, v3, 2
	ds_bpermute_b32 v8, v7, v6
	ds_bpermute_b32 v7, v7, v2
	v_add_u32_e32 v9, 2, v4
	v_cmp_lt_u32_e32 vcc, v9, v5
	s_and_saveexec_b64 s[0:1], vcc
	s_cbranch_execz .LBB927_15
; %bb.14:
	s_waitcnt lgkmcnt(1)
	v_add_co_u32_e32 v6, vcc, v1, v8
	v_addc_co_u32_e32 v2, vcc, 0, v2, vcc
	v_add_co_u32_e32 v1, vcc, 0, v6
	s_waitcnt lgkmcnt(0)
	v_addc_co_u32_e32 v2, vcc, v7, v2, vcc
.LBB927_15:
	s_or_b64 exec, exec, s[0:1]
	v_cmp_gt_u32_e32 vcc, 60, v4
	s_waitcnt lgkmcnt(0)
	v_cndmask_b32_e64 v7, 0, 4, vcc
	v_add_lshl_u32 v7, v7, v3, 2
	ds_bpermute_b32 v8, v7, v6
	ds_bpermute_b32 v7, v7, v2
	v_add_u32_e32 v9, 4, v4
	v_cmp_lt_u32_e32 vcc, v9, v5
	s_and_saveexec_b64 s[0:1], vcc
	s_cbranch_execz .LBB927_17
; %bb.16:
	s_waitcnt lgkmcnt(1)
	v_add_co_u32_e32 v6, vcc, v1, v8
	v_addc_co_u32_e32 v2, vcc, 0, v2, vcc
	v_add_co_u32_e32 v1, vcc, 0, v6
	s_waitcnt lgkmcnt(0)
	v_addc_co_u32_e32 v2, vcc, v7, v2, vcc
.LBB927_17:
	s_or_b64 exec, exec, s[0:1]
	v_cmp_gt_u32_e32 vcc, 56, v4
	s_waitcnt lgkmcnt(0)
	v_cndmask_b32_e64 v7, 0, 8, vcc
	v_add_lshl_u32 v7, v7, v3, 2
	ds_bpermute_b32 v8, v7, v6
	ds_bpermute_b32 v7, v7, v2
	v_add_u32_e32 v9, 8, v4
	v_cmp_lt_u32_e32 vcc, v9, v5
	s_and_saveexec_b64 s[0:1], vcc
	s_cbranch_execz .LBB927_19
; %bb.18:
	s_waitcnt lgkmcnt(1)
	v_add_co_u32_e32 v6, vcc, v1, v8
	v_addc_co_u32_e32 v2, vcc, 0, v2, vcc
	v_add_co_u32_e32 v1, vcc, 0, v6
	s_waitcnt lgkmcnt(0)
	v_addc_co_u32_e32 v2, vcc, v7, v2, vcc
.LBB927_19:
	s_or_b64 exec, exec, s[0:1]
	v_cmp_gt_u32_e32 vcc, 48, v4
	s_waitcnt lgkmcnt(0)
	v_cndmask_b32_e64 v7, 0, 16, vcc
	v_add_lshl_u32 v7, v7, v3, 2
	ds_bpermute_b32 v8, v7, v6
	ds_bpermute_b32 v7, v7, v2
	v_add_u32_e32 v9, 16, v4
	v_cmp_lt_u32_e32 vcc, v9, v5
	s_and_saveexec_b64 s[0:1], vcc
	s_cbranch_execz .LBB927_21
; %bb.20:
	s_waitcnt lgkmcnt(1)
	v_add_co_u32_e32 v6, vcc, v1, v8
	v_addc_co_u32_e32 v2, vcc, 0, v2, vcc
	v_add_co_u32_e32 v1, vcc, 0, v6
	s_waitcnt lgkmcnt(0)
	v_addc_co_u32_e32 v2, vcc, v7, v2, vcc
.LBB927_21:
	s_or_b64 exec, exec, s[0:1]
	s_waitcnt lgkmcnt(0)
	v_lshlrev_b32_e32 v7, 2, v3
	v_or_b32_e32 v8, 0x80, v7
	ds_bpermute_b32 v6, v8, v6
	ds_bpermute_b32 v8, v8, v2
	v_add_u32_e32 v4, 32, v4
	s_waitcnt lgkmcnt(1)
	v_add_co_u32_e32 v6, vcc, v1, v6
	v_addc_co_u32_e32 v9, vcc, 0, v2, vcc
	v_add_co_u32_e32 v6, vcc, 0, v6
	s_waitcnt lgkmcnt(0)
	v_addc_co_u32_e32 v8, vcc, v9, v8, vcc
	v_cmp_lt_u32_e32 vcc, v4, v5
	v_cndmask_b32_e32 v2, v2, v8, vcc
	v_cndmask_b32_e32 v1, v1, v6, vcc
	v_cmp_eq_u32_e32 vcc, 0, v3
	s_and_saveexec_b64 s[0:1], vcc
; %bb.22:
	v_lshrrev_b32_e32 v4, 3, v0
	v_and_b32_e32 v4, 24, v4
	ds_write_b64 v4, v[1:2] offset:32
; %bb.23:
	s_or_b64 exec, exec, s[0:1]
	v_cmp_gt_u32_e32 vcc, 4, v0
	s_waitcnt lgkmcnt(0)
	s_barrier
	s_and_saveexec_b64 s[0:1], vcc
	s_cbranch_execz .LBB927_27
; %bb.24:
	v_lshlrev_b32_e32 v1, 3, v3
	ds_read_b64 v[1:2], v1 offset:32
	v_and_b32_e32 v4, 3, v3
	v_cmp_ne_u32_e32 vcc, 3, v4
	v_addc_co_u32_e32 v3, vcc, 0, v3, vcc
	v_lshlrev_b32_e32 v3, 2, v3
	s_waitcnt lgkmcnt(0)
	ds_bpermute_b32 v6, v3, v1
	ds_bpermute_b32 v5, v3, v2
	s_add_i32 s2, s2, 63
	s_lshr_b32 s4, s2, 6
	v_add_u32_e32 v3, 1, v4
	v_cmp_gt_u32_e32 vcc, s4, v3
	v_mov_b32_e32 v3, v1
	s_and_saveexec_b64 s[2:3], vcc
	s_cbranch_execz .LBB927_26
; %bb.25:
	s_waitcnt lgkmcnt(1)
	v_add_co_u32_e32 v3, vcc, v1, v6
	v_addc_co_u32_e32 v2, vcc, 0, v2, vcc
	v_add_co_u32_e32 v1, vcc, 0, v3
	s_waitcnt lgkmcnt(0)
	v_addc_co_u32_e32 v2, vcc, v5, v2, vcc
.LBB927_26:
	s_or_b64 exec, exec, s[2:3]
	s_waitcnt lgkmcnt(0)
	v_or_b32_e32 v5, 8, v7
	ds_bpermute_b32 v3, v5, v3
	ds_bpermute_b32 v5, v5, v2
	v_add_u32_e32 v4, 2, v4
	s_waitcnt lgkmcnt(1)
	v_add_co_u32_e32 v3, vcc, v1, v3
	v_addc_co_u32_e32 v6, vcc, 0, v2, vcc
	v_add_co_u32_e32 v3, vcc, 0, v3
	s_waitcnt lgkmcnt(0)
	v_addc_co_u32_e32 v5, vcc, v6, v5, vcc
	v_cmp_gt_u32_e32 vcc, s4, v4
	v_cndmask_b32_e32 v2, v2, v5, vcc
	v_cndmask_b32_e32 v1, v1, v3, vcc
.LBB927_27:
	s_or_b64 exec, exec, s[0:1]
.LBB927_28:
	v_cmp_eq_u32_e32 vcc, 0, v0
	s_and_saveexec_b64 s[0:1], vcc
	s_cbranch_execnz .LBB927_30
; %bb.29:
	s_endpgm
.LBB927_30:
	s_mul_i32 s0, s16, s15
	s_mul_hi_u32 s1, s16, s14
	s_add_i32 s0, s1, s0
	s_mul_i32 s1, s17, s14
	s_add_i32 s1, s0, s1
	s_mul_i32 s0, s16, s14
	s_lshl_b64 s[0:1], s[0:1], 3
	s_add_u32 s2, s12, s0
	s_addc_u32 s3, s13, s1
	s_cmp_eq_u64 s[10:11], 0
	v_mov_b32_e32 v0, s19
	s_cselect_b64 vcc, -1, 0
	s_lshl_b64 s[0:1], s[6:7], 3
	v_cndmask_b32_e32 v2, v2, v0, vcc
	v_mov_b32_e32 v0, s18
	s_add_u32 s0, s2, s0
	v_cndmask_b32_e32 v1, v1, v0, vcc
	s_addc_u32 s1, s3, s1
	v_mov_b32_e32 v0, 0
	global_store_dwordx2 v0, v[1:2], s[0:1]
	s_endpgm
	.section	.rodata,"a",@progbits
	.p2align	6, 0x0
	.amdhsa_kernel _ZN7rocprim17ROCPRIM_400000_NS6detail17trampoline_kernelINS0_14default_configENS1_22reduce_config_selectorIlEEZNS1_11reduce_implILb1ES3_N6thrust23THRUST_200600_302600_NS11hip_rocprim26transform_input_iterator_tIlNS8_12zip_iteratorINS8_5tupleINS8_6detail15normal_iteratorINS8_10device_ptrIxEEEESH_NS8_9null_typeESI_SI_SI_SI_SI_SI_SI_EEEENS9_21zip_adj_not_predicateINS8_8equal_toIxEEEEEEPllNS8_4plusIlEEEE10hipError_tPvRmT1_T2_T3_mT4_P12ihipStream_tbEUlT_E0_NS1_11comp_targetILNS1_3genE2ELNS1_11target_archE906ELNS1_3gpuE6ELNS1_3repE0EEENS1_30default_config_static_selectorELNS0_4arch9wavefront6targetE1EEEvSW_
		.amdhsa_group_segment_fixed_size 64
		.amdhsa_private_segment_fixed_size 0
		.amdhsa_kernarg_size 80
		.amdhsa_user_sgpr_count 6
		.amdhsa_user_sgpr_private_segment_buffer 1
		.amdhsa_user_sgpr_dispatch_ptr 0
		.amdhsa_user_sgpr_queue_ptr 0
		.amdhsa_user_sgpr_kernarg_segment_ptr 1
		.amdhsa_user_sgpr_dispatch_id 0
		.amdhsa_user_sgpr_flat_scratch_init 0
		.amdhsa_user_sgpr_private_segment_size 0
		.amdhsa_uses_dynamic_stack 0
		.amdhsa_system_sgpr_private_segment_wavefront_offset 0
		.amdhsa_system_sgpr_workgroup_id_x 1
		.amdhsa_system_sgpr_workgroup_id_y 0
		.amdhsa_system_sgpr_workgroup_id_z 0
		.amdhsa_system_sgpr_workgroup_info 0
		.amdhsa_system_vgpr_workitem_id 0
		.amdhsa_next_free_vgpr 15
		.amdhsa_next_free_sgpr 22
		.amdhsa_reserve_vcc 1
		.amdhsa_reserve_flat_scratch 0
		.amdhsa_float_round_mode_32 0
		.amdhsa_float_round_mode_16_64 0
		.amdhsa_float_denorm_mode_32 3
		.amdhsa_float_denorm_mode_16_64 3
		.amdhsa_dx10_clamp 1
		.amdhsa_ieee_mode 1
		.amdhsa_fp16_overflow 0
		.amdhsa_exception_fp_ieee_invalid_op 0
		.amdhsa_exception_fp_denorm_src 0
		.amdhsa_exception_fp_ieee_div_zero 0
		.amdhsa_exception_fp_ieee_overflow 0
		.amdhsa_exception_fp_ieee_underflow 0
		.amdhsa_exception_fp_ieee_inexact 0
		.amdhsa_exception_int_div_zero 0
	.end_amdhsa_kernel
	.section	.text._ZN7rocprim17ROCPRIM_400000_NS6detail17trampoline_kernelINS0_14default_configENS1_22reduce_config_selectorIlEEZNS1_11reduce_implILb1ES3_N6thrust23THRUST_200600_302600_NS11hip_rocprim26transform_input_iterator_tIlNS8_12zip_iteratorINS8_5tupleINS8_6detail15normal_iteratorINS8_10device_ptrIxEEEESH_NS8_9null_typeESI_SI_SI_SI_SI_SI_SI_EEEENS9_21zip_adj_not_predicateINS8_8equal_toIxEEEEEEPllNS8_4plusIlEEEE10hipError_tPvRmT1_T2_T3_mT4_P12ihipStream_tbEUlT_E0_NS1_11comp_targetILNS1_3genE2ELNS1_11target_archE906ELNS1_3gpuE6ELNS1_3repE0EEENS1_30default_config_static_selectorELNS0_4arch9wavefront6targetE1EEEvSW_,"axG",@progbits,_ZN7rocprim17ROCPRIM_400000_NS6detail17trampoline_kernelINS0_14default_configENS1_22reduce_config_selectorIlEEZNS1_11reduce_implILb1ES3_N6thrust23THRUST_200600_302600_NS11hip_rocprim26transform_input_iterator_tIlNS8_12zip_iteratorINS8_5tupleINS8_6detail15normal_iteratorINS8_10device_ptrIxEEEESH_NS8_9null_typeESI_SI_SI_SI_SI_SI_SI_EEEENS9_21zip_adj_not_predicateINS8_8equal_toIxEEEEEEPllNS8_4plusIlEEEE10hipError_tPvRmT1_T2_T3_mT4_P12ihipStream_tbEUlT_E0_NS1_11comp_targetILNS1_3genE2ELNS1_11target_archE906ELNS1_3gpuE6ELNS1_3repE0EEENS1_30default_config_static_selectorELNS0_4arch9wavefront6targetE1EEEvSW_,comdat
.Lfunc_end927:
	.size	_ZN7rocprim17ROCPRIM_400000_NS6detail17trampoline_kernelINS0_14default_configENS1_22reduce_config_selectorIlEEZNS1_11reduce_implILb1ES3_N6thrust23THRUST_200600_302600_NS11hip_rocprim26transform_input_iterator_tIlNS8_12zip_iteratorINS8_5tupleINS8_6detail15normal_iteratorINS8_10device_ptrIxEEEESH_NS8_9null_typeESI_SI_SI_SI_SI_SI_SI_EEEENS9_21zip_adj_not_predicateINS8_8equal_toIxEEEEEEPllNS8_4plusIlEEEE10hipError_tPvRmT1_T2_T3_mT4_P12ihipStream_tbEUlT_E0_NS1_11comp_targetILNS1_3genE2ELNS1_11target_archE906ELNS1_3gpuE6ELNS1_3repE0EEENS1_30default_config_static_selectorELNS0_4arch9wavefront6targetE1EEEvSW_, .Lfunc_end927-_ZN7rocprim17ROCPRIM_400000_NS6detail17trampoline_kernelINS0_14default_configENS1_22reduce_config_selectorIlEEZNS1_11reduce_implILb1ES3_N6thrust23THRUST_200600_302600_NS11hip_rocprim26transform_input_iterator_tIlNS8_12zip_iteratorINS8_5tupleINS8_6detail15normal_iteratorINS8_10device_ptrIxEEEESH_NS8_9null_typeESI_SI_SI_SI_SI_SI_SI_EEEENS9_21zip_adj_not_predicateINS8_8equal_toIxEEEEEEPllNS8_4plusIlEEEE10hipError_tPvRmT1_T2_T3_mT4_P12ihipStream_tbEUlT_E0_NS1_11comp_targetILNS1_3genE2ELNS1_11target_archE906ELNS1_3gpuE6ELNS1_3repE0EEENS1_30default_config_static_selectorELNS0_4arch9wavefront6targetE1EEEvSW_
                                        ; -- End function
	.set _ZN7rocprim17ROCPRIM_400000_NS6detail17trampoline_kernelINS0_14default_configENS1_22reduce_config_selectorIlEEZNS1_11reduce_implILb1ES3_N6thrust23THRUST_200600_302600_NS11hip_rocprim26transform_input_iterator_tIlNS8_12zip_iteratorINS8_5tupleINS8_6detail15normal_iteratorINS8_10device_ptrIxEEEESH_NS8_9null_typeESI_SI_SI_SI_SI_SI_SI_EEEENS9_21zip_adj_not_predicateINS8_8equal_toIxEEEEEEPllNS8_4plusIlEEEE10hipError_tPvRmT1_T2_T3_mT4_P12ihipStream_tbEUlT_E0_NS1_11comp_targetILNS1_3genE2ELNS1_11target_archE906ELNS1_3gpuE6ELNS1_3repE0EEENS1_30default_config_static_selectorELNS0_4arch9wavefront6targetE1EEEvSW_.num_vgpr, 15
	.set _ZN7rocprim17ROCPRIM_400000_NS6detail17trampoline_kernelINS0_14default_configENS1_22reduce_config_selectorIlEEZNS1_11reduce_implILb1ES3_N6thrust23THRUST_200600_302600_NS11hip_rocprim26transform_input_iterator_tIlNS8_12zip_iteratorINS8_5tupleINS8_6detail15normal_iteratorINS8_10device_ptrIxEEEESH_NS8_9null_typeESI_SI_SI_SI_SI_SI_SI_EEEENS9_21zip_adj_not_predicateINS8_8equal_toIxEEEEEEPllNS8_4plusIlEEEE10hipError_tPvRmT1_T2_T3_mT4_P12ihipStream_tbEUlT_E0_NS1_11comp_targetILNS1_3genE2ELNS1_11target_archE906ELNS1_3gpuE6ELNS1_3repE0EEENS1_30default_config_static_selectorELNS0_4arch9wavefront6targetE1EEEvSW_.num_agpr, 0
	.set _ZN7rocprim17ROCPRIM_400000_NS6detail17trampoline_kernelINS0_14default_configENS1_22reduce_config_selectorIlEEZNS1_11reduce_implILb1ES3_N6thrust23THRUST_200600_302600_NS11hip_rocprim26transform_input_iterator_tIlNS8_12zip_iteratorINS8_5tupleINS8_6detail15normal_iteratorINS8_10device_ptrIxEEEESH_NS8_9null_typeESI_SI_SI_SI_SI_SI_SI_EEEENS9_21zip_adj_not_predicateINS8_8equal_toIxEEEEEEPllNS8_4plusIlEEEE10hipError_tPvRmT1_T2_T3_mT4_P12ihipStream_tbEUlT_E0_NS1_11comp_targetILNS1_3genE2ELNS1_11target_archE906ELNS1_3gpuE6ELNS1_3repE0EEENS1_30default_config_static_selectorELNS0_4arch9wavefront6targetE1EEEvSW_.numbered_sgpr, 22
	.set _ZN7rocprim17ROCPRIM_400000_NS6detail17trampoline_kernelINS0_14default_configENS1_22reduce_config_selectorIlEEZNS1_11reduce_implILb1ES3_N6thrust23THRUST_200600_302600_NS11hip_rocprim26transform_input_iterator_tIlNS8_12zip_iteratorINS8_5tupleINS8_6detail15normal_iteratorINS8_10device_ptrIxEEEESH_NS8_9null_typeESI_SI_SI_SI_SI_SI_SI_EEEENS9_21zip_adj_not_predicateINS8_8equal_toIxEEEEEEPllNS8_4plusIlEEEE10hipError_tPvRmT1_T2_T3_mT4_P12ihipStream_tbEUlT_E0_NS1_11comp_targetILNS1_3genE2ELNS1_11target_archE906ELNS1_3gpuE6ELNS1_3repE0EEENS1_30default_config_static_selectorELNS0_4arch9wavefront6targetE1EEEvSW_.num_named_barrier, 0
	.set _ZN7rocprim17ROCPRIM_400000_NS6detail17trampoline_kernelINS0_14default_configENS1_22reduce_config_selectorIlEEZNS1_11reduce_implILb1ES3_N6thrust23THRUST_200600_302600_NS11hip_rocprim26transform_input_iterator_tIlNS8_12zip_iteratorINS8_5tupleINS8_6detail15normal_iteratorINS8_10device_ptrIxEEEESH_NS8_9null_typeESI_SI_SI_SI_SI_SI_SI_EEEENS9_21zip_adj_not_predicateINS8_8equal_toIxEEEEEEPllNS8_4plusIlEEEE10hipError_tPvRmT1_T2_T3_mT4_P12ihipStream_tbEUlT_E0_NS1_11comp_targetILNS1_3genE2ELNS1_11target_archE906ELNS1_3gpuE6ELNS1_3repE0EEENS1_30default_config_static_selectorELNS0_4arch9wavefront6targetE1EEEvSW_.private_seg_size, 0
	.set _ZN7rocprim17ROCPRIM_400000_NS6detail17trampoline_kernelINS0_14default_configENS1_22reduce_config_selectorIlEEZNS1_11reduce_implILb1ES3_N6thrust23THRUST_200600_302600_NS11hip_rocprim26transform_input_iterator_tIlNS8_12zip_iteratorINS8_5tupleINS8_6detail15normal_iteratorINS8_10device_ptrIxEEEESH_NS8_9null_typeESI_SI_SI_SI_SI_SI_SI_EEEENS9_21zip_adj_not_predicateINS8_8equal_toIxEEEEEEPllNS8_4plusIlEEEE10hipError_tPvRmT1_T2_T3_mT4_P12ihipStream_tbEUlT_E0_NS1_11comp_targetILNS1_3genE2ELNS1_11target_archE906ELNS1_3gpuE6ELNS1_3repE0EEENS1_30default_config_static_selectorELNS0_4arch9wavefront6targetE1EEEvSW_.uses_vcc, 1
	.set _ZN7rocprim17ROCPRIM_400000_NS6detail17trampoline_kernelINS0_14default_configENS1_22reduce_config_selectorIlEEZNS1_11reduce_implILb1ES3_N6thrust23THRUST_200600_302600_NS11hip_rocprim26transform_input_iterator_tIlNS8_12zip_iteratorINS8_5tupleINS8_6detail15normal_iteratorINS8_10device_ptrIxEEEESH_NS8_9null_typeESI_SI_SI_SI_SI_SI_SI_EEEENS9_21zip_adj_not_predicateINS8_8equal_toIxEEEEEEPllNS8_4plusIlEEEE10hipError_tPvRmT1_T2_T3_mT4_P12ihipStream_tbEUlT_E0_NS1_11comp_targetILNS1_3genE2ELNS1_11target_archE906ELNS1_3gpuE6ELNS1_3repE0EEENS1_30default_config_static_selectorELNS0_4arch9wavefront6targetE1EEEvSW_.uses_flat_scratch, 0
	.set _ZN7rocprim17ROCPRIM_400000_NS6detail17trampoline_kernelINS0_14default_configENS1_22reduce_config_selectorIlEEZNS1_11reduce_implILb1ES3_N6thrust23THRUST_200600_302600_NS11hip_rocprim26transform_input_iterator_tIlNS8_12zip_iteratorINS8_5tupleINS8_6detail15normal_iteratorINS8_10device_ptrIxEEEESH_NS8_9null_typeESI_SI_SI_SI_SI_SI_SI_EEEENS9_21zip_adj_not_predicateINS8_8equal_toIxEEEEEEPllNS8_4plusIlEEEE10hipError_tPvRmT1_T2_T3_mT4_P12ihipStream_tbEUlT_E0_NS1_11comp_targetILNS1_3genE2ELNS1_11target_archE906ELNS1_3gpuE6ELNS1_3repE0EEENS1_30default_config_static_selectorELNS0_4arch9wavefront6targetE1EEEvSW_.has_dyn_sized_stack, 0
	.set _ZN7rocprim17ROCPRIM_400000_NS6detail17trampoline_kernelINS0_14default_configENS1_22reduce_config_selectorIlEEZNS1_11reduce_implILb1ES3_N6thrust23THRUST_200600_302600_NS11hip_rocprim26transform_input_iterator_tIlNS8_12zip_iteratorINS8_5tupleINS8_6detail15normal_iteratorINS8_10device_ptrIxEEEESH_NS8_9null_typeESI_SI_SI_SI_SI_SI_SI_EEEENS9_21zip_adj_not_predicateINS8_8equal_toIxEEEEEEPllNS8_4plusIlEEEE10hipError_tPvRmT1_T2_T3_mT4_P12ihipStream_tbEUlT_E0_NS1_11comp_targetILNS1_3genE2ELNS1_11target_archE906ELNS1_3gpuE6ELNS1_3repE0EEENS1_30default_config_static_selectorELNS0_4arch9wavefront6targetE1EEEvSW_.has_recursion, 0
	.set _ZN7rocprim17ROCPRIM_400000_NS6detail17trampoline_kernelINS0_14default_configENS1_22reduce_config_selectorIlEEZNS1_11reduce_implILb1ES3_N6thrust23THRUST_200600_302600_NS11hip_rocprim26transform_input_iterator_tIlNS8_12zip_iteratorINS8_5tupleINS8_6detail15normal_iteratorINS8_10device_ptrIxEEEESH_NS8_9null_typeESI_SI_SI_SI_SI_SI_SI_EEEENS9_21zip_adj_not_predicateINS8_8equal_toIxEEEEEEPllNS8_4plusIlEEEE10hipError_tPvRmT1_T2_T3_mT4_P12ihipStream_tbEUlT_E0_NS1_11comp_targetILNS1_3genE2ELNS1_11target_archE906ELNS1_3gpuE6ELNS1_3repE0EEENS1_30default_config_static_selectorELNS0_4arch9wavefront6targetE1EEEvSW_.has_indirect_call, 0
	.section	.AMDGPU.csdata,"",@progbits
; Kernel info:
; codeLenInByte = 1616
; TotalNumSgprs: 26
; NumVgprs: 15
; ScratchSize: 0
; MemoryBound: 0
; FloatMode: 240
; IeeeMode: 1
; LDSByteSize: 64 bytes/workgroup (compile time only)
; SGPRBlocks: 3
; VGPRBlocks: 3
; NumSGPRsForWavesPerEU: 26
; NumVGPRsForWavesPerEU: 15
; Occupancy: 10
; WaveLimiterHint : 0
; COMPUTE_PGM_RSRC2:SCRATCH_EN: 0
; COMPUTE_PGM_RSRC2:USER_SGPR: 6
; COMPUTE_PGM_RSRC2:TRAP_HANDLER: 0
; COMPUTE_PGM_RSRC2:TGID_X_EN: 1
; COMPUTE_PGM_RSRC2:TGID_Y_EN: 0
; COMPUTE_PGM_RSRC2:TGID_Z_EN: 0
; COMPUTE_PGM_RSRC2:TIDIG_COMP_CNT: 0
	.section	.text._ZN7rocprim17ROCPRIM_400000_NS6detail17trampoline_kernelINS0_14default_configENS1_22reduce_config_selectorIlEEZNS1_11reduce_implILb1ES3_N6thrust23THRUST_200600_302600_NS11hip_rocprim26transform_input_iterator_tIlNS8_12zip_iteratorINS8_5tupleINS8_6detail15normal_iteratorINS8_10device_ptrIxEEEESH_NS8_9null_typeESI_SI_SI_SI_SI_SI_SI_EEEENS9_21zip_adj_not_predicateINS8_8equal_toIxEEEEEEPllNS8_4plusIlEEEE10hipError_tPvRmT1_T2_T3_mT4_P12ihipStream_tbEUlT_E0_NS1_11comp_targetILNS1_3genE10ELNS1_11target_archE1201ELNS1_3gpuE5ELNS1_3repE0EEENS1_30default_config_static_selectorELNS0_4arch9wavefront6targetE1EEEvSW_,"axG",@progbits,_ZN7rocprim17ROCPRIM_400000_NS6detail17trampoline_kernelINS0_14default_configENS1_22reduce_config_selectorIlEEZNS1_11reduce_implILb1ES3_N6thrust23THRUST_200600_302600_NS11hip_rocprim26transform_input_iterator_tIlNS8_12zip_iteratorINS8_5tupleINS8_6detail15normal_iteratorINS8_10device_ptrIxEEEESH_NS8_9null_typeESI_SI_SI_SI_SI_SI_SI_EEEENS9_21zip_adj_not_predicateINS8_8equal_toIxEEEEEEPllNS8_4plusIlEEEE10hipError_tPvRmT1_T2_T3_mT4_P12ihipStream_tbEUlT_E0_NS1_11comp_targetILNS1_3genE10ELNS1_11target_archE1201ELNS1_3gpuE5ELNS1_3repE0EEENS1_30default_config_static_selectorELNS0_4arch9wavefront6targetE1EEEvSW_,comdat
	.protected	_ZN7rocprim17ROCPRIM_400000_NS6detail17trampoline_kernelINS0_14default_configENS1_22reduce_config_selectorIlEEZNS1_11reduce_implILb1ES3_N6thrust23THRUST_200600_302600_NS11hip_rocprim26transform_input_iterator_tIlNS8_12zip_iteratorINS8_5tupleINS8_6detail15normal_iteratorINS8_10device_ptrIxEEEESH_NS8_9null_typeESI_SI_SI_SI_SI_SI_SI_EEEENS9_21zip_adj_not_predicateINS8_8equal_toIxEEEEEEPllNS8_4plusIlEEEE10hipError_tPvRmT1_T2_T3_mT4_P12ihipStream_tbEUlT_E0_NS1_11comp_targetILNS1_3genE10ELNS1_11target_archE1201ELNS1_3gpuE5ELNS1_3repE0EEENS1_30default_config_static_selectorELNS0_4arch9wavefront6targetE1EEEvSW_ ; -- Begin function _ZN7rocprim17ROCPRIM_400000_NS6detail17trampoline_kernelINS0_14default_configENS1_22reduce_config_selectorIlEEZNS1_11reduce_implILb1ES3_N6thrust23THRUST_200600_302600_NS11hip_rocprim26transform_input_iterator_tIlNS8_12zip_iteratorINS8_5tupleINS8_6detail15normal_iteratorINS8_10device_ptrIxEEEESH_NS8_9null_typeESI_SI_SI_SI_SI_SI_SI_EEEENS9_21zip_adj_not_predicateINS8_8equal_toIxEEEEEEPllNS8_4plusIlEEEE10hipError_tPvRmT1_T2_T3_mT4_P12ihipStream_tbEUlT_E0_NS1_11comp_targetILNS1_3genE10ELNS1_11target_archE1201ELNS1_3gpuE5ELNS1_3repE0EEENS1_30default_config_static_selectorELNS0_4arch9wavefront6targetE1EEEvSW_
	.globl	_ZN7rocprim17ROCPRIM_400000_NS6detail17trampoline_kernelINS0_14default_configENS1_22reduce_config_selectorIlEEZNS1_11reduce_implILb1ES3_N6thrust23THRUST_200600_302600_NS11hip_rocprim26transform_input_iterator_tIlNS8_12zip_iteratorINS8_5tupleINS8_6detail15normal_iteratorINS8_10device_ptrIxEEEESH_NS8_9null_typeESI_SI_SI_SI_SI_SI_SI_EEEENS9_21zip_adj_not_predicateINS8_8equal_toIxEEEEEEPllNS8_4plusIlEEEE10hipError_tPvRmT1_T2_T3_mT4_P12ihipStream_tbEUlT_E0_NS1_11comp_targetILNS1_3genE10ELNS1_11target_archE1201ELNS1_3gpuE5ELNS1_3repE0EEENS1_30default_config_static_selectorELNS0_4arch9wavefront6targetE1EEEvSW_
	.p2align	8
	.type	_ZN7rocprim17ROCPRIM_400000_NS6detail17trampoline_kernelINS0_14default_configENS1_22reduce_config_selectorIlEEZNS1_11reduce_implILb1ES3_N6thrust23THRUST_200600_302600_NS11hip_rocprim26transform_input_iterator_tIlNS8_12zip_iteratorINS8_5tupleINS8_6detail15normal_iteratorINS8_10device_ptrIxEEEESH_NS8_9null_typeESI_SI_SI_SI_SI_SI_SI_EEEENS9_21zip_adj_not_predicateINS8_8equal_toIxEEEEEEPllNS8_4plusIlEEEE10hipError_tPvRmT1_T2_T3_mT4_P12ihipStream_tbEUlT_E0_NS1_11comp_targetILNS1_3genE10ELNS1_11target_archE1201ELNS1_3gpuE5ELNS1_3repE0EEENS1_30default_config_static_selectorELNS0_4arch9wavefront6targetE1EEEvSW_,@function
_ZN7rocprim17ROCPRIM_400000_NS6detail17trampoline_kernelINS0_14default_configENS1_22reduce_config_selectorIlEEZNS1_11reduce_implILb1ES3_N6thrust23THRUST_200600_302600_NS11hip_rocprim26transform_input_iterator_tIlNS8_12zip_iteratorINS8_5tupleINS8_6detail15normal_iteratorINS8_10device_ptrIxEEEESH_NS8_9null_typeESI_SI_SI_SI_SI_SI_SI_EEEENS9_21zip_adj_not_predicateINS8_8equal_toIxEEEEEEPllNS8_4plusIlEEEE10hipError_tPvRmT1_T2_T3_mT4_P12ihipStream_tbEUlT_E0_NS1_11comp_targetILNS1_3genE10ELNS1_11target_archE1201ELNS1_3gpuE5ELNS1_3repE0EEENS1_30default_config_static_selectorELNS0_4arch9wavefront6targetE1EEEvSW_: ; @_ZN7rocprim17ROCPRIM_400000_NS6detail17trampoline_kernelINS0_14default_configENS1_22reduce_config_selectorIlEEZNS1_11reduce_implILb1ES3_N6thrust23THRUST_200600_302600_NS11hip_rocprim26transform_input_iterator_tIlNS8_12zip_iteratorINS8_5tupleINS8_6detail15normal_iteratorINS8_10device_ptrIxEEEESH_NS8_9null_typeESI_SI_SI_SI_SI_SI_SI_EEEENS9_21zip_adj_not_predicateINS8_8equal_toIxEEEEEEPllNS8_4plusIlEEEE10hipError_tPvRmT1_T2_T3_mT4_P12ihipStream_tbEUlT_E0_NS1_11comp_targetILNS1_3genE10ELNS1_11target_archE1201ELNS1_3gpuE5ELNS1_3repE0EEENS1_30default_config_static_selectorELNS0_4arch9wavefront6targetE1EEEvSW_
; %bb.0:
	.section	.rodata,"a",@progbits
	.p2align	6, 0x0
	.amdhsa_kernel _ZN7rocprim17ROCPRIM_400000_NS6detail17trampoline_kernelINS0_14default_configENS1_22reduce_config_selectorIlEEZNS1_11reduce_implILb1ES3_N6thrust23THRUST_200600_302600_NS11hip_rocprim26transform_input_iterator_tIlNS8_12zip_iteratorINS8_5tupleINS8_6detail15normal_iteratorINS8_10device_ptrIxEEEESH_NS8_9null_typeESI_SI_SI_SI_SI_SI_SI_EEEENS9_21zip_adj_not_predicateINS8_8equal_toIxEEEEEEPllNS8_4plusIlEEEE10hipError_tPvRmT1_T2_T3_mT4_P12ihipStream_tbEUlT_E0_NS1_11comp_targetILNS1_3genE10ELNS1_11target_archE1201ELNS1_3gpuE5ELNS1_3repE0EEENS1_30default_config_static_selectorELNS0_4arch9wavefront6targetE1EEEvSW_
		.amdhsa_group_segment_fixed_size 0
		.amdhsa_private_segment_fixed_size 0
		.amdhsa_kernarg_size 80
		.amdhsa_user_sgpr_count 6
		.amdhsa_user_sgpr_private_segment_buffer 1
		.amdhsa_user_sgpr_dispatch_ptr 0
		.amdhsa_user_sgpr_queue_ptr 0
		.amdhsa_user_sgpr_kernarg_segment_ptr 1
		.amdhsa_user_sgpr_dispatch_id 0
		.amdhsa_user_sgpr_flat_scratch_init 0
		.amdhsa_user_sgpr_private_segment_size 0
		.amdhsa_uses_dynamic_stack 0
		.amdhsa_system_sgpr_private_segment_wavefront_offset 0
		.amdhsa_system_sgpr_workgroup_id_x 1
		.amdhsa_system_sgpr_workgroup_id_y 0
		.amdhsa_system_sgpr_workgroup_id_z 0
		.amdhsa_system_sgpr_workgroup_info 0
		.amdhsa_system_vgpr_workitem_id 0
		.amdhsa_next_free_vgpr 1
		.amdhsa_next_free_sgpr 0
		.amdhsa_reserve_vcc 0
		.amdhsa_reserve_flat_scratch 0
		.amdhsa_float_round_mode_32 0
		.amdhsa_float_round_mode_16_64 0
		.amdhsa_float_denorm_mode_32 3
		.amdhsa_float_denorm_mode_16_64 3
		.amdhsa_dx10_clamp 1
		.amdhsa_ieee_mode 1
		.amdhsa_fp16_overflow 0
		.amdhsa_exception_fp_ieee_invalid_op 0
		.amdhsa_exception_fp_denorm_src 0
		.amdhsa_exception_fp_ieee_div_zero 0
		.amdhsa_exception_fp_ieee_overflow 0
		.amdhsa_exception_fp_ieee_underflow 0
		.amdhsa_exception_fp_ieee_inexact 0
		.amdhsa_exception_int_div_zero 0
	.end_amdhsa_kernel
	.section	.text._ZN7rocprim17ROCPRIM_400000_NS6detail17trampoline_kernelINS0_14default_configENS1_22reduce_config_selectorIlEEZNS1_11reduce_implILb1ES3_N6thrust23THRUST_200600_302600_NS11hip_rocprim26transform_input_iterator_tIlNS8_12zip_iteratorINS8_5tupleINS8_6detail15normal_iteratorINS8_10device_ptrIxEEEESH_NS8_9null_typeESI_SI_SI_SI_SI_SI_SI_EEEENS9_21zip_adj_not_predicateINS8_8equal_toIxEEEEEEPllNS8_4plusIlEEEE10hipError_tPvRmT1_T2_T3_mT4_P12ihipStream_tbEUlT_E0_NS1_11comp_targetILNS1_3genE10ELNS1_11target_archE1201ELNS1_3gpuE5ELNS1_3repE0EEENS1_30default_config_static_selectorELNS0_4arch9wavefront6targetE1EEEvSW_,"axG",@progbits,_ZN7rocprim17ROCPRIM_400000_NS6detail17trampoline_kernelINS0_14default_configENS1_22reduce_config_selectorIlEEZNS1_11reduce_implILb1ES3_N6thrust23THRUST_200600_302600_NS11hip_rocprim26transform_input_iterator_tIlNS8_12zip_iteratorINS8_5tupleINS8_6detail15normal_iteratorINS8_10device_ptrIxEEEESH_NS8_9null_typeESI_SI_SI_SI_SI_SI_SI_EEEENS9_21zip_adj_not_predicateINS8_8equal_toIxEEEEEEPllNS8_4plusIlEEEE10hipError_tPvRmT1_T2_T3_mT4_P12ihipStream_tbEUlT_E0_NS1_11comp_targetILNS1_3genE10ELNS1_11target_archE1201ELNS1_3gpuE5ELNS1_3repE0EEENS1_30default_config_static_selectorELNS0_4arch9wavefront6targetE1EEEvSW_,comdat
.Lfunc_end928:
	.size	_ZN7rocprim17ROCPRIM_400000_NS6detail17trampoline_kernelINS0_14default_configENS1_22reduce_config_selectorIlEEZNS1_11reduce_implILb1ES3_N6thrust23THRUST_200600_302600_NS11hip_rocprim26transform_input_iterator_tIlNS8_12zip_iteratorINS8_5tupleINS8_6detail15normal_iteratorINS8_10device_ptrIxEEEESH_NS8_9null_typeESI_SI_SI_SI_SI_SI_SI_EEEENS9_21zip_adj_not_predicateINS8_8equal_toIxEEEEEEPllNS8_4plusIlEEEE10hipError_tPvRmT1_T2_T3_mT4_P12ihipStream_tbEUlT_E0_NS1_11comp_targetILNS1_3genE10ELNS1_11target_archE1201ELNS1_3gpuE5ELNS1_3repE0EEENS1_30default_config_static_selectorELNS0_4arch9wavefront6targetE1EEEvSW_, .Lfunc_end928-_ZN7rocprim17ROCPRIM_400000_NS6detail17trampoline_kernelINS0_14default_configENS1_22reduce_config_selectorIlEEZNS1_11reduce_implILb1ES3_N6thrust23THRUST_200600_302600_NS11hip_rocprim26transform_input_iterator_tIlNS8_12zip_iteratorINS8_5tupleINS8_6detail15normal_iteratorINS8_10device_ptrIxEEEESH_NS8_9null_typeESI_SI_SI_SI_SI_SI_SI_EEEENS9_21zip_adj_not_predicateINS8_8equal_toIxEEEEEEPllNS8_4plusIlEEEE10hipError_tPvRmT1_T2_T3_mT4_P12ihipStream_tbEUlT_E0_NS1_11comp_targetILNS1_3genE10ELNS1_11target_archE1201ELNS1_3gpuE5ELNS1_3repE0EEENS1_30default_config_static_selectorELNS0_4arch9wavefront6targetE1EEEvSW_
                                        ; -- End function
	.set _ZN7rocprim17ROCPRIM_400000_NS6detail17trampoline_kernelINS0_14default_configENS1_22reduce_config_selectorIlEEZNS1_11reduce_implILb1ES3_N6thrust23THRUST_200600_302600_NS11hip_rocprim26transform_input_iterator_tIlNS8_12zip_iteratorINS8_5tupleINS8_6detail15normal_iteratorINS8_10device_ptrIxEEEESH_NS8_9null_typeESI_SI_SI_SI_SI_SI_SI_EEEENS9_21zip_adj_not_predicateINS8_8equal_toIxEEEEEEPllNS8_4plusIlEEEE10hipError_tPvRmT1_T2_T3_mT4_P12ihipStream_tbEUlT_E0_NS1_11comp_targetILNS1_3genE10ELNS1_11target_archE1201ELNS1_3gpuE5ELNS1_3repE0EEENS1_30default_config_static_selectorELNS0_4arch9wavefront6targetE1EEEvSW_.num_vgpr, 0
	.set _ZN7rocprim17ROCPRIM_400000_NS6detail17trampoline_kernelINS0_14default_configENS1_22reduce_config_selectorIlEEZNS1_11reduce_implILb1ES3_N6thrust23THRUST_200600_302600_NS11hip_rocprim26transform_input_iterator_tIlNS8_12zip_iteratorINS8_5tupleINS8_6detail15normal_iteratorINS8_10device_ptrIxEEEESH_NS8_9null_typeESI_SI_SI_SI_SI_SI_SI_EEEENS9_21zip_adj_not_predicateINS8_8equal_toIxEEEEEEPllNS8_4plusIlEEEE10hipError_tPvRmT1_T2_T3_mT4_P12ihipStream_tbEUlT_E0_NS1_11comp_targetILNS1_3genE10ELNS1_11target_archE1201ELNS1_3gpuE5ELNS1_3repE0EEENS1_30default_config_static_selectorELNS0_4arch9wavefront6targetE1EEEvSW_.num_agpr, 0
	.set _ZN7rocprim17ROCPRIM_400000_NS6detail17trampoline_kernelINS0_14default_configENS1_22reduce_config_selectorIlEEZNS1_11reduce_implILb1ES3_N6thrust23THRUST_200600_302600_NS11hip_rocprim26transform_input_iterator_tIlNS8_12zip_iteratorINS8_5tupleINS8_6detail15normal_iteratorINS8_10device_ptrIxEEEESH_NS8_9null_typeESI_SI_SI_SI_SI_SI_SI_EEEENS9_21zip_adj_not_predicateINS8_8equal_toIxEEEEEEPllNS8_4plusIlEEEE10hipError_tPvRmT1_T2_T3_mT4_P12ihipStream_tbEUlT_E0_NS1_11comp_targetILNS1_3genE10ELNS1_11target_archE1201ELNS1_3gpuE5ELNS1_3repE0EEENS1_30default_config_static_selectorELNS0_4arch9wavefront6targetE1EEEvSW_.numbered_sgpr, 0
	.set _ZN7rocprim17ROCPRIM_400000_NS6detail17trampoline_kernelINS0_14default_configENS1_22reduce_config_selectorIlEEZNS1_11reduce_implILb1ES3_N6thrust23THRUST_200600_302600_NS11hip_rocprim26transform_input_iterator_tIlNS8_12zip_iteratorINS8_5tupleINS8_6detail15normal_iteratorINS8_10device_ptrIxEEEESH_NS8_9null_typeESI_SI_SI_SI_SI_SI_SI_EEEENS9_21zip_adj_not_predicateINS8_8equal_toIxEEEEEEPllNS8_4plusIlEEEE10hipError_tPvRmT1_T2_T3_mT4_P12ihipStream_tbEUlT_E0_NS1_11comp_targetILNS1_3genE10ELNS1_11target_archE1201ELNS1_3gpuE5ELNS1_3repE0EEENS1_30default_config_static_selectorELNS0_4arch9wavefront6targetE1EEEvSW_.num_named_barrier, 0
	.set _ZN7rocprim17ROCPRIM_400000_NS6detail17trampoline_kernelINS0_14default_configENS1_22reduce_config_selectorIlEEZNS1_11reduce_implILb1ES3_N6thrust23THRUST_200600_302600_NS11hip_rocprim26transform_input_iterator_tIlNS8_12zip_iteratorINS8_5tupleINS8_6detail15normal_iteratorINS8_10device_ptrIxEEEESH_NS8_9null_typeESI_SI_SI_SI_SI_SI_SI_EEEENS9_21zip_adj_not_predicateINS8_8equal_toIxEEEEEEPllNS8_4plusIlEEEE10hipError_tPvRmT1_T2_T3_mT4_P12ihipStream_tbEUlT_E0_NS1_11comp_targetILNS1_3genE10ELNS1_11target_archE1201ELNS1_3gpuE5ELNS1_3repE0EEENS1_30default_config_static_selectorELNS0_4arch9wavefront6targetE1EEEvSW_.private_seg_size, 0
	.set _ZN7rocprim17ROCPRIM_400000_NS6detail17trampoline_kernelINS0_14default_configENS1_22reduce_config_selectorIlEEZNS1_11reduce_implILb1ES3_N6thrust23THRUST_200600_302600_NS11hip_rocprim26transform_input_iterator_tIlNS8_12zip_iteratorINS8_5tupleINS8_6detail15normal_iteratorINS8_10device_ptrIxEEEESH_NS8_9null_typeESI_SI_SI_SI_SI_SI_SI_EEEENS9_21zip_adj_not_predicateINS8_8equal_toIxEEEEEEPllNS8_4plusIlEEEE10hipError_tPvRmT1_T2_T3_mT4_P12ihipStream_tbEUlT_E0_NS1_11comp_targetILNS1_3genE10ELNS1_11target_archE1201ELNS1_3gpuE5ELNS1_3repE0EEENS1_30default_config_static_selectorELNS0_4arch9wavefront6targetE1EEEvSW_.uses_vcc, 0
	.set _ZN7rocprim17ROCPRIM_400000_NS6detail17trampoline_kernelINS0_14default_configENS1_22reduce_config_selectorIlEEZNS1_11reduce_implILb1ES3_N6thrust23THRUST_200600_302600_NS11hip_rocprim26transform_input_iterator_tIlNS8_12zip_iteratorINS8_5tupleINS8_6detail15normal_iteratorINS8_10device_ptrIxEEEESH_NS8_9null_typeESI_SI_SI_SI_SI_SI_SI_EEEENS9_21zip_adj_not_predicateINS8_8equal_toIxEEEEEEPllNS8_4plusIlEEEE10hipError_tPvRmT1_T2_T3_mT4_P12ihipStream_tbEUlT_E0_NS1_11comp_targetILNS1_3genE10ELNS1_11target_archE1201ELNS1_3gpuE5ELNS1_3repE0EEENS1_30default_config_static_selectorELNS0_4arch9wavefront6targetE1EEEvSW_.uses_flat_scratch, 0
	.set _ZN7rocprim17ROCPRIM_400000_NS6detail17trampoline_kernelINS0_14default_configENS1_22reduce_config_selectorIlEEZNS1_11reduce_implILb1ES3_N6thrust23THRUST_200600_302600_NS11hip_rocprim26transform_input_iterator_tIlNS8_12zip_iteratorINS8_5tupleINS8_6detail15normal_iteratorINS8_10device_ptrIxEEEESH_NS8_9null_typeESI_SI_SI_SI_SI_SI_SI_EEEENS9_21zip_adj_not_predicateINS8_8equal_toIxEEEEEEPllNS8_4plusIlEEEE10hipError_tPvRmT1_T2_T3_mT4_P12ihipStream_tbEUlT_E0_NS1_11comp_targetILNS1_3genE10ELNS1_11target_archE1201ELNS1_3gpuE5ELNS1_3repE0EEENS1_30default_config_static_selectorELNS0_4arch9wavefront6targetE1EEEvSW_.has_dyn_sized_stack, 0
	.set _ZN7rocprim17ROCPRIM_400000_NS6detail17trampoline_kernelINS0_14default_configENS1_22reduce_config_selectorIlEEZNS1_11reduce_implILb1ES3_N6thrust23THRUST_200600_302600_NS11hip_rocprim26transform_input_iterator_tIlNS8_12zip_iteratorINS8_5tupleINS8_6detail15normal_iteratorINS8_10device_ptrIxEEEESH_NS8_9null_typeESI_SI_SI_SI_SI_SI_SI_EEEENS9_21zip_adj_not_predicateINS8_8equal_toIxEEEEEEPllNS8_4plusIlEEEE10hipError_tPvRmT1_T2_T3_mT4_P12ihipStream_tbEUlT_E0_NS1_11comp_targetILNS1_3genE10ELNS1_11target_archE1201ELNS1_3gpuE5ELNS1_3repE0EEENS1_30default_config_static_selectorELNS0_4arch9wavefront6targetE1EEEvSW_.has_recursion, 0
	.set _ZN7rocprim17ROCPRIM_400000_NS6detail17trampoline_kernelINS0_14default_configENS1_22reduce_config_selectorIlEEZNS1_11reduce_implILb1ES3_N6thrust23THRUST_200600_302600_NS11hip_rocprim26transform_input_iterator_tIlNS8_12zip_iteratorINS8_5tupleINS8_6detail15normal_iteratorINS8_10device_ptrIxEEEESH_NS8_9null_typeESI_SI_SI_SI_SI_SI_SI_EEEENS9_21zip_adj_not_predicateINS8_8equal_toIxEEEEEEPllNS8_4plusIlEEEE10hipError_tPvRmT1_T2_T3_mT4_P12ihipStream_tbEUlT_E0_NS1_11comp_targetILNS1_3genE10ELNS1_11target_archE1201ELNS1_3gpuE5ELNS1_3repE0EEENS1_30default_config_static_selectorELNS0_4arch9wavefront6targetE1EEEvSW_.has_indirect_call, 0
	.section	.AMDGPU.csdata,"",@progbits
; Kernel info:
; codeLenInByte = 0
; TotalNumSgprs: 4
; NumVgprs: 0
; ScratchSize: 0
; MemoryBound: 0
; FloatMode: 240
; IeeeMode: 1
; LDSByteSize: 0 bytes/workgroup (compile time only)
; SGPRBlocks: 0
; VGPRBlocks: 0
; NumSGPRsForWavesPerEU: 4
; NumVGPRsForWavesPerEU: 1
; Occupancy: 10
; WaveLimiterHint : 0
; COMPUTE_PGM_RSRC2:SCRATCH_EN: 0
; COMPUTE_PGM_RSRC2:USER_SGPR: 6
; COMPUTE_PGM_RSRC2:TRAP_HANDLER: 0
; COMPUTE_PGM_RSRC2:TGID_X_EN: 1
; COMPUTE_PGM_RSRC2:TGID_Y_EN: 0
; COMPUTE_PGM_RSRC2:TGID_Z_EN: 0
; COMPUTE_PGM_RSRC2:TIDIG_COMP_CNT: 0
	.section	.text._ZN7rocprim17ROCPRIM_400000_NS6detail17trampoline_kernelINS0_14default_configENS1_22reduce_config_selectorIlEEZNS1_11reduce_implILb1ES3_N6thrust23THRUST_200600_302600_NS11hip_rocprim26transform_input_iterator_tIlNS8_12zip_iteratorINS8_5tupleINS8_6detail15normal_iteratorINS8_10device_ptrIxEEEESH_NS8_9null_typeESI_SI_SI_SI_SI_SI_SI_EEEENS9_21zip_adj_not_predicateINS8_8equal_toIxEEEEEEPllNS8_4plusIlEEEE10hipError_tPvRmT1_T2_T3_mT4_P12ihipStream_tbEUlT_E0_NS1_11comp_targetILNS1_3genE10ELNS1_11target_archE1200ELNS1_3gpuE4ELNS1_3repE0EEENS1_30default_config_static_selectorELNS0_4arch9wavefront6targetE1EEEvSW_,"axG",@progbits,_ZN7rocprim17ROCPRIM_400000_NS6detail17trampoline_kernelINS0_14default_configENS1_22reduce_config_selectorIlEEZNS1_11reduce_implILb1ES3_N6thrust23THRUST_200600_302600_NS11hip_rocprim26transform_input_iterator_tIlNS8_12zip_iteratorINS8_5tupleINS8_6detail15normal_iteratorINS8_10device_ptrIxEEEESH_NS8_9null_typeESI_SI_SI_SI_SI_SI_SI_EEEENS9_21zip_adj_not_predicateINS8_8equal_toIxEEEEEEPllNS8_4plusIlEEEE10hipError_tPvRmT1_T2_T3_mT4_P12ihipStream_tbEUlT_E0_NS1_11comp_targetILNS1_3genE10ELNS1_11target_archE1200ELNS1_3gpuE4ELNS1_3repE0EEENS1_30default_config_static_selectorELNS0_4arch9wavefront6targetE1EEEvSW_,comdat
	.protected	_ZN7rocprim17ROCPRIM_400000_NS6detail17trampoline_kernelINS0_14default_configENS1_22reduce_config_selectorIlEEZNS1_11reduce_implILb1ES3_N6thrust23THRUST_200600_302600_NS11hip_rocprim26transform_input_iterator_tIlNS8_12zip_iteratorINS8_5tupleINS8_6detail15normal_iteratorINS8_10device_ptrIxEEEESH_NS8_9null_typeESI_SI_SI_SI_SI_SI_SI_EEEENS9_21zip_adj_not_predicateINS8_8equal_toIxEEEEEEPllNS8_4plusIlEEEE10hipError_tPvRmT1_T2_T3_mT4_P12ihipStream_tbEUlT_E0_NS1_11comp_targetILNS1_3genE10ELNS1_11target_archE1200ELNS1_3gpuE4ELNS1_3repE0EEENS1_30default_config_static_selectorELNS0_4arch9wavefront6targetE1EEEvSW_ ; -- Begin function _ZN7rocprim17ROCPRIM_400000_NS6detail17trampoline_kernelINS0_14default_configENS1_22reduce_config_selectorIlEEZNS1_11reduce_implILb1ES3_N6thrust23THRUST_200600_302600_NS11hip_rocprim26transform_input_iterator_tIlNS8_12zip_iteratorINS8_5tupleINS8_6detail15normal_iteratorINS8_10device_ptrIxEEEESH_NS8_9null_typeESI_SI_SI_SI_SI_SI_SI_EEEENS9_21zip_adj_not_predicateINS8_8equal_toIxEEEEEEPllNS8_4plusIlEEEE10hipError_tPvRmT1_T2_T3_mT4_P12ihipStream_tbEUlT_E0_NS1_11comp_targetILNS1_3genE10ELNS1_11target_archE1200ELNS1_3gpuE4ELNS1_3repE0EEENS1_30default_config_static_selectorELNS0_4arch9wavefront6targetE1EEEvSW_
	.globl	_ZN7rocprim17ROCPRIM_400000_NS6detail17trampoline_kernelINS0_14default_configENS1_22reduce_config_selectorIlEEZNS1_11reduce_implILb1ES3_N6thrust23THRUST_200600_302600_NS11hip_rocprim26transform_input_iterator_tIlNS8_12zip_iteratorINS8_5tupleINS8_6detail15normal_iteratorINS8_10device_ptrIxEEEESH_NS8_9null_typeESI_SI_SI_SI_SI_SI_SI_EEEENS9_21zip_adj_not_predicateINS8_8equal_toIxEEEEEEPllNS8_4plusIlEEEE10hipError_tPvRmT1_T2_T3_mT4_P12ihipStream_tbEUlT_E0_NS1_11comp_targetILNS1_3genE10ELNS1_11target_archE1200ELNS1_3gpuE4ELNS1_3repE0EEENS1_30default_config_static_selectorELNS0_4arch9wavefront6targetE1EEEvSW_
	.p2align	8
	.type	_ZN7rocprim17ROCPRIM_400000_NS6detail17trampoline_kernelINS0_14default_configENS1_22reduce_config_selectorIlEEZNS1_11reduce_implILb1ES3_N6thrust23THRUST_200600_302600_NS11hip_rocprim26transform_input_iterator_tIlNS8_12zip_iteratorINS8_5tupleINS8_6detail15normal_iteratorINS8_10device_ptrIxEEEESH_NS8_9null_typeESI_SI_SI_SI_SI_SI_SI_EEEENS9_21zip_adj_not_predicateINS8_8equal_toIxEEEEEEPllNS8_4plusIlEEEE10hipError_tPvRmT1_T2_T3_mT4_P12ihipStream_tbEUlT_E0_NS1_11comp_targetILNS1_3genE10ELNS1_11target_archE1200ELNS1_3gpuE4ELNS1_3repE0EEENS1_30default_config_static_selectorELNS0_4arch9wavefront6targetE1EEEvSW_,@function
_ZN7rocprim17ROCPRIM_400000_NS6detail17trampoline_kernelINS0_14default_configENS1_22reduce_config_selectorIlEEZNS1_11reduce_implILb1ES3_N6thrust23THRUST_200600_302600_NS11hip_rocprim26transform_input_iterator_tIlNS8_12zip_iteratorINS8_5tupleINS8_6detail15normal_iteratorINS8_10device_ptrIxEEEESH_NS8_9null_typeESI_SI_SI_SI_SI_SI_SI_EEEENS9_21zip_adj_not_predicateINS8_8equal_toIxEEEEEEPllNS8_4plusIlEEEE10hipError_tPvRmT1_T2_T3_mT4_P12ihipStream_tbEUlT_E0_NS1_11comp_targetILNS1_3genE10ELNS1_11target_archE1200ELNS1_3gpuE4ELNS1_3repE0EEENS1_30default_config_static_selectorELNS0_4arch9wavefront6targetE1EEEvSW_: ; @_ZN7rocprim17ROCPRIM_400000_NS6detail17trampoline_kernelINS0_14default_configENS1_22reduce_config_selectorIlEEZNS1_11reduce_implILb1ES3_N6thrust23THRUST_200600_302600_NS11hip_rocprim26transform_input_iterator_tIlNS8_12zip_iteratorINS8_5tupleINS8_6detail15normal_iteratorINS8_10device_ptrIxEEEESH_NS8_9null_typeESI_SI_SI_SI_SI_SI_SI_EEEENS9_21zip_adj_not_predicateINS8_8equal_toIxEEEEEEPllNS8_4plusIlEEEE10hipError_tPvRmT1_T2_T3_mT4_P12ihipStream_tbEUlT_E0_NS1_11comp_targetILNS1_3genE10ELNS1_11target_archE1200ELNS1_3gpuE4ELNS1_3repE0EEENS1_30default_config_static_selectorELNS0_4arch9wavefront6targetE1EEEvSW_
; %bb.0:
	.section	.rodata,"a",@progbits
	.p2align	6, 0x0
	.amdhsa_kernel _ZN7rocprim17ROCPRIM_400000_NS6detail17trampoline_kernelINS0_14default_configENS1_22reduce_config_selectorIlEEZNS1_11reduce_implILb1ES3_N6thrust23THRUST_200600_302600_NS11hip_rocprim26transform_input_iterator_tIlNS8_12zip_iteratorINS8_5tupleINS8_6detail15normal_iteratorINS8_10device_ptrIxEEEESH_NS8_9null_typeESI_SI_SI_SI_SI_SI_SI_EEEENS9_21zip_adj_not_predicateINS8_8equal_toIxEEEEEEPllNS8_4plusIlEEEE10hipError_tPvRmT1_T2_T3_mT4_P12ihipStream_tbEUlT_E0_NS1_11comp_targetILNS1_3genE10ELNS1_11target_archE1200ELNS1_3gpuE4ELNS1_3repE0EEENS1_30default_config_static_selectorELNS0_4arch9wavefront6targetE1EEEvSW_
		.amdhsa_group_segment_fixed_size 0
		.amdhsa_private_segment_fixed_size 0
		.amdhsa_kernarg_size 80
		.amdhsa_user_sgpr_count 6
		.amdhsa_user_sgpr_private_segment_buffer 1
		.amdhsa_user_sgpr_dispatch_ptr 0
		.amdhsa_user_sgpr_queue_ptr 0
		.amdhsa_user_sgpr_kernarg_segment_ptr 1
		.amdhsa_user_sgpr_dispatch_id 0
		.amdhsa_user_sgpr_flat_scratch_init 0
		.amdhsa_user_sgpr_private_segment_size 0
		.amdhsa_uses_dynamic_stack 0
		.amdhsa_system_sgpr_private_segment_wavefront_offset 0
		.amdhsa_system_sgpr_workgroup_id_x 1
		.amdhsa_system_sgpr_workgroup_id_y 0
		.amdhsa_system_sgpr_workgroup_id_z 0
		.amdhsa_system_sgpr_workgroup_info 0
		.amdhsa_system_vgpr_workitem_id 0
		.amdhsa_next_free_vgpr 1
		.amdhsa_next_free_sgpr 0
		.amdhsa_reserve_vcc 0
		.amdhsa_reserve_flat_scratch 0
		.amdhsa_float_round_mode_32 0
		.amdhsa_float_round_mode_16_64 0
		.amdhsa_float_denorm_mode_32 3
		.amdhsa_float_denorm_mode_16_64 3
		.amdhsa_dx10_clamp 1
		.amdhsa_ieee_mode 1
		.amdhsa_fp16_overflow 0
		.amdhsa_exception_fp_ieee_invalid_op 0
		.amdhsa_exception_fp_denorm_src 0
		.amdhsa_exception_fp_ieee_div_zero 0
		.amdhsa_exception_fp_ieee_overflow 0
		.amdhsa_exception_fp_ieee_underflow 0
		.amdhsa_exception_fp_ieee_inexact 0
		.amdhsa_exception_int_div_zero 0
	.end_amdhsa_kernel
	.section	.text._ZN7rocprim17ROCPRIM_400000_NS6detail17trampoline_kernelINS0_14default_configENS1_22reduce_config_selectorIlEEZNS1_11reduce_implILb1ES3_N6thrust23THRUST_200600_302600_NS11hip_rocprim26transform_input_iterator_tIlNS8_12zip_iteratorINS8_5tupleINS8_6detail15normal_iteratorINS8_10device_ptrIxEEEESH_NS8_9null_typeESI_SI_SI_SI_SI_SI_SI_EEEENS9_21zip_adj_not_predicateINS8_8equal_toIxEEEEEEPllNS8_4plusIlEEEE10hipError_tPvRmT1_T2_T3_mT4_P12ihipStream_tbEUlT_E0_NS1_11comp_targetILNS1_3genE10ELNS1_11target_archE1200ELNS1_3gpuE4ELNS1_3repE0EEENS1_30default_config_static_selectorELNS0_4arch9wavefront6targetE1EEEvSW_,"axG",@progbits,_ZN7rocprim17ROCPRIM_400000_NS6detail17trampoline_kernelINS0_14default_configENS1_22reduce_config_selectorIlEEZNS1_11reduce_implILb1ES3_N6thrust23THRUST_200600_302600_NS11hip_rocprim26transform_input_iterator_tIlNS8_12zip_iteratorINS8_5tupleINS8_6detail15normal_iteratorINS8_10device_ptrIxEEEESH_NS8_9null_typeESI_SI_SI_SI_SI_SI_SI_EEEENS9_21zip_adj_not_predicateINS8_8equal_toIxEEEEEEPllNS8_4plusIlEEEE10hipError_tPvRmT1_T2_T3_mT4_P12ihipStream_tbEUlT_E0_NS1_11comp_targetILNS1_3genE10ELNS1_11target_archE1200ELNS1_3gpuE4ELNS1_3repE0EEENS1_30default_config_static_selectorELNS0_4arch9wavefront6targetE1EEEvSW_,comdat
.Lfunc_end929:
	.size	_ZN7rocprim17ROCPRIM_400000_NS6detail17trampoline_kernelINS0_14default_configENS1_22reduce_config_selectorIlEEZNS1_11reduce_implILb1ES3_N6thrust23THRUST_200600_302600_NS11hip_rocprim26transform_input_iterator_tIlNS8_12zip_iteratorINS8_5tupleINS8_6detail15normal_iteratorINS8_10device_ptrIxEEEESH_NS8_9null_typeESI_SI_SI_SI_SI_SI_SI_EEEENS9_21zip_adj_not_predicateINS8_8equal_toIxEEEEEEPllNS8_4plusIlEEEE10hipError_tPvRmT1_T2_T3_mT4_P12ihipStream_tbEUlT_E0_NS1_11comp_targetILNS1_3genE10ELNS1_11target_archE1200ELNS1_3gpuE4ELNS1_3repE0EEENS1_30default_config_static_selectorELNS0_4arch9wavefront6targetE1EEEvSW_, .Lfunc_end929-_ZN7rocprim17ROCPRIM_400000_NS6detail17trampoline_kernelINS0_14default_configENS1_22reduce_config_selectorIlEEZNS1_11reduce_implILb1ES3_N6thrust23THRUST_200600_302600_NS11hip_rocprim26transform_input_iterator_tIlNS8_12zip_iteratorINS8_5tupleINS8_6detail15normal_iteratorINS8_10device_ptrIxEEEESH_NS8_9null_typeESI_SI_SI_SI_SI_SI_SI_EEEENS9_21zip_adj_not_predicateINS8_8equal_toIxEEEEEEPllNS8_4plusIlEEEE10hipError_tPvRmT1_T2_T3_mT4_P12ihipStream_tbEUlT_E0_NS1_11comp_targetILNS1_3genE10ELNS1_11target_archE1200ELNS1_3gpuE4ELNS1_3repE0EEENS1_30default_config_static_selectorELNS0_4arch9wavefront6targetE1EEEvSW_
                                        ; -- End function
	.set _ZN7rocprim17ROCPRIM_400000_NS6detail17trampoline_kernelINS0_14default_configENS1_22reduce_config_selectorIlEEZNS1_11reduce_implILb1ES3_N6thrust23THRUST_200600_302600_NS11hip_rocprim26transform_input_iterator_tIlNS8_12zip_iteratorINS8_5tupleINS8_6detail15normal_iteratorINS8_10device_ptrIxEEEESH_NS8_9null_typeESI_SI_SI_SI_SI_SI_SI_EEEENS9_21zip_adj_not_predicateINS8_8equal_toIxEEEEEEPllNS8_4plusIlEEEE10hipError_tPvRmT1_T2_T3_mT4_P12ihipStream_tbEUlT_E0_NS1_11comp_targetILNS1_3genE10ELNS1_11target_archE1200ELNS1_3gpuE4ELNS1_3repE0EEENS1_30default_config_static_selectorELNS0_4arch9wavefront6targetE1EEEvSW_.num_vgpr, 0
	.set _ZN7rocprim17ROCPRIM_400000_NS6detail17trampoline_kernelINS0_14default_configENS1_22reduce_config_selectorIlEEZNS1_11reduce_implILb1ES3_N6thrust23THRUST_200600_302600_NS11hip_rocprim26transform_input_iterator_tIlNS8_12zip_iteratorINS8_5tupleINS8_6detail15normal_iteratorINS8_10device_ptrIxEEEESH_NS8_9null_typeESI_SI_SI_SI_SI_SI_SI_EEEENS9_21zip_adj_not_predicateINS8_8equal_toIxEEEEEEPllNS8_4plusIlEEEE10hipError_tPvRmT1_T2_T3_mT4_P12ihipStream_tbEUlT_E0_NS1_11comp_targetILNS1_3genE10ELNS1_11target_archE1200ELNS1_3gpuE4ELNS1_3repE0EEENS1_30default_config_static_selectorELNS0_4arch9wavefront6targetE1EEEvSW_.num_agpr, 0
	.set _ZN7rocprim17ROCPRIM_400000_NS6detail17trampoline_kernelINS0_14default_configENS1_22reduce_config_selectorIlEEZNS1_11reduce_implILb1ES3_N6thrust23THRUST_200600_302600_NS11hip_rocprim26transform_input_iterator_tIlNS8_12zip_iteratorINS8_5tupleINS8_6detail15normal_iteratorINS8_10device_ptrIxEEEESH_NS8_9null_typeESI_SI_SI_SI_SI_SI_SI_EEEENS9_21zip_adj_not_predicateINS8_8equal_toIxEEEEEEPllNS8_4plusIlEEEE10hipError_tPvRmT1_T2_T3_mT4_P12ihipStream_tbEUlT_E0_NS1_11comp_targetILNS1_3genE10ELNS1_11target_archE1200ELNS1_3gpuE4ELNS1_3repE0EEENS1_30default_config_static_selectorELNS0_4arch9wavefront6targetE1EEEvSW_.numbered_sgpr, 0
	.set _ZN7rocprim17ROCPRIM_400000_NS6detail17trampoline_kernelINS0_14default_configENS1_22reduce_config_selectorIlEEZNS1_11reduce_implILb1ES3_N6thrust23THRUST_200600_302600_NS11hip_rocprim26transform_input_iterator_tIlNS8_12zip_iteratorINS8_5tupleINS8_6detail15normal_iteratorINS8_10device_ptrIxEEEESH_NS8_9null_typeESI_SI_SI_SI_SI_SI_SI_EEEENS9_21zip_adj_not_predicateINS8_8equal_toIxEEEEEEPllNS8_4plusIlEEEE10hipError_tPvRmT1_T2_T3_mT4_P12ihipStream_tbEUlT_E0_NS1_11comp_targetILNS1_3genE10ELNS1_11target_archE1200ELNS1_3gpuE4ELNS1_3repE0EEENS1_30default_config_static_selectorELNS0_4arch9wavefront6targetE1EEEvSW_.num_named_barrier, 0
	.set _ZN7rocprim17ROCPRIM_400000_NS6detail17trampoline_kernelINS0_14default_configENS1_22reduce_config_selectorIlEEZNS1_11reduce_implILb1ES3_N6thrust23THRUST_200600_302600_NS11hip_rocprim26transform_input_iterator_tIlNS8_12zip_iteratorINS8_5tupleINS8_6detail15normal_iteratorINS8_10device_ptrIxEEEESH_NS8_9null_typeESI_SI_SI_SI_SI_SI_SI_EEEENS9_21zip_adj_not_predicateINS8_8equal_toIxEEEEEEPllNS8_4plusIlEEEE10hipError_tPvRmT1_T2_T3_mT4_P12ihipStream_tbEUlT_E0_NS1_11comp_targetILNS1_3genE10ELNS1_11target_archE1200ELNS1_3gpuE4ELNS1_3repE0EEENS1_30default_config_static_selectorELNS0_4arch9wavefront6targetE1EEEvSW_.private_seg_size, 0
	.set _ZN7rocprim17ROCPRIM_400000_NS6detail17trampoline_kernelINS0_14default_configENS1_22reduce_config_selectorIlEEZNS1_11reduce_implILb1ES3_N6thrust23THRUST_200600_302600_NS11hip_rocprim26transform_input_iterator_tIlNS8_12zip_iteratorINS8_5tupleINS8_6detail15normal_iteratorINS8_10device_ptrIxEEEESH_NS8_9null_typeESI_SI_SI_SI_SI_SI_SI_EEEENS9_21zip_adj_not_predicateINS8_8equal_toIxEEEEEEPllNS8_4plusIlEEEE10hipError_tPvRmT1_T2_T3_mT4_P12ihipStream_tbEUlT_E0_NS1_11comp_targetILNS1_3genE10ELNS1_11target_archE1200ELNS1_3gpuE4ELNS1_3repE0EEENS1_30default_config_static_selectorELNS0_4arch9wavefront6targetE1EEEvSW_.uses_vcc, 0
	.set _ZN7rocprim17ROCPRIM_400000_NS6detail17trampoline_kernelINS0_14default_configENS1_22reduce_config_selectorIlEEZNS1_11reduce_implILb1ES3_N6thrust23THRUST_200600_302600_NS11hip_rocprim26transform_input_iterator_tIlNS8_12zip_iteratorINS8_5tupleINS8_6detail15normal_iteratorINS8_10device_ptrIxEEEESH_NS8_9null_typeESI_SI_SI_SI_SI_SI_SI_EEEENS9_21zip_adj_not_predicateINS8_8equal_toIxEEEEEEPllNS8_4plusIlEEEE10hipError_tPvRmT1_T2_T3_mT4_P12ihipStream_tbEUlT_E0_NS1_11comp_targetILNS1_3genE10ELNS1_11target_archE1200ELNS1_3gpuE4ELNS1_3repE0EEENS1_30default_config_static_selectorELNS0_4arch9wavefront6targetE1EEEvSW_.uses_flat_scratch, 0
	.set _ZN7rocprim17ROCPRIM_400000_NS6detail17trampoline_kernelINS0_14default_configENS1_22reduce_config_selectorIlEEZNS1_11reduce_implILb1ES3_N6thrust23THRUST_200600_302600_NS11hip_rocprim26transform_input_iterator_tIlNS8_12zip_iteratorINS8_5tupleINS8_6detail15normal_iteratorINS8_10device_ptrIxEEEESH_NS8_9null_typeESI_SI_SI_SI_SI_SI_SI_EEEENS9_21zip_adj_not_predicateINS8_8equal_toIxEEEEEEPllNS8_4plusIlEEEE10hipError_tPvRmT1_T2_T3_mT4_P12ihipStream_tbEUlT_E0_NS1_11comp_targetILNS1_3genE10ELNS1_11target_archE1200ELNS1_3gpuE4ELNS1_3repE0EEENS1_30default_config_static_selectorELNS0_4arch9wavefront6targetE1EEEvSW_.has_dyn_sized_stack, 0
	.set _ZN7rocprim17ROCPRIM_400000_NS6detail17trampoline_kernelINS0_14default_configENS1_22reduce_config_selectorIlEEZNS1_11reduce_implILb1ES3_N6thrust23THRUST_200600_302600_NS11hip_rocprim26transform_input_iterator_tIlNS8_12zip_iteratorINS8_5tupleINS8_6detail15normal_iteratorINS8_10device_ptrIxEEEESH_NS8_9null_typeESI_SI_SI_SI_SI_SI_SI_EEEENS9_21zip_adj_not_predicateINS8_8equal_toIxEEEEEEPllNS8_4plusIlEEEE10hipError_tPvRmT1_T2_T3_mT4_P12ihipStream_tbEUlT_E0_NS1_11comp_targetILNS1_3genE10ELNS1_11target_archE1200ELNS1_3gpuE4ELNS1_3repE0EEENS1_30default_config_static_selectorELNS0_4arch9wavefront6targetE1EEEvSW_.has_recursion, 0
	.set _ZN7rocprim17ROCPRIM_400000_NS6detail17trampoline_kernelINS0_14default_configENS1_22reduce_config_selectorIlEEZNS1_11reduce_implILb1ES3_N6thrust23THRUST_200600_302600_NS11hip_rocprim26transform_input_iterator_tIlNS8_12zip_iteratorINS8_5tupleINS8_6detail15normal_iteratorINS8_10device_ptrIxEEEESH_NS8_9null_typeESI_SI_SI_SI_SI_SI_SI_EEEENS9_21zip_adj_not_predicateINS8_8equal_toIxEEEEEEPllNS8_4plusIlEEEE10hipError_tPvRmT1_T2_T3_mT4_P12ihipStream_tbEUlT_E0_NS1_11comp_targetILNS1_3genE10ELNS1_11target_archE1200ELNS1_3gpuE4ELNS1_3repE0EEENS1_30default_config_static_selectorELNS0_4arch9wavefront6targetE1EEEvSW_.has_indirect_call, 0
	.section	.AMDGPU.csdata,"",@progbits
; Kernel info:
; codeLenInByte = 0
; TotalNumSgprs: 4
; NumVgprs: 0
; ScratchSize: 0
; MemoryBound: 0
; FloatMode: 240
; IeeeMode: 1
; LDSByteSize: 0 bytes/workgroup (compile time only)
; SGPRBlocks: 0
; VGPRBlocks: 0
; NumSGPRsForWavesPerEU: 4
; NumVGPRsForWavesPerEU: 1
; Occupancy: 10
; WaveLimiterHint : 0
; COMPUTE_PGM_RSRC2:SCRATCH_EN: 0
; COMPUTE_PGM_RSRC2:USER_SGPR: 6
; COMPUTE_PGM_RSRC2:TRAP_HANDLER: 0
; COMPUTE_PGM_RSRC2:TGID_X_EN: 1
; COMPUTE_PGM_RSRC2:TGID_Y_EN: 0
; COMPUTE_PGM_RSRC2:TGID_Z_EN: 0
; COMPUTE_PGM_RSRC2:TIDIG_COMP_CNT: 0
	.section	.text._ZN7rocprim17ROCPRIM_400000_NS6detail17trampoline_kernelINS0_14default_configENS1_22reduce_config_selectorIlEEZNS1_11reduce_implILb1ES3_N6thrust23THRUST_200600_302600_NS11hip_rocprim26transform_input_iterator_tIlNS8_12zip_iteratorINS8_5tupleINS8_6detail15normal_iteratorINS8_10device_ptrIxEEEESH_NS8_9null_typeESI_SI_SI_SI_SI_SI_SI_EEEENS9_21zip_adj_not_predicateINS8_8equal_toIxEEEEEEPllNS8_4plusIlEEEE10hipError_tPvRmT1_T2_T3_mT4_P12ihipStream_tbEUlT_E0_NS1_11comp_targetILNS1_3genE9ELNS1_11target_archE1100ELNS1_3gpuE3ELNS1_3repE0EEENS1_30default_config_static_selectorELNS0_4arch9wavefront6targetE1EEEvSW_,"axG",@progbits,_ZN7rocprim17ROCPRIM_400000_NS6detail17trampoline_kernelINS0_14default_configENS1_22reduce_config_selectorIlEEZNS1_11reduce_implILb1ES3_N6thrust23THRUST_200600_302600_NS11hip_rocprim26transform_input_iterator_tIlNS8_12zip_iteratorINS8_5tupleINS8_6detail15normal_iteratorINS8_10device_ptrIxEEEESH_NS8_9null_typeESI_SI_SI_SI_SI_SI_SI_EEEENS9_21zip_adj_not_predicateINS8_8equal_toIxEEEEEEPllNS8_4plusIlEEEE10hipError_tPvRmT1_T2_T3_mT4_P12ihipStream_tbEUlT_E0_NS1_11comp_targetILNS1_3genE9ELNS1_11target_archE1100ELNS1_3gpuE3ELNS1_3repE0EEENS1_30default_config_static_selectorELNS0_4arch9wavefront6targetE1EEEvSW_,comdat
	.protected	_ZN7rocprim17ROCPRIM_400000_NS6detail17trampoline_kernelINS0_14default_configENS1_22reduce_config_selectorIlEEZNS1_11reduce_implILb1ES3_N6thrust23THRUST_200600_302600_NS11hip_rocprim26transform_input_iterator_tIlNS8_12zip_iteratorINS8_5tupleINS8_6detail15normal_iteratorINS8_10device_ptrIxEEEESH_NS8_9null_typeESI_SI_SI_SI_SI_SI_SI_EEEENS9_21zip_adj_not_predicateINS8_8equal_toIxEEEEEEPllNS8_4plusIlEEEE10hipError_tPvRmT1_T2_T3_mT4_P12ihipStream_tbEUlT_E0_NS1_11comp_targetILNS1_3genE9ELNS1_11target_archE1100ELNS1_3gpuE3ELNS1_3repE0EEENS1_30default_config_static_selectorELNS0_4arch9wavefront6targetE1EEEvSW_ ; -- Begin function _ZN7rocprim17ROCPRIM_400000_NS6detail17trampoline_kernelINS0_14default_configENS1_22reduce_config_selectorIlEEZNS1_11reduce_implILb1ES3_N6thrust23THRUST_200600_302600_NS11hip_rocprim26transform_input_iterator_tIlNS8_12zip_iteratorINS8_5tupleINS8_6detail15normal_iteratorINS8_10device_ptrIxEEEESH_NS8_9null_typeESI_SI_SI_SI_SI_SI_SI_EEEENS9_21zip_adj_not_predicateINS8_8equal_toIxEEEEEEPllNS8_4plusIlEEEE10hipError_tPvRmT1_T2_T3_mT4_P12ihipStream_tbEUlT_E0_NS1_11comp_targetILNS1_3genE9ELNS1_11target_archE1100ELNS1_3gpuE3ELNS1_3repE0EEENS1_30default_config_static_selectorELNS0_4arch9wavefront6targetE1EEEvSW_
	.globl	_ZN7rocprim17ROCPRIM_400000_NS6detail17trampoline_kernelINS0_14default_configENS1_22reduce_config_selectorIlEEZNS1_11reduce_implILb1ES3_N6thrust23THRUST_200600_302600_NS11hip_rocprim26transform_input_iterator_tIlNS8_12zip_iteratorINS8_5tupleINS8_6detail15normal_iteratorINS8_10device_ptrIxEEEESH_NS8_9null_typeESI_SI_SI_SI_SI_SI_SI_EEEENS9_21zip_adj_not_predicateINS8_8equal_toIxEEEEEEPllNS8_4plusIlEEEE10hipError_tPvRmT1_T2_T3_mT4_P12ihipStream_tbEUlT_E0_NS1_11comp_targetILNS1_3genE9ELNS1_11target_archE1100ELNS1_3gpuE3ELNS1_3repE0EEENS1_30default_config_static_selectorELNS0_4arch9wavefront6targetE1EEEvSW_
	.p2align	8
	.type	_ZN7rocprim17ROCPRIM_400000_NS6detail17trampoline_kernelINS0_14default_configENS1_22reduce_config_selectorIlEEZNS1_11reduce_implILb1ES3_N6thrust23THRUST_200600_302600_NS11hip_rocprim26transform_input_iterator_tIlNS8_12zip_iteratorINS8_5tupleINS8_6detail15normal_iteratorINS8_10device_ptrIxEEEESH_NS8_9null_typeESI_SI_SI_SI_SI_SI_SI_EEEENS9_21zip_adj_not_predicateINS8_8equal_toIxEEEEEEPllNS8_4plusIlEEEE10hipError_tPvRmT1_T2_T3_mT4_P12ihipStream_tbEUlT_E0_NS1_11comp_targetILNS1_3genE9ELNS1_11target_archE1100ELNS1_3gpuE3ELNS1_3repE0EEENS1_30default_config_static_selectorELNS0_4arch9wavefront6targetE1EEEvSW_,@function
_ZN7rocprim17ROCPRIM_400000_NS6detail17trampoline_kernelINS0_14default_configENS1_22reduce_config_selectorIlEEZNS1_11reduce_implILb1ES3_N6thrust23THRUST_200600_302600_NS11hip_rocprim26transform_input_iterator_tIlNS8_12zip_iteratorINS8_5tupleINS8_6detail15normal_iteratorINS8_10device_ptrIxEEEESH_NS8_9null_typeESI_SI_SI_SI_SI_SI_SI_EEEENS9_21zip_adj_not_predicateINS8_8equal_toIxEEEEEEPllNS8_4plusIlEEEE10hipError_tPvRmT1_T2_T3_mT4_P12ihipStream_tbEUlT_E0_NS1_11comp_targetILNS1_3genE9ELNS1_11target_archE1100ELNS1_3gpuE3ELNS1_3repE0EEENS1_30default_config_static_selectorELNS0_4arch9wavefront6targetE1EEEvSW_: ; @_ZN7rocprim17ROCPRIM_400000_NS6detail17trampoline_kernelINS0_14default_configENS1_22reduce_config_selectorIlEEZNS1_11reduce_implILb1ES3_N6thrust23THRUST_200600_302600_NS11hip_rocprim26transform_input_iterator_tIlNS8_12zip_iteratorINS8_5tupleINS8_6detail15normal_iteratorINS8_10device_ptrIxEEEESH_NS8_9null_typeESI_SI_SI_SI_SI_SI_SI_EEEENS9_21zip_adj_not_predicateINS8_8equal_toIxEEEEEEPllNS8_4plusIlEEEE10hipError_tPvRmT1_T2_T3_mT4_P12ihipStream_tbEUlT_E0_NS1_11comp_targetILNS1_3genE9ELNS1_11target_archE1100ELNS1_3gpuE3ELNS1_3repE0EEENS1_30default_config_static_selectorELNS0_4arch9wavefront6targetE1EEEvSW_
; %bb.0:
	.section	.rodata,"a",@progbits
	.p2align	6, 0x0
	.amdhsa_kernel _ZN7rocprim17ROCPRIM_400000_NS6detail17trampoline_kernelINS0_14default_configENS1_22reduce_config_selectorIlEEZNS1_11reduce_implILb1ES3_N6thrust23THRUST_200600_302600_NS11hip_rocprim26transform_input_iterator_tIlNS8_12zip_iteratorINS8_5tupleINS8_6detail15normal_iteratorINS8_10device_ptrIxEEEESH_NS8_9null_typeESI_SI_SI_SI_SI_SI_SI_EEEENS9_21zip_adj_not_predicateINS8_8equal_toIxEEEEEEPllNS8_4plusIlEEEE10hipError_tPvRmT1_T2_T3_mT4_P12ihipStream_tbEUlT_E0_NS1_11comp_targetILNS1_3genE9ELNS1_11target_archE1100ELNS1_3gpuE3ELNS1_3repE0EEENS1_30default_config_static_selectorELNS0_4arch9wavefront6targetE1EEEvSW_
		.amdhsa_group_segment_fixed_size 0
		.amdhsa_private_segment_fixed_size 0
		.amdhsa_kernarg_size 80
		.amdhsa_user_sgpr_count 6
		.amdhsa_user_sgpr_private_segment_buffer 1
		.amdhsa_user_sgpr_dispatch_ptr 0
		.amdhsa_user_sgpr_queue_ptr 0
		.amdhsa_user_sgpr_kernarg_segment_ptr 1
		.amdhsa_user_sgpr_dispatch_id 0
		.amdhsa_user_sgpr_flat_scratch_init 0
		.amdhsa_user_sgpr_private_segment_size 0
		.amdhsa_uses_dynamic_stack 0
		.amdhsa_system_sgpr_private_segment_wavefront_offset 0
		.amdhsa_system_sgpr_workgroup_id_x 1
		.amdhsa_system_sgpr_workgroup_id_y 0
		.amdhsa_system_sgpr_workgroup_id_z 0
		.amdhsa_system_sgpr_workgroup_info 0
		.amdhsa_system_vgpr_workitem_id 0
		.amdhsa_next_free_vgpr 1
		.amdhsa_next_free_sgpr 0
		.amdhsa_reserve_vcc 0
		.amdhsa_reserve_flat_scratch 0
		.amdhsa_float_round_mode_32 0
		.amdhsa_float_round_mode_16_64 0
		.amdhsa_float_denorm_mode_32 3
		.amdhsa_float_denorm_mode_16_64 3
		.amdhsa_dx10_clamp 1
		.amdhsa_ieee_mode 1
		.amdhsa_fp16_overflow 0
		.amdhsa_exception_fp_ieee_invalid_op 0
		.amdhsa_exception_fp_denorm_src 0
		.amdhsa_exception_fp_ieee_div_zero 0
		.amdhsa_exception_fp_ieee_overflow 0
		.amdhsa_exception_fp_ieee_underflow 0
		.amdhsa_exception_fp_ieee_inexact 0
		.amdhsa_exception_int_div_zero 0
	.end_amdhsa_kernel
	.section	.text._ZN7rocprim17ROCPRIM_400000_NS6detail17trampoline_kernelINS0_14default_configENS1_22reduce_config_selectorIlEEZNS1_11reduce_implILb1ES3_N6thrust23THRUST_200600_302600_NS11hip_rocprim26transform_input_iterator_tIlNS8_12zip_iteratorINS8_5tupleINS8_6detail15normal_iteratorINS8_10device_ptrIxEEEESH_NS8_9null_typeESI_SI_SI_SI_SI_SI_SI_EEEENS9_21zip_adj_not_predicateINS8_8equal_toIxEEEEEEPllNS8_4plusIlEEEE10hipError_tPvRmT1_T2_T3_mT4_P12ihipStream_tbEUlT_E0_NS1_11comp_targetILNS1_3genE9ELNS1_11target_archE1100ELNS1_3gpuE3ELNS1_3repE0EEENS1_30default_config_static_selectorELNS0_4arch9wavefront6targetE1EEEvSW_,"axG",@progbits,_ZN7rocprim17ROCPRIM_400000_NS6detail17trampoline_kernelINS0_14default_configENS1_22reduce_config_selectorIlEEZNS1_11reduce_implILb1ES3_N6thrust23THRUST_200600_302600_NS11hip_rocprim26transform_input_iterator_tIlNS8_12zip_iteratorINS8_5tupleINS8_6detail15normal_iteratorINS8_10device_ptrIxEEEESH_NS8_9null_typeESI_SI_SI_SI_SI_SI_SI_EEEENS9_21zip_adj_not_predicateINS8_8equal_toIxEEEEEEPllNS8_4plusIlEEEE10hipError_tPvRmT1_T2_T3_mT4_P12ihipStream_tbEUlT_E0_NS1_11comp_targetILNS1_3genE9ELNS1_11target_archE1100ELNS1_3gpuE3ELNS1_3repE0EEENS1_30default_config_static_selectorELNS0_4arch9wavefront6targetE1EEEvSW_,comdat
.Lfunc_end930:
	.size	_ZN7rocprim17ROCPRIM_400000_NS6detail17trampoline_kernelINS0_14default_configENS1_22reduce_config_selectorIlEEZNS1_11reduce_implILb1ES3_N6thrust23THRUST_200600_302600_NS11hip_rocprim26transform_input_iterator_tIlNS8_12zip_iteratorINS8_5tupleINS8_6detail15normal_iteratorINS8_10device_ptrIxEEEESH_NS8_9null_typeESI_SI_SI_SI_SI_SI_SI_EEEENS9_21zip_adj_not_predicateINS8_8equal_toIxEEEEEEPllNS8_4plusIlEEEE10hipError_tPvRmT1_T2_T3_mT4_P12ihipStream_tbEUlT_E0_NS1_11comp_targetILNS1_3genE9ELNS1_11target_archE1100ELNS1_3gpuE3ELNS1_3repE0EEENS1_30default_config_static_selectorELNS0_4arch9wavefront6targetE1EEEvSW_, .Lfunc_end930-_ZN7rocprim17ROCPRIM_400000_NS6detail17trampoline_kernelINS0_14default_configENS1_22reduce_config_selectorIlEEZNS1_11reduce_implILb1ES3_N6thrust23THRUST_200600_302600_NS11hip_rocprim26transform_input_iterator_tIlNS8_12zip_iteratorINS8_5tupleINS8_6detail15normal_iteratorINS8_10device_ptrIxEEEESH_NS8_9null_typeESI_SI_SI_SI_SI_SI_SI_EEEENS9_21zip_adj_not_predicateINS8_8equal_toIxEEEEEEPllNS8_4plusIlEEEE10hipError_tPvRmT1_T2_T3_mT4_P12ihipStream_tbEUlT_E0_NS1_11comp_targetILNS1_3genE9ELNS1_11target_archE1100ELNS1_3gpuE3ELNS1_3repE0EEENS1_30default_config_static_selectorELNS0_4arch9wavefront6targetE1EEEvSW_
                                        ; -- End function
	.set _ZN7rocprim17ROCPRIM_400000_NS6detail17trampoline_kernelINS0_14default_configENS1_22reduce_config_selectorIlEEZNS1_11reduce_implILb1ES3_N6thrust23THRUST_200600_302600_NS11hip_rocprim26transform_input_iterator_tIlNS8_12zip_iteratorINS8_5tupleINS8_6detail15normal_iteratorINS8_10device_ptrIxEEEESH_NS8_9null_typeESI_SI_SI_SI_SI_SI_SI_EEEENS9_21zip_adj_not_predicateINS8_8equal_toIxEEEEEEPllNS8_4plusIlEEEE10hipError_tPvRmT1_T2_T3_mT4_P12ihipStream_tbEUlT_E0_NS1_11comp_targetILNS1_3genE9ELNS1_11target_archE1100ELNS1_3gpuE3ELNS1_3repE0EEENS1_30default_config_static_selectorELNS0_4arch9wavefront6targetE1EEEvSW_.num_vgpr, 0
	.set _ZN7rocprim17ROCPRIM_400000_NS6detail17trampoline_kernelINS0_14default_configENS1_22reduce_config_selectorIlEEZNS1_11reduce_implILb1ES3_N6thrust23THRUST_200600_302600_NS11hip_rocprim26transform_input_iterator_tIlNS8_12zip_iteratorINS8_5tupleINS8_6detail15normal_iteratorINS8_10device_ptrIxEEEESH_NS8_9null_typeESI_SI_SI_SI_SI_SI_SI_EEEENS9_21zip_adj_not_predicateINS8_8equal_toIxEEEEEEPllNS8_4plusIlEEEE10hipError_tPvRmT1_T2_T3_mT4_P12ihipStream_tbEUlT_E0_NS1_11comp_targetILNS1_3genE9ELNS1_11target_archE1100ELNS1_3gpuE3ELNS1_3repE0EEENS1_30default_config_static_selectorELNS0_4arch9wavefront6targetE1EEEvSW_.num_agpr, 0
	.set _ZN7rocprim17ROCPRIM_400000_NS6detail17trampoline_kernelINS0_14default_configENS1_22reduce_config_selectorIlEEZNS1_11reduce_implILb1ES3_N6thrust23THRUST_200600_302600_NS11hip_rocprim26transform_input_iterator_tIlNS8_12zip_iteratorINS8_5tupleINS8_6detail15normal_iteratorINS8_10device_ptrIxEEEESH_NS8_9null_typeESI_SI_SI_SI_SI_SI_SI_EEEENS9_21zip_adj_not_predicateINS8_8equal_toIxEEEEEEPllNS8_4plusIlEEEE10hipError_tPvRmT1_T2_T3_mT4_P12ihipStream_tbEUlT_E0_NS1_11comp_targetILNS1_3genE9ELNS1_11target_archE1100ELNS1_3gpuE3ELNS1_3repE0EEENS1_30default_config_static_selectorELNS0_4arch9wavefront6targetE1EEEvSW_.numbered_sgpr, 0
	.set _ZN7rocprim17ROCPRIM_400000_NS6detail17trampoline_kernelINS0_14default_configENS1_22reduce_config_selectorIlEEZNS1_11reduce_implILb1ES3_N6thrust23THRUST_200600_302600_NS11hip_rocprim26transform_input_iterator_tIlNS8_12zip_iteratorINS8_5tupleINS8_6detail15normal_iteratorINS8_10device_ptrIxEEEESH_NS8_9null_typeESI_SI_SI_SI_SI_SI_SI_EEEENS9_21zip_adj_not_predicateINS8_8equal_toIxEEEEEEPllNS8_4plusIlEEEE10hipError_tPvRmT1_T2_T3_mT4_P12ihipStream_tbEUlT_E0_NS1_11comp_targetILNS1_3genE9ELNS1_11target_archE1100ELNS1_3gpuE3ELNS1_3repE0EEENS1_30default_config_static_selectorELNS0_4arch9wavefront6targetE1EEEvSW_.num_named_barrier, 0
	.set _ZN7rocprim17ROCPRIM_400000_NS6detail17trampoline_kernelINS0_14default_configENS1_22reduce_config_selectorIlEEZNS1_11reduce_implILb1ES3_N6thrust23THRUST_200600_302600_NS11hip_rocprim26transform_input_iterator_tIlNS8_12zip_iteratorINS8_5tupleINS8_6detail15normal_iteratorINS8_10device_ptrIxEEEESH_NS8_9null_typeESI_SI_SI_SI_SI_SI_SI_EEEENS9_21zip_adj_not_predicateINS8_8equal_toIxEEEEEEPllNS8_4plusIlEEEE10hipError_tPvRmT1_T2_T3_mT4_P12ihipStream_tbEUlT_E0_NS1_11comp_targetILNS1_3genE9ELNS1_11target_archE1100ELNS1_3gpuE3ELNS1_3repE0EEENS1_30default_config_static_selectorELNS0_4arch9wavefront6targetE1EEEvSW_.private_seg_size, 0
	.set _ZN7rocprim17ROCPRIM_400000_NS6detail17trampoline_kernelINS0_14default_configENS1_22reduce_config_selectorIlEEZNS1_11reduce_implILb1ES3_N6thrust23THRUST_200600_302600_NS11hip_rocprim26transform_input_iterator_tIlNS8_12zip_iteratorINS8_5tupleINS8_6detail15normal_iteratorINS8_10device_ptrIxEEEESH_NS8_9null_typeESI_SI_SI_SI_SI_SI_SI_EEEENS9_21zip_adj_not_predicateINS8_8equal_toIxEEEEEEPllNS8_4plusIlEEEE10hipError_tPvRmT1_T2_T3_mT4_P12ihipStream_tbEUlT_E0_NS1_11comp_targetILNS1_3genE9ELNS1_11target_archE1100ELNS1_3gpuE3ELNS1_3repE0EEENS1_30default_config_static_selectorELNS0_4arch9wavefront6targetE1EEEvSW_.uses_vcc, 0
	.set _ZN7rocprim17ROCPRIM_400000_NS6detail17trampoline_kernelINS0_14default_configENS1_22reduce_config_selectorIlEEZNS1_11reduce_implILb1ES3_N6thrust23THRUST_200600_302600_NS11hip_rocprim26transform_input_iterator_tIlNS8_12zip_iteratorINS8_5tupleINS8_6detail15normal_iteratorINS8_10device_ptrIxEEEESH_NS8_9null_typeESI_SI_SI_SI_SI_SI_SI_EEEENS9_21zip_adj_not_predicateINS8_8equal_toIxEEEEEEPllNS8_4plusIlEEEE10hipError_tPvRmT1_T2_T3_mT4_P12ihipStream_tbEUlT_E0_NS1_11comp_targetILNS1_3genE9ELNS1_11target_archE1100ELNS1_3gpuE3ELNS1_3repE0EEENS1_30default_config_static_selectorELNS0_4arch9wavefront6targetE1EEEvSW_.uses_flat_scratch, 0
	.set _ZN7rocprim17ROCPRIM_400000_NS6detail17trampoline_kernelINS0_14default_configENS1_22reduce_config_selectorIlEEZNS1_11reduce_implILb1ES3_N6thrust23THRUST_200600_302600_NS11hip_rocprim26transform_input_iterator_tIlNS8_12zip_iteratorINS8_5tupleINS8_6detail15normal_iteratorINS8_10device_ptrIxEEEESH_NS8_9null_typeESI_SI_SI_SI_SI_SI_SI_EEEENS9_21zip_adj_not_predicateINS8_8equal_toIxEEEEEEPllNS8_4plusIlEEEE10hipError_tPvRmT1_T2_T3_mT4_P12ihipStream_tbEUlT_E0_NS1_11comp_targetILNS1_3genE9ELNS1_11target_archE1100ELNS1_3gpuE3ELNS1_3repE0EEENS1_30default_config_static_selectorELNS0_4arch9wavefront6targetE1EEEvSW_.has_dyn_sized_stack, 0
	.set _ZN7rocprim17ROCPRIM_400000_NS6detail17trampoline_kernelINS0_14default_configENS1_22reduce_config_selectorIlEEZNS1_11reduce_implILb1ES3_N6thrust23THRUST_200600_302600_NS11hip_rocprim26transform_input_iterator_tIlNS8_12zip_iteratorINS8_5tupleINS8_6detail15normal_iteratorINS8_10device_ptrIxEEEESH_NS8_9null_typeESI_SI_SI_SI_SI_SI_SI_EEEENS9_21zip_adj_not_predicateINS8_8equal_toIxEEEEEEPllNS8_4plusIlEEEE10hipError_tPvRmT1_T2_T3_mT4_P12ihipStream_tbEUlT_E0_NS1_11comp_targetILNS1_3genE9ELNS1_11target_archE1100ELNS1_3gpuE3ELNS1_3repE0EEENS1_30default_config_static_selectorELNS0_4arch9wavefront6targetE1EEEvSW_.has_recursion, 0
	.set _ZN7rocprim17ROCPRIM_400000_NS6detail17trampoline_kernelINS0_14default_configENS1_22reduce_config_selectorIlEEZNS1_11reduce_implILb1ES3_N6thrust23THRUST_200600_302600_NS11hip_rocprim26transform_input_iterator_tIlNS8_12zip_iteratorINS8_5tupleINS8_6detail15normal_iteratorINS8_10device_ptrIxEEEESH_NS8_9null_typeESI_SI_SI_SI_SI_SI_SI_EEEENS9_21zip_adj_not_predicateINS8_8equal_toIxEEEEEEPllNS8_4plusIlEEEE10hipError_tPvRmT1_T2_T3_mT4_P12ihipStream_tbEUlT_E0_NS1_11comp_targetILNS1_3genE9ELNS1_11target_archE1100ELNS1_3gpuE3ELNS1_3repE0EEENS1_30default_config_static_selectorELNS0_4arch9wavefront6targetE1EEEvSW_.has_indirect_call, 0
	.section	.AMDGPU.csdata,"",@progbits
; Kernel info:
; codeLenInByte = 0
; TotalNumSgprs: 4
; NumVgprs: 0
; ScratchSize: 0
; MemoryBound: 0
; FloatMode: 240
; IeeeMode: 1
; LDSByteSize: 0 bytes/workgroup (compile time only)
; SGPRBlocks: 0
; VGPRBlocks: 0
; NumSGPRsForWavesPerEU: 4
; NumVGPRsForWavesPerEU: 1
; Occupancy: 10
; WaveLimiterHint : 0
; COMPUTE_PGM_RSRC2:SCRATCH_EN: 0
; COMPUTE_PGM_RSRC2:USER_SGPR: 6
; COMPUTE_PGM_RSRC2:TRAP_HANDLER: 0
; COMPUTE_PGM_RSRC2:TGID_X_EN: 1
; COMPUTE_PGM_RSRC2:TGID_Y_EN: 0
; COMPUTE_PGM_RSRC2:TGID_Z_EN: 0
; COMPUTE_PGM_RSRC2:TIDIG_COMP_CNT: 0
	.section	.text._ZN7rocprim17ROCPRIM_400000_NS6detail17trampoline_kernelINS0_14default_configENS1_22reduce_config_selectorIlEEZNS1_11reduce_implILb1ES3_N6thrust23THRUST_200600_302600_NS11hip_rocprim26transform_input_iterator_tIlNS8_12zip_iteratorINS8_5tupleINS8_6detail15normal_iteratorINS8_10device_ptrIxEEEESH_NS8_9null_typeESI_SI_SI_SI_SI_SI_SI_EEEENS9_21zip_adj_not_predicateINS8_8equal_toIxEEEEEEPllNS8_4plusIlEEEE10hipError_tPvRmT1_T2_T3_mT4_P12ihipStream_tbEUlT_E0_NS1_11comp_targetILNS1_3genE8ELNS1_11target_archE1030ELNS1_3gpuE2ELNS1_3repE0EEENS1_30default_config_static_selectorELNS0_4arch9wavefront6targetE1EEEvSW_,"axG",@progbits,_ZN7rocprim17ROCPRIM_400000_NS6detail17trampoline_kernelINS0_14default_configENS1_22reduce_config_selectorIlEEZNS1_11reduce_implILb1ES3_N6thrust23THRUST_200600_302600_NS11hip_rocprim26transform_input_iterator_tIlNS8_12zip_iteratorINS8_5tupleINS8_6detail15normal_iteratorINS8_10device_ptrIxEEEESH_NS8_9null_typeESI_SI_SI_SI_SI_SI_SI_EEEENS9_21zip_adj_not_predicateINS8_8equal_toIxEEEEEEPllNS8_4plusIlEEEE10hipError_tPvRmT1_T2_T3_mT4_P12ihipStream_tbEUlT_E0_NS1_11comp_targetILNS1_3genE8ELNS1_11target_archE1030ELNS1_3gpuE2ELNS1_3repE0EEENS1_30default_config_static_selectorELNS0_4arch9wavefront6targetE1EEEvSW_,comdat
	.protected	_ZN7rocprim17ROCPRIM_400000_NS6detail17trampoline_kernelINS0_14default_configENS1_22reduce_config_selectorIlEEZNS1_11reduce_implILb1ES3_N6thrust23THRUST_200600_302600_NS11hip_rocprim26transform_input_iterator_tIlNS8_12zip_iteratorINS8_5tupleINS8_6detail15normal_iteratorINS8_10device_ptrIxEEEESH_NS8_9null_typeESI_SI_SI_SI_SI_SI_SI_EEEENS9_21zip_adj_not_predicateINS8_8equal_toIxEEEEEEPllNS8_4plusIlEEEE10hipError_tPvRmT1_T2_T3_mT4_P12ihipStream_tbEUlT_E0_NS1_11comp_targetILNS1_3genE8ELNS1_11target_archE1030ELNS1_3gpuE2ELNS1_3repE0EEENS1_30default_config_static_selectorELNS0_4arch9wavefront6targetE1EEEvSW_ ; -- Begin function _ZN7rocprim17ROCPRIM_400000_NS6detail17trampoline_kernelINS0_14default_configENS1_22reduce_config_selectorIlEEZNS1_11reduce_implILb1ES3_N6thrust23THRUST_200600_302600_NS11hip_rocprim26transform_input_iterator_tIlNS8_12zip_iteratorINS8_5tupleINS8_6detail15normal_iteratorINS8_10device_ptrIxEEEESH_NS8_9null_typeESI_SI_SI_SI_SI_SI_SI_EEEENS9_21zip_adj_not_predicateINS8_8equal_toIxEEEEEEPllNS8_4plusIlEEEE10hipError_tPvRmT1_T2_T3_mT4_P12ihipStream_tbEUlT_E0_NS1_11comp_targetILNS1_3genE8ELNS1_11target_archE1030ELNS1_3gpuE2ELNS1_3repE0EEENS1_30default_config_static_selectorELNS0_4arch9wavefront6targetE1EEEvSW_
	.globl	_ZN7rocprim17ROCPRIM_400000_NS6detail17trampoline_kernelINS0_14default_configENS1_22reduce_config_selectorIlEEZNS1_11reduce_implILb1ES3_N6thrust23THRUST_200600_302600_NS11hip_rocprim26transform_input_iterator_tIlNS8_12zip_iteratorINS8_5tupleINS8_6detail15normal_iteratorINS8_10device_ptrIxEEEESH_NS8_9null_typeESI_SI_SI_SI_SI_SI_SI_EEEENS9_21zip_adj_not_predicateINS8_8equal_toIxEEEEEEPllNS8_4plusIlEEEE10hipError_tPvRmT1_T2_T3_mT4_P12ihipStream_tbEUlT_E0_NS1_11comp_targetILNS1_3genE8ELNS1_11target_archE1030ELNS1_3gpuE2ELNS1_3repE0EEENS1_30default_config_static_selectorELNS0_4arch9wavefront6targetE1EEEvSW_
	.p2align	8
	.type	_ZN7rocprim17ROCPRIM_400000_NS6detail17trampoline_kernelINS0_14default_configENS1_22reduce_config_selectorIlEEZNS1_11reduce_implILb1ES3_N6thrust23THRUST_200600_302600_NS11hip_rocprim26transform_input_iterator_tIlNS8_12zip_iteratorINS8_5tupleINS8_6detail15normal_iteratorINS8_10device_ptrIxEEEESH_NS8_9null_typeESI_SI_SI_SI_SI_SI_SI_EEEENS9_21zip_adj_not_predicateINS8_8equal_toIxEEEEEEPllNS8_4plusIlEEEE10hipError_tPvRmT1_T2_T3_mT4_P12ihipStream_tbEUlT_E0_NS1_11comp_targetILNS1_3genE8ELNS1_11target_archE1030ELNS1_3gpuE2ELNS1_3repE0EEENS1_30default_config_static_selectorELNS0_4arch9wavefront6targetE1EEEvSW_,@function
_ZN7rocprim17ROCPRIM_400000_NS6detail17trampoline_kernelINS0_14default_configENS1_22reduce_config_selectorIlEEZNS1_11reduce_implILb1ES3_N6thrust23THRUST_200600_302600_NS11hip_rocprim26transform_input_iterator_tIlNS8_12zip_iteratorINS8_5tupleINS8_6detail15normal_iteratorINS8_10device_ptrIxEEEESH_NS8_9null_typeESI_SI_SI_SI_SI_SI_SI_EEEENS9_21zip_adj_not_predicateINS8_8equal_toIxEEEEEEPllNS8_4plusIlEEEE10hipError_tPvRmT1_T2_T3_mT4_P12ihipStream_tbEUlT_E0_NS1_11comp_targetILNS1_3genE8ELNS1_11target_archE1030ELNS1_3gpuE2ELNS1_3repE0EEENS1_30default_config_static_selectorELNS0_4arch9wavefront6targetE1EEEvSW_: ; @_ZN7rocprim17ROCPRIM_400000_NS6detail17trampoline_kernelINS0_14default_configENS1_22reduce_config_selectorIlEEZNS1_11reduce_implILb1ES3_N6thrust23THRUST_200600_302600_NS11hip_rocprim26transform_input_iterator_tIlNS8_12zip_iteratorINS8_5tupleINS8_6detail15normal_iteratorINS8_10device_ptrIxEEEESH_NS8_9null_typeESI_SI_SI_SI_SI_SI_SI_EEEENS9_21zip_adj_not_predicateINS8_8equal_toIxEEEEEEPllNS8_4plusIlEEEE10hipError_tPvRmT1_T2_T3_mT4_P12ihipStream_tbEUlT_E0_NS1_11comp_targetILNS1_3genE8ELNS1_11target_archE1030ELNS1_3gpuE2ELNS1_3repE0EEENS1_30default_config_static_selectorELNS0_4arch9wavefront6targetE1EEEvSW_
; %bb.0:
	.section	.rodata,"a",@progbits
	.p2align	6, 0x0
	.amdhsa_kernel _ZN7rocprim17ROCPRIM_400000_NS6detail17trampoline_kernelINS0_14default_configENS1_22reduce_config_selectorIlEEZNS1_11reduce_implILb1ES3_N6thrust23THRUST_200600_302600_NS11hip_rocprim26transform_input_iterator_tIlNS8_12zip_iteratorINS8_5tupleINS8_6detail15normal_iteratorINS8_10device_ptrIxEEEESH_NS8_9null_typeESI_SI_SI_SI_SI_SI_SI_EEEENS9_21zip_adj_not_predicateINS8_8equal_toIxEEEEEEPllNS8_4plusIlEEEE10hipError_tPvRmT1_T2_T3_mT4_P12ihipStream_tbEUlT_E0_NS1_11comp_targetILNS1_3genE8ELNS1_11target_archE1030ELNS1_3gpuE2ELNS1_3repE0EEENS1_30default_config_static_selectorELNS0_4arch9wavefront6targetE1EEEvSW_
		.amdhsa_group_segment_fixed_size 0
		.amdhsa_private_segment_fixed_size 0
		.amdhsa_kernarg_size 80
		.amdhsa_user_sgpr_count 6
		.amdhsa_user_sgpr_private_segment_buffer 1
		.amdhsa_user_sgpr_dispatch_ptr 0
		.amdhsa_user_sgpr_queue_ptr 0
		.amdhsa_user_sgpr_kernarg_segment_ptr 1
		.amdhsa_user_sgpr_dispatch_id 0
		.amdhsa_user_sgpr_flat_scratch_init 0
		.amdhsa_user_sgpr_private_segment_size 0
		.amdhsa_uses_dynamic_stack 0
		.amdhsa_system_sgpr_private_segment_wavefront_offset 0
		.amdhsa_system_sgpr_workgroup_id_x 1
		.amdhsa_system_sgpr_workgroup_id_y 0
		.amdhsa_system_sgpr_workgroup_id_z 0
		.amdhsa_system_sgpr_workgroup_info 0
		.amdhsa_system_vgpr_workitem_id 0
		.amdhsa_next_free_vgpr 1
		.amdhsa_next_free_sgpr 0
		.amdhsa_reserve_vcc 0
		.amdhsa_reserve_flat_scratch 0
		.amdhsa_float_round_mode_32 0
		.amdhsa_float_round_mode_16_64 0
		.amdhsa_float_denorm_mode_32 3
		.amdhsa_float_denorm_mode_16_64 3
		.amdhsa_dx10_clamp 1
		.amdhsa_ieee_mode 1
		.amdhsa_fp16_overflow 0
		.amdhsa_exception_fp_ieee_invalid_op 0
		.amdhsa_exception_fp_denorm_src 0
		.amdhsa_exception_fp_ieee_div_zero 0
		.amdhsa_exception_fp_ieee_overflow 0
		.amdhsa_exception_fp_ieee_underflow 0
		.amdhsa_exception_fp_ieee_inexact 0
		.amdhsa_exception_int_div_zero 0
	.end_amdhsa_kernel
	.section	.text._ZN7rocprim17ROCPRIM_400000_NS6detail17trampoline_kernelINS0_14default_configENS1_22reduce_config_selectorIlEEZNS1_11reduce_implILb1ES3_N6thrust23THRUST_200600_302600_NS11hip_rocprim26transform_input_iterator_tIlNS8_12zip_iteratorINS8_5tupleINS8_6detail15normal_iteratorINS8_10device_ptrIxEEEESH_NS8_9null_typeESI_SI_SI_SI_SI_SI_SI_EEEENS9_21zip_adj_not_predicateINS8_8equal_toIxEEEEEEPllNS8_4plusIlEEEE10hipError_tPvRmT1_T2_T3_mT4_P12ihipStream_tbEUlT_E0_NS1_11comp_targetILNS1_3genE8ELNS1_11target_archE1030ELNS1_3gpuE2ELNS1_3repE0EEENS1_30default_config_static_selectorELNS0_4arch9wavefront6targetE1EEEvSW_,"axG",@progbits,_ZN7rocprim17ROCPRIM_400000_NS6detail17trampoline_kernelINS0_14default_configENS1_22reduce_config_selectorIlEEZNS1_11reduce_implILb1ES3_N6thrust23THRUST_200600_302600_NS11hip_rocprim26transform_input_iterator_tIlNS8_12zip_iteratorINS8_5tupleINS8_6detail15normal_iteratorINS8_10device_ptrIxEEEESH_NS8_9null_typeESI_SI_SI_SI_SI_SI_SI_EEEENS9_21zip_adj_not_predicateINS8_8equal_toIxEEEEEEPllNS8_4plusIlEEEE10hipError_tPvRmT1_T2_T3_mT4_P12ihipStream_tbEUlT_E0_NS1_11comp_targetILNS1_3genE8ELNS1_11target_archE1030ELNS1_3gpuE2ELNS1_3repE0EEENS1_30default_config_static_selectorELNS0_4arch9wavefront6targetE1EEEvSW_,comdat
.Lfunc_end931:
	.size	_ZN7rocprim17ROCPRIM_400000_NS6detail17trampoline_kernelINS0_14default_configENS1_22reduce_config_selectorIlEEZNS1_11reduce_implILb1ES3_N6thrust23THRUST_200600_302600_NS11hip_rocprim26transform_input_iterator_tIlNS8_12zip_iteratorINS8_5tupleINS8_6detail15normal_iteratorINS8_10device_ptrIxEEEESH_NS8_9null_typeESI_SI_SI_SI_SI_SI_SI_EEEENS9_21zip_adj_not_predicateINS8_8equal_toIxEEEEEEPllNS8_4plusIlEEEE10hipError_tPvRmT1_T2_T3_mT4_P12ihipStream_tbEUlT_E0_NS1_11comp_targetILNS1_3genE8ELNS1_11target_archE1030ELNS1_3gpuE2ELNS1_3repE0EEENS1_30default_config_static_selectorELNS0_4arch9wavefront6targetE1EEEvSW_, .Lfunc_end931-_ZN7rocprim17ROCPRIM_400000_NS6detail17trampoline_kernelINS0_14default_configENS1_22reduce_config_selectorIlEEZNS1_11reduce_implILb1ES3_N6thrust23THRUST_200600_302600_NS11hip_rocprim26transform_input_iterator_tIlNS8_12zip_iteratorINS8_5tupleINS8_6detail15normal_iteratorINS8_10device_ptrIxEEEESH_NS8_9null_typeESI_SI_SI_SI_SI_SI_SI_EEEENS9_21zip_adj_not_predicateINS8_8equal_toIxEEEEEEPllNS8_4plusIlEEEE10hipError_tPvRmT1_T2_T3_mT4_P12ihipStream_tbEUlT_E0_NS1_11comp_targetILNS1_3genE8ELNS1_11target_archE1030ELNS1_3gpuE2ELNS1_3repE0EEENS1_30default_config_static_selectorELNS0_4arch9wavefront6targetE1EEEvSW_
                                        ; -- End function
	.set _ZN7rocprim17ROCPRIM_400000_NS6detail17trampoline_kernelINS0_14default_configENS1_22reduce_config_selectorIlEEZNS1_11reduce_implILb1ES3_N6thrust23THRUST_200600_302600_NS11hip_rocprim26transform_input_iterator_tIlNS8_12zip_iteratorINS8_5tupleINS8_6detail15normal_iteratorINS8_10device_ptrIxEEEESH_NS8_9null_typeESI_SI_SI_SI_SI_SI_SI_EEEENS9_21zip_adj_not_predicateINS8_8equal_toIxEEEEEEPllNS8_4plusIlEEEE10hipError_tPvRmT1_T2_T3_mT4_P12ihipStream_tbEUlT_E0_NS1_11comp_targetILNS1_3genE8ELNS1_11target_archE1030ELNS1_3gpuE2ELNS1_3repE0EEENS1_30default_config_static_selectorELNS0_4arch9wavefront6targetE1EEEvSW_.num_vgpr, 0
	.set _ZN7rocprim17ROCPRIM_400000_NS6detail17trampoline_kernelINS0_14default_configENS1_22reduce_config_selectorIlEEZNS1_11reduce_implILb1ES3_N6thrust23THRUST_200600_302600_NS11hip_rocprim26transform_input_iterator_tIlNS8_12zip_iteratorINS8_5tupleINS8_6detail15normal_iteratorINS8_10device_ptrIxEEEESH_NS8_9null_typeESI_SI_SI_SI_SI_SI_SI_EEEENS9_21zip_adj_not_predicateINS8_8equal_toIxEEEEEEPllNS8_4plusIlEEEE10hipError_tPvRmT1_T2_T3_mT4_P12ihipStream_tbEUlT_E0_NS1_11comp_targetILNS1_3genE8ELNS1_11target_archE1030ELNS1_3gpuE2ELNS1_3repE0EEENS1_30default_config_static_selectorELNS0_4arch9wavefront6targetE1EEEvSW_.num_agpr, 0
	.set _ZN7rocprim17ROCPRIM_400000_NS6detail17trampoline_kernelINS0_14default_configENS1_22reduce_config_selectorIlEEZNS1_11reduce_implILb1ES3_N6thrust23THRUST_200600_302600_NS11hip_rocprim26transform_input_iterator_tIlNS8_12zip_iteratorINS8_5tupleINS8_6detail15normal_iteratorINS8_10device_ptrIxEEEESH_NS8_9null_typeESI_SI_SI_SI_SI_SI_SI_EEEENS9_21zip_adj_not_predicateINS8_8equal_toIxEEEEEEPllNS8_4plusIlEEEE10hipError_tPvRmT1_T2_T3_mT4_P12ihipStream_tbEUlT_E0_NS1_11comp_targetILNS1_3genE8ELNS1_11target_archE1030ELNS1_3gpuE2ELNS1_3repE0EEENS1_30default_config_static_selectorELNS0_4arch9wavefront6targetE1EEEvSW_.numbered_sgpr, 0
	.set _ZN7rocprim17ROCPRIM_400000_NS6detail17trampoline_kernelINS0_14default_configENS1_22reduce_config_selectorIlEEZNS1_11reduce_implILb1ES3_N6thrust23THRUST_200600_302600_NS11hip_rocprim26transform_input_iterator_tIlNS8_12zip_iteratorINS8_5tupleINS8_6detail15normal_iteratorINS8_10device_ptrIxEEEESH_NS8_9null_typeESI_SI_SI_SI_SI_SI_SI_EEEENS9_21zip_adj_not_predicateINS8_8equal_toIxEEEEEEPllNS8_4plusIlEEEE10hipError_tPvRmT1_T2_T3_mT4_P12ihipStream_tbEUlT_E0_NS1_11comp_targetILNS1_3genE8ELNS1_11target_archE1030ELNS1_3gpuE2ELNS1_3repE0EEENS1_30default_config_static_selectorELNS0_4arch9wavefront6targetE1EEEvSW_.num_named_barrier, 0
	.set _ZN7rocprim17ROCPRIM_400000_NS6detail17trampoline_kernelINS0_14default_configENS1_22reduce_config_selectorIlEEZNS1_11reduce_implILb1ES3_N6thrust23THRUST_200600_302600_NS11hip_rocprim26transform_input_iterator_tIlNS8_12zip_iteratorINS8_5tupleINS8_6detail15normal_iteratorINS8_10device_ptrIxEEEESH_NS8_9null_typeESI_SI_SI_SI_SI_SI_SI_EEEENS9_21zip_adj_not_predicateINS8_8equal_toIxEEEEEEPllNS8_4plusIlEEEE10hipError_tPvRmT1_T2_T3_mT4_P12ihipStream_tbEUlT_E0_NS1_11comp_targetILNS1_3genE8ELNS1_11target_archE1030ELNS1_3gpuE2ELNS1_3repE0EEENS1_30default_config_static_selectorELNS0_4arch9wavefront6targetE1EEEvSW_.private_seg_size, 0
	.set _ZN7rocprim17ROCPRIM_400000_NS6detail17trampoline_kernelINS0_14default_configENS1_22reduce_config_selectorIlEEZNS1_11reduce_implILb1ES3_N6thrust23THRUST_200600_302600_NS11hip_rocprim26transform_input_iterator_tIlNS8_12zip_iteratorINS8_5tupleINS8_6detail15normal_iteratorINS8_10device_ptrIxEEEESH_NS8_9null_typeESI_SI_SI_SI_SI_SI_SI_EEEENS9_21zip_adj_not_predicateINS8_8equal_toIxEEEEEEPllNS8_4plusIlEEEE10hipError_tPvRmT1_T2_T3_mT4_P12ihipStream_tbEUlT_E0_NS1_11comp_targetILNS1_3genE8ELNS1_11target_archE1030ELNS1_3gpuE2ELNS1_3repE0EEENS1_30default_config_static_selectorELNS0_4arch9wavefront6targetE1EEEvSW_.uses_vcc, 0
	.set _ZN7rocprim17ROCPRIM_400000_NS6detail17trampoline_kernelINS0_14default_configENS1_22reduce_config_selectorIlEEZNS1_11reduce_implILb1ES3_N6thrust23THRUST_200600_302600_NS11hip_rocprim26transform_input_iterator_tIlNS8_12zip_iteratorINS8_5tupleINS8_6detail15normal_iteratorINS8_10device_ptrIxEEEESH_NS8_9null_typeESI_SI_SI_SI_SI_SI_SI_EEEENS9_21zip_adj_not_predicateINS8_8equal_toIxEEEEEEPllNS8_4plusIlEEEE10hipError_tPvRmT1_T2_T3_mT4_P12ihipStream_tbEUlT_E0_NS1_11comp_targetILNS1_3genE8ELNS1_11target_archE1030ELNS1_3gpuE2ELNS1_3repE0EEENS1_30default_config_static_selectorELNS0_4arch9wavefront6targetE1EEEvSW_.uses_flat_scratch, 0
	.set _ZN7rocprim17ROCPRIM_400000_NS6detail17trampoline_kernelINS0_14default_configENS1_22reduce_config_selectorIlEEZNS1_11reduce_implILb1ES3_N6thrust23THRUST_200600_302600_NS11hip_rocprim26transform_input_iterator_tIlNS8_12zip_iteratorINS8_5tupleINS8_6detail15normal_iteratorINS8_10device_ptrIxEEEESH_NS8_9null_typeESI_SI_SI_SI_SI_SI_SI_EEEENS9_21zip_adj_not_predicateINS8_8equal_toIxEEEEEEPllNS8_4plusIlEEEE10hipError_tPvRmT1_T2_T3_mT4_P12ihipStream_tbEUlT_E0_NS1_11comp_targetILNS1_3genE8ELNS1_11target_archE1030ELNS1_3gpuE2ELNS1_3repE0EEENS1_30default_config_static_selectorELNS0_4arch9wavefront6targetE1EEEvSW_.has_dyn_sized_stack, 0
	.set _ZN7rocprim17ROCPRIM_400000_NS6detail17trampoline_kernelINS0_14default_configENS1_22reduce_config_selectorIlEEZNS1_11reduce_implILb1ES3_N6thrust23THRUST_200600_302600_NS11hip_rocprim26transform_input_iterator_tIlNS8_12zip_iteratorINS8_5tupleINS8_6detail15normal_iteratorINS8_10device_ptrIxEEEESH_NS8_9null_typeESI_SI_SI_SI_SI_SI_SI_EEEENS9_21zip_adj_not_predicateINS8_8equal_toIxEEEEEEPllNS8_4plusIlEEEE10hipError_tPvRmT1_T2_T3_mT4_P12ihipStream_tbEUlT_E0_NS1_11comp_targetILNS1_3genE8ELNS1_11target_archE1030ELNS1_3gpuE2ELNS1_3repE0EEENS1_30default_config_static_selectorELNS0_4arch9wavefront6targetE1EEEvSW_.has_recursion, 0
	.set _ZN7rocprim17ROCPRIM_400000_NS6detail17trampoline_kernelINS0_14default_configENS1_22reduce_config_selectorIlEEZNS1_11reduce_implILb1ES3_N6thrust23THRUST_200600_302600_NS11hip_rocprim26transform_input_iterator_tIlNS8_12zip_iteratorINS8_5tupleINS8_6detail15normal_iteratorINS8_10device_ptrIxEEEESH_NS8_9null_typeESI_SI_SI_SI_SI_SI_SI_EEEENS9_21zip_adj_not_predicateINS8_8equal_toIxEEEEEEPllNS8_4plusIlEEEE10hipError_tPvRmT1_T2_T3_mT4_P12ihipStream_tbEUlT_E0_NS1_11comp_targetILNS1_3genE8ELNS1_11target_archE1030ELNS1_3gpuE2ELNS1_3repE0EEENS1_30default_config_static_selectorELNS0_4arch9wavefront6targetE1EEEvSW_.has_indirect_call, 0
	.section	.AMDGPU.csdata,"",@progbits
; Kernel info:
; codeLenInByte = 0
; TotalNumSgprs: 4
; NumVgprs: 0
; ScratchSize: 0
; MemoryBound: 0
; FloatMode: 240
; IeeeMode: 1
; LDSByteSize: 0 bytes/workgroup (compile time only)
; SGPRBlocks: 0
; VGPRBlocks: 0
; NumSGPRsForWavesPerEU: 4
; NumVGPRsForWavesPerEU: 1
; Occupancy: 10
; WaveLimiterHint : 0
; COMPUTE_PGM_RSRC2:SCRATCH_EN: 0
; COMPUTE_PGM_RSRC2:USER_SGPR: 6
; COMPUTE_PGM_RSRC2:TRAP_HANDLER: 0
; COMPUTE_PGM_RSRC2:TGID_X_EN: 1
; COMPUTE_PGM_RSRC2:TGID_Y_EN: 0
; COMPUTE_PGM_RSRC2:TGID_Z_EN: 0
; COMPUTE_PGM_RSRC2:TIDIG_COMP_CNT: 0
	.section	.text._ZN7rocprim17ROCPRIM_400000_NS6detail17trampoline_kernelINS0_14default_configENS1_22reduce_config_selectorIlEEZNS1_11reduce_implILb1ES3_N6thrust23THRUST_200600_302600_NS11hip_rocprim26transform_input_iterator_tIlNS8_12zip_iteratorINS8_5tupleINS8_6detail15normal_iteratorINS8_10device_ptrIxEEEESH_NS8_9null_typeESI_SI_SI_SI_SI_SI_SI_EEEENS9_21zip_adj_not_predicateINS8_8equal_toIxEEEEEEPllNS8_4plusIlEEEE10hipError_tPvRmT1_T2_T3_mT4_P12ihipStream_tbEUlT_E1_NS1_11comp_targetILNS1_3genE0ELNS1_11target_archE4294967295ELNS1_3gpuE0ELNS1_3repE0EEENS1_30default_config_static_selectorELNS0_4arch9wavefront6targetE1EEEvSW_,"axG",@progbits,_ZN7rocprim17ROCPRIM_400000_NS6detail17trampoline_kernelINS0_14default_configENS1_22reduce_config_selectorIlEEZNS1_11reduce_implILb1ES3_N6thrust23THRUST_200600_302600_NS11hip_rocprim26transform_input_iterator_tIlNS8_12zip_iteratorINS8_5tupleINS8_6detail15normal_iteratorINS8_10device_ptrIxEEEESH_NS8_9null_typeESI_SI_SI_SI_SI_SI_SI_EEEENS9_21zip_adj_not_predicateINS8_8equal_toIxEEEEEEPllNS8_4plusIlEEEE10hipError_tPvRmT1_T2_T3_mT4_P12ihipStream_tbEUlT_E1_NS1_11comp_targetILNS1_3genE0ELNS1_11target_archE4294967295ELNS1_3gpuE0ELNS1_3repE0EEENS1_30default_config_static_selectorELNS0_4arch9wavefront6targetE1EEEvSW_,comdat
	.protected	_ZN7rocprim17ROCPRIM_400000_NS6detail17trampoline_kernelINS0_14default_configENS1_22reduce_config_selectorIlEEZNS1_11reduce_implILb1ES3_N6thrust23THRUST_200600_302600_NS11hip_rocprim26transform_input_iterator_tIlNS8_12zip_iteratorINS8_5tupleINS8_6detail15normal_iteratorINS8_10device_ptrIxEEEESH_NS8_9null_typeESI_SI_SI_SI_SI_SI_SI_EEEENS9_21zip_adj_not_predicateINS8_8equal_toIxEEEEEEPllNS8_4plusIlEEEE10hipError_tPvRmT1_T2_T3_mT4_P12ihipStream_tbEUlT_E1_NS1_11comp_targetILNS1_3genE0ELNS1_11target_archE4294967295ELNS1_3gpuE0ELNS1_3repE0EEENS1_30default_config_static_selectorELNS0_4arch9wavefront6targetE1EEEvSW_ ; -- Begin function _ZN7rocprim17ROCPRIM_400000_NS6detail17trampoline_kernelINS0_14default_configENS1_22reduce_config_selectorIlEEZNS1_11reduce_implILb1ES3_N6thrust23THRUST_200600_302600_NS11hip_rocprim26transform_input_iterator_tIlNS8_12zip_iteratorINS8_5tupleINS8_6detail15normal_iteratorINS8_10device_ptrIxEEEESH_NS8_9null_typeESI_SI_SI_SI_SI_SI_SI_EEEENS9_21zip_adj_not_predicateINS8_8equal_toIxEEEEEEPllNS8_4plusIlEEEE10hipError_tPvRmT1_T2_T3_mT4_P12ihipStream_tbEUlT_E1_NS1_11comp_targetILNS1_3genE0ELNS1_11target_archE4294967295ELNS1_3gpuE0ELNS1_3repE0EEENS1_30default_config_static_selectorELNS0_4arch9wavefront6targetE1EEEvSW_
	.globl	_ZN7rocprim17ROCPRIM_400000_NS6detail17trampoline_kernelINS0_14default_configENS1_22reduce_config_selectorIlEEZNS1_11reduce_implILb1ES3_N6thrust23THRUST_200600_302600_NS11hip_rocprim26transform_input_iterator_tIlNS8_12zip_iteratorINS8_5tupleINS8_6detail15normal_iteratorINS8_10device_ptrIxEEEESH_NS8_9null_typeESI_SI_SI_SI_SI_SI_SI_EEEENS9_21zip_adj_not_predicateINS8_8equal_toIxEEEEEEPllNS8_4plusIlEEEE10hipError_tPvRmT1_T2_T3_mT4_P12ihipStream_tbEUlT_E1_NS1_11comp_targetILNS1_3genE0ELNS1_11target_archE4294967295ELNS1_3gpuE0ELNS1_3repE0EEENS1_30default_config_static_selectorELNS0_4arch9wavefront6targetE1EEEvSW_
	.p2align	8
	.type	_ZN7rocprim17ROCPRIM_400000_NS6detail17trampoline_kernelINS0_14default_configENS1_22reduce_config_selectorIlEEZNS1_11reduce_implILb1ES3_N6thrust23THRUST_200600_302600_NS11hip_rocprim26transform_input_iterator_tIlNS8_12zip_iteratorINS8_5tupleINS8_6detail15normal_iteratorINS8_10device_ptrIxEEEESH_NS8_9null_typeESI_SI_SI_SI_SI_SI_SI_EEEENS9_21zip_adj_not_predicateINS8_8equal_toIxEEEEEEPllNS8_4plusIlEEEE10hipError_tPvRmT1_T2_T3_mT4_P12ihipStream_tbEUlT_E1_NS1_11comp_targetILNS1_3genE0ELNS1_11target_archE4294967295ELNS1_3gpuE0ELNS1_3repE0EEENS1_30default_config_static_selectorELNS0_4arch9wavefront6targetE1EEEvSW_,@function
_ZN7rocprim17ROCPRIM_400000_NS6detail17trampoline_kernelINS0_14default_configENS1_22reduce_config_selectorIlEEZNS1_11reduce_implILb1ES3_N6thrust23THRUST_200600_302600_NS11hip_rocprim26transform_input_iterator_tIlNS8_12zip_iteratorINS8_5tupleINS8_6detail15normal_iteratorINS8_10device_ptrIxEEEESH_NS8_9null_typeESI_SI_SI_SI_SI_SI_SI_EEEENS9_21zip_adj_not_predicateINS8_8equal_toIxEEEEEEPllNS8_4plusIlEEEE10hipError_tPvRmT1_T2_T3_mT4_P12ihipStream_tbEUlT_E1_NS1_11comp_targetILNS1_3genE0ELNS1_11target_archE4294967295ELNS1_3gpuE0ELNS1_3repE0EEENS1_30default_config_static_selectorELNS0_4arch9wavefront6targetE1EEEvSW_: ; @_ZN7rocprim17ROCPRIM_400000_NS6detail17trampoline_kernelINS0_14default_configENS1_22reduce_config_selectorIlEEZNS1_11reduce_implILb1ES3_N6thrust23THRUST_200600_302600_NS11hip_rocprim26transform_input_iterator_tIlNS8_12zip_iteratorINS8_5tupleINS8_6detail15normal_iteratorINS8_10device_ptrIxEEEESH_NS8_9null_typeESI_SI_SI_SI_SI_SI_SI_EEEENS9_21zip_adj_not_predicateINS8_8equal_toIxEEEEEEPllNS8_4plusIlEEEE10hipError_tPvRmT1_T2_T3_mT4_P12ihipStream_tbEUlT_E1_NS1_11comp_targetILNS1_3genE0ELNS1_11target_archE4294967295ELNS1_3gpuE0ELNS1_3repE0EEENS1_30default_config_static_selectorELNS0_4arch9wavefront6targetE1EEEvSW_
; %bb.0:
	.section	.rodata,"a",@progbits
	.p2align	6, 0x0
	.amdhsa_kernel _ZN7rocprim17ROCPRIM_400000_NS6detail17trampoline_kernelINS0_14default_configENS1_22reduce_config_selectorIlEEZNS1_11reduce_implILb1ES3_N6thrust23THRUST_200600_302600_NS11hip_rocprim26transform_input_iterator_tIlNS8_12zip_iteratorINS8_5tupleINS8_6detail15normal_iteratorINS8_10device_ptrIxEEEESH_NS8_9null_typeESI_SI_SI_SI_SI_SI_SI_EEEENS9_21zip_adj_not_predicateINS8_8equal_toIxEEEEEEPllNS8_4plusIlEEEE10hipError_tPvRmT1_T2_T3_mT4_P12ihipStream_tbEUlT_E1_NS1_11comp_targetILNS1_3genE0ELNS1_11target_archE4294967295ELNS1_3gpuE0ELNS1_3repE0EEENS1_30default_config_static_selectorELNS0_4arch9wavefront6targetE1EEEvSW_
		.amdhsa_group_segment_fixed_size 0
		.amdhsa_private_segment_fixed_size 0
		.amdhsa_kernarg_size 64
		.amdhsa_user_sgpr_count 6
		.amdhsa_user_sgpr_private_segment_buffer 1
		.amdhsa_user_sgpr_dispatch_ptr 0
		.amdhsa_user_sgpr_queue_ptr 0
		.amdhsa_user_sgpr_kernarg_segment_ptr 1
		.amdhsa_user_sgpr_dispatch_id 0
		.amdhsa_user_sgpr_flat_scratch_init 0
		.amdhsa_user_sgpr_private_segment_size 0
		.amdhsa_uses_dynamic_stack 0
		.amdhsa_system_sgpr_private_segment_wavefront_offset 0
		.amdhsa_system_sgpr_workgroup_id_x 1
		.amdhsa_system_sgpr_workgroup_id_y 0
		.amdhsa_system_sgpr_workgroup_id_z 0
		.amdhsa_system_sgpr_workgroup_info 0
		.amdhsa_system_vgpr_workitem_id 0
		.amdhsa_next_free_vgpr 1
		.amdhsa_next_free_sgpr 0
		.amdhsa_reserve_vcc 0
		.amdhsa_reserve_flat_scratch 0
		.amdhsa_float_round_mode_32 0
		.amdhsa_float_round_mode_16_64 0
		.amdhsa_float_denorm_mode_32 3
		.amdhsa_float_denorm_mode_16_64 3
		.amdhsa_dx10_clamp 1
		.amdhsa_ieee_mode 1
		.amdhsa_fp16_overflow 0
		.amdhsa_exception_fp_ieee_invalid_op 0
		.amdhsa_exception_fp_denorm_src 0
		.amdhsa_exception_fp_ieee_div_zero 0
		.amdhsa_exception_fp_ieee_overflow 0
		.amdhsa_exception_fp_ieee_underflow 0
		.amdhsa_exception_fp_ieee_inexact 0
		.amdhsa_exception_int_div_zero 0
	.end_amdhsa_kernel
	.section	.text._ZN7rocprim17ROCPRIM_400000_NS6detail17trampoline_kernelINS0_14default_configENS1_22reduce_config_selectorIlEEZNS1_11reduce_implILb1ES3_N6thrust23THRUST_200600_302600_NS11hip_rocprim26transform_input_iterator_tIlNS8_12zip_iteratorINS8_5tupleINS8_6detail15normal_iteratorINS8_10device_ptrIxEEEESH_NS8_9null_typeESI_SI_SI_SI_SI_SI_SI_EEEENS9_21zip_adj_not_predicateINS8_8equal_toIxEEEEEEPllNS8_4plusIlEEEE10hipError_tPvRmT1_T2_T3_mT4_P12ihipStream_tbEUlT_E1_NS1_11comp_targetILNS1_3genE0ELNS1_11target_archE4294967295ELNS1_3gpuE0ELNS1_3repE0EEENS1_30default_config_static_selectorELNS0_4arch9wavefront6targetE1EEEvSW_,"axG",@progbits,_ZN7rocprim17ROCPRIM_400000_NS6detail17trampoline_kernelINS0_14default_configENS1_22reduce_config_selectorIlEEZNS1_11reduce_implILb1ES3_N6thrust23THRUST_200600_302600_NS11hip_rocprim26transform_input_iterator_tIlNS8_12zip_iteratorINS8_5tupleINS8_6detail15normal_iteratorINS8_10device_ptrIxEEEESH_NS8_9null_typeESI_SI_SI_SI_SI_SI_SI_EEEENS9_21zip_adj_not_predicateINS8_8equal_toIxEEEEEEPllNS8_4plusIlEEEE10hipError_tPvRmT1_T2_T3_mT4_P12ihipStream_tbEUlT_E1_NS1_11comp_targetILNS1_3genE0ELNS1_11target_archE4294967295ELNS1_3gpuE0ELNS1_3repE0EEENS1_30default_config_static_selectorELNS0_4arch9wavefront6targetE1EEEvSW_,comdat
.Lfunc_end932:
	.size	_ZN7rocprim17ROCPRIM_400000_NS6detail17trampoline_kernelINS0_14default_configENS1_22reduce_config_selectorIlEEZNS1_11reduce_implILb1ES3_N6thrust23THRUST_200600_302600_NS11hip_rocprim26transform_input_iterator_tIlNS8_12zip_iteratorINS8_5tupleINS8_6detail15normal_iteratorINS8_10device_ptrIxEEEESH_NS8_9null_typeESI_SI_SI_SI_SI_SI_SI_EEEENS9_21zip_adj_not_predicateINS8_8equal_toIxEEEEEEPllNS8_4plusIlEEEE10hipError_tPvRmT1_T2_T3_mT4_P12ihipStream_tbEUlT_E1_NS1_11comp_targetILNS1_3genE0ELNS1_11target_archE4294967295ELNS1_3gpuE0ELNS1_3repE0EEENS1_30default_config_static_selectorELNS0_4arch9wavefront6targetE1EEEvSW_, .Lfunc_end932-_ZN7rocprim17ROCPRIM_400000_NS6detail17trampoline_kernelINS0_14default_configENS1_22reduce_config_selectorIlEEZNS1_11reduce_implILb1ES3_N6thrust23THRUST_200600_302600_NS11hip_rocprim26transform_input_iterator_tIlNS8_12zip_iteratorINS8_5tupleINS8_6detail15normal_iteratorINS8_10device_ptrIxEEEESH_NS8_9null_typeESI_SI_SI_SI_SI_SI_SI_EEEENS9_21zip_adj_not_predicateINS8_8equal_toIxEEEEEEPllNS8_4plusIlEEEE10hipError_tPvRmT1_T2_T3_mT4_P12ihipStream_tbEUlT_E1_NS1_11comp_targetILNS1_3genE0ELNS1_11target_archE4294967295ELNS1_3gpuE0ELNS1_3repE0EEENS1_30default_config_static_selectorELNS0_4arch9wavefront6targetE1EEEvSW_
                                        ; -- End function
	.set _ZN7rocprim17ROCPRIM_400000_NS6detail17trampoline_kernelINS0_14default_configENS1_22reduce_config_selectorIlEEZNS1_11reduce_implILb1ES3_N6thrust23THRUST_200600_302600_NS11hip_rocprim26transform_input_iterator_tIlNS8_12zip_iteratorINS8_5tupleINS8_6detail15normal_iteratorINS8_10device_ptrIxEEEESH_NS8_9null_typeESI_SI_SI_SI_SI_SI_SI_EEEENS9_21zip_adj_not_predicateINS8_8equal_toIxEEEEEEPllNS8_4plusIlEEEE10hipError_tPvRmT1_T2_T3_mT4_P12ihipStream_tbEUlT_E1_NS1_11comp_targetILNS1_3genE0ELNS1_11target_archE4294967295ELNS1_3gpuE0ELNS1_3repE0EEENS1_30default_config_static_selectorELNS0_4arch9wavefront6targetE1EEEvSW_.num_vgpr, 0
	.set _ZN7rocprim17ROCPRIM_400000_NS6detail17trampoline_kernelINS0_14default_configENS1_22reduce_config_selectorIlEEZNS1_11reduce_implILb1ES3_N6thrust23THRUST_200600_302600_NS11hip_rocprim26transform_input_iterator_tIlNS8_12zip_iteratorINS8_5tupleINS8_6detail15normal_iteratorINS8_10device_ptrIxEEEESH_NS8_9null_typeESI_SI_SI_SI_SI_SI_SI_EEEENS9_21zip_adj_not_predicateINS8_8equal_toIxEEEEEEPllNS8_4plusIlEEEE10hipError_tPvRmT1_T2_T3_mT4_P12ihipStream_tbEUlT_E1_NS1_11comp_targetILNS1_3genE0ELNS1_11target_archE4294967295ELNS1_3gpuE0ELNS1_3repE0EEENS1_30default_config_static_selectorELNS0_4arch9wavefront6targetE1EEEvSW_.num_agpr, 0
	.set _ZN7rocprim17ROCPRIM_400000_NS6detail17trampoline_kernelINS0_14default_configENS1_22reduce_config_selectorIlEEZNS1_11reduce_implILb1ES3_N6thrust23THRUST_200600_302600_NS11hip_rocprim26transform_input_iterator_tIlNS8_12zip_iteratorINS8_5tupleINS8_6detail15normal_iteratorINS8_10device_ptrIxEEEESH_NS8_9null_typeESI_SI_SI_SI_SI_SI_SI_EEEENS9_21zip_adj_not_predicateINS8_8equal_toIxEEEEEEPllNS8_4plusIlEEEE10hipError_tPvRmT1_T2_T3_mT4_P12ihipStream_tbEUlT_E1_NS1_11comp_targetILNS1_3genE0ELNS1_11target_archE4294967295ELNS1_3gpuE0ELNS1_3repE0EEENS1_30default_config_static_selectorELNS0_4arch9wavefront6targetE1EEEvSW_.numbered_sgpr, 0
	.set _ZN7rocprim17ROCPRIM_400000_NS6detail17trampoline_kernelINS0_14default_configENS1_22reduce_config_selectorIlEEZNS1_11reduce_implILb1ES3_N6thrust23THRUST_200600_302600_NS11hip_rocprim26transform_input_iterator_tIlNS8_12zip_iteratorINS8_5tupleINS8_6detail15normal_iteratorINS8_10device_ptrIxEEEESH_NS8_9null_typeESI_SI_SI_SI_SI_SI_SI_EEEENS9_21zip_adj_not_predicateINS8_8equal_toIxEEEEEEPllNS8_4plusIlEEEE10hipError_tPvRmT1_T2_T3_mT4_P12ihipStream_tbEUlT_E1_NS1_11comp_targetILNS1_3genE0ELNS1_11target_archE4294967295ELNS1_3gpuE0ELNS1_3repE0EEENS1_30default_config_static_selectorELNS0_4arch9wavefront6targetE1EEEvSW_.num_named_barrier, 0
	.set _ZN7rocprim17ROCPRIM_400000_NS6detail17trampoline_kernelINS0_14default_configENS1_22reduce_config_selectorIlEEZNS1_11reduce_implILb1ES3_N6thrust23THRUST_200600_302600_NS11hip_rocprim26transform_input_iterator_tIlNS8_12zip_iteratorINS8_5tupleINS8_6detail15normal_iteratorINS8_10device_ptrIxEEEESH_NS8_9null_typeESI_SI_SI_SI_SI_SI_SI_EEEENS9_21zip_adj_not_predicateINS8_8equal_toIxEEEEEEPllNS8_4plusIlEEEE10hipError_tPvRmT1_T2_T3_mT4_P12ihipStream_tbEUlT_E1_NS1_11comp_targetILNS1_3genE0ELNS1_11target_archE4294967295ELNS1_3gpuE0ELNS1_3repE0EEENS1_30default_config_static_selectorELNS0_4arch9wavefront6targetE1EEEvSW_.private_seg_size, 0
	.set _ZN7rocprim17ROCPRIM_400000_NS6detail17trampoline_kernelINS0_14default_configENS1_22reduce_config_selectorIlEEZNS1_11reduce_implILb1ES3_N6thrust23THRUST_200600_302600_NS11hip_rocprim26transform_input_iterator_tIlNS8_12zip_iteratorINS8_5tupleINS8_6detail15normal_iteratorINS8_10device_ptrIxEEEESH_NS8_9null_typeESI_SI_SI_SI_SI_SI_SI_EEEENS9_21zip_adj_not_predicateINS8_8equal_toIxEEEEEEPllNS8_4plusIlEEEE10hipError_tPvRmT1_T2_T3_mT4_P12ihipStream_tbEUlT_E1_NS1_11comp_targetILNS1_3genE0ELNS1_11target_archE4294967295ELNS1_3gpuE0ELNS1_3repE0EEENS1_30default_config_static_selectorELNS0_4arch9wavefront6targetE1EEEvSW_.uses_vcc, 0
	.set _ZN7rocprim17ROCPRIM_400000_NS6detail17trampoline_kernelINS0_14default_configENS1_22reduce_config_selectorIlEEZNS1_11reduce_implILb1ES3_N6thrust23THRUST_200600_302600_NS11hip_rocprim26transform_input_iterator_tIlNS8_12zip_iteratorINS8_5tupleINS8_6detail15normal_iteratorINS8_10device_ptrIxEEEESH_NS8_9null_typeESI_SI_SI_SI_SI_SI_SI_EEEENS9_21zip_adj_not_predicateINS8_8equal_toIxEEEEEEPllNS8_4plusIlEEEE10hipError_tPvRmT1_T2_T3_mT4_P12ihipStream_tbEUlT_E1_NS1_11comp_targetILNS1_3genE0ELNS1_11target_archE4294967295ELNS1_3gpuE0ELNS1_3repE0EEENS1_30default_config_static_selectorELNS0_4arch9wavefront6targetE1EEEvSW_.uses_flat_scratch, 0
	.set _ZN7rocprim17ROCPRIM_400000_NS6detail17trampoline_kernelINS0_14default_configENS1_22reduce_config_selectorIlEEZNS1_11reduce_implILb1ES3_N6thrust23THRUST_200600_302600_NS11hip_rocprim26transform_input_iterator_tIlNS8_12zip_iteratorINS8_5tupleINS8_6detail15normal_iteratorINS8_10device_ptrIxEEEESH_NS8_9null_typeESI_SI_SI_SI_SI_SI_SI_EEEENS9_21zip_adj_not_predicateINS8_8equal_toIxEEEEEEPllNS8_4plusIlEEEE10hipError_tPvRmT1_T2_T3_mT4_P12ihipStream_tbEUlT_E1_NS1_11comp_targetILNS1_3genE0ELNS1_11target_archE4294967295ELNS1_3gpuE0ELNS1_3repE0EEENS1_30default_config_static_selectorELNS0_4arch9wavefront6targetE1EEEvSW_.has_dyn_sized_stack, 0
	.set _ZN7rocprim17ROCPRIM_400000_NS6detail17trampoline_kernelINS0_14default_configENS1_22reduce_config_selectorIlEEZNS1_11reduce_implILb1ES3_N6thrust23THRUST_200600_302600_NS11hip_rocprim26transform_input_iterator_tIlNS8_12zip_iteratorINS8_5tupleINS8_6detail15normal_iteratorINS8_10device_ptrIxEEEESH_NS8_9null_typeESI_SI_SI_SI_SI_SI_SI_EEEENS9_21zip_adj_not_predicateINS8_8equal_toIxEEEEEEPllNS8_4plusIlEEEE10hipError_tPvRmT1_T2_T3_mT4_P12ihipStream_tbEUlT_E1_NS1_11comp_targetILNS1_3genE0ELNS1_11target_archE4294967295ELNS1_3gpuE0ELNS1_3repE0EEENS1_30default_config_static_selectorELNS0_4arch9wavefront6targetE1EEEvSW_.has_recursion, 0
	.set _ZN7rocprim17ROCPRIM_400000_NS6detail17trampoline_kernelINS0_14default_configENS1_22reduce_config_selectorIlEEZNS1_11reduce_implILb1ES3_N6thrust23THRUST_200600_302600_NS11hip_rocprim26transform_input_iterator_tIlNS8_12zip_iteratorINS8_5tupleINS8_6detail15normal_iteratorINS8_10device_ptrIxEEEESH_NS8_9null_typeESI_SI_SI_SI_SI_SI_SI_EEEENS9_21zip_adj_not_predicateINS8_8equal_toIxEEEEEEPllNS8_4plusIlEEEE10hipError_tPvRmT1_T2_T3_mT4_P12ihipStream_tbEUlT_E1_NS1_11comp_targetILNS1_3genE0ELNS1_11target_archE4294967295ELNS1_3gpuE0ELNS1_3repE0EEENS1_30default_config_static_selectorELNS0_4arch9wavefront6targetE1EEEvSW_.has_indirect_call, 0
	.section	.AMDGPU.csdata,"",@progbits
; Kernel info:
; codeLenInByte = 0
; TotalNumSgprs: 4
; NumVgprs: 0
; ScratchSize: 0
; MemoryBound: 0
; FloatMode: 240
; IeeeMode: 1
; LDSByteSize: 0 bytes/workgroup (compile time only)
; SGPRBlocks: 0
; VGPRBlocks: 0
; NumSGPRsForWavesPerEU: 4
; NumVGPRsForWavesPerEU: 1
; Occupancy: 10
; WaveLimiterHint : 0
; COMPUTE_PGM_RSRC2:SCRATCH_EN: 0
; COMPUTE_PGM_RSRC2:USER_SGPR: 6
; COMPUTE_PGM_RSRC2:TRAP_HANDLER: 0
; COMPUTE_PGM_RSRC2:TGID_X_EN: 1
; COMPUTE_PGM_RSRC2:TGID_Y_EN: 0
; COMPUTE_PGM_RSRC2:TGID_Z_EN: 0
; COMPUTE_PGM_RSRC2:TIDIG_COMP_CNT: 0
	.section	.text._ZN7rocprim17ROCPRIM_400000_NS6detail17trampoline_kernelINS0_14default_configENS1_22reduce_config_selectorIlEEZNS1_11reduce_implILb1ES3_N6thrust23THRUST_200600_302600_NS11hip_rocprim26transform_input_iterator_tIlNS8_12zip_iteratorINS8_5tupleINS8_6detail15normal_iteratorINS8_10device_ptrIxEEEESH_NS8_9null_typeESI_SI_SI_SI_SI_SI_SI_EEEENS9_21zip_adj_not_predicateINS8_8equal_toIxEEEEEEPllNS8_4plusIlEEEE10hipError_tPvRmT1_T2_T3_mT4_P12ihipStream_tbEUlT_E1_NS1_11comp_targetILNS1_3genE5ELNS1_11target_archE942ELNS1_3gpuE9ELNS1_3repE0EEENS1_30default_config_static_selectorELNS0_4arch9wavefront6targetE1EEEvSW_,"axG",@progbits,_ZN7rocprim17ROCPRIM_400000_NS6detail17trampoline_kernelINS0_14default_configENS1_22reduce_config_selectorIlEEZNS1_11reduce_implILb1ES3_N6thrust23THRUST_200600_302600_NS11hip_rocprim26transform_input_iterator_tIlNS8_12zip_iteratorINS8_5tupleINS8_6detail15normal_iteratorINS8_10device_ptrIxEEEESH_NS8_9null_typeESI_SI_SI_SI_SI_SI_SI_EEEENS9_21zip_adj_not_predicateINS8_8equal_toIxEEEEEEPllNS8_4plusIlEEEE10hipError_tPvRmT1_T2_T3_mT4_P12ihipStream_tbEUlT_E1_NS1_11comp_targetILNS1_3genE5ELNS1_11target_archE942ELNS1_3gpuE9ELNS1_3repE0EEENS1_30default_config_static_selectorELNS0_4arch9wavefront6targetE1EEEvSW_,comdat
	.protected	_ZN7rocprim17ROCPRIM_400000_NS6detail17trampoline_kernelINS0_14default_configENS1_22reduce_config_selectorIlEEZNS1_11reduce_implILb1ES3_N6thrust23THRUST_200600_302600_NS11hip_rocprim26transform_input_iterator_tIlNS8_12zip_iteratorINS8_5tupleINS8_6detail15normal_iteratorINS8_10device_ptrIxEEEESH_NS8_9null_typeESI_SI_SI_SI_SI_SI_SI_EEEENS9_21zip_adj_not_predicateINS8_8equal_toIxEEEEEEPllNS8_4plusIlEEEE10hipError_tPvRmT1_T2_T3_mT4_P12ihipStream_tbEUlT_E1_NS1_11comp_targetILNS1_3genE5ELNS1_11target_archE942ELNS1_3gpuE9ELNS1_3repE0EEENS1_30default_config_static_selectorELNS0_4arch9wavefront6targetE1EEEvSW_ ; -- Begin function _ZN7rocprim17ROCPRIM_400000_NS6detail17trampoline_kernelINS0_14default_configENS1_22reduce_config_selectorIlEEZNS1_11reduce_implILb1ES3_N6thrust23THRUST_200600_302600_NS11hip_rocprim26transform_input_iterator_tIlNS8_12zip_iteratorINS8_5tupleINS8_6detail15normal_iteratorINS8_10device_ptrIxEEEESH_NS8_9null_typeESI_SI_SI_SI_SI_SI_SI_EEEENS9_21zip_adj_not_predicateINS8_8equal_toIxEEEEEEPllNS8_4plusIlEEEE10hipError_tPvRmT1_T2_T3_mT4_P12ihipStream_tbEUlT_E1_NS1_11comp_targetILNS1_3genE5ELNS1_11target_archE942ELNS1_3gpuE9ELNS1_3repE0EEENS1_30default_config_static_selectorELNS0_4arch9wavefront6targetE1EEEvSW_
	.globl	_ZN7rocprim17ROCPRIM_400000_NS6detail17trampoline_kernelINS0_14default_configENS1_22reduce_config_selectorIlEEZNS1_11reduce_implILb1ES3_N6thrust23THRUST_200600_302600_NS11hip_rocprim26transform_input_iterator_tIlNS8_12zip_iteratorINS8_5tupleINS8_6detail15normal_iteratorINS8_10device_ptrIxEEEESH_NS8_9null_typeESI_SI_SI_SI_SI_SI_SI_EEEENS9_21zip_adj_not_predicateINS8_8equal_toIxEEEEEEPllNS8_4plusIlEEEE10hipError_tPvRmT1_T2_T3_mT4_P12ihipStream_tbEUlT_E1_NS1_11comp_targetILNS1_3genE5ELNS1_11target_archE942ELNS1_3gpuE9ELNS1_3repE0EEENS1_30default_config_static_selectorELNS0_4arch9wavefront6targetE1EEEvSW_
	.p2align	8
	.type	_ZN7rocprim17ROCPRIM_400000_NS6detail17trampoline_kernelINS0_14default_configENS1_22reduce_config_selectorIlEEZNS1_11reduce_implILb1ES3_N6thrust23THRUST_200600_302600_NS11hip_rocprim26transform_input_iterator_tIlNS8_12zip_iteratorINS8_5tupleINS8_6detail15normal_iteratorINS8_10device_ptrIxEEEESH_NS8_9null_typeESI_SI_SI_SI_SI_SI_SI_EEEENS9_21zip_adj_not_predicateINS8_8equal_toIxEEEEEEPllNS8_4plusIlEEEE10hipError_tPvRmT1_T2_T3_mT4_P12ihipStream_tbEUlT_E1_NS1_11comp_targetILNS1_3genE5ELNS1_11target_archE942ELNS1_3gpuE9ELNS1_3repE0EEENS1_30default_config_static_selectorELNS0_4arch9wavefront6targetE1EEEvSW_,@function
_ZN7rocprim17ROCPRIM_400000_NS6detail17trampoline_kernelINS0_14default_configENS1_22reduce_config_selectorIlEEZNS1_11reduce_implILb1ES3_N6thrust23THRUST_200600_302600_NS11hip_rocprim26transform_input_iterator_tIlNS8_12zip_iteratorINS8_5tupleINS8_6detail15normal_iteratorINS8_10device_ptrIxEEEESH_NS8_9null_typeESI_SI_SI_SI_SI_SI_SI_EEEENS9_21zip_adj_not_predicateINS8_8equal_toIxEEEEEEPllNS8_4plusIlEEEE10hipError_tPvRmT1_T2_T3_mT4_P12ihipStream_tbEUlT_E1_NS1_11comp_targetILNS1_3genE5ELNS1_11target_archE942ELNS1_3gpuE9ELNS1_3repE0EEENS1_30default_config_static_selectorELNS0_4arch9wavefront6targetE1EEEvSW_: ; @_ZN7rocprim17ROCPRIM_400000_NS6detail17trampoline_kernelINS0_14default_configENS1_22reduce_config_selectorIlEEZNS1_11reduce_implILb1ES3_N6thrust23THRUST_200600_302600_NS11hip_rocprim26transform_input_iterator_tIlNS8_12zip_iteratorINS8_5tupleINS8_6detail15normal_iteratorINS8_10device_ptrIxEEEESH_NS8_9null_typeESI_SI_SI_SI_SI_SI_SI_EEEENS9_21zip_adj_not_predicateINS8_8equal_toIxEEEEEEPllNS8_4plusIlEEEE10hipError_tPvRmT1_T2_T3_mT4_P12ihipStream_tbEUlT_E1_NS1_11comp_targetILNS1_3genE5ELNS1_11target_archE942ELNS1_3gpuE9ELNS1_3repE0EEENS1_30default_config_static_selectorELNS0_4arch9wavefront6targetE1EEEvSW_
; %bb.0:
	.section	.rodata,"a",@progbits
	.p2align	6, 0x0
	.amdhsa_kernel _ZN7rocprim17ROCPRIM_400000_NS6detail17trampoline_kernelINS0_14default_configENS1_22reduce_config_selectorIlEEZNS1_11reduce_implILb1ES3_N6thrust23THRUST_200600_302600_NS11hip_rocprim26transform_input_iterator_tIlNS8_12zip_iteratorINS8_5tupleINS8_6detail15normal_iteratorINS8_10device_ptrIxEEEESH_NS8_9null_typeESI_SI_SI_SI_SI_SI_SI_EEEENS9_21zip_adj_not_predicateINS8_8equal_toIxEEEEEEPllNS8_4plusIlEEEE10hipError_tPvRmT1_T2_T3_mT4_P12ihipStream_tbEUlT_E1_NS1_11comp_targetILNS1_3genE5ELNS1_11target_archE942ELNS1_3gpuE9ELNS1_3repE0EEENS1_30default_config_static_selectorELNS0_4arch9wavefront6targetE1EEEvSW_
		.amdhsa_group_segment_fixed_size 0
		.amdhsa_private_segment_fixed_size 0
		.amdhsa_kernarg_size 64
		.amdhsa_user_sgpr_count 6
		.amdhsa_user_sgpr_private_segment_buffer 1
		.amdhsa_user_sgpr_dispatch_ptr 0
		.amdhsa_user_sgpr_queue_ptr 0
		.amdhsa_user_sgpr_kernarg_segment_ptr 1
		.amdhsa_user_sgpr_dispatch_id 0
		.amdhsa_user_sgpr_flat_scratch_init 0
		.amdhsa_user_sgpr_private_segment_size 0
		.amdhsa_uses_dynamic_stack 0
		.amdhsa_system_sgpr_private_segment_wavefront_offset 0
		.amdhsa_system_sgpr_workgroup_id_x 1
		.amdhsa_system_sgpr_workgroup_id_y 0
		.amdhsa_system_sgpr_workgroup_id_z 0
		.amdhsa_system_sgpr_workgroup_info 0
		.amdhsa_system_vgpr_workitem_id 0
		.amdhsa_next_free_vgpr 1
		.amdhsa_next_free_sgpr 0
		.amdhsa_reserve_vcc 0
		.amdhsa_reserve_flat_scratch 0
		.amdhsa_float_round_mode_32 0
		.amdhsa_float_round_mode_16_64 0
		.amdhsa_float_denorm_mode_32 3
		.amdhsa_float_denorm_mode_16_64 3
		.amdhsa_dx10_clamp 1
		.amdhsa_ieee_mode 1
		.amdhsa_fp16_overflow 0
		.amdhsa_exception_fp_ieee_invalid_op 0
		.amdhsa_exception_fp_denorm_src 0
		.amdhsa_exception_fp_ieee_div_zero 0
		.amdhsa_exception_fp_ieee_overflow 0
		.amdhsa_exception_fp_ieee_underflow 0
		.amdhsa_exception_fp_ieee_inexact 0
		.amdhsa_exception_int_div_zero 0
	.end_amdhsa_kernel
	.section	.text._ZN7rocprim17ROCPRIM_400000_NS6detail17trampoline_kernelINS0_14default_configENS1_22reduce_config_selectorIlEEZNS1_11reduce_implILb1ES3_N6thrust23THRUST_200600_302600_NS11hip_rocprim26transform_input_iterator_tIlNS8_12zip_iteratorINS8_5tupleINS8_6detail15normal_iteratorINS8_10device_ptrIxEEEESH_NS8_9null_typeESI_SI_SI_SI_SI_SI_SI_EEEENS9_21zip_adj_not_predicateINS8_8equal_toIxEEEEEEPllNS8_4plusIlEEEE10hipError_tPvRmT1_T2_T3_mT4_P12ihipStream_tbEUlT_E1_NS1_11comp_targetILNS1_3genE5ELNS1_11target_archE942ELNS1_3gpuE9ELNS1_3repE0EEENS1_30default_config_static_selectorELNS0_4arch9wavefront6targetE1EEEvSW_,"axG",@progbits,_ZN7rocprim17ROCPRIM_400000_NS6detail17trampoline_kernelINS0_14default_configENS1_22reduce_config_selectorIlEEZNS1_11reduce_implILb1ES3_N6thrust23THRUST_200600_302600_NS11hip_rocprim26transform_input_iterator_tIlNS8_12zip_iteratorINS8_5tupleINS8_6detail15normal_iteratorINS8_10device_ptrIxEEEESH_NS8_9null_typeESI_SI_SI_SI_SI_SI_SI_EEEENS9_21zip_adj_not_predicateINS8_8equal_toIxEEEEEEPllNS8_4plusIlEEEE10hipError_tPvRmT1_T2_T3_mT4_P12ihipStream_tbEUlT_E1_NS1_11comp_targetILNS1_3genE5ELNS1_11target_archE942ELNS1_3gpuE9ELNS1_3repE0EEENS1_30default_config_static_selectorELNS0_4arch9wavefront6targetE1EEEvSW_,comdat
.Lfunc_end933:
	.size	_ZN7rocprim17ROCPRIM_400000_NS6detail17trampoline_kernelINS0_14default_configENS1_22reduce_config_selectorIlEEZNS1_11reduce_implILb1ES3_N6thrust23THRUST_200600_302600_NS11hip_rocprim26transform_input_iterator_tIlNS8_12zip_iteratorINS8_5tupleINS8_6detail15normal_iteratorINS8_10device_ptrIxEEEESH_NS8_9null_typeESI_SI_SI_SI_SI_SI_SI_EEEENS9_21zip_adj_not_predicateINS8_8equal_toIxEEEEEEPllNS8_4plusIlEEEE10hipError_tPvRmT1_T2_T3_mT4_P12ihipStream_tbEUlT_E1_NS1_11comp_targetILNS1_3genE5ELNS1_11target_archE942ELNS1_3gpuE9ELNS1_3repE0EEENS1_30default_config_static_selectorELNS0_4arch9wavefront6targetE1EEEvSW_, .Lfunc_end933-_ZN7rocprim17ROCPRIM_400000_NS6detail17trampoline_kernelINS0_14default_configENS1_22reduce_config_selectorIlEEZNS1_11reduce_implILb1ES3_N6thrust23THRUST_200600_302600_NS11hip_rocprim26transform_input_iterator_tIlNS8_12zip_iteratorINS8_5tupleINS8_6detail15normal_iteratorINS8_10device_ptrIxEEEESH_NS8_9null_typeESI_SI_SI_SI_SI_SI_SI_EEEENS9_21zip_adj_not_predicateINS8_8equal_toIxEEEEEEPllNS8_4plusIlEEEE10hipError_tPvRmT1_T2_T3_mT4_P12ihipStream_tbEUlT_E1_NS1_11comp_targetILNS1_3genE5ELNS1_11target_archE942ELNS1_3gpuE9ELNS1_3repE0EEENS1_30default_config_static_selectorELNS0_4arch9wavefront6targetE1EEEvSW_
                                        ; -- End function
	.set _ZN7rocprim17ROCPRIM_400000_NS6detail17trampoline_kernelINS0_14default_configENS1_22reduce_config_selectorIlEEZNS1_11reduce_implILb1ES3_N6thrust23THRUST_200600_302600_NS11hip_rocprim26transform_input_iterator_tIlNS8_12zip_iteratorINS8_5tupleINS8_6detail15normal_iteratorINS8_10device_ptrIxEEEESH_NS8_9null_typeESI_SI_SI_SI_SI_SI_SI_EEEENS9_21zip_adj_not_predicateINS8_8equal_toIxEEEEEEPllNS8_4plusIlEEEE10hipError_tPvRmT1_T2_T3_mT4_P12ihipStream_tbEUlT_E1_NS1_11comp_targetILNS1_3genE5ELNS1_11target_archE942ELNS1_3gpuE9ELNS1_3repE0EEENS1_30default_config_static_selectorELNS0_4arch9wavefront6targetE1EEEvSW_.num_vgpr, 0
	.set _ZN7rocprim17ROCPRIM_400000_NS6detail17trampoline_kernelINS0_14default_configENS1_22reduce_config_selectorIlEEZNS1_11reduce_implILb1ES3_N6thrust23THRUST_200600_302600_NS11hip_rocprim26transform_input_iterator_tIlNS8_12zip_iteratorINS8_5tupleINS8_6detail15normal_iteratorINS8_10device_ptrIxEEEESH_NS8_9null_typeESI_SI_SI_SI_SI_SI_SI_EEEENS9_21zip_adj_not_predicateINS8_8equal_toIxEEEEEEPllNS8_4plusIlEEEE10hipError_tPvRmT1_T2_T3_mT4_P12ihipStream_tbEUlT_E1_NS1_11comp_targetILNS1_3genE5ELNS1_11target_archE942ELNS1_3gpuE9ELNS1_3repE0EEENS1_30default_config_static_selectorELNS0_4arch9wavefront6targetE1EEEvSW_.num_agpr, 0
	.set _ZN7rocprim17ROCPRIM_400000_NS6detail17trampoline_kernelINS0_14default_configENS1_22reduce_config_selectorIlEEZNS1_11reduce_implILb1ES3_N6thrust23THRUST_200600_302600_NS11hip_rocprim26transform_input_iterator_tIlNS8_12zip_iteratorINS8_5tupleINS8_6detail15normal_iteratorINS8_10device_ptrIxEEEESH_NS8_9null_typeESI_SI_SI_SI_SI_SI_SI_EEEENS9_21zip_adj_not_predicateINS8_8equal_toIxEEEEEEPllNS8_4plusIlEEEE10hipError_tPvRmT1_T2_T3_mT4_P12ihipStream_tbEUlT_E1_NS1_11comp_targetILNS1_3genE5ELNS1_11target_archE942ELNS1_3gpuE9ELNS1_3repE0EEENS1_30default_config_static_selectorELNS0_4arch9wavefront6targetE1EEEvSW_.numbered_sgpr, 0
	.set _ZN7rocprim17ROCPRIM_400000_NS6detail17trampoline_kernelINS0_14default_configENS1_22reduce_config_selectorIlEEZNS1_11reduce_implILb1ES3_N6thrust23THRUST_200600_302600_NS11hip_rocprim26transform_input_iterator_tIlNS8_12zip_iteratorINS8_5tupleINS8_6detail15normal_iteratorINS8_10device_ptrIxEEEESH_NS8_9null_typeESI_SI_SI_SI_SI_SI_SI_EEEENS9_21zip_adj_not_predicateINS8_8equal_toIxEEEEEEPllNS8_4plusIlEEEE10hipError_tPvRmT1_T2_T3_mT4_P12ihipStream_tbEUlT_E1_NS1_11comp_targetILNS1_3genE5ELNS1_11target_archE942ELNS1_3gpuE9ELNS1_3repE0EEENS1_30default_config_static_selectorELNS0_4arch9wavefront6targetE1EEEvSW_.num_named_barrier, 0
	.set _ZN7rocprim17ROCPRIM_400000_NS6detail17trampoline_kernelINS0_14default_configENS1_22reduce_config_selectorIlEEZNS1_11reduce_implILb1ES3_N6thrust23THRUST_200600_302600_NS11hip_rocprim26transform_input_iterator_tIlNS8_12zip_iteratorINS8_5tupleINS8_6detail15normal_iteratorINS8_10device_ptrIxEEEESH_NS8_9null_typeESI_SI_SI_SI_SI_SI_SI_EEEENS9_21zip_adj_not_predicateINS8_8equal_toIxEEEEEEPllNS8_4plusIlEEEE10hipError_tPvRmT1_T2_T3_mT4_P12ihipStream_tbEUlT_E1_NS1_11comp_targetILNS1_3genE5ELNS1_11target_archE942ELNS1_3gpuE9ELNS1_3repE0EEENS1_30default_config_static_selectorELNS0_4arch9wavefront6targetE1EEEvSW_.private_seg_size, 0
	.set _ZN7rocprim17ROCPRIM_400000_NS6detail17trampoline_kernelINS0_14default_configENS1_22reduce_config_selectorIlEEZNS1_11reduce_implILb1ES3_N6thrust23THRUST_200600_302600_NS11hip_rocprim26transform_input_iterator_tIlNS8_12zip_iteratorINS8_5tupleINS8_6detail15normal_iteratorINS8_10device_ptrIxEEEESH_NS8_9null_typeESI_SI_SI_SI_SI_SI_SI_EEEENS9_21zip_adj_not_predicateINS8_8equal_toIxEEEEEEPllNS8_4plusIlEEEE10hipError_tPvRmT1_T2_T3_mT4_P12ihipStream_tbEUlT_E1_NS1_11comp_targetILNS1_3genE5ELNS1_11target_archE942ELNS1_3gpuE9ELNS1_3repE0EEENS1_30default_config_static_selectorELNS0_4arch9wavefront6targetE1EEEvSW_.uses_vcc, 0
	.set _ZN7rocprim17ROCPRIM_400000_NS6detail17trampoline_kernelINS0_14default_configENS1_22reduce_config_selectorIlEEZNS1_11reduce_implILb1ES3_N6thrust23THRUST_200600_302600_NS11hip_rocprim26transform_input_iterator_tIlNS8_12zip_iteratorINS8_5tupleINS8_6detail15normal_iteratorINS8_10device_ptrIxEEEESH_NS8_9null_typeESI_SI_SI_SI_SI_SI_SI_EEEENS9_21zip_adj_not_predicateINS8_8equal_toIxEEEEEEPllNS8_4plusIlEEEE10hipError_tPvRmT1_T2_T3_mT4_P12ihipStream_tbEUlT_E1_NS1_11comp_targetILNS1_3genE5ELNS1_11target_archE942ELNS1_3gpuE9ELNS1_3repE0EEENS1_30default_config_static_selectorELNS0_4arch9wavefront6targetE1EEEvSW_.uses_flat_scratch, 0
	.set _ZN7rocprim17ROCPRIM_400000_NS6detail17trampoline_kernelINS0_14default_configENS1_22reduce_config_selectorIlEEZNS1_11reduce_implILb1ES3_N6thrust23THRUST_200600_302600_NS11hip_rocprim26transform_input_iterator_tIlNS8_12zip_iteratorINS8_5tupleINS8_6detail15normal_iteratorINS8_10device_ptrIxEEEESH_NS8_9null_typeESI_SI_SI_SI_SI_SI_SI_EEEENS9_21zip_adj_not_predicateINS8_8equal_toIxEEEEEEPllNS8_4plusIlEEEE10hipError_tPvRmT1_T2_T3_mT4_P12ihipStream_tbEUlT_E1_NS1_11comp_targetILNS1_3genE5ELNS1_11target_archE942ELNS1_3gpuE9ELNS1_3repE0EEENS1_30default_config_static_selectorELNS0_4arch9wavefront6targetE1EEEvSW_.has_dyn_sized_stack, 0
	.set _ZN7rocprim17ROCPRIM_400000_NS6detail17trampoline_kernelINS0_14default_configENS1_22reduce_config_selectorIlEEZNS1_11reduce_implILb1ES3_N6thrust23THRUST_200600_302600_NS11hip_rocprim26transform_input_iterator_tIlNS8_12zip_iteratorINS8_5tupleINS8_6detail15normal_iteratorINS8_10device_ptrIxEEEESH_NS8_9null_typeESI_SI_SI_SI_SI_SI_SI_EEEENS9_21zip_adj_not_predicateINS8_8equal_toIxEEEEEEPllNS8_4plusIlEEEE10hipError_tPvRmT1_T2_T3_mT4_P12ihipStream_tbEUlT_E1_NS1_11comp_targetILNS1_3genE5ELNS1_11target_archE942ELNS1_3gpuE9ELNS1_3repE0EEENS1_30default_config_static_selectorELNS0_4arch9wavefront6targetE1EEEvSW_.has_recursion, 0
	.set _ZN7rocprim17ROCPRIM_400000_NS6detail17trampoline_kernelINS0_14default_configENS1_22reduce_config_selectorIlEEZNS1_11reduce_implILb1ES3_N6thrust23THRUST_200600_302600_NS11hip_rocprim26transform_input_iterator_tIlNS8_12zip_iteratorINS8_5tupleINS8_6detail15normal_iteratorINS8_10device_ptrIxEEEESH_NS8_9null_typeESI_SI_SI_SI_SI_SI_SI_EEEENS9_21zip_adj_not_predicateINS8_8equal_toIxEEEEEEPllNS8_4plusIlEEEE10hipError_tPvRmT1_T2_T3_mT4_P12ihipStream_tbEUlT_E1_NS1_11comp_targetILNS1_3genE5ELNS1_11target_archE942ELNS1_3gpuE9ELNS1_3repE0EEENS1_30default_config_static_selectorELNS0_4arch9wavefront6targetE1EEEvSW_.has_indirect_call, 0
	.section	.AMDGPU.csdata,"",@progbits
; Kernel info:
; codeLenInByte = 0
; TotalNumSgprs: 4
; NumVgprs: 0
; ScratchSize: 0
; MemoryBound: 0
; FloatMode: 240
; IeeeMode: 1
; LDSByteSize: 0 bytes/workgroup (compile time only)
; SGPRBlocks: 0
; VGPRBlocks: 0
; NumSGPRsForWavesPerEU: 4
; NumVGPRsForWavesPerEU: 1
; Occupancy: 10
; WaveLimiterHint : 0
; COMPUTE_PGM_RSRC2:SCRATCH_EN: 0
; COMPUTE_PGM_RSRC2:USER_SGPR: 6
; COMPUTE_PGM_RSRC2:TRAP_HANDLER: 0
; COMPUTE_PGM_RSRC2:TGID_X_EN: 1
; COMPUTE_PGM_RSRC2:TGID_Y_EN: 0
; COMPUTE_PGM_RSRC2:TGID_Z_EN: 0
; COMPUTE_PGM_RSRC2:TIDIG_COMP_CNT: 0
	.section	.text._ZN7rocprim17ROCPRIM_400000_NS6detail17trampoline_kernelINS0_14default_configENS1_22reduce_config_selectorIlEEZNS1_11reduce_implILb1ES3_N6thrust23THRUST_200600_302600_NS11hip_rocprim26transform_input_iterator_tIlNS8_12zip_iteratorINS8_5tupleINS8_6detail15normal_iteratorINS8_10device_ptrIxEEEESH_NS8_9null_typeESI_SI_SI_SI_SI_SI_SI_EEEENS9_21zip_adj_not_predicateINS8_8equal_toIxEEEEEEPllNS8_4plusIlEEEE10hipError_tPvRmT1_T2_T3_mT4_P12ihipStream_tbEUlT_E1_NS1_11comp_targetILNS1_3genE4ELNS1_11target_archE910ELNS1_3gpuE8ELNS1_3repE0EEENS1_30default_config_static_selectorELNS0_4arch9wavefront6targetE1EEEvSW_,"axG",@progbits,_ZN7rocprim17ROCPRIM_400000_NS6detail17trampoline_kernelINS0_14default_configENS1_22reduce_config_selectorIlEEZNS1_11reduce_implILb1ES3_N6thrust23THRUST_200600_302600_NS11hip_rocprim26transform_input_iterator_tIlNS8_12zip_iteratorINS8_5tupleINS8_6detail15normal_iteratorINS8_10device_ptrIxEEEESH_NS8_9null_typeESI_SI_SI_SI_SI_SI_SI_EEEENS9_21zip_adj_not_predicateINS8_8equal_toIxEEEEEEPllNS8_4plusIlEEEE10hipError_tPvRmT1_T2_T3_mT4_P12ihipStream_tbEUlT_E1_NS1_11comp_targetILNS1_3genE4ELNS1_11target_archE910ELNS1_3gpuE8ELNS1_3repE0EEENS1_30default_config_static_selectorELNS0_4arch9wavefront6targetE1EEEvSW_,comdat
	.protected	_ZN7rocprim17ROCPRIM_400000_NS6detail17trampoline_kernelINS0_14default_configENS1_22reduce_config_selectorIlEEZNS1_11reduce_implILb1ES3_N6thrust23THRUST_200600_302600_NS11hip_rocprim26transform_input_iterator_tIlNS8_12zip_iteratorINS8_5tupleINS8_6detail15normal_iteratorINS8_10device_ptrIxEEEESH_NS8_9null_typeESI_SI_SI_SI_SI_SI_SI_EEEENS9_21zip_adj_not_predicateINS8_8equal_toIxEEEEEEPllNS8_4plusIlEEEE10hipError_tPvRmT1_T2_T3_mT4_P12ihipStream_tbEUlT_E1_NS1_11comp_targetILNS1_3genE4ELNS1_11target_archE910ELNS1_3gpuE8ELNS1_3repE0EEENS1_30default_config_static_selectorELNS0_4arch9wavefront6targetE1EEEvSW_ ; -- Begin function _ZN7rocprim17ROCPRIM_400000_NS6detail17trampoline_kernelINS0_14default_configENS1_22reduce_config_selectorIlEEZNS1_11reduce_implILb1ES3_N6thrust23THRUST_200600_302600_NS11hip_rocprim26transform_input_iterator_tIlNS8_12zip_iteratorINS8_5tupleINS8_6detail15normal_iteratorINS8_10device_ptrIxEEEESH_NS8_9null_typeESI_SI_SI_SI_SI_SI_SI_EEEENS9_21zip_adj_not_predicateINS8_8equal_toIxEEEEEEPllNS8_4plusIlEEEE10hipError_tPvRmT1_T2_T3_mT4_P12ihipStream_tbEUlT_E1_NS1_11comp_targetILNS1_3genE4ELNS1_11target_archE910ELNS1_3gpuE8ELNS1_3repE0EEENS1_30default_config_static_selectorELNS0_4arch9wavefront6targetE1EEEvSW_
	.globl	_ZN7rocprim17ROCPRIM_400000_NS6detail17trampoline_kernelINS0_14default_configENS1_22reduce_config_selectorIlEEZNS1_11reduce_implILb1ES3_N6thrust23THRUST_200600_302600_NS11hip_rocprim26transform_input_iterator_tIlNS8_12zip_iteratorINS8_5tupleINS8_6detail15normal_iteratorINS8_10device_ptrIxEEEESH_NS8_9null_typeESI_SI_SI_SI_SI_SI_SI_EEEENS9_21zip_adj_not_predicateINS8_8equal_toIxEEEEEEPllNS8_4plusIlEEEE10hipError_tPvRmT1_T2_T3_mT4_P12ihipStream_tbEUlT_E1_NS1_11comp_targetILNS1_3genE4ELNS1_11target_archE910ELNS1_3gpuE8ELNS1_3repE0EEENS1_30default_config_static_selectorELNS0_4arch9wavefront6targetE1EEEvSW_
	.p2align	8
	.type	_ZN7rocprim17ROCPRIM_400000_NS6detail17trampoline_kernelINS0_14default_configENS1_22reduce_config_selectorIlEEZNS1_11reduce_implILb1ES3_N6thrust23THRUST_200600_302600_NS11hip_rocprim26transform_input_iterator_tIlNS8_12zip_iteratorINS8_5tupleINS8_6detail15normal_iteratorINS8_10device_ptrIxEEEESH_NS8_9null_typeESI_SI_SI_SI_SI_SI_SI_EEEENS9_21zip_adj_not_predicateINS8_8equal_toIxEEEEEEPllNS8_4plusIlEEEE10hipError_tPvRmT1_T2_T3_mT4_P12ihipStream_tbEUlT_E1_NS1_11comp_targetILNS1_3genE4ELNS1_11target_archE910ELNS1_3gpuE8ELNS1_3repE0EEENS1_30default_config_static_selectorELNS0_4arch9wavefront6targetE1EEEvSW_,@function
_ZN7rocprim17ROCPRIM_400000_NS6detail17trampoline_kernelINS0_14default_configENS1_22reduce_config_selectorIlEEZNS1_11reduce_implILb1ES3_N6thrust23THRUST_200600_302600_NS11hip_rocprim26transform_input_iterator_tIlNS8_12zip_iteratorINS8_5tupleINS8_6detail15normal_iteratorINS8_10device_ptrIxEEEESH_NS8_9null_typeESI_SI_SI_SI_SI_SI_SI_EEEENS9_21zip_adj_not_predicateINS8_8equal_toIxEEEEEEPllNS8_4plusIlEEEE10hipError_tPvRmT1_T2_T3_mT4_P12ihipStream_tbEUlT_E1_NS1_11comp_targetILNS1_3genE4ELNS1_11target_archE910ELNS1_3gpuE8ELNS1_3repE0EEENS1_30default_config_static_selectorELNS0_4arch9wavefront6targetE1EEEvSW_: ; @_ZN7rocprim17ROCPRIM_400000_NS6detail17trampoline_kernelINS0_14default_configENS1_22reduce_config_selectorIlEEZNS1_11reduce_implILb1ES3_N6thrust23THRUST_200600_302600_NS11hip_rocprim26transform_input_iterator_tIlNS8_12zip_iteratorINS8_5tupleINS8_6detail15normal_iteratorINS8_10device_ptrIxEEEESH_NS8_9null_typeESI_SI_SI_SI_SI_SI_SI_EEEENS9_21zip_adj_not_predicateINS8_8equal_toIxEEEEEEPllNS8_4plusIlEEEE10hipError_tPvRmT1_T2_T3_mT4_P12ihipStream_tbEUlT_E1_NS1_11comp_targetILNS1_3genE4ELNS1_11target_archE910ELNS1_3gpuE8ELNS1_3repE0EEENS1_30default_config_static_selectorELNS0_4arch9wavefront6targetE1EEEvSW_
; %bb.0:
	.section	.rodata,"a",@progbits
	.p2align	6, 0x0
	.amdhsa_kernel _ZN7rocprim17ROCPRIM_400000_NS6detail17trampoline_kernelINS0_14default_configENS1_22reduce_config_selectorIlEEZNS1_11reduce_implILb1ES3_N6thrust23THRUST_200600_302600_NS11hip_rocprim26transform_input_iterator_tIlNS8_12zip_iteratorINS8_5tupleINS8_6detail15normal_iteratorINS8_10device_ptrIxEEEESH_NS8_9null_typeESI_SI_SI_SI_SI_SI_SI_EEEENS9_21zip_adj_not_predicateINS8_8equal_toIxEEEEEEPllNS8_4plusIlEEEE10hipError_tPvRmT1_T2_T3_mT4_P12ihipStream_tbEUlT_E1_NS1_11comp_targetILNS1_3genE4ELNS1_11target_archE910ELNS1_3gpuE8ELNS1_3repE0EEENS1_30default_config_static_selectorELNS0_4arch9wavefront6targetE1EEEvSW_
		.amdhsa_group_segment_fixed_size 0
		.amdhsa_private_segment_fixed_size 0
		.amdhsa_kernarg_size 64
		.amdhsa_user_sgpr_count 6
		.amdhsa_user_sgpr_private_segment_buffer 1
		.amdhsa_user_sgpr_dispatch_ptr 0
		.amdhsa_user_sgpr_queue_ptr 0
		.amdhsa_user_sgpr_kernarg_segment_ptr 1
		.amdhsa_user_sgpr_dispatch_id 0
		.amdhsa_user_sgpr_flat_scratch_init 0
		.amdhsa_user_sgpr_private_segment_size 0
		.amdhsa_uses_dynamic_stack 0
		.amdhsa_system_sgpr_private_segment_wavefront_offset 0
		.amdhsa_system_sgpr_workgroup_id_x 1
		.amdhsa_system_sgpr_workgroup_id_y 0
		.amdhsa_system_sgpr_workgroup_id_z 0
		.amdhsa_system_sgpr_workgroup_info 0
		.amdhsa_system_vgpr_workitem_id 0
		.amdhsa_next_free_vgpr 1
		.amdhsa_next_free_sgpr 0
		.amdhsa_reserve_vcc 0
		.amdhsa_reserve_flat_scratch 0
		.amdhsa_float_round_mode_32 0
		.amdhsa_float_round_mode_16_64 0
		.amdhsa_float_denorm_mode_32 3
		.amdhsa_float_denorm_mode_16_64 3
		.amdhsa_dx10_clamp 1
		.amdhsa_ieee_mode 1
		.amdhsa_fp16_overflow 0
		.amdhsa_exception_fp_ieee_invalid_op 0
		.amdhsa_exception_fp_denorm_src 0
		.amdhsa_exception_fp_ieee_div_zero 0
		.amdhsa_exception_fp_ieee_overflow 0
		.amdhsa_exception_fp_ieee_underflow 0
		.amdhsa_exception_fp_ieee_inexact 0
		.amdhsa_exception_int_div_zero 0
	.end_amdhsa_kernel
	.section	.text._ZN7rocprim17ROCPRIM_400000_NS6detail17trampoline_kernelINS0_14default_configENS1_22reduce_config_selectorIlEEZNS1_11reduce_implILb1ES3_N6thrust23THRUST_200600_302600_NS11hip_rocprim26transform_input_iterator_tIlNS8_12zip_iteratorINS8_5tupleINS8_6detail15normal_iteratorINS8_10device_ptrIxEEEESH_NS8_9null_typeESI_SI_SI_SI_SI_SI_SI_EEEENS9_21zip_adj_not_predicateINS8_8equal_toIxEEEEEEPllNS8_4plusIlEEEE10hipError_tPvRmT1_T2_T3_mT4_P12ihipStream_tbEUlT_E1_NS1_11comp_targetILNS1_3genE4ELNS1_11target_archE910ELNS1_3gpuE8ELNS1_3repE0EEENS1_30default_config_static_selectorELNS0_4arch9wavefront6targetE1EEEvSW_,"axG",@progbits,_ZN7rocprim17ROCPRIM_400000_NS6detail17trampoline_kernelINS0_14default_configENS1_22reduce_config_selectorIlEEZNS1_11reduce_implILb1ES3_N6thrust23THRUST_200600_302600_NS11hip_rocprim26transform_input_iterator_tIlNS8_12zip_iteratorINS8_5tupleINS8_6detail15normal_iteratorINS8_10device_ptrIxEEEESH_NS8_9null_typeESI_SI_SI_SI_SI_SI_SI_EEEENS9_21zip_adj_not_predicateINS8_8equal_toIxEEEEEEPllNS8_4plusIlEEEE10hipError_tPvRmT1_T2_T3_mT4_P12ihipStream_tbEUlT_E1_NS1_11comp_targetILNS1_3genE4ELNS1_11target_archE910ELNS1_3gpuE8ELNS1_3repE0EEENS1_30default_config_static_selectorELNS0_4arch9wavefront6targetE1EEEvSW_,comdat
.Lfunc_end934:
	.size	_ZN7rocprim17ROCPRIM_400000_NS6detail17trampoline_kernelINS0_14default_configENS1_22reduce_config_selectorIlEEZNS1_11reduce_implILb1ES3_N6thrust23THRUST_200600_302600_NS11hip_rocprim26transform_input_iterator_tIlNS8_12zip_iteratorINS8_5tupleINS8_6detail15normal_iteratorINS8_10device_ptrIxEEEESH_NS8_9null_typeESI_SI_SI_SI_SI_SI_SI_EEEENS9_21zip_adj_not_predicateINS8_8equal_toIxEEEEEEPllNS8_4plusIlEEEE10hipError_tPvRmT1_T2_T3_mT4_P12ihipStream_tbEUlT_E1_NS1_11comp_targetILNS1_3genE4ELNS1_11target_archE910ELNS1_3gpuE8ELNS1_3repE0EEENS1_30default_config_static_selectorELNS0_4arch9wavefront6targetE1EEEvSW_, .Lfunc_end934-_ZN7rocprim17ROCPRIM_400000_NS6detail17trampoline_kernelINS0_14default_configENS1_22reduce_config_selectorIlEEZNS1_11reduce_implILb1ES3_N6thrust23THRUST_200600_302600_NS11hip_rocprim26transform_input_iterator_tIlNS8_12zip_iteratorINS8_5tupleINS8_6detail15normal_iteratorINS8_10device_ptrIxEEEESH_NS8_9null_typeESI_SI_SI_SI_SI_SI_SI_EEEENS9_21zip_adj_not_predicateINS8_8equal_toIxEEEEEEPllNS8_4plusIlEEEE10hipError_tPvRmT1_T2_T3_mT4_P12ihipStream_tbEUlT_E1_NS1_11comp_targetILNS1_3genE4ELNS1_11target_archE910ELNS1_3gpuE8ELNS1_3repE0EEENS1_30default_config_static_selectorELNS0_4arch9wavefront6targetE1EEEvSW_
                                        ; -- End function
	.set _ZN7rocprim17ROCPRIM_400000_NS6detail17trampoline_kernelINS0_14default_configENS1_22reduce_config_selectorIlEEZNS1_11reduce_implILb1ES3_N6thrust23THRUST_200600_302600_NS11hip_rocprim26transform_input_iterator_tIlNS8_12zip_iteratorINS8_5tupleINS8_6detail15normal_iteratorINS8_10device_ptrIxEEEESH_NS8_9null_typeESI_SI_SI_SI_SI_SI_SI_EEEENS9_21zip_adj_not_predicateINS8_8equal_toIxEEEEEEPllNS8_4plusIlEEEE10hipError_tPvRmT1_T2_T3_mT4_P12ihipStream_tbEUlT_E1_NS1_11comp_targetILNS1_3genE4ELNS1_11target_archE910ELNS1_3gpuE8ELNS1_3repE0EEENS1_30default_config_static_selectorELNS0_4arch9wavefront6targetE1EEEvSW_.num_vgpr, 0
	.set _ZN7rocprim17ROCPRIM_400000_NS6detail17trampoline_kernelINS0_14default_configENS1_22reduce_config_selectorIlEEZNS1_11reduce_implILb1ES3_N6thrust23THRUST_200600_302600_NS11hip_rocprim26transform_input_iterator_tIlNS8_12zip_iteratorINS8_5tupleINS8_6detail15normal_iteratorINS8_10device_ptrIxEEEESH_NS8_9null_typeESI_SI_SI_SI_SI_SI_SI_EEEENS9_21zip_adj_not_predicateINS8_8equal_toIxEEEEEEPllNS8_4plusIlEEEE10hipError_tPvRmT1_T2_T3_mT4_P12ihipStream_tbEUlT_E1_NS1_11comp_targetILNS1_3genE4ELNS1_11target_archE910ELNS1_3gpuE8ELNS1_3repE0EEENS1_30default_config_static_selectorELNS0_4arch9wavefront6targetE1EEEvSW_.num_agpr, 0
	.set _ZN7rocprim17ROCPRIM_400000_NS6detail17trampoline_kernelINS0_14default_configENS1_22reduce_config_selectorIlEEZNS1_11reduce_implILb1ES3_N6thrust23THRUST_200600_302600_NS11hip_rocprim26transform_input_iterator_tIlNS8_12zip_iteratorINS8_5tupleINS8_6detail15normal_iteratorINS8_10device_ptrIxEEEESH_NS8_9null_typeESI_SI_SI_SI_SI_SI_SI_EEEENS9_21zip_adj_not_predicateINS8_8equal_toIxEEEEEEPllNS8_4plusIlEEEE10hipError_tPvRmT1_T2_T3_mT4_P12ihipStream_tbEUlT_E1_NS1_11comp_targetILNS1_3genE4ELNS1_11target_archE910ELNS1_3gpuE8ELNS1_3repE0EEENS1_30default_config_static_selectorELNS0_4arch9wavefront6targetE1EEEvSW_.numbered_sgpr, 0
	.set _ZN7rocprim17ROCPRIM_400000_NS6detail17trampoline_kernelINS0_14default_configENS1_22reduce_config_selectorIlEEZNS1_11reduce_implILb1ES3_N6thrust23THRUST_200600_302600_NS11hip_rocprim26transform_input_iterator_tIlNS8_12zip_iteratorINS8_5tupleINS8_6detail15normal_iteratorINS8_10device_ptrIxEEEESH_NS8_9null_typeESI_SI_SI_SI_SI_SI_SI_EEEENS9_21zip_adj_not_predicateINS8_8equal_toIxEEEEEEPllNS8_4plusIlEEEE10hipError_tPvRmT1_T2_T3_mT4_P12ihipStream_tbEUlT_E1_NS1_11comp_targetILNS1_3genE4ELNS1_11target_archE910ELNS1_3gpuE8ELNS1_3repE0EEENS1_30default_config_static_selectorELNS0_4arch9wavefront6targetE1EEEvSW_.num_named_barrier, 0
	.set _ZN7rocprim17ROCPRIM_400000_NS6detail17trampoline_kernelINS0_14default_configENS1_22reduce_config_selectorIlEEZNS1_11reduce_implILb1ES3_N6thrust23THRUST_200600_302600_NS11hip_rocprim26transform_input_iterator_tIlNS8_12zip_iteratorINS8_5tupleINS8_6detail15normal_iteratorINS8_10device_ptrIxEEEESH_NS8_9null_typeESI_SI_SI_SI_SI_SI_SI_EEEENS9_21zip_adj_not_predicateINS8_8equal_toIxEEEEEEPllNS8_4plusIlEEEE10hipError_tPvRmT1_T2_T3_mT4_P12ihipStream_tbEUlT_E1_NS1_11comp_targetILNS1_3genE4ELNS1_11target_archE910ELNS1_3gpuE8ELNS1_3repE0EEENS1_30default_config_static_selectorELNS0_4arch9wavefront6targetE1EEEvSW_.private_seg_size, 0
	.set _ZN7rocprim17ROCPRIM_400000_NS6detail17trampoline_kernelINS0_14default_configENS1_22reduce_config_selectorIlEEZNS1_11reduce_implILb1ES3_N6thrust23THRUST_200600_302600_NS11hip_rocprim26transform_input_iterator_tIlNS8_12zip_iteratorINS8_5tupleINS8_6detail15normal_iteratorINS8_10device_ptrIxEEEESH_NS8_9null_typeESI_SI_SI_SI_SI_SI_SI_EEEENS9_21zip_adj_not_predicateINS8_8equal_toIxEEEEEEPllNS8_4plusIlEEEE10hipError_tPvRmT1_T2_T3_mT4_P12ihipStream_tbEUlT_E1_NS1_11comp_targetILNS1_3genE4ELNS1_11target_archE910ELNS1_3gpuE8ELNS1_3repE0EEENS1_30default_config_static_selectorELNS0_4arch9wavefront6targetE1EEEvSW_.uses_vcc, 0
	.set _ZN7rocprim17ROCPRIM_400000_NS6detail17trampoline_kernelINS0_14default_configENS1_22reduce_config_selectorIlEEZNS1_11reduce_implILb1ES3_N6thrust23THRUST_200600_302600_NS11hip_rocprim26transform_input_iterator_tIlNS8_12zip_iteratorINS8_5tupleINS8_6detail15normal_iteratorINS8_10device_ptrIxEEEESH_NS8_9null_typeESI_SI_SI_SI_SI_SI_SI_EEEENS9_21zip_adj_not_predicateINS8_8equal_toIxEEEEEEPllNS8_4plusIlEEEE10hipError_tPvRmT1_T2_T3_mT4_P12ihipStream_tbEUlT_E1_NS1_11comp_targetILNS1_3genE4ELNS1_11target_archE910ELNS1_3gpuE8ELNS1_3repE0EEENS1_30default_config_static_selectorELNS0_4arch9wavefront6targetE1EEEvSW_.uses_flat_scratch, 0
	.set _ZN7rocprim17ROCPRIM_400000_NS6detail17trampoline_kernelINS0_14default_configENS1_22reduce_config_selectorIlEEZNS1_11reduce_implILb1ES3_N6thrust23THRUST_200600_302600_NS11hip_rocprim26transform_input_iterator_tIlNS8_12zip_iteratorINS8_5tupleINS8_6detail15normal_iteratorINS8_10device_ptrIxEEEESH_NS8_9null_typeESI_SI_SI_SI_SI_SI_SI_EEEENS9_21zip_adj_not_predicateINS8_8equal_toIxEEEEEEPllNS8_4plusIlEEEE10hipError_tPvRmT1_T2_T3_mT4_P12ihipStream_tbEUlT_E1_NS1_11comp_targetILNS1_3genE4ELNS1_11target_archE910ELNS1_3gpuE8ELNS1_3repE0EEENS1_30default_config_static_selectorELNS0_4arch9wavefront6targetE1EEEvSW_.has_dyn_sized_stack, 0
	.set _ZN7rocprim17ROCPRIM_400000_NS6detail17trampoline_kernelINS0_14default_configENS1_22reduce_config_selectorIlEEZNS1_11reduce_implILb1ES3_N6thrust23THRUST_200600_302600_NS11hip_rocprim26transform_input_iterator_tIlNS8_12zip_iteratorINS8_5tupleINS8_6detail15normal_iteratorINS8_10device_ptrIxEEEESH_NS8_9null_typeESI_SI_SI_SI_SI_SI_SI_EEEENS9_21zip_adj_not_predicateINS8_8equal_toIxEEEEEEPllNS8_4plusIlEEEE10hipError_tPvRmT1_T2_T3_mT4_P12ihipStream_tbEUlT_E1_NS1_11comp_targetILNS1_3genE4ELNS1_11target_archE910ELNS1_3gpuE8ELNS1_3repE0EEENS1_30default_config_static_selectorELNS0_4arch9wavefront6targetE1EEEvSW_.has_recursion, 0
	.set _ZN7rocprim17ROCPRIM_400000_NS6detail17trampoline_kernelINS0_14default_configENS1_22reduce_config_selectorIlEEZNS1_11reduce_implILb1ES3_N6thrust23THRUST_200600_302600_NS11hip_rocprim26transform_input_iterator_tIlNS8_12zip_iteratorINS8_5tupleINS8_6detail15normal_iteratorINS8_10device_ptrIxEEEESH_NS8_9null_typeESI_SI_SI_SI_SI_SI_SI_EEEENS9_21zip_adj_not_predicateINS8_8equal_toIxEEEEEEPllNS8_4plusIlEEEE10hipError_tPvRmT1_T2_T3_mT4_P12ihipStream_tbEUlT_E1_NS1_11comp_targetILNS1_3genE4ELNS1_11target_archE910ELNS1_3gpuE8ELNS1_3repE0EEENS1_30default_config_static_selectorELNS0_4arch9wavefront6targetE1EEEvSW_.has_indirect_call, 0
	.section	.AMDGPU.csdata,"",@progbits
; Kernel info:
; codeLenInByte = 0
; TotalNumSgprs: 4
; NumVgprs: 0
; ScratchSize: 0
; MemoryBound: 0
; FloatMode: 240
; IeeeMode: 1
; LDSByteSize: 0 bytes/workgroup (compile time only)
; SGPRBlocks: 0
; VGPRBlocks: 0
; NumSGPRsForWavesPerEU: 4
; NumVGPRsForWavesPerEU: 1
; Occupancy: 10
; WaveLimiterHint : 0
; COMPUTE_PGM_RSRC2:SCRATCH_EN: 0
; COMPUTE_PGM_RSRC2:USER_SGPR: 6
; COMPUTE_PGM_RSRC2:TRAP_HANDLER: 0
; COMPUTE_PGM_RSRC2:TGID_X_EN: 1
; COMPUTE_PGM_RSRC2:TGID_Y_EN: 0
; COMPUTE_PGM_RSRC2:TGID_Z_EN: 0
; COMPUTE_PGM_RSRC2:TIDIG_COMP_CNT: 0
	.section	.text._ZN7rocprim17ROCPRIM_400000_NS6detail17trampoline_kernelINS0_14default_configENS1_22reduce_config_selectorIlEEZNS1_11reduce_implILb1ES3_N6thrust23THRUST_200600_302600_NS11hip_rocprim26transform_input_iterator_tIlNS8_12zip_iteratorINS8_5tupleINS8_6detail15normal_iteratorINS8_10device_ptrIxEEEESH_NS8_9null_typeESI_SI_SI_SI_SI_SI_SI_EEEENS9_21zip_adj_not_predicateINS8_8equal_toIxEEEEEEPllNS8_4plusIlEEEE10hipError_tPvRmT1_T2_T3_mT4_P12ihipStream_tbEUlT_E1_NS1_11comp_targetILNS1_3genE3ELNS1_11target_archE908ELNS1_3gpuE7ELNS1_3repE0EEENS1_30default_config_static_selectorELNS0_4arch9wavefront6targetE1EEEvSW_,"axG",@progbits,_ZN7rocprim17ROCPRIM_400000_NS6detail17trampoline_kernelINS0_14default_configENS1_22reduce_config_selectorIlEEZNS1_11reduce_implILb1ES3_N6thrust23THRUST_200600_302600_NS11hip_rocprim26transform_input_iterator_tIlNS8_12zip_iteratorINS8_5tupleINS8_6detail15normal_iteratorINS8_10device_ptrIxEEEESH_NS8_9null_typeESI_SI_SI_SI_SI_SI_SI_EEEENS9_21zip_adj_not_predicateINS8_8equal_toIxEEEEEEPllNS8_4plusIlEEEE10hipError_tPvRmT1_T2_T3_mT4_P12ihipStream_tbEUlT_E1_NS1_11comp_targetILNS1_3genE3ELNS1_11target_archE908ELNS1_3gpuE7ELNS1_3repE0EEENS1_30default_config_static_selectorELNS0_4arch9wavefront6targetE1EEEvSW_,comdat
	.protected	_ZN7rocprim17ROCPRIM_400000_NS6detail17trampoline_kernelINS0_14default_configENS1_22reduce_config_selectorIlEEZNS1_11reduce_implILb1ES3_N6thrust23THRUST_200600_302600_NS11hip_rocprim26transform_input_iterator_tIlNS8_12zip_iteratorINS8_5tupleINS8_6detail15normal_iteratorINS8_10device_ptrIxEEEESH_NS8_9null_typeESI_SI_SI_SI_SI_SI_SI_EEEENS9_21zip_adj_not_predicateINS8_8equal_toIxEEEEEEPllNS8_4plusIlEEEE10hipError_tPvRmT1_T2_T3_mT4_P12ihipStream_tbEUlT_E1_NS1_11comp_targetILNS1_3genE3ELNS1_11target_archE908ELNS1_3gpuE7ELNS1_3repE0EEENS1_30default_config_static_selectorELNS0_4arch9wavefront6targetE1EEEvSW_ ; -- Begin function _ZN7rocprim17ROCPRIM_400000_NS6detail17trampoline_kernelINS0_14default_configENS1_22reduce_config_selectorIlEEZNS1_11reduce_implILb1ES3_N6thrust23THRUST_200600_302600_NS11hip_rocprim26transform_input_iterator_tIlNS8_12zip_iteratorINS8_5tupleINS8_6detail15normal_iteratorINS8_10device_ptrIxEEEESH_NS8_9null_typeESI_SI_SI_SI_SI_SI_SI_EEEENS9_21zip_adj_not_predicateINS8_8equal_toIxEEEEEEPllNS8_4plusIlEEEE10hipError_tPvRmT1_T2_T3_mT4_P12ihipStream_tbEUlT_E1_NS1_11comp_targetILNS1_3genE3ELNS1_11target_archE908ELNS1_3gpuE7ELNS1_3repE0EEENS1_30default_config_static_selectorELNS0_4arch9wavefront6targetE1EEEvSW_
	.globl	_ZN7rocprim17ROCPRIM_400000_NS6detail17trampoline_kernelINS0_14default_configENS1_22reduce_config_selectorIlEEZNS1_11reduce_implILb1ES3_N6thrust23THRUST_200600_302600_NS11hip_rocprim26transform_input_iterator_tIlNS8_12zip_iteratorINS8_5tupleINS8_6detail15normal_iteratorINS8_10device_ptrIxEEEESH_NS8_9null_typeESI_SI_SI_SI_SI_SI_SI_EEEENS9_21zip_adj_not_predicateINS8_8equal_toIxEEEEEEPllNS8_4plusIlEEEE10hipError_tPvRmT1_T2_T3_mT4_P12ihipStream_tbEUlT_E1_NS1_11comp_targetILNS1_3genE3ELNS1_11target_archE908ELNS1_3gpuE7ELNS1_3repE0EEENS1_30default_config_static_selectorELNS0_4arch9wavefront6targetE1EEEvSW_
	.p2align	8
	.type	_ZN7rocprim17ROCPRIM_400000_NS6detail17trampoline_kernelINS0_14default_configENS1_22reduce_config_selectorIlEEZNS1_11reduce_implILb1ES3_N6thrust23THRUST_200600_302600_NS11hip_rocprim26transform_input_iterator_tIlNS8_12zip_iteratorINS8_5tupleINS8_6detail15normal_iteratorINS8_10device_ptrIxEEEESH_NS8_9null_typeESI_SI_SI_SI_SI_SI_SI_EEEENS9_21zip_adj_not_predicateINS8_8equal_toIxEEEEEEPllNS8_4plusIlEEEE10hipError_tPvRmT1_T2_T3_mT4_P12ihipStream_tbEUlT_E1_NS1_11comp_targetILNS1_3genE3ELNS1_11target_archE908ELNS1_3gpuE7ELNS1_3repE0EEENS1_30default_config_static_selectorELNS0_4arch9wavefront6targetE1EEEvSW_,@function
_ZN7rocprim17ROCPRIM_400000_NS6detail17trampoline_kernelINS0_14default_configENS1_22reduce_config_selectorIlEEZNS1_11reduce_implILb1ES3_N6thrust23THRUST_200600_302600_NS11hip_rocprim26transform_input_iterator_tIlNS8_12zip_iteratorINS8_5tupleINS8_6detail15normal_iteratorINS8_10device_ptrIxEEEESH_NS8_9null_typeESI_SI_SI_SI_SI_SI_SI_EEEENS9_21zip_adj_not_predicateINS8_8equal_toIxEEEEEEPllNS8_4plusIlEEEE10hipError_tPvRmT1_T2_T3_mT4_P12ihipStream_tbEUlT_E1_NS1_11comp_targetILNS1_3genE3ELNS1_11target_archE908ELNS1_3gpuE7ELNS1_3repE0EEENS1_30default_config_static_selectorELNS0_4arch9wavefront6targetE1EEEvSW_: ; @_ZN7rocprim17ROCPRIM_400000_NS6detail17trampoline_kernelINS0_14default_configENS1_22reduce_config_selectorIlEEZNS1_11reduce_implILb1ES3_N6thrust23THRUST_200600_302600_NS11hip_rocprim26transform_input_iterator_tIlNS8_12zip_iteratorINS8_5tupleINS8_6detail15normal_iteratorINS8_10device_ptrIxEEEESH_NS8_9null_typeESI_SI_SI_SI_SI_SI_SI_EEEENS9_21zip_adj_not_predicateINS8_8equal_toIxEEEEEEPllNS8_4plusIlEEEE10hipError_tPvRmT1_T2_T3_mT4_P12ihipStream_tbEUlT_E1_NS1_11comp_targetILNS1_3genE3ELNS1_11target_archE908ELNS1_3gpuE7ELNS1_3repE0EEENS1_30default_config_static_selectorELNS0_4arch9wavefront6targetE1EEEvSW_
; %bb.0:
	.section	.rodata,"a",@progbits
	.p2align	6, 0x0
	.amdhsa_kernel _ZN7rocprim17ROCPRIM_400000_NS6detail17trampoline_kernelINS0_14default_configENS1_22reduce_config_selectorIlEEZNS1_11reduce_implILb1ES3_N6thrust23THRUST_200600_302600_NS11hip_rocprim26transform_input_iterator_tIlNS8_12zip_iteratorINS8_5tupleINS8_6detail15normal_iteratorINS8_10device_ptrIxEEEESH_NS8_9null_typeESI_SI_SI_SI_SI_SI_SI_EEEENS9_21zip_adj_not_predicateINS8_8equal_toIxEEEEEEPllNS8_4plusIlEEEE10hipError_tPvRmT1_T2_T3_mT4_P12ihipStream_tbEUlT_E1_NS1_11comp_targetILNS1_3genE3ELNS1_11target_archE908ELNS1_3gpuE7ELNS1_3repE0EEENS1_30default_config_static_selectorELNS0_4arch9wavefront6targetE1EEEvSW_
		.amdhsa_group_segment_fixed_size 0
		.amdhsa_private_segment_fixed_size 0
		.amdhsa_kernarg_size 64
		.amdhsa_user_sgpr_count 6
		.amdhsa_user_sgpr_private_segment_buffer 1
		.amdhsa_user_sgpr_dispatch_ptr 0
		.amdhsa_user_sgpr_queue_ptr 0
		.amdhsa_user_sgpr_kernarg_segment_ptr 1
		.amdhsa_user_sgpr_dispatch_id 0
		.amdhsa_user_sgpr_flat_scratch_init 0
		.amdhsa_user_sgpr_private_segment_size 0
		.amdhsa_uses_dynamic_stack 0
		.amdhsa_system_sgpr_private_segment_wavefront_offset 0
		.amdhsa_system_sgpr_workgroup_id_x 1
		.amdhsa_system_sgpr_workgroup_id_y 0
		.amdhsa_system_sgpr_workgroup_id_z 0
		.amdhsa_system_sgpr_workgroup_info 0
		.amdhsa_system_vgpr_workitem_id 0
		.amdhsa_next_free_vgpr 1
		.amdhsa_next_free_sgpr 0
		.amdhsa_reserve_vcc 0
		.amdhsa_reserve_flat_scratch 0
		.amdhsa_float_round_mode_32 0
		.amdhsa_float_round_mode_16_64 0
		.amdhsa_float_denorm_mode_32 3
		.amdhsa_float_denorm_mode_16_64 3
		.amdhsa_dx10_clamp 1
		.amdhsa_ieee_mode 1
		.amdhsa_fp16_overflow 0
		.amdhsa_exception_fp_ieee_invalid_op 0
		.amdhsa_exception_fp_denorm_src 0
		.amdhsa_exception_fp_ieee_div_zero 0
		.amdhsa_exception_fp_ieee_overflow 0
		.amdhsa_exception_fp_ieee_underflow 0
		.amdhsa_exception_fp_ieee_inexact 0
		.amdhsa_exception_int_div_zero 0
	.end_amdhsa_kernel
	.section	.text._ZN7rocprim17ROCPRIM_400000_NS6detail17trampoline_kernelINS0_14default_configENS1_22reduce_config_selectorIlEEZNS1_11reduce_implILb1ES3_N6thrust23THRUST_200600_302600_NS11hip_rocprim26transform_input_iterator_tIlNS8_12zip_iteratorINS8_5tupleINS8_6detail15normal_iteratorINS8_10device_ptrIxEEEESH_NS8_9null_typeESI_SI_SI_SI_SI_SI_SI_EEEENS9_21zip_adj_not_predicateINS8_8equal_toIxEEEEEEPllNS8_4plusIlEEEE10hipError_tPvRmT1_T2_T3_mT4_P12ihipStream_tbEUlT_E1_NS1_11comp_targetILNS1_3genE3ELNS1_11target_archE908ELNS1_3gpuE7ELNS1_3repE0EEENS1_30default_config_static_selectorELNS0_4arch9wavefront6targetE1EEEvSW_,"axG",@progbits,_ZN7rocprim17ROCPRIM_400000_NS6detail17trampoline_kernelINS0_14default_configENS1_22reduce_config_selectorIlEEZNS1_11reduce_implILb1ES3_N6thrust23THRUST_200600_302600_NS11hip_rocprim26transform_input_iterator_tIlNS8_12zip_iteratorINS8_5tupleINS8_6detail15normal_iteratorINS8_10device_ptrIxEEEESH_NS8_9null_typeESI_SI_SI_SI_SI_SI_SI_EEEENS9_21zip_adj_not_predicateINS8_8equal_toIxEEEEEEPllNS8_4plusIlEEEE10hipError_tPvRmT1_T2_T3_mT4_P12ihipStream_tbEUlT_E1_NS1_11comp_targetILNS1_3genE3ELNS1_11target_archE908ELNS1_3gpuE7ELNS1_3repE0EEENS1_30default_config_static_selectorELNS0_4arch9wavefront6targetE1EEEvSW_,comdat
.Lfunc_end935:
	.size	_ZN7rocprim17ROCPRIM_400000_NS6detail17trampoline_kernelINS0_14default_configENS1_22reduce_config_selectorIlEEZNS1_11reduce_implILb1ES3_N6thrust23THRUST_200600_302600_NS11hip_rocprim26transform_input_iterator_tIlNS8_12zip_iteratorINS8_5tupleINS8_6detail15normal_iteratorINS8_10device_ptrIxEEEESH_NS8_9null_typeESI_SI_SI_SI_SI_SI_SI_EEEENS9_21zip_adj_not_predicateINS8_8equal_toIxEEEEEEPllNS8_4plusIlEEEE10hipError_tPvRmT1_T2_T3_mT4_P12ihipStream_tbEUlT_E1_NS1_11comp_targetILNS1_3genE3ELNS1_11target_archE908ELNS1_3gpuE7ELNS1_3repE0EEENS1_30default_config_static_selectorELNS0_4arch9wavefront6targetE1EEEvSW_, .Lfunc_end935-_ZN7rocprim17ROCPRIM_400000_NS6detail17trampoline_kernelINS0_14default_configENS1_22reduce_config_selectorIlEEZNS1_11reduce_implILb1ES3_N6thrust23THRUST_200600_302600_NS11hip_rocprim26transform_input_iterator_tIlNS8_12zip_iteratorINS8_5tupleINS8_6detail15normal_iteratorINS8_10device_ptrIxEEEESH_NS8_9null_typeESI_SI_SI_SI_SI_SI_SI_EEEENS9_21zip_adj_not_predicateINS8_8equal_toIxEEEEEEPllNS8_4plusIlEEEE10hipError_tPvRmT1_T2_T3_mT4_P12ihipStream_tbEUlT_E1_NS1_11comp_targetILNS1_3genE3ELNS1_11target_archE908ELNS1_3gpuE7ELNS1_3repE0EEENS1_30default_config_static_selectorELNS0_4arch9wavefront6targetE1EEEvSW_
                                        ; -- End function
	.set _ZN7rocprim17ROCPRIM_400000_NS6detail17trampoline_kernelINS0_14default_configENS1_22reduce_config_selectorIlEEZNS1_11reduce_implILb1ES3_N6thrust23THRUST_200600_302600_NS11hip_rocprim26transform_input_iterator_tIlNS8_12zip_iteratorINS8_5tupleINS8_6detail15normal_iteratorINS8_10device_ptrIxEEEESH_NS8_9null_typeESI_SI_SI_SI_SI_SI_SI_EEEENS9_21zip_adj_not_predicateINS8_8equal_toIxEEEEEEPllNS8_4plusIlEEEE10hipError_tPvRmT1_T2_T3_mT4_P12ihipStream_tbEUlT_E1_NS1_11comp_targetILNS1_3genE3ELNS1_11target_archE908ELNS1_3gpuE7ELNS1_3repE0EEENS1_30default_config_static_selectorELNS0_4arch9wavefront6targetE1EEEvSW_.num_vgpr, 0
	.set _ZN7rocprim17ROCPRIM_400000_NS6detail17trampoline_kernelINS0_14default_configENS1_22reduce_config_selectorIlEEZNS1_11reduce_implILb1ES3_N6thrust23THRUST_200600_302600_NS11hip_rocprim26transform_input_iterator_tIlNS8_12zip_iteratorINS8_5tupleINS8_6detail15normal_iteratorINS8_10device_ptrIxEEEESH_NS8_9null_typeESI_SI_SI_SI_SI_SI_SI_EEEENS9_21zip_adj_not_predicateINS8_8equal_toIxEEEEEEPllNS8_4plusIlEEEE10hipError_tPvRmT1_T2_T3_mT4_P12ihipStream_tbEUlT_E1_NS1_11comp_targetILNS1_3genE3ELNS1_11target_archE908ELNS1_3gpuE7ELNS1_3repE0EEENS1_30default_config_static_selectorELNS0_4arch9wavefront6targetE1EEEvSW_.num_agpr, 0
	.set _ZN7rocprim17ROCPRIM_400000_NS6detail17trampoline_kernelINS0_14default_configENS1_22reduce_config_selectorIlEEZNS1_11reduce_implILb1ES3_N6thrust23THRUST_200600_302600_NS11hip_rocprim26transform_input_iterator_tIlNS8_12zip_iteratorINS8_5tupleINS8_6detail15normal_iteratorINS8_10device_ptrIxEEEESH_NS8_9null_typeESI_SI_SI_SI_SI_SI_SI_EEEENS9_21zip_adj_not_predicateINS8_8equal_toIxEEEEEEPllNS8_4plusIlEEEE10hipError_tPvRmT1_T2_T3_mT4_P12ihipStream_tbEUlT_E1_NS1_11comp_targetILNS1_3genE3ELNS1_11target_archE908ELNS1_3gpuE7ELNS1_3repE0EEENS1_30default_config_static_selectorELNS0_4arch9wavefront6targetE1EEEvSW_.numbered_sgpr, 0
	.set _ZN7rocprim17ROCPRIM_400000_NS6detail17trampoline_kernelINS0_14default_configENS1_22reduce_config_selectorIlEEZNS1_11reduce_implILb1ES3_N6thrust23THRUST_200600_302600_NS11hip_rocprim26transform_input_iterator_tIlNS8_12zip_iteratorINS8_5tupleINS8_6detail15normal_iteratorINS8_10device_ptrIxEEEESH_NS8_9null_typeESI_SI_SI_SI_SI_SI_SI_EEEENS9_21zip_adj_not_predicateINS8_8equal_toIxEEEEEEPllNS8_4plusIlEEEE10hipError_tPvRmT1_T2_T3_mT4_P12ihipStream_tbEUlT_E1_NS1_11comp_targetILNS1_3genE3ELNS1_11target_archE908ELNS1_3gpuE7ELNS1_3repE0EEENS1_30default_config_static_selectorELNS0_4arch9wavefront6targetE1EEEvSW_.num_named_barrier, 0
	.set _ZN7rocprim17ROCPRIM_400000_NS6detail17trampoline_kernelINS0_14default_configENS1_22reduce_config_selectorIlEEZNS1_11reduce_implILb1ES3_N6thrust23THRUST_200600_302600_NS11hip_rocprim26transform_input_iterator_tIlNS8_12zip_iteratorINS8_5tupleINS8_6detail15normal_iteratorINS8_10device_ptrIxEEEESH_NS8_9null_typeESI_SI_SI_SI_SI_SI_SI_EEEENS9_21zip_adj_not_predicateINS8_8equal_toIxEEEEEEPllNS8_4plusIlEEEE10hipError_tPvRmT1_T2_T3_mT4_P12ihipStream_tbEUlT_E1_NS1_11comp_targetILNS1_3genE3ELNS1_11target_archE908ELNS1_3gpuE7ELNS1_3repE0EEENS1_30default_config_static_selectorELNS0_4arch9wavefront6targetE1EEEvSW_.private_seg_size, 0
	.set _ZN7rocprim17ROCPRIM_400000_NS6detail17trampoline_kernelINS0_14default_configENS1_22reduce_config_selectorIlEEZNS1_11reduce_implILb1ES3_N6thrust23THRUST_200600_302600_NS11hip_rocprim26transform_input_iterator_tIlNS8_12zip_iteratorINS8_5tupleINS8_6detail15normal_iteratorINS8_10device_ptrIxEEEESH_NS8_9null_typeESI_SI_SI_SI_SI_SI_SI_EEEENS9_21zip_adj_not_predicateINS8_8equal_toIxEEEEEEPllNS8_4plusIlEEEE10hipError_tPvRmT1_T2_T3_mT4_P12ihipStream_tbEUlT_E1_NS1_11comp_targetILNS1_3genE3ELNS1_11target_archE908ELNS1_3gpuE7ELNS1_3repE0EEENS1_30default_config_static_selectorELNS0_4arch9wavefront6targetE1EEEvSW_.uses_vcc, 0
	.set _ZN7rocprim17ROCPRIM_400000_NS6detail17trampoline_kernelINS0_14default_configENS1_22reduce_config_selectorIlEEZNS1_11reduce_implILb1ES3_N6thrust23THRUST_200600_302600_NS11hip_rocprim26transform_input_iterator_tIlNS8_12zip_iteratorINS8_5tupleINS8_6detail15normal_iteratorINS8_10device_ptrIxEEEESH_NS8_9null_typeESI_SI_SI_SI_SI_SI_SI_EEEENS9_21zip_adj_not_predicateINS8_8equal_toIxEEEEEEPllNS8_4plusIlEEEE10hipError_tPvRmT1_T2_T3_mT4_P12ihipStream_tbEUlT_E1_NS1_11comp_targetILNS1_3genE3ELNS1_11target_archE908ELNS1_3gpuE7ELNS1_3repE0EEENS1_30default_config_static_selectorELNS0_4arch9wavefront6targetE1EEEvSW_.uses_flat_scratch, 0
	.set _ZN7rocprim17ROCPRIM_400000_NS6detail17trampoline_kernelINS0_14default_configENS1_22reduce_config_selectorIlEEZNS1_11reduce_implILb1ES3_N6thrust23THRUST_200600_302600_NS11hip_rocprim26transform_input_iterator_tIlNS8_12zip_iteratorINS8_5tupleINS8_6detail15normal_iteratorINS8_10device_ptrIxEEEESH_NS8_9null_typeESI_SI_SI_SI_SI_SI_SI_EEEENS9_21zip_adj_not_predicateINS8_8equal_toIxEEEEEEPllNS8_4plusIlEEEE10hipError_tPvRmT1_T2_T3_mT4_P12ihipStream_tbEUlT_E1_NS1_11comp_targetILNS1_3genE3ELNS1_11target_archE908ELNS1_3gpuE7ELNS1_3repE0EEENS1_30default_config_static_selectorELNS0_4arch9wavefront6targetE1EEEvSW_.has_dyn_sized_stack, 0
	.set _ZN7rocprim17ROCPRIM_400000_NS6detail17trampoline_kernelINS0_14default_configENS1_22reduce_config_selectorIlEEZNS1_11reduce_implILb1ES3_N6thrust23THRUST_200600_302600_NS11hip_rocprim26transform_input_iterator_tIlNS8_12zip_iteratorINS8_5tupleINS8_6detail15normal_iteratorINS8_10device_ptrIxEEEESH_NS8_9null_typeESI_SI_SI_SI_SI_SI_SI_EEEENS9_21zip_adj_not_predicateINS8_8equal_toIxEEEEEEPllNS8_4plusIlEEEE10hipError_tPvRmT1_T2_T3_mT4_P12ihipStream_tbEUlT_E1_NS1_11comp_targetILNS1_3genE3ELNS1_11target_archE908ELNS1_3gpuE7ELNS1_3repE0EEENS1_30default_config_static_selectorELNS0_4arch9wavefront6targetE1EEEvSW_.has_recursion, 0
	.set _ZN7rocprim17ROCPRIM_400000_NS6detail17trampoline_kernelINS0_14default_configENS1_22reduce_config_selectorIlEEZNS1_11reduce_implILb1ES3_N6thrust23THRUST_200600_302600_NS11hip_rocprim26transform_input_iterator_tIlNS8_12zip_iteratorINS8_5tupleINS8_6detail15normal_iteratorINS8_10device_ptrIxEEEESH_NS8_9null_typeESI_SI_SI_SI_SI_SI_SI_EEEENS9_21zip_adj_not_predicateINS8_8equal_toIxEEEEEEPllNS8_4plusIlEEEE10hipError_tPvRmT1_T2_T3_mT4_P12ihipStream_tbEUlT_E1_NS1_11comp_targetILNS1_3genE3ELNS1_11target_archE908ELNS1_3gpuE7ELNS1_3repE0EEENS1_30default_config_static_selectorELNS0_4arch9wavefront6targetE1EEEvSW_.has_indirect_call, 0
	.section	.AMDGPU.csdata,"",@progbits
; Kernel info:
; codeLenInByte = 0
; TotalNumSgprs: 4
; NumVgprs: 0
; ScratchSize: 0
; MemoryBound: 0
; FloatMode: 240
; IeeeMode: 1
; LDSByteSize: 0 bytes/workgroup (compile time only)
; SGPRBlocks: 0
; VGPRBlocks: 0
; NumSGPRsForWavesPerEU: 4
; NumVGPRsForWavesPerEU: 1
; Occupancy: 10
; WaveLimiterHint : 0
; COMPUTE_PGM_RSRC2:SCRATCH_EN: 0
; COMPUTE_PGM_RSRC2:USER_SGPR: 6
; COMPUTE_PGM_RSRC2:TRAP_HANDLER: 0
; COMPUTE_PGM_RSRC2:TGID_X_EN: 1
; COMPUTE_PGM_RSRC2:TGID_Y_EN: 0
; COMPUTE_PGM_RSRC2:TGID_Z_EN: 0
; COMPUTE_PGM_RSRC2:TIDIG_COMP_CNT: 0
	.section	.text._ZN7rocprim17ROCPRIM_400000_NS6detail17trampoline_kernelINS0_14default_configENS1_22reduce_config_selectorIlEEZNS1_11reduce_implILb1ES3_N6thrust23THRUST_200600_302600_NS11hip_rocprim26transform_input_iterator_tIlNS8_12zip_iteratorINS8_5tupleINS8_6detail15normal_iteratorINS8_10device_ptrIxEEEESH_NS8_9null_typeESI_SI_SI_SI_SI_SI_SI_EEEENS9_21zip_adj_not_predicateINS8_8equal_toIxEEEEEEPllNS8_4plusIlEEEE10hipError_tPvRmT1_T2_T3_mT4_P12ihipStream_tbEUlT_E1_NS1_11comp_targetILNS1_3genE2ELNS1_11target_archE906ELNS1_3gpuE6ELNS1_3repE0EEENS1_30default_config_static_selectorELNS0_4arch9wavefront6targetE1EEEvSW_,"axG",@progbits,_ZN7rocprim17ROCPRIM_400000_NS6detail17trampoline_kernelINS0_14default_configENS1_22reduce_config_selectorIlEEZNS1_11reduce_implILb1ES3_N6thrust23THRUST_200600_302600_NS11hip_rocprim26transform_input_iterator_tIlNS8_12zip_iteratorINS8_5tupleINS8_6detail15normal_iteratorINS8_10device_ptrIxEEEESH_NS8_9null_typeESI_SI_SI_SI_SI_SI_SI_EEEENS9_21zip_adj_not_predicateINS8_8equal_toIxEEEEEEPllNS8_4plusIlEEEE10hipError_tPvRmT1_T2_T3_mT4_P12ihipStream_tbEUlT_E1_NS1_11comp_targetILNS1_3genE2ELNS1_11target_archE906ELNS1_3gpuE6ELNS1_3repE0EEENS1_30default_config_static_selectorELNS0_4arch9wavefront6targetE1EEEvSW_,comdat
	.protected	_ZN7rocprim17ROCPRIM_400000_NS6detail17trampoline_kernelINS0_14default_configENS1_22reduce_config_selectorIlEEZNS1_11reduce_implILb1ES3_N6thrust23THRUST_200600_302600_NS11hip_rocprim26transform_input_iterator_tIlNS8_12zip_iteratorINS8_5tupleINS8_6detail15normal_iteratorINS8_10device_ptrIxEEEESH_NS8_9null_typeESI_SI_SI_SI_SI_SI_SI_EEEENS9_21zip_adj_not_predicateINS8_8equal_toIxEEEEEEPllNS8_4plusIlEEEE10hipError_tPvRmT1_T2_T3_mT4_P12ihipStream_tbEUlT_E1_NS1_11comp_targetILNS1_3genE2ELNS1_11target_archE906ELNS1_3gpuE6ELNS1_3repE0EEENS1_30default_config_static_selectorELNS0_4arch9wavefront6targetE1EEEvSW_ ; -- Begin function _ZN7rocprim17ROCPRIM_400000_NS6detail17trampoline_kernelINS0_14default_configENS1_22reduce_config_selectorIlEEZNS1_11reduce_implILb1ES3_N6thrust23THRUST_200600_302600_NS11hip_rocprim26transform_input_iterator_tIlNS8_12zip_iteratorINS8_5tupleINS8_6detail15normal_iteratorINS8_10device_ptrIxEEEESH_NS8_9null_typeESI_SI_SI_SI_SI_SI_SI_EEEENS9_21zip_adj_not_predicateINS8_8equal_toIxEEEEEEPllNS8_4plusIlEEEE10hipError_tPvRmT1_T2_T3_mT4_P12ihipStream_tbEUlT_E1_NS1_11comp_targetILNS1_3genE2ELNS1_11target_archE906ELNS1_3gpuE6ELNS1_3repE0EEENS1_30default_config_static_selectorELNS0_4arch9wavefront6targetE1EEEvSW_
	.globl	_ZN7rocprim17ROCPRIM_400000_NS6detail17trampoline_kernelINS0_14default_configENS1_22reduce_config_selectorIlEEZNS1_11reduce_implILb1ES3_N6thrust23THRUST_200600_302600_NS11hip_rocprim26transform_input_iterator_tIlNS8_12zip_iteratorINS8_5tupleINS8_6detail15normal_iteratorINS8_10device_ptrIxEEEESH_NS8_9null_typeESI_SI_SI_SI_SI_SI_SI_EEEENS9_21zip_adj_not_predicateINS8_8equal_toIxEEEEEEPllNS8_4plusIlEEEE10hipError_tPvRmT1_T2_T3_mT4_P12ihipStream_tbEUlT_E1_NS1_11comp_targetILNS1_3genE2ELNS1_11target_archE906ELNS1_3gpuE6ELNS1_3repE0EEENS1_30default_config_static_selectorELNS0_4arch9wavefront6targetE1EEEvSW_
	.p2align	8
	.type	_ZN7rocprim17ROCPRIM_400000_NS6detail17trampoline_kernelINS0_14default_configENS1_22reduce_config_selectorIlEEZNS1_11reduce_implILb1ES3_N6thrust23THRUST_200600_302600_NS11hip_rocprim26transform_input_iterator_tIlNS8_12zip_iteratorINS8_5tupleINS8_6detail15normal_iteratorINS8_10device_ptrIxEEEESH_NS8_9null_typeESI_SI_SI_SI_SI_SI_SI_EEEENS9_21zip_adj_not_predicateINS8_8equal_toIxEEEEEEPllNS8_4plusIlEEEE10hipError_tPvRmT1_T2_T3_mT4_P12ihipStream_tbEUlT_E1_NS1_11comp_targetILNS1_3genE2ELNS1_11target_archE906ELNS1_3gpuE6ELNS1_3repE0EEENS1_30default_config_static_selectorELNS0_4arch9wavefront6targetE1EEEvSW_,@function
_ZN7rocprim17ROCPRIM_400000_NS6detail17trampoline_kernelINS0_14default_configENS1_22reduce_config_selectorIlEEZNS1_11reduce_implILb1ES3_N6thrust23THRUST_200600_302600_NS11hip_rocprim26transform_input_iterator_tIlNS8_12zip_iteratorINS8_5tupleINS8_6detail15normal_iteratorINS8_10device_ptrIxEEEESH_NS8_9null_typeESI_SI_SI_SI_SI_SI_SI_EEEENS9_21zip_adj_not_predicateINS8_8equal_toIxEEEEEEPllNS8_4plusIlEEEE10hipError_tPvRmT1_T2_T3_mT4_P12ihipStream_tbEUlT_E1_NS1_11comp_targetILNS1_3genE2ELNS1_11target_archE906ELNS1_3gpuE6ELNS1_3repE0EEENS1_30default_config_static_selectorELNS0_4arch9wavefront6targetE1EEEvSW_: ; @_ZN7rocprim17ROCPRIM_400000_NS6detail17trampoline_kernelINS0_14default_configENS1_22reduce_config_selectorIlEEZNS1_11reduce_implILb1ES3_N6thrust23THRUST_200600_302600_NS11hip_rocprim26transform_input_iterator_tIlNS8_12zip_iteratorINS8_5tupleINS8_6detail15normal_iteratorINS8_10device_ptrIxEEEESH_NS8_9null_typeESI_SI_SI_SI_SI_SI_SI_EEEENS9_21zip_adj_not_predicateINS8_8equal_toIxEEEEEEPllNS8_4plusIlEEEE10hipError_tPvRmT1_T2_T3_mT4_P12ihipStream_tbEUlT_E1_NS1_11comp_targetILNS1_3genE2ELNS1_11target_archE906ELNS1_3gpuE6ELNS1_3repE0EEENS1_30default_config_static_selectorELNS0_4arch9wavefront6targetE1EEEvSW_
; %bb.0:
	s_load_dword s33, s[4:5], 0x4
	s_load_dwordx4 s[24:27], s[4:5], 0x8
	s_load_dwordx4 s[20:23], s[4:5], 0x20
	s_waitcnt lgkmcnt(0)
	s_cmp_lt_i32 s33, 4
	s_cbranch_scc1 .LBB936_10
; %bb.1:
	s_cmp_gt_i32 s33, 7
	s_cbranch_scc0 .LBB936_11
; %bb.2:
	s_cmp_gt_i32 s33, 15
	s_cbranch_scc0 .LBB936_12
; %bb.3:
	s_mov_b64 s[28:29], 0
	s_cmp_eq_u32 s33, 16
	s_mov_b64 s[0:1], 0
                                        ; implicit-def: $vgpr1_vgpr2
                                        ; implicit-def: $vgpr3_vgpr4
	s_cbranch_scc0 .LBB936_13
; %bb.4:
	s_mov_b32 s7, 0
	s_lshl_b32 s36, s6, 12
	s_mov_b32 s37, s7
	s_lshr_b64 s[0:1], s[20:21], 12
	s_lshl_b64 s[2:3], s[36:37], 3
	s_add_u32 s30, s24, s2
	s_addc_u32 s31, s25, s3
	s_add_u32 s34, s26, s2
	s_addc_u32 s35, s27, s3
	s_cmp_lg_u64 s[0:1], s[6:7]
	s_cbranch_scc0 .LBB936_21
; %bb.5:
	v_lshlrev_b32_e32 v33, 3, v0
	v_mov_b32_e32 v1, s31
	v_add_co_u32_e32 v31, vcc, s30, v33
	v_addc_co_u32_e32 v32, vcc, 0, v1, vcc
	v_mov_b32_e32 v1, s35
	v_add_co_u32_e32 v34, vcc, s34, v33
	v_addc_co_u32_e32 v35, vcc, 0, v1, vcc
	v_add_co_u32_e32 v1, vcc, 0x1000, v31
	v_addc_co_u32_e32 v2, vcc, 0, v32, vcc
	;; [unrolled: 2-line block ×4, first 2 shown]
	global_load_dwordx2 v[5:6], v[1:2], off offset:2048
	global_load_dwordx2 v[7:8], v[3:4], off offset:2048
	v_add_co_u32_e32 v13, vcc, 0x2000, v34
	v_addc_co_u32_e32 v14, vcc, 0, v35, vcc
	global_load_dwordx2 v[11:12], v[9:10], off
	global_load_dwordx2 v[15:16], v[13:14], off
	v_add_co_u32_e32 v17, vcc, 0x3000, v31
	v_addc_co_u32_e32 v18, vcc, 0, v32, vcc
	v_add_co_u32_e32 v19, vcc, 0x3000, v34
	v_addc_co_u32_e32 v20, vcc, 0, v35, vcc
	global_load_dwordx2 v[21:22], v[19:20], off
	global_load_dwordx2 v[23:24], v[17:18], off
	global_load_dwordx2 v[25:26], v[17:18], off offset:2048
	global_load_dwordx2 v[27:28], v[19:20], off offset:2048
	global_load_dwordx2 v[29:30], v[1:2], off
                                        ; kill: killed $vgpr1 killed $vgpr2
                                        ; kill: killed $vgpr19 killed $vgpr20
                                        ; kill: killed $vgpr17 killed $vgpr18
	s_nop 0
	global_load_dwordx2 v[1:2], v[3:4], off
	global_load_dwordx2 v[17:18], v[9:10], off offset:2048
	global_load_dwordx2 v[19:20], v[13:14], off offset:2048
	v_add_co_u32_e32 v3, vcc, 0x4000, v31
	v_addc_co_u32_e32 v4, vcc, 0, v32, vcc
	s_waitcnt vmcnt(10)
	v_cmp_ne_u64_e64 s[0:1], v[5:6], v[7:8]
	v_add_co_u32_e32 v5, vcc, 0x4000, v34
	v_addc_co_u32_e32 v6, vcc, 0, v35, vcc
	global_load_dwordx2 v[7:8], v[3:4], off
	s_waitcnt vmcnt(9)
	v_cmp_ne_u64_e64 s[2:3], v[11:12], v[15:16]
	global_load_dwordx2 v[11:12], v[5:6], off
	v_add_co_u32_e32 v9, vcc, 0x5000, v31
	v_addc_co_u32_e32 v10, vcc, 0, v32, vcc
	s_waitcnt vmcnt(8)
	v_cmp_ne_u64_e64 s[8:9], v[23:24], v[21:22]
	v_add_co_u32_e32 v13, vcc, 0x5000, v34
	global_load_dwordx2 v[15:16], v[9:10], off
	global_load_dwordx2 v[21:22], v[9:10], off offset:2048
	v_addc_co_u32_e32 v14, vcc, 0, v35, vcc
	s_waitcnt vmcnt(8)
	v_cmp_ne_u64_e64 s[10:11], v[25:26], v[27:28]
	global_load_dwordx2 v[9:10], v[13:14], off
	global_load_dwordx2 v[23:24], v[13:14], off offset:2048
	global_load_dwordx2 v[25:26], v[3:4], off offset:2048
	;; [unrolled: 1-line block ×3, first 2 shown]
	v_add_co_u32_e32 v3, vcc, 0x6000, v31
	v_addc_co_u32_e32 v4, vcc, 0, v32, vcc
	v_add_co_u32_e32 v5, vcc, 0x6000, v34
	v_addc_co_u32_e32 v6, vcc, 0, v35, vcc
	s_waitcnt vmcnt(6)
	v_cmp_ne_u64_e64 s[12:13], v[7:8], v[11:12]
	v_add_co_u32_e32 v11, vcc, 0x7000, v31
	v_addc_co_u32_e32 v12, vcc, 0, v32, vcc
	global_load_dwordx2 v[7:8], v[3:4], off
	global_load_dwordx2 v[13:14], v[11:12], off
	s_waitcnt vmcnt(5)
	v_cmp_ne_u64_e64 s[14:15], v[15:16], v[9:10]
	global_load_dwordx2 v[9:10], v[5:6], off
	v_add_co_u32_e32 v15, vcc, 0x7000, v34
	v_addc_co_u32_e32 v16, vcc, 0, v35, vcc
	s_waitcnt vmcnt(5)
	v_cmp_ne_u64_e64 s[16:17], v[21:22], v[23:24]
	global_load_dwordx2 v[21:22], v[15:16], off
	global_load_dwordx2 v[23:24], v[3:4], off offset:2048
	global_load_dwordx2 v[31:32], v[5:6], off offset:2048
	s_nop 0
	global_load_dwordx2 v[3:4], v[11:12], off offset:2048
	global_load_dwordx2 v[5:6], v[15:16], off offset:2048
	v_cndmask_b32_e64 v16, 0, 1, s[0:1]
	v_cmp_ne_u64_e64 s[0:1], v[17:18], v[19:20]
	v_cndmask_b32_e64 v18, 0, 1, s[8:9]
	v_cndmask_b32_e64 v17, 0, 1, s[0:1]
	s_waitcnt vmcnt(8)
	v_cmp_ne_u64_e64 s[0:1], v[25:26], v[27:28]
	v_cndmask_b32_e64 v19, 0, 1, s[10:11]
	v_cndmask_b32_e64 v20, 0, 1, s[12:13]
	;; [unrolled: 1-line block ×4, first 2 shown]
	v_mov_b32_e32 v15, 0
	s_waitcnt vmcnt(5)
	v_cmp_ne_u64_e32 vcc, v[7:8], v[9:10]
	v_cndmask_b32_e64 v27, 0, 1, vcc
	s_waitcnt vmcnt(4)
	v_cmp_ne_u64_e64 s[18:19], v[13:14], v[21:22]
	global_load_dwordx2 v[7:8], v33, s[34:35] offset:2048
	global_load_dwordx2 v[9:10], v33, s[30:31] offset:2048
	global_load_dwordx2 v[11:12], v33, s[34:35]
	global_load_dwordx2 v[13:14], v33, s[30:31]
	s_waitcnt vmcnt(6)
	v_cmp_ne_u64_e32 vcc, v[23:24], v[31:32]
	v_cndmask_b32_e64 v21, 0, 1, s[2:3]
	v_cndmask_b32_e64 v23, 0, 1, vcc
	s_waitcnt vmcnt(4)
	v_cmp_ne_u64_e32 vcc, v[3:4], v[5:6]
	v_cndmask_b32_e64 v22, 0, 1, s[0:1]
	v_cndmask_b32_e64 v3, 0, 1, vcc
	v_cndmask_b32_e64 v24, 0, 1, s[18:19]
	s_waitcnt vmcnt(2)
	v_cmp_ne_u64_e32 vcc, v[9:10], v[7:8]
	v_cndmask_b32_e64 v4, 0, 1, vcc
	s_waitcnt vmcnt(0)
	v_cmp_ne_u64_e32 vcc, v[13:14], v[11:12]
	v_cndmask_b32_e64 v5, 0, 1, vcc
	v_cmp_ne_u64_e32 vcc, v[29:30], v[1:2]
	v_addc_co_u32_e32 v1, vcc, v4, v5, vcc
	v_add_co_u32_e32 v1, vcc, v1, v16
	v_addc_co_u32_e64 v2, s[0:1], 0, 0, vcc
	v_add_co_u32_e32 v1, vcc, v1, v21
	v_addc_co_u32_e32 v2, vcc, 0, v2, vcc
	v_add_co_u32_e32 v1, vcc, v1, v17
	v_addc_co_u32_e32 v2, vcc, 0, v2, vcc
	;; [unrolled: 2-line block ×12, first 2 shown]
	s_nop 0
	v_mov_b32_dpp v4, v1 quad_perm:[1,0,3,2] row_mask:0xf bank_mask:0xf bound_ctrl:1
	v_add_co_u32_e32 v1, vcc, v1, v4
	v_addc_co_u32_e32 v2, vcc, 0, v2, vcc
	v_mov_b32_dpp v5, v15 quad_perm:[1,0,3,2] row_mask:0xf bank_mask:0xf bound_ctrl:1
	v_add_co_u32_e32 v4, vcc, 0, v1
	v_addc_co_u32_e32 v2, vcc, v5, v2, vcc
	v_mov_b32_dpp v1, v1 quad_perm:[2,3,0,1] row_mask:0xf bank_mask:0xf bound_ctrl:1
	v_add_co_u32_e32 v1, vcc, v4, v1
	v_mov_b32_dpp v5, v2 quad_perm:[2,3,0,1] row_mask:0xf bank_mask:0xf bound_ctrl:1
	v_addc_co_u32_e32 v2, vcc, 0, v2, vcc
	v_add_co_u32_e32 v4, vcc, 0, v1
	v_addc_co_u32_e32 v2, vcc, v2, v5, vcc
	v_mov_b32_dpp v1, v1 row_ror:4 row_mask:0xf bank_mask:0xf bound_ctrl:1
	v_add_co_u32_e32 v1, vcc, v4, v1
	v_mov_b32_dpp v5, v2 row_ror:4 row_mask:0xf bank_mask:0xf bound_ctrl:1
	v_addc_co_u32_e32 v2, vcc, 0, v2, vcc
	v_add_co_u32_e32 v4, vcc, 0, v1
	v_addc_co_u32_e32 v2, vcc, v2, v5, vcc
	v_mov_b32_dpp v1, v1 row_ror:8 row_mask:0xf bank_mask:0xf bound_ctrl:1
	v_add_co_u32_e32 v1, vcc, v4, v1
	v_mov_b32_dpp v5, v2 row_ror:8 row_mask:0xf bank_mask:0xf bound_ctrl:1
	v_addc_co_u32_e32 v2, vcc, 0, v2, vcc
	v_add_co_u32_e32 v4, vcc, 0, v1
	v_addc_co_u32_e32 v2, vcc, v2, v5, vcc
	v_mov_b32_dpp v1, v1 row_bcast:15 row_mask:0xf bank_mask:0xf bound_ctrl:1
	v_add_co_u32_e32 v1, vcc, v4, v1
	v_mov_b32_dpp v5, v2 row_bcast:15 row_mask:0xf bank_mask:0xf bound_ctrl:1
	v_addc_co_u32_e32 v2, vcc, 0, v2, vcc
	v_add_co_u32_e32 v4, vcc, 0, v1
	v_addc_co_u32_e32 v2, vcc, v2, v5, vcc
	v_mov_b32_dpp v1, v1 row_bcast:31 row_mask:0xf bank_mask:0xf bound_ctrl:1
	v_mbcnt_lo_u32_b32 v3, -1, 0
	v_add_co_u32_e32 v1, vcc, v4, v1
	v_mbcnt_hi_u32_b32 v3, -1, v3
	v_addc_co_u32_e32 v4, vcc, 0, v2, vcc
	v_cmp_eq_u32_e32 vcc, 0, v3
	s_nop 0
	v_add_u32_dpp v2, v2, v4 row_bcast:31 row_mask:0xf bank_mask:0xf bound_ctrl:1
	v_lshlrev_b32_e32 v4, 2, v3
	v_or_b32_e32 v5, 0xfc, v4
	ds_bpermute_b32 v1, v5, v1
	ds_bpermute_b32 v2, v5, v2
	s_and_saveexec_b64 s[0:1], vcc
	s_cbranch_execz .LBB936_7
; %bb.6:
	v_lshrrev_b32_e32 v5, 3, v0
	v_and_b32_e32 v5, 24, v5
	s_waitcnt lgkmcnt(0)
	ds_write_b64 v5, v[1:2]
.LBB936_7:
	s_or_b64 exec, exec, s[0:1]
	v_cmp_gt_u32_e32 vcc, 64, v0
	s_waitcnt lgkmcnt(0)
	s_barrier
	s_and_saveexec_b64 s[0:1], vcc
	s_cbranch_execz .LBB936_9
; %bb.8:
	v_and_b32_e32 v5, 3, v3
	v_lshlrev_b32_e32 v1, 3, v5
	ds_read_b64 v[1:2], v1
	v_cmp_ne_u32_e32 vcc, 3, v5
	v_addc_co_u32_e32 v3, vcc, 0, v3, vcc
	v_lshlrev_b32_e32 v3, 2, v3
	s_waitcnt lgkmcnt(0)
	ds_bpermute_b32 v5, v3, v1
	ds_bpermute_b32 v3, v3, v2
	v_or_b32_e32 v4, 8, v4
	s_waitcnt lgkmcnt(1)
	v_add_co_u32_e32 v1, vcc, v1, v5
	v_addc_co_u32_e32 v2, vcc, 0, v2, vcc
	ds_bpermute_b32 v5, v4, v1
	v_add_co_u32_e32 v1, vcc, 0, v1
	s_waitcnt lgkmcnt(1)
	v_addc_co_u32_e32 v2, vcc, v3, v2, vcc
	ds_bpermute_b32 v3, v4, v2
	s_waitcnt lgkmcnt(1)
	v_add_co_u32_e32 v1, vcc, v1, v5
	v_addc_co_u32_e32 v2, vcc, 0, v2, vcc
	v_add_co_u32_e32 v1, vcc, 0, v1
	s_waitcnt lgkmcnt(0)
	v_addc_co_u32_e32 v2, vcc, v2, v3, vcc
.LBB936_9:
	s_or_b64 exec, exec, s[0:1]
	s_mov_b64 s[0:1], 0
	s_branch .LBB936_22
.LBB936_10:
	s_mov_b64 s[0:1], 0
                                        ; implicit-def: $vgpr1_vgpr2
                                        ; implicit-def: $vgpr3_vgpr4
	s_cbranch_execnz .LBB936_145
	s_branch .LBB936_206
.LBB936_11:
	s_mov_b64 s[0:1], 0
                                        ; implicit-def: $vgpr1_vgpr2
                                        ; implicit-def: $vgpr3_vgpr4
	s_cbranch_execnz .LBB936_110
	s_branch .LBB936_144
.LBB936_12:
	s_mov_b64 s[28:29], -1
	s_mov_b64 s[0:1], 0
                                        ; implicit-def: $vgpr1_vgpr2
                                        ; implicit-def: $vgpr3_vgpr4
.LBB936_13:
	s_and_b64 vcc, exec, s[28:29]
	s_cbranch_vccz .LBB936_109
.LBB936_14:
	s_cmp_eq_u32 s33, 8
                                        ; implicit-def: $vgpr1_vgpr2
                                        ; implicit-def: $vgpr3_vgpr4
	s_cbranch_scc0 .LBB936_109
; %bb.15:
	s_mov_b32 s7, 0
	s_lshl_b32 s0, s6, 11
	s_mov_b32 s1, s7
	s_lshr_b64 s[2:3], s[20:21], 11
	s_lshl_b64 s[8:9], s[0:1], 3
	s_add_u32 s16, s24, s8
	s_addc_u32 s17, s25, s9
	s_add_u32 s18, s26, s8
	s_addc_u32 s19, s27, s9
	s_cmp_lg_u64 s[2:3], s[6:7]
	s_cbranch_scc0 .LBB936_73
; %bb.16:
	v_lshlrev_b32_e32 v9, 3, v0
	global_load_dwordx2 v[1:2], v9, s[18:19] offset:2048
	global_load_dwordx2 v[3:4], v9, s[16:17] offset:2048
	v_mov_b32_e32 v10, s17
	v_add_co_u32_e32 v25, vcc, s16, v9
	v_addc_co_u32_e32 v29, vcc, 0, v10, vcc
	v_mov_b32_e32 v11, s19
	v_add_co_u32_e32 v30, vcc, s18, v9
	v_addc_co_u32_e32 v31, vcc, 0, v11, vcc
	global_load_dwordx2 v[5:6], v9, s[18:19]
	global_load_dwordx2 v[7:8], v9, s[16:17]
	v_add_co_u32_e32 v9, vcc, 0x1000, v25
	v_addc_co_u32_e32 v10, vcc, 0, v29, vcc
	v_add_co_u32_e32 v11, vcc, 0x1000, v30
	v_addc_co_u32_e32 v12, vcc, 0, v31, vcc
	global_load_dwordx2 v[13:14], v[9:10], off
	global_load_dwordx2 v[15:16], v[9:10], off offset:2048
	global_load_dwordx2 v[17:18], v[11:12], off
	global_load_dwordx2 v[19:20], v[11:12], off offset:2048
	v_add_co_u32_e32 v9, vcc, 0x2000, v25
	v_addc_co_u32_e32 v10, vcc, 0, v29, vcc
	v_add_co_u32_e32 v11, vcc, 0x2000, v30
	v_addc_co_u32_e32 v12, vcc, 0, v31, vcc
	global_load_dwordx2 v[21:22], v[9:10], off
	global_load_dwordx2 v[23:24], v[9:10], off offset:2048
	v_add_co_u32_e32 v9, vcc, 0x3000, v25
	global_load_dwordx2 v[25:26], v[11:12], off
	global_load_dwordx2 v[27:28], v[11:12], off offset:2048
	v_addc_co_u32_e32 v10, vcc, 0, v29, vcc
	v_add_co_u32_e32 v11, vcc, 0x3000, v30
	v_addc_co_u32_e32 v12, vcc, 0, v31, vcc
	global_load_dwordx2 v[29:30], v[11:12], off
	s_waitcnt vmcnt(11)
	v_cmp_ne_u64_e32 vcc, v[3:4], v[1:2]
	global_load_dwordx2 v[1:2], v[9:10], off
	global_load_dwordx2 v[3:4], v[9:10], off offset:2048
	global_load_dwordx2 v[31:32], v[11:12], off offset:2048
	v_cndmask_b32_e64 v10, 0, 1, vcc
	v_mov_b32_e32 v9, 0
	s_waitcnt vmcnt(12)
	v_cmp_ne_u64_e32 vcc, v[7:8], v[5:6]
	v_cndmask_b32_e64 v5, 0, 1, vcc
	s_waitcnt vmcnt(8)
	v_cmp_ne_u64_e32 vcc, v[15:16], v[19:20]
	v_cndmask_b32_e64 v6, 0, 1, vcc
	v_cmp_ne_u64_e32 vcc, v[13:14], v[17:18]
	v_addc_co_u32_e32 v5, vcc, v10, v5, vcc
	v_add_co_u32_e32 v5, vcc, v5, v6
	v_addc_co_u32_e64 v6, s[2:3], 0, 0, vcc
	s_waitcnt vmcnt(5)
	v_cmp_ne_u64_e32 vcc, v[21:22], v[25:26]
	v_cndmask_b32_e64 v7, 0, 1, vcc
	s_waitcnt vmcnt(4)
	v_cmp_ne_u64_e32 vcc, v[23:24], v[27:28]
	v_cndmask_b32_e64 v8, 0, 1, vcc
	v_add_co_u32_e32 v5, vcc, v5, v7
	v_addc_co_u32_e32 v6, vcc, 0, v6, vcc
	s_waitcnt vmcnt(2)
	v_cmp_ne_u64_e32 vcc, v[1:2], v[29:30]
	v_cndmask_b32_e64 v1, 0, 1, vcc
	s_waitcnt vmcnt(0)
	v_cmp_ne_u64_e32 vcc, v[3:4], v[31:32]
	v_cndmask_b32_e64 v2, 0, 1, vcc
	v_add_co_u32_e32 v3, vcc, v5, v8
	v_addc_co_u32_e32 v4, vcc, 0, v6, vcc
	v_add_co_u32_e32 v1, vcc, v3, v1
	v_addc_co_u32_e32 v3, vcc, 0, v4, vcc
	;; [unrolled: 2-line block ×3, first 2 shown]
	s_nop 0
	v_mov_b32_dpp v4, v1 quad_perm:[1,0,3,2] row_mask:0xf bank_mask:0xf bound_ctrl:1
	v_add_co_u32_e32 v1, vcc, v1, v4
	v_addc_co_u32_e32 v2, vcc, 0, v2, vcc
	v_mov_b32_dpp v5, v9 quad_perm:[1,0,3,2] row_mask:0xf bank_mask:0xf bound_ctrl:1
	v_add_co_u32_e32 v4, vcc, 0, v1
	v_addc_co_u32_e32 v2, vcc, v5, v2, vcc
	v_mov_b32_dpp v1, v1 quad_perm:[2,3,0,1] row_mask:0xf bank_mask:0xf bound_ctrl:1
	v_add_co_u32_e32 v1, vcc, v4, v1
	v_mov_b32_dpp v5, v2 quad_perm:[2,3,0,1] row_mask:0xf bank_mask:0xf bound_ctrl:1
	v_addc_co_u32_e32 v2, vcc, 0, v2, vcc
	v_add_co_u32_e32 v4, vcc, 0, v1
	v_addc_co_u32_e32 v2, vcc, v2, v5, vcc
	v_mov_b32_dpp v1, v1 row_ror:4 row_mask:0xf bank_mask:0xf bound_ctrl:1
	v_add_co_u32_e32 v1, vcc, v4, v1
	v_mov_b32_dpp v5, v2 row_ror:4 row_mask:0xf bank_mask:0xf bound_ctrl:1
	v_addc_co_u32_e32 v2, vcc, 0, v2, vcc
	v_add_co_u32_e32 v4, vcc, 0, v1
	v_addc_co_u32_e32 v2, vcc, v2, v5, vcc
	v_mov_b32_dpp v1, v1 row_ror:8 row_mask:0xf bank_mask:0xf bound_ctrl:1
	v_add_co_u32_e32 v1, vcc, v4, v1
	v_mov_b32_dpp v5, v2 row_ror:8 row_mask:0xf bank_mask:0xf bound_ctrl:1
	v_addc_co_u32_e32 v2, vcc, 0, v2, vcc
	v_add_co_u32_e32 v4, vcc, 0, v1
	v_addc_co_u32_e32 v2, vcc, v2, v5, vcc
	v_mov_b32_dpp v1, v1 row_bcast:15 row_mask:0xf bank_mask:0xf bound_ctrl:1
	v_add_co_u32_e32 v1, vcc, v4, v1
	v_mov_b32_dpp v5, v2 row_bcast:15 row_mask:0xf bank_mask:0xf bound_ctrl:1
	v_addc_co_u32_e32 v2, vcc, 0, v2, vcc
	v_add_co_u32_e32 v4, vcc, 0, v1
	v_addc_co_u32_e32 v2, vcc, v2, v5, vcc
	v_mov_b32_dpp v1, v1 row_bcast:31 row_mask:0xf bank_mask:0xf bound_ctrl:1
	v_mbcnt_lo_u32_b32 v3, -1, 0
	v_add_co_u32_e32 v1, vcc, v4, v1
	v_mbcnt_hi_u32_b32 v3, -1, v3
	v_addc_co_u32_e32 v4, vcc, 0, v2, vcc
	v_cmp_eq_u32_e32 vcc, 0, v3
	s_nop 0
	v_add_u32_dpp v2, v2, v4 row_bcast:31 row_mask:0xf bank_mask:0xf bound_ctrl:1
	v_lshlrev_b32_e32 v4, 2, v3
	v_or_b32_e32 v5, 0xfc, v4
	ds_bpermute_b32 v1, v5, v1
	ds_bpermute_b32 v2, v5, v2
	s_and_saveexec_b64 s[2:3], vcc
	s_cbranch_execz .LBB936_18
; %bb.17:
	v_lshrrev_b32_e32 v5, 3, v0
	v_and_b32_e32 v5, 24, v5
	s_waitcnt lgkmcnt(0)
	ds_write_b64 v5, v[1:2] offset:128
.LBB936_18:
	s_or_b64 exec, exec, s[2:3]
	v_cmp_gt_u32_e32 vcc, 64, v0
	s_waitcnt lgkmcnt(0)
	s_barrier
	s_and_saveexec_b64 s[2:3], vcc
	s_cbranch_execz .LBB936_20
; %bb.19:
	v_and_b32_e32 v5, 3, v3
	v_lshlrev_b32_e32 v1, 3, v5
	ds_read_b64 v[1:2], v1 offset:128
	v_cmp_ne_u32_e32 vcc, 3, v5
	v_addc_co_u32_e32 v3, vcc, 0, v3, vcc
	v_lshlrev_b32_e32 v3, 2, v3
	s_waitcnt lgkmcnt(0)
	ds_bpermute_b32 v5, v3, v1
	ds_bpermute_b32 v3, v3, v2
	v_or_b32_e32 v4, 8, v4
	s_waitcnt lgkmcnt(1)
	v_add_co_u32_e32 v1, vcc, v1, v5
	v_addc_co_u32_e32 v2, vcc, 0, v2, vcc
	ds_bpermute_b32 v5, v4, v1
	v_add_co_u32_e32 v1, vcc, 0, v1
	s_waitcnt lgkmcnt(1)
	v_addc_co_u32_e32 v2, vcc, v3, v2, vcc
	ds_bpermute_b32 v3, v4, v2
	s_waitcnt lgkmcnt(1)
	v_add_co_u32_e32 v1, vcc, v1, v5
	v_addc_co_u32_e32 v2, vcc, 0, v2, vcc
	v_add_co_u32_e32 v1, vcc, 0, v1
	s_waitcnt lgkmcnt(0)
	v_addc_co_u32_e32 v2, vcc, v2, v3, vcc
.LBB936_20:
	s_or_b64 exec, exec, s[2:3]
	s_mov_b64 s[2:3], 0
	s_branch .LBB936_74
.LBB936_21:
	s_mov_b64 s[0:1], -1
                                        ; implicit-def: $vgpr1_vgpr2
.LBB936_22:
	s_and_b64 vcc, exec, s[0:1]
	s_cbranch_vccz .LBB936_72
; %bb.23:
	s_sub_i32 s2, s20, s36
	v_cmp_gt_u32_e32 vcc, s2, v0
                                        ; implicit-def: $vgpr1_vgpr2
	s_and_saveexec_b64 s[0:1], vcc
	s_cbranch_execz .LBB936_25
; %bb.24:
	v_lshlrev_b32_e32 v5, 3, v0
	global_load_dwordx2 v[1:2], v5, s[30:31]
	global_load_dwordx2 v[3:4], v5, s[34:35]
	s_mov_b32 s3, 0
	s_waitcnt vmcnt(0)
	v_cmp_ne_u64_e32 vcc, v[1:2], v[3:4]
	v_mov_b32_e32 v2, s3
	v_cndmask_b32_e64 v1, 0, 1, vcc
.LBB936_25:
	s_or_b64 exec, exec, s[0:1]
	v_or_b32_e32 v7, 0x100, v0
	v_mov_b32_e32 v3, 0
	v_mov_b32_e32 v5, 0
	v_mov_b32_e32 v4, 0
	v_mov_b32_e32 v6, 0
	v_cmp_gt_u32_e32 vcc, s2, v7
	s_and_saveexec_b64 s[0:1], vcc
	s_cbranch_execz .LBB936_27
; %bb.26:
	v_lshlrev_b32_e32 v9, 3, v0
	global_load_dwordx2 v[5:6], v9, s[30:31] offset:2048
	global_load_dwordx2 v[7:8], v9, s[34:35] offset:2048
	s_mov_b32 s3, 0
	s_waitcnt vmcnt(0)
	v_cmp_ne_u64_e32 vcc, v[5:6], v[7:8]
	v_mov_b32_e32 v6, s3
	v_cndmask_b32_e64 v5, 0, 1, vcc
.LBB936_27:
	s_or_b64 exec, exec, s[0:1]
	v_or_b32_e32 v7, 0x200, v0
	v_cmp_gt_u32_e32 vcc, s2, v7
	s_and_saveexec_b64 s[0:1], vcc
	s_cbranch_execz .LBB936_29
; %bb.28:
	v_lshlrev_b32_e32 v9, 3, v7
	global_load_dwordx2 v[3:4], v9, s[30:31]
	global_load_dwordx2 v[7:8], v9, s[34:35]
	s_mov_b32 s3, 0
	s_waitcnt vmcnt(0)
	v_cmp_ne_u64_e32 vcc, v[3:4], v[7:8]
	v_mov_b32_e32 v4, s3
	v_cndmask_b32_e64 v3, 0, 1, vcc
.LBB936_29:
	s_or_b64 exec, exec, s[0:1]
	v_or_b32_e32 v11, 0x300, v0
	v_mov_b32_e32 v7, 0
	v_mov_b32_e32 v9, 0
	v_mov_b32_e32 v8, 0
	v_mov_b32_e32 v10, 0
	v_cmp_gt_u32_e32 vcc, s2, v11
	s_and_saveexec_b64 s[0:1], vcc
	s_cbranch_execz .LBB936_31
; %bb.30:
	v_lshlrev_b32_e32 v13, 3, v11
	global_load_dwordx2 v[9:10], v13, s[30:31]
	global_load_dwordx2 v[11:12], v13, s[34:35]
	s_mov_b32 s3, 0
	s_waitcnt vmcnt(0)
	v_cmp_ne_u64_e32 vcc, v[9:10], v[11:12]
	v_mov_b32_e32 v10, s3
	v_cndmask_b32_e64 v9, 0, 1, vcc
.LBB936_31:
	s_or_b64 exec, exec, s[0:1]
	v_or_b32_e32 v11, 0x400, v0
	v_cmp_gt_u32_e32 vcc, s2, v11
	s_and_saveexec_b64 s[0:1], vcc
	s_cbranch_execz .LBB936_33
; %bb.32:
	v_lshlrev_b32_e32 v13, 3, v11
	global_load_dwordx2 v[7:8], v13, s[30:31]
	global_load_dwordx2 v[11:12], v13, s[34:35]
	s_mov_b32 s3, 0
	s_waitcnt vmcnt(0)
	v_cmp_ne_u64_e32 vcc, v[7:8], v[11:12]
	v_mov_b32_e32 v8, s3
	v_cndmask_b32_e64 v7, 0, 1, vcc
.LBB936_33:
	s_or_b64 exec, exec, s[0:1]
	v_or_b32_e32 v15, 0x500, v0
	v_mov_b32_e32 v11, 0
	v_mov_b32_e32 v13, 0
	v_mov_b32_e32 v12, 0
	v_mov_b32_e32 v14, 0
	v_cmp_gt_u32_e32 vcc, s2, v15
	s_and_saveexec_b64 s[0:1], vcc
	s_cbranch_execz .LBB936_35
; %bb.34:
	v_lshlrev_b32_e32 v17, 3, v15
	global_load_dwordx2 v[13:14], v17, s[30:31]
	global_load_dwordx2 v[15:16], v17, s[34:35]
	s_mov_b32 s3, 0
	s_waitcnt vmcnt(0)
	v_cmp_ne_u64_e32 vcc, v[13:14], v[15:16]
	v_mov_b32_e32 v14, s3
	v_cndmask_b32_e64 v13, 0, 1, vcc
.LBB936_35:
	;; [unrolled: 34-line block ×6, first 2 shown]
	s_or_b64 exec, exec, s[0:1]
	v_or_b32_e32 v31, 0xe00, v0
	v_cmp_gt_u32_e32 vcc, s2, v31
	s_and_saveexec_b64 s[0:1], vcc
	s_cbranch_execz .LBB936_53
; %bb.52:
	v_lshlrev_b32_e32 v33, 3, v31
	global_load_dwordx2 v[27:28], v33, s[30:31]
	global_load_dwordx2 v[31:32], v33, s[34:35]
	s_mov_b32 s3, 0
	s_waitcnt vmcnt(0)
	v_cmp_ne_u64_e32 vcc, v[27:28], v[31:32]
	v_mov_b32_e32 v28, s3
	v_cndmask_b32_e64 v27, 0, 1, vcc
.LBB936_53:
	s_or_b64 exec, exec, s[0:1]
	v_or_b32_e32 v33, 0xf00, v0
	v_mov_b32_e32 v31, 0
	v_mov_b32_e32 v32, 0
	v_cmp_gt_u32_e32 vcc, s2, v33
	s_and_saveexec_b64 s[0:1], vcc
	s_cbranch_execz .LBB936_55
; %bb.54:
	v_lshlrev_b32_e32 v35, 3, v33
	global_load_dwordx2 v[31:32], v35, s[30:31]
	global_load_dwordx2 v[33:34], v35, s[34:35]
	s_mov_b32 s3, 0
	s_waitcnt vmcnt(0)
	v_cmp_ne_u64_e32 vcc, v[31:32], v[33:34]
	v_mov_b32_e32 v32, s3
	v_cndmask_b32_e64 v31, 0, 1, vcc
.LBB936_55:
	s_or_b64 exec, exec, s[0:1]
	v_add_co_u32_e32 v1, vcc, v5, v1
	v_addc_co_u32_e32 v2, vcc, v6, v2, vcc
	v_add_co_u32_e32 v1, vcc, v1, v3
	v_addc_co_u32_e32 v2, vcc, v2, v4, vcc
	;; [unrolled: 2-line block ×14, first 2 shown]
	v_mbcnt_lo_u32_b32 v3, -1, 0
	v_add_co_u32_e32 v1, vcc, v1, v31
	v_mbcnt_hi_u32_b32 v3, -1, v3
	v_addc_co_u32_e32 v2, vcc, v2, v32, vcc
	v_and_b32_e32 v4, 63, v3
	v_cmp_ne_u32_e32 vcc, 63, v4
	v_addc_co_u32_e32 v6, vcc, 0, v3, vcc
	v_lshlrev_b32_e32 v6, 2, v6
	ds_bpermute_b32 v8, v6, v1
	ds_bpermute_b32 v7, v6, v2
	s_min_u32 s2, s2, 0x100
	v_and_b32_e32 v5, 0xc0, v0
	v_sub_u32_e64 v5, s2, v5 clamp
	v_add_u32_e32 v6, 1, v4
	v_cmp_lt_u32_e32 vcc, v6, v5
	v_mov_b32_e32 v6, v1
	s_and_saveexec_b64 s[0:1], vcc
	s_cbranch_execz .LBB936_57
; %bb.56:
	s_waitcnt lgkmcnt(1)
	v_add_co_u32_e32 v6, vcc, v1, v8
	v_addc_co_u32_e32 v2, vcc, 0, v2, vcc
	v_add_co_u32_e32 v1, vcc, 0, v6
	s_waitcnt lgkmcnt(0)
	v_addc_co_u32_e32 v2, vcc, v7, v2, vcc
.LBB936_57:
	s_or_b64 exec, exec, s[0:1]
	v_cmp_gt_u32_e32 vcc, 62, v4
	s_waitcnt lgkmcnt(0)
	v_cndmask_b32_e64 v7, 0, 2, vcc
	v_add_lshl_u32 v7, v7, v3, 2
	ds_bpermute_b32 v8, v7, v6
	ds_bpermute_b32 v7, v7, v2
	v_add_u32_e32 v9, 2, v4
	v_cmp_lt_u32_e32 vcc, v9, v5
	s_and_saveexec_b64 s[0:1], vcc
	s_cbranch_execz .LBB936_59
; %bb.58:
	s_waitcnt lgkmcnt(1)
	v_add_co_u32_e32 v6, vcc, v1, v8
	v_addc_co_u32_e32 v2, vcc, 0, v2, vcc
	v_add_co_u32_e32 v1, vcc, 0, v6
	s_waitcnt lgkmcnt(0)
	v_addc_co_u32_e32 v2, vcc, v7, v2, vcc
.LBB936_59:
	s_or_b64 exec, exec, s[0:1]
	v_cmp_gt_u32_e32 vcc, 60, v4
	s_waitcnt lgkmcnt(0)
	v_cndmask_b32_e64 v7, 0, 4, vcc
	v_add_lshl_u32 v7, v7, v3, 2
	ds_bpermute_b32 v8, v7, v6
	ds_bpermute_b32 v7, v7, v2
	v_add_u32_e32 v9, 4, v4
	v_cmp_lt_u32_e32 vcc, v9, v5
	;; [unrolled: 19-line block ×4, first 2 shown]
	s_and_saveexec_b64 s[0:1], vcc
	s_cbranch_execz .LBB936_65
; %bb.64:
	s_waitcnt lgkmcnt(1)
	v_add_co_u32_e32 v6, vcc, v1, v8
	v_addc_co_u32_e32 v2, vcc, 0, v2, vcc
	v_add_co_u32_e32 v1, vcc, 0, v6
	s_waitcnt lgkmcnt(0)
	v_addc_co_u32_e32 v2, vcc, v7, v2, vcc
.LBB936_65:
	s_or_b64 exec, exec, s[0:1]
	s_waitcnt lgkmcnt(0)
	v_lshlrev_b32_e32 v7, 2, v3
	v_or_b32_e32 v8, 0x80, v7
	ds_bpermute_b32 v6, v8, v6
	ds_bpermute_b32 v8, v8, v2
	v_add_u32_e32 v4, 32, v4
	s_waitcnt lgkmcnt(1)
	v_add_co_u32_e32 v6, vcc, v1, v6
	v_addc_co_u32_e32 v9, vcc, 0, v2, vcc
	v_add_co_u32_e32 v6, vcc, 0, v6
	s_waitcnt lgkmcnt(0)
	v_addc_co_u32_e32 v8, vcc, v9, v8, vcc
	v_cmp_lt_u32_e32 vcc, v4, v5
	v_cndmask_b32_e32 v2, v2, v8, vcc
	v_cndmask_b32_e32 v1, v1, v6, vcc
	v_cmp_eq_u32_e32 vcc, 0, v3
	s_and_saveexec_b64 s[0:1], vcc
; %bb.66:
	v_lshrrev_b32_e32 v4, 3, v0
	v_and_b32_e32 v4, 24, v4
	ds_write_b64 v4, v[1:2] offset:160
; %bb.67:
	s_or_b64 exec, exec, s[0:1]
	v_cmp_gt_u32_e32 vcc, 4, v0
	s_waitcnt lgkmcnt(0)
	s_barrier
	s_and_saveexec_b64 s[0:1], vcc
	s_cbranch_execz .LBB936_71
; %bb.68:
	v_lshlrev_b32_e32 v1, 3, v3
	ds_read_b64 v[1:2], v1 offset:160
	v_and_b32_e32 v4, 3, v3
	v_cmp_ne_u32_e32 vcc, 3, v4
	v_addc_co_u32_e32 v3, vcc, 0, v3, vcc
	v_lshlrev_b32_e32 v3, 2, v3
	s_waitcnt lgkmcnt(0)
	ds_bpermute_b32 v6, v3, v1
	ds_bpermute_b32 v5, v3, v2
	s_add_i32 s2, s2, 63
	s_lshr_b32 s8, s2, 6
	v_add_u32_e32 v3, 1, v4
	v_cmp_gt_u32_e32 vcc, s8, v3
	v_mov_b32_e32 v3, v1
	s_and_saveexec_b64 s[2:3], vcc
	s_cbranch_execz .LBB936_70
; %bb.69:
	s_waitcnt lgkmcnt(1)
	v_add_co_u32_e32 v3, vcc, v1, v6
	v_addc_co_u32_e32 v2, vcc, 0, v2, vcc
	v_add_co_u32_e32 v1, vcc, 0, v3
	s_waitcnt lgkmcnt(0)
	v_addc_co_u32_e32 v2, vcc, v5, v2, vcc
.LBB936_70:
	s_or_b64 exec, exec, s[2:3]
	s_waitcnt lgkmcnt(0)
	v_or_b32_e32 v5, 8, v7
	ds_bpermute_b32 v3, v5, v3
	ds_bpermute_b32 v5, v5, v2
	v_add_u32_e32 v4, 2, v4
	s_waitcnt lgkmcnt(1)
	v_add_co_u32_e32 v3, vcc, v1, v3
	v_addc_co_u32_e32 v6, vcc, 0, v2, vcc
	v_add_co_u32_e32 v3, vcc, 0, v3
	s_waitcnt lgkmcnt(0)
	v_addc_co_u32_e32 v5, vcc, v6, v5, vcc
	v_cmp_gt_u32_e32 vcc, s8, v4
	v_cndmask_b32_e32 v2, v2, v5, vcc
	v_cndmask_b32_e32 v1, v1, v3, vcc
.LBB936_71:
	s_or_b64 exec, exec, s[0:1]
.LBB936_72:
	v_mov_b32_e32 v3, s6
	v_cmp_eq_u32_e64 s[0:1], 0, v0
	v_mov_b32_e32 v4, s7
	s_and_b64 vcc, exec, s[28:29]
	s_cbranch_vccnz .LBB936_14
	s_branch .LBB936_109
.LBB936_73:
	s_mov_b64 s[2:3], -1
                                        ; implicit-def: $vgpr1_vgpr2
.LBB936_74:
	s_and_b64 vcc, exec, s[2:3]
	s_cbranch_vccz .LBB936_108
; %bb.75:
	s_sub_i32 s30, s20, s0
	v_mov_b32_e32 v1, 0
	v_cmp_gt_u32_e32 vcc, s30, v0
	v_mov_b32_e32 v2, v1
	v_mov_b32_e32 v3, v1
	;; [unrolled: 1-line block ×15, first 2 shown]
	s_and_saveexec_b64 s[0:1], vcc
	s_cbranch_execz .LBB936_77
; %bb.76:
	v_mov_b32_e32 v2, v1
	v_mov_b32_e32 v3, v1
	;; [unrolled: 1-line block ×15, first 2 shown]
	v_lshlrev_b32_e32 v1, 3, v0
	global_load_dwordx2 v[17:18], v1, s[16:17]
	global_load_dwordx2 v[19:20], v1, s[18:19]
	s_waitcnt vmcnt(0)
	v_cmp_ne_u64_e32 vcc, v[17:18], v[19:20]
	v_cndmask_b32_e64 v1, 0, 1, vcc
	v_and_b32_e32 v1, 0xffff, v1
.LBB936_77:
	s_or_b64 exec, exec, s[0:1]
	v_or_b32_e32 v17, 0x100, v0
	v_cmp_gt_u32_e32 vcc, s30, v17
	s_and_saveexec_b64 s[2:3], vcc
	s_cbranch_execz .LBB936_79
; %bb.78:
	v_lshlrev_b32_e32 v19, 3, v0
	global_load_dwordx2 v[3:4], v19, s[16:17] offset:2048
	global_load_dwordx2 v[17:18], v19, s[18:19] offset:2048
	s_mov_b32 s8, 0
	s_waitcnt vmcnt(0)
	v_cmp_ne_u64_e64 s[0:1], v[3:4], v[17:18]
	v_mov_b32_e32 v4, s8
	v_cndmask_b32_e64 v3, 0, 1, s[0:1]
.LBB936_79:
	s_or_b64 exec, exec, s[2:3]
	v_or_b32_e32 v17, 0x200, v0
	v_cmp_gt_u32_e64 s[0:1], s30, v17
	s_and_saveexec_b64 s[8:9], s[0:1]
	s_cbranch_execz .LBB936_81
; %bb.80:
	v_lshlrev_b32_e32 v19, 3, v17
	global_load_dwordx2 v[5:6], v19, s[16:17]
	global_load_dwordx2 v[17:18], v19, s[18:19]
	s_mov_b32 s10, 0
	s_waitcnt vmcnt(0)
	v_cmp_ne_u64_e64 s[2:3], v[5:6], v[17:18]
	v_mov_b32_e32 v6, s10
	v_cndmask_b32_e64 v5, 0, 1, s[2:3]
.LBB936_81:
	s_or_b64 exec, exec, s[8:9]
	v_or_b32_e32 v17, 0x300, v0
	v_cmp_gt_u32_e64 s[2:3], s30, v17
	s_and_saveexec_b64 s[10:11], s[2:3]
	s_cbranch_execz .LBB936_83
; %bb.82:
	v_lshlrev_b32_e32 v19, 3, v17
	global_load_dwordx2 v[7:8], v19, s[16:17]
	global_load_dwordx2 v[17:18], v19, s[18:19]
	s_mov_b32 s12, 0
	s_waitcnt vmcnt(0)
	v_cmp_ne_u64_e64 s[8:9], v[7:8], v[17:18]
	v_mov_b32_e32 v8, s12
	v_cndmask_b32_e64 v7, 0, 1, s[8:9]
.LBB936_83:
	;; [unrolled: 15-line block ×6, first 2 shown]
	s_or_b64 exec, exec, s[28:29]
	v_cndmask_b32_e32 v3, 0, v3, vcc
	v_cndmask_b32_e32 v4, 0, v4, vcc
	v_add_co_u32_e32 v1, vcc, v3, v1
	v_addc_co_u32_e32 v2, vcc, v4, v2, vcc
	v_cndmask_b32_e64 v4, 0, v5, s[0:1]
	v_cndmask_b32_e64 v3, 0, v6, s[0:1]
	v_add_co_u32_e32 v1, vcc, v1, v4
	v_addc_co_u32_e32 v2, vcc, v2, v3, vcc
	v_cndmask_b32_e64 v4, 0, v7, s[2:3]
	v_cndmask_b32_e64 v3, 0, v8, s[2:3]
	;; [unrolled: 4-line block ×6, first 2 shown]
	v_add_co_u32_e32 v1, vcc, v1, v4
	v_addc_co_u32_e32 v2, vcc, v2, v3, vcc
	v_mbcnt_lo_u32_b32 v3, -1, 0
	v_mbcnt_hi_u32_b32 v3, -1, v3
	v_and_b32_e32 v4, 63, v3
	v_cmp_ne_u32_e32 vcc, 63, v4
	v_addc_co_u32_e32 v6, vcc, 0, v3, vcc
	v_lshlrev_b32_e32 v6, 2, v6
	ds_bpermute_b32 v8, v6, v1
	ds_bpermute_b32 v7, v6, v2
	s_min_u32 s2, s30, 0x100
	v_and_b32_e32 v5, 0xc0, v0
	v_sub_u32_e64 v5, s2, v5 clamp
	v_add_u32_e32 v6, 1, v4
	v_cmp_lt_u32_e32 vcc, v6, v5
	v_mov_b32_e32 v6, v1
	s_and_saveexec_b64 s[0:1], vcc
	s_cbranch_execz .LBB936_93
; %bb.92:
	s_waitcnt lgkmcnt(1)
	v_add_co_u32_e32 v6, vcc, v1, v8
	v_addc_co_u32_e32 v2, vcc, 0, v2, vcc
	v_add_co_u32_e32 v1, vcc, 0, v6
	s_waitcnt lgkmcnt(0)
	v_addc_co_u32_e32 v2, vcc, v2, v7, vcc
.LBB936_93:
	s_or_b64 exec, exec, s[0:1]
	v_cmp_gt_u32_e32 vcc, 62, v4
	s_waitcnt lgkmcnt(0)
	v_cndmask_b32_e64 v7, 0, 2, vcc
	v_add_lshl_u32 v7, v7, v3, 2
	ds_bpermute_b32 v8, v7, v6
	ds_bpermute_b32 v7, v7, v2
	v_add_u32_e32 v9, 2, v4
	v_cmp_lt_u32_e32 vcc, v9, v5
	s_and_saveexec_b64 s[0:1], vcc
	s_cbranch_execz .LBB936_95
; %bb.94:
	s_waitcnt lgkmcnt(1)
	v_add_co_u32_e32 v6, vcc, v1, v8
	v_addc_co_u32_e32 v2, vcc, 0, v2, vcc
	v_add_co_u32_e32 v1, vcc, 0, v6
	s_waitcnt lgkmcnt(0)
	v_addc_co_u32_e32 v2, vcc, v7, v2, vcc
.LBB936_95:
	s_or_b64 exec, exec, s[0:1]
	v_cmp_gt_u32_e32 vcc, 60, v4
	s_waitcnt lgkmcnt(0)
	v_cndmask_b32_e64 v7, 0, 4, vcc
	v_add_lshl_u32 v7, v7, v3, 2
	ds_bpermute_b32 v8, v7, v6
	ds_bpermute_b32 v7, v7, v2
	v_add_u32_e32 v9, 4, v4
	v_cmp_lt_u32_e32 vcc, v9, v5
	;; [unrolled: 19-line block ×4, first 2 shown]
	s_and_saveexec_b64 s[0:1], vcc
	s_cbranch_execz .LBB936_101
; %bb.100:
	s_waitcnt lgkmcnt(1)
	v_add_co_u32_e32 v6, vcc, v1, v8
	v_addc_co_u32_e32 v2, vcc, 0, v2, vcc
	v_add_co_u32_e32 v1, vcc, 0, v6
	s_waitcnt lgkmcnt(0)
	v_addc_co_u32_e32 v2, vcc, v7, v2, vcc
.LBB936_101:
	s_or_b64 exec, exec, s[0:1]
	s_waitcnt lgkmcnt(0)
	v_lshlrev_b32_e32 v7, 2, v3
	v_or_b32_e32 v8, 0x80, v7
	ds_bpermute_b32 v6, v8, v6
	ds_bpermute_b32 v8, v8, v2
	v_add_u32_e32 v4, 32, v4
	s_waitcnt lgkmcnt(1)
	v_add_co_u32_e32 v6, vcc, v1, v6
	v_addc_co_u32_e32 v9, vcc, 0, v2, vcc
	v_add_co_u32_e32 v6, vcc, 0, v6
	s_waitcnt lgkmcnt(0)
	v_addc_co_u32_e32 v8, vcc, v9, v8, vcc
	v_cmp_lt_u32_e32 vcc, v4, v5
	v_cndmask_b32_e32 v2, v2, v8, vcc
	v_cndmask_b32_e32 v1, v1, v6, vcc
	v_cmp_eq_u32_e32 vcc, 0, v3
	s_and_saveexec_b64 s[0:1], vcc
; %bb.102:
	v_lshrrev_b32_e32 v4, 3, v0
	v_and_b32_e32 v4, 24, v4
	ds_write_b64 v4, v[1:2] offset:160
; %bb.103:
	s_or_b64 exec, exec, s[0:1]
	v_cmp_gt_u32_e32 vcc, 4, v0
	s_waitcnt lgkmcnt(0)
	s_barrier
	s_and_saveexec_b64 s[0:1], vcc
	s_cbranch_execz .LBB936_107
; %bb.104:
	v_lshlrev_b32_e32 v1, 3, v3
	ds_read_b64 v[1:2], v1 offset:160
	v_and_b32_e32 v4, 3, v3
	v_cmp_ne_u32_e32 vcc, 3, v4
	v_addc_co_u32_e32 v3, vcc, 0, v3, vcc
	v_lshlrev_b32_e32 v3, 2, v3
	s_waitcnt lgkmcnt(0)
	ds_bpermute_b32 v6, v3, v1
	ds_bpermute_b32 v5, v3, v2
	s_add_i32 s2, s2, 63
	s_lshr_b32 s8, s2, 6
	v_add_u32_e32 v3, 1, v4
	v_cmp_gt_u32_e32 vcc, s8, v3
	v_mov_b32_e32 v3, v1
	s_and_saveexec_b64 s[2:3], vcc
	s_cbranch_execz .LBB936_106
; %bb.105:
	s_waitcnt lgkmcnt(1)
	v_add_co_u32_e32 v3, vcc, v1, v6
	v_addc_co_u32_e32 v2, vcc, 0, v2, vcc
	v_add_co_u32_e32 v1, vcc, 0, v3
	s_waitcnt lgkmcnt(0)
	v_addc_co_u32_e32 v2, vcc, v5, v2, vcc
.LBB936_106:
	s_or_b64 exec, exec, s[2:3]
	s_waitcnt lgkmcnt(0)
	v_or_b32_e32 v5, 8, v7
	ds_bpermute_b32 v3, v5, v3
	ds_bpermute_b32 v5, v5, v2
	v_add_u32_e32 v4, 2, v4
	s_waitcnt lgkmcnt(1)
	v_add_co_u32_e32 v3, vcc, v1, v3
	v_addc_co_u32_e32 v6, vcc, 0, v2, vcc
	v_add_co_u32_e32 v3, vcc, 0, v3
	s_waitcnt lgkmcnt(0)
	v_addc_co_u32_e32 v5, vcc, v6, v5, vcc
	v_cmp_gt_u32_e32 vcc, s8, v4
	v_cndmask_b32_e32 v2, v2, v5, vcc
	v_cndmask_b32_e32 v1, v1, v3, vcc
.LBB936_107:
	s_or_b64 exec, exec, s[0:1]
.LBB936_108:
	v_mov_b32_e32 v3, s6
	v_cmp_eq_u32_e64 s[0:1], 0, v0
	v_mov_b32_e32 v4, s7
.LBB936_109:
	s_branch .LBB936_144
.LBB936_110:
	s_cmp_eq_u32 s33, 4
                                        ; implicit-def: $vgpr1_vgpr2
                                        ; implicit-def: $vgpr3_vgpr4
	s_cbranch_scc0 .LBB936_144
; %bb.111:
	s_mov_b32 s7, 0
	s_lshl_b32 s0, s6, 10
	s_mov_b32 s1, s7
	s_lshr_b64 s[2:3], s[20:21], 10
	s_lshl_b64 s[10:11], s[0:1], 3
	s_add_u32 s8, s24, s10
	s_addc_u32 s9, s25, s11
	s_add_u32 s10, s26, s10
	s_addc_u32 s11, s27, s11
	s_cmp_lg_u64 s[2:3], s[6:7]
	s_cbranch_scc0 .LBB936_117
; %bb.112:
	v_lshlrev_b32_e32 v3, 3, v0
	v_mov_b32_e32 v1, s9
	v_add_co_u32_e32 v10, vcc, s8, v3
	v_addc_co_u32_e32 v11, vcc, 0, v1, vcc
	v_mov_b32_e32 v1, s11
	v_add_co_u32_e32 v12, vcc, s10, v3
	v_addc_co_u32_e32 v13, vcc, 0, v1, vcc
	global_load_dwordx2 v[1:2], v3, s[8:9]
	global_load_dwordx2 v[4:5], v3, s[10:11]
	global_load_dwordx2 v[6:7], v3, s[10:11] offset:2048
	global_load_dwordx2 v[8:9], v3, s[8:9] offset:2048
	v_add_co_u32_e32 v10, vcc, 0x1000, v10
	v_addc_co_u32_e32 v11, vcc, 0, v11, vcc
	v_add_co_u32_e32 v12, vcc, 0x1000, v12
	v_addc_co_u32_e32 v13, vcc, 0, v13, vcc
	global_load_dwordx2 v[14:15], v[12:13], off offset:2048
	global_load_dwordx2 v[16:17], v[10:11], off offset:2048
	global_load_dwordx2 v[18:19], v[10:11], off
	global_load_dwordx2 v[20:21], v[12:13], off
	v_mov_b32_e32 v10, 0
	v_mbcnt_lo_u32_b32 v3, -1, 0
	v_mbcnt_hi_u32_b32 v3, -1, v3
	v_mov_b32_dpp v10, v10 quad_perm:[1,0,3,2] row_mask:0xf bank_mask:0xf bound_ctrl:1
	s_waitcnt vmcnt(4)
	v_cmp_ne_u64_e32 vcc, v[8:9], v[6:7]
	v_cndmask_b32_e64 v6, 0, 1, vcc
	v_cmp_ne_u64_e32 vcc, v[1:2], v[4:5]
	v_cndmask_b32_e64 v1, 0, 1, vcc
	s_waitcnt vmcnt(2)
	v_cmp_ne_u64_e32 vcc, v[16:17], v[14:15]
	v_cndmask_b32_e64 v2, 0, 1, vcc
	s_waitcnt vmcnt(0)
	v_cmp_ne_u64_e32 vcc, v[18:19], v[20:21]
	v_addc_co_u32_e32 v1, vcc, v6, v1, vcc
	v_add_co_u32_e32 v1, vcc, v1, v2
	v_addc_co_u32_e64 v2, s[2:3], 0, 0, vcc
	s_nop 0
	v_mov_b32_dpp v4, v1 quad_perm:[1,0,3,2] row_mask:0xf bank_mask:0xf bound_ctrl:1
	v_add_co_u32_e32 v1, vcc, v1, v4
	v_addc_co_u32_e32 v2, vcc, 0, v2, vcc
	v_add_co_u32_e32 v4, vcc, 0, v1
	v_addc_co_u32_e32 v2, vcc, v10, v2, vcc
	v_mov_b32_dpp v1, v1 quad_perm:[2,3,0,1] row_mask:0xf bank_mask:0xf bound_ctrl:1
	v_add_co_u32_e32 v1, vcc, v4, v1
	v_mov_b32_dpp v5, v2 quad_perm:[2,3,0,1] row_mask:0xf bank_mask:0xf bound_ctrl:1
	v_addc_co_u32_e32 v2, vcc, 0, v2, vcc
	v_add_co_u32_e32 v4, vcc, 0, v1
	v_addc_co_u32_e32 v2, vcc, v2, v5, vcc
	v_mov_b32_dpp v1, v1 row_ror:4 row_mask:0xf bank_mask:0xf bound_ctrl:1
	v_add_co_u32_e32 v1, vcc, v4, v1
	v_mov_b32_dpp v5, v2 row_ror:4 row_mask:0xf bank_mask:0xf bound_ctrl:1
	v_addc_co_u32_e32 v2, vcc, 0, v2, vcc
	v_add_co_u32_e32 v4, vcc, 0, v1
	v_addc_co_u32_e32 v2, vcc, v2, v5, vcc
	v_mov_b32_dpp v1, v1 row_ror:8 row_mask:0xf bank_mask:0xf bound_ctrl:1
	v_add_co_u32_e32 v1, vcc, v4, v1
	v_mov_b32_dpp v5, v2 row_ror:8 row_mask:0xf bank_mask:0xf bound_ctrl:1
	v_addc_co_u32_e32 v2, vcc, 0, v2, vcc
	v_add_co_u32_e32 v4, vcc, 0, v1
	v_addc_co_u32_e32 v2, vcc, v2, v5, vcc
	v_mov_b32_dpp v1, v1 row_bcast:15 row_mask:0xf bank_mask:0xf bound_ctrl:1
	v_add_co_u32_e32 v1, vcc, v4, v1
	v_mov_b32_dpp v5, v2 row_bcast:15 row_mask:0xf bank_mask:0xf bound_ctrl:1
	v_addc_co_u32_e32 v2, vcc, 0, v2, vcc
	v_add_co_u32_e32 v4, vcc, 0, v1
	v_addc_co_u32_e32 v2, vcc, v2, v5, vcc
	v_mov_b32_dpp v1, v1 row_bcast:31 row_mask:0xf bank_mask:0xf bound_ctrl:1
	v_add_co_u32_e32 v1, vcc, v4, v1
	v_addc_co_u32_e32 v4, vcc, 0, v2, vcc
	v_cmp_eq_u32_e32 vcc, 0, v3
	s_nop 0
	v_add_u32_dpp v2, v2, v4 row_bcast:31 row_mask:0xf bank_mask:0xf bound_ctrl:1
	v_lshlrev_b32_e32 v4, 2, v3
	v_or_b32_e32 v5, 0xfc, v4
	ds_bpermute_b32 v1, v5, v1
	ds_bpermute_b32 v2, v5, v2
	s_and_saveexec_b64 s[2:3], vcc
	s_cbranch_execz .LBB936_114
; %bb.113:
	v_lshrrev_b32_e32 v5, 3, v0
	v_and_b32_e32 v5, 24, v5
	s_waitcnt lgkmcnt(0)
	ds_write_b64 v5, v[1:2] offset:96
.LBB936_114:
	s_or_b64 exec, exec, s[2:3]
	v_cmp_gt_u32_e32 vcc, 64, v0
	s_waitcnt lgkmcnt(0)
	s_barrier
	s_and_saveexec_b64 s[2:3], vcc
	s_cbranch_execz .LBB936_116
; %bb.115:
	v_and_b32_e32 v5, 3, v3
	v_lshlrev_b32_e32 v1, 3, v5
	ds_read_b64 v[1:2], v1 offset:96
	v_cmp_ne_u32_e32 vcc, 3, v5
	v_addc_co_u32_e32 v3, vcc, 0, v3, vcc
	v_lshlrev_b32_e32 v3, 2, v3
	s_waitcnt lgkmcnt(0)
	ds_bpermute_b32 v5, v3, v1
	ds_bpermute_b32 v3, v3, v2
	v_or_b32_e32 v4, 8, v4
	s_waitcnt lgkmcnt(1)
	v_add_co_u32_e32 v1, vcc, v1, v5
	v_addc_co_u32_e32 v2, vcc, 0, v2, vcc
	ds_bpermute_b32 v5, v4, v1
	v_add_co_u32_e32 v1, vcc, 0, v1
	s_waitcnt lgkmcnt(1)
	v_addc_co_u32_e32 v2, vcc, v3, v2, vcc
	ds_bpermute_b32 v3, v4, v2
	s_waitcnt lgkmcnt(1)
	v_add_co_u32_e32 v1, vcc, v1, v5
	v_addc_co_u32_e32 v2, vcc, 0, v2, vcc
	v_add_co_u32_e32 v1, vcc, 0, v1
	s_waitcnt lgkmcnt(0)
	v_addc_co_u32_e32 v2, vcc, v2, v3, vcc
.LBB936_116:
	s_or_b64 exec, exec, s[2:3]
	s_branch .LBB936_143
.LBB936_117:
                                        ; implicit-def: $vgpr1_vgpr2
	s_cbranch_execz .LBB936_143
; %bb.118:
	s_sub_i32 s14, s20, s0
	v_mov_b32_e32 v1, 0
	v_cmp_gt_u32_e32 vcc, s14, v0
	v_mov_b32_e32 v2, v1
	v_mov_b32_e32 v3, v1
	;; [unrolled: 1-line block ×7, first 2 shown]
	s_and_saveexec_b64 s[0:1], vcc
	s_cbranch_execz .LBB936_120
; %bb.119:
	v_lshlrev_b32_e32 v2, 3, v0
	global_load_dwordx2 v[9:10], v2, s[8:9]
	global_load_dwordx2 v[11:12], v2, s[10:11]
	v_mov_b32_e32 v3, v1
	v_mov_b32_e32 v4, v1
	;; [unrolled: 1-line block ×6, first 2 shown]
	s_waitcnt vmcnt(0)
	v_cmp_ne_u64_e32 vcc, v[9:10], v[11:12]
	v_mov_b32_e32 v9, v1
	v_cndmask_b32_e64 v2, 0, 1, vcc
	v_and_b32_e32 v2, 0xffff, v2
	v_mov_b32_e32 v1, v2
	v_mov_b32_e32 v2, v3
	;; [unrolled: 1-line block ×8, first 2 shown]
.LBB936_120:
	s_or_b64 exec, exec, s[0:1]
	v_or_b32_e32 v9, 0x100, v0
	v_cmp_gt_u32_e32 vcc, s14, v9
	s_and_saveexec_b64 s[2:3], vcc
	s_cbranch_execz .LBB936_122
; %bb.121:
	v_lshlrev_b32_e32 v11, 3, v0
	global_load_dwordx2 v[3:4], v11, s[8:9] offset:2048
	global_load_dwordx2 v[9:10], v11, s[10:11] offset:2048
	s_mov_b32 s12, 0
	s_waitcnt vmcnt(0)
	v_cmp_ne_u64_e64 s[0:1], v[3:4], v[9:10]
	v_mov_b32_e32 v4, s12
	v_cndmask_b32_e64 v3, 0, 1, s[0:1]
.LBB936_122:
	s_or_b64 exec, exec, s[2:3]
	v_or_b32_e32 v9, 0x200, v0
	v_cmp_gt_u32_e64 s[0:1], s14, v9
	s_and_saveexec_b64 s[12:13], s[0:1]
	s_cbranch_execz .LBB936_124
; %bb.123:
	v_lshlrev_b32_e32 v11, 3, v9
	global_load_dwordx2 v[5:6], v11, s[8:9]
	global_load_dwordx2 v[9:10], v11, s[10:11]
	s_mov_b32 s15, 0
	s_waitcnt vmcnt(0)
	v_cmp_ne_u64_e64 s[2:3], v[5:6], v[9:10]
	v_mov_b32_e32 v6, s15
	v_cndmask_b32_e64 v5, 0, 1, s[2:3]
.LBB936_124:
	s_or_b64 exec, exec, s[12:13]
	v_or_b32_e32 v9, 0x300, v0
	v_cmp_gt_u32_e64 s[2:3], s14, v9
	s_and_saveexec_b64 s[12:13], s[2:3]
	s_cbranch_execz .LBB936_126
; %bb.125:
	v_lshlrev_b32_e32 v11, 3, v9
	global_load_dwordx2 v[7:8], v11, s[8:9]
	global_load_dwordx2 v[9:10], v11, s[10:11]
	s_mov_b32 s10, 0
	s_waitcnt vmcnt(0)
	v_cmp_ne_u64_e64 s[8:9], v[7:8], v[9:10]
	v_mov_b32_e32 v8, s10
	v_cndmask_b32_e64 v7, 0, 1, s[8:9]
.LBB936_126:
	s_or_b64 exec, exec, s[12:13]
	v_cndmask_b32_e32 v3, 0, v3, vcc
	v_cndmask_b32_e32 v4, 0, v4, vcc
	v_add_co_u32_e32 v1, vcc, v3, v1
	v_addc_co_u32_e32 v2, vcc, v4, v2, vcc
	v_cndmask_b32_e64 v4, 0, v5, s[0:1]
	v_cndmask_b32_e64 v3, 0, v6, s[0:1]
	v_add_co_u32_e32 v1, vcc, v1, v4
	v_addc_co_u32_e32 v2, vcc, v2, v3, vcc
	v_cndmask_b32_e64 v4, 0, v7, s[2:3]
	v_cndmask_b32_e64 v3, 0, v8, s[2:3]
	v_add_co_u32_e32 v1, vcc, v1, v4
	v_addc_co_u32_e32 v2, vcc, v2, v3, vcc
	v_mbcnt_lo_u32_b32 v3, -1, 0
	v_mbcnt_hi_u32_b32 v3, -1, v3
	v_and_b32_e32 v4, 63, v3
	v_cmp_ne_u32_e32 vcc, 63, v4
	v_addc_co_u32_e32 v6, vcc, 0, v3, vcc
	v_lshlrev_b32_e32 v6, 2, v6
	ds_bpermute_b32 v8, v6, v1
	ds_bpermute_b32 v7, v6, v2
	s_min_u32 s2, s14, 0x100
	v_and_b32_e32 v5, 0xc0, v0
	v_sub_u32_e64 v5, s2, v5 clamp
	v_add_u32_e32 v6, 1, v4
	v_cmp_lt_u32_e32 vcc, v6, v5
	v_mov_b32_e32 v6, v1
	s_and_saveexec_b64 s[0:1], vcc
	s_cbranch_execz .LBB936_128
; %bb.127:
	s_waitcnt lgkmcnt(1)
	v_add_co_u32_e32 v6, vcc, v1, v8
	v_addc_co_u32_e32 v2, vcc, 0, v2, vcc
	v_add_co_u32_e32 v1, vcc, 0, v6
	s_waitcnt lgkmcnt(0)
	v_addc_co_u32_e32 v2, vcc, v7, v2, vcc
.LBB936_128:
	s_or_b64 exec, exec, s[0:1]
	v_cmp_gt_u32_e32 vcc, 62, v4
	s_waitcnt lgkmcnt(0)
	v_cndmask_b32_e64 v7, 0, 2, vcc
	v_add_lshl_u32 v7, v7, v3, 2
	ds_bpermute_b32 v8, v7, v6
	ds_bpermute_b32 v7, v7, v2
	v_add_u32_e32 v9, 2, v4
	v_cmp_lt_u32_e32 vcc, v9, v5
	s_and_saveexec_b64 s[0:1], vcc
	s_cbranch_execz .LBB936_130
; %bb.129:
	s_waitcnt lgkmcnt(1)
	v_add_co_u32_e32 v6, vcc, v1, v8
	v_addc_co_u32_e32 v2, vcc, 0, v2, vcc
	v_add_co_u32_e32 v1, vcc, 0, v6
	s_waitcnt lgkmcnt(0)
	v_addc_co_u32_e32 v2, vcc, v7, v2, vcc
.LBB936_130:
	s_or_b64 exec, exec, s[0:1]
	v_cmp_gt_u32_e32 vcc, 60, v4
	s_waitcnt lgkmcnt(0)
	v_cndmask_b32_e64 v7, 0, 4, vcc
	v_add_lshl_u32 v7, v7, v3, 2
	ds_bpermute_b32 v8, v7, v6
	ds_bpermute_b32 v7, v7, v2
	v_add_u32_e32 v9, 4, v4
	v_cmp_lt_u32_e32 vcc, v9, v5
	;; [unrolled: 19-line block ×4, first 2 shown]
	s_and_saveexec_b64 s[0:1], vcc
	s_cbranch_execz .LBB936_136
; %bb.135:
	s_waitcnt lgkmcnt(1)
	v_add_co_u32_e32 v6, vcc, v1, v8
	v_addc_co_u32_e32 v2, vcc, 0, v2, vcc
	v_add_co_u32_e32 v1, vcc, 0, v6
	s_waitcnt lgkmcnt(0)
	v_addc_co_u32_e32 v2, vcc, v7, v2, vcc
.LBB936_136:
	s_or_b64 exec, exec, s[0:1]
	s_waitcnt lgkmcnt(0)
	v_lshlrev_b32_e32 v7, 2, v3
	v_or_b32_e32 v8, 0x80, v7
	ds_bpermute_b32 v6, v8, v6
	ds_bpermute_b32 v8, v8, v2
	v_add_u32_e32 v4, 32, v4
	s_waitcnt lgkmcnt(1)
	v_add_co_u32_e32 v6, vcc, v1, v6
	v_addc_co_u32_e32 v9, vcc, 0, v2, vcc
	v_add_co_u32_e32 v6, vcc, 0, v6
	s_waitcnt lgkmcnt(0)
	v_addc_co_u32_e32 v8, vcc, v9, v8, vcc
	v_cmp_lt_u32_e32 vcc, v4, v5
	v_cndmask_b32_e32 v2, v2, v8, vcc
	v_cndmask_b32_e32 v1, v1, v6, vcc
	v_cmp_eq_u32_e32 vcc, 0, v3
	s_and_saveexec_b64 s[0:1], vcc
; %bb.137:
	v_lshrrev_b32_e32 v4, 3, v0
	v_and_b32_e32 v4, 24, v4
	ds_write_b64 v4, v[1:2] offset:160
; %bb.138:
	s_or_b64 exec, exec, s[0:1]
	v_cmp_gt_u32_e32 vcc, 4, v0
	s_waitcnt lgkmcnt(0)
	s_barrier
	s_and_saveexec_b64 s[0:1], vcc
	s_cbranch_execz .LBB936_142
; %bb.139:
	v_lshlrev_b32_e32 v1, 3, v3
	ds_read_b64 v[1:2], v1 offset:160
	v_and_b32_e32 v4, 3, v3
	v_cmp_ne_u32_e32 vcc, 3, v4
	v_addc_co_u32_e32 v3, vcc, 0, v3, vcc
	v_lshlrev_b32_e32 v3, 2, v3
	s_waitcnt lgkmcnt(0)
	ds_bpermute_b32 v6, v3, v1
	ds_bpermute_b32 v5, v3, v2
	s_add_i32 s2, s2, 63
	s_lshr_b32 s8, s2, 6
	v_add_u32_e32 v3, 1, v4
	v_cmp_gt_u32_e32 vcc, s8, v3
	v_mov_b32_e32 v3, v1
	s_and_saveexec_b64 s[2:3], vcc
	s_cbranch_execz .LBB936_141
; %bb.140:
	s_waitcnt lgkmcnt(1)
	v_add_co_u32_e32 v3, vcc, v1, v6
	v_addc_co_u32_e32 v2, vcc, 0, v2, vcc
	v_add_co_u32_e32 v1, vcc, 0, v3
	s_waitcnt lgkmcnt(0)
	v_addc_co_u32_e32 v2, vcc, v5, v2, vcc
.LBB936_141:
	s_or_b64 exec, exec, s[2:3]
	s_waitcnt lgkmcnt(0)
	v_or_b32_e32 v5, 8, v7
	ds_bpermute_b32 v3, v5, v3
	ds_bpermute_b32 v5, v5, v2
	v_add_u32_e32 v4, 2, v4
	s_waitcnt lgkmcnt(1)
	v_add_co_u32_e32 v3, vcc, v1, v3
	v_addc_co_u32_e32 v6, vcc, 0, v2, vcc
	v_add_co_u32_e32 v3, vcc, 0, v3
	s_waitcnt lgkmcnt(0)
	v_addc_co_u32_e32 v5, vcc, v6, v5, vcc
	v_cmp_gt_u32_e32 vcc, s8, v4
	v_cndmask_b32_e32 v2, v2, v5, vcc
	v_cndmask_b32_e32 v1, v1, v3, vcc
.LBB936_142:
	s_or_b64 exec, exec, s[0:1]
.LBB936_143:
	v_mov_b32_e32 v3, s6
	v_cmp_eq_u32_e64 s[0:1], 0, v0
	v_mov_b32_e32 v4, s7
.LBB936_144:
	s_branch .LBB936_206
.LBB936_145:
	s_cmp_gt_i32 s33, 1
	s_cbranch_scc0 .LBB936_153
; %bb.146:
	s_cmp_eq_u32 s33, 2
                                        ; implicit-def: $vgpr1_vgpr2
                                        ; implicit-def: $vgpr3_vgpr4
	s_cbranch_scc0 .LBB936_154
; %bb.147:
	s_mov_b32 s7, 0
	s_lshl_b32 s8, s6, 9
	s_mov_b32 s9, s7
	s_lshr_b64 s[10:11], s[20:21], 9
	s_lshl_b64 s[2:3], s[8:9], 3
	s_add_u32 s0, s24, s2
	s_addc_u32 s1, s25, s3
	s_add_u32 s2, s26, s2
	s_addc_u32 s3, s27, s3
	s_cmp_lg_u64 s[10:11], s[6:7]
	s_cbranch_scc0 .LBB936_155
; %bb.148:
	v_lshlrev_b32_e32 v3, 3, v0
	global_load_dwordx2 v[1:2], v3, s[0:1]
	global_load_dwordx2 v[5:6], v3, s[2:3]
	global_load_dwordx2 v[7:8], v3, s[2:3] offset:2048
	global_load_dwordx2 v[9:10], v3, s[0:1] offset:2048
	v_mov_b32_e32 v4, 0
	v_mbcnt_lo_u32_b32 v3, -1, 0
	v_mbcnt_hi_u32_b32 v3, -1, v3
	v_mov_b32_dpp v11, v4 quad_perm:[1,0,3,2] row_mask:0xf bank_mask:0xf bound_ctrl:1
	v_lshlrev_b32_e32 v4, 2, v3
	v_or_b32_e32 v12, 0xfc, v4
	s_waitcnt vmcnt(2)
	v_cmp_ne_u64_e32 vcc, v[1:2], v[5:6]
	v_cndmask_b32_e64 v1, 0, 1, vcc
	s_waitcnt vmcnt(0)
	v_cmp_ne_u64_e32 vcc, v[9:10], v[7:8]
	v_addc_co_u32_e32 v1, vcc, 0, v1, vcc
	s_nop 1
	v_mov_b32_dpp v2, v1 quad_perm:[1,0,3,2] row_mask:0xf bank_mask:0xf bound_ctrl:1
	v_add_co_u32_e32 v1, vcc, v1, v2
	v_addc_co_u32_e64 v2, s[10:11], 0, 0, vcc
	v_add_co_u32_e32 v5, vcc, 0, v1
	v_addc_co_u32_e32 v2, vcc, v11, v2, vcc
	v_mov_b32_dpp v1, v1 quad_perm:[2,3,0,1] row_mask:0xf bank_mask:0xf bound_ctrl:1
	v_add_co_u32_e32 v1, vcc, v5, v1
	v_mov_b32_dpp v6, v2 quad_perm:[2,3,0,1] row_mask:0xf bank_mask:0xf bound_ctrl:1
	v_addc_co_u32_e32 v2, vcc, 0, v2, vcc
	v_add_co_u32_e32 v5, vcc, 0, v1
	v_addc_co_u32_e32 v2, vcc, v2, v6, vcc
	v_mov_b32_dpp v1, v1 row_ror:4 row_mask:0xf bank_mask:0xf bound_ctrl:1
	v_add_co_u32_e32 v1, vcc, v5, v1
	v_mov_b32_dpp v6, v2 row_ror:4 row_mask:0xf bank_mask:0xf bound_ctrl:1
	v_addc_co_u32_e32 v2, vcc, 0, v2, vcc
	v_add_co_u32_e32 v5, vcc, 0, v1
	v_addc_co_u32_e32 v2, vcc, v2, v6, vcc
	v_mov_b32_dpp v1, v1 row_ror:8 row_mask:0xf bank_mask:0xf bound_ctrl:1
	v_add_co_u32_e32 v1, vcc, v5, v1
	v_mov_b32_dpp v6, v2 row_ror:8 row_mask:0xf bank_mask:0xf bound_ctrl:1
	v_addc_co_u32_e32 v2, vcc, 0, v2, vcc
	v_add_co_u32_e32 v5, vcc, 0, v1
	v_addc_co_u32_e32 v2, vcc, v2, v6, vcc
	v_mov_b32_dpp v1, v1 row_bcast:15 row_mask:0xf bank_mask:0xf bound_ctrl:1
	v_add_co_u32_e32 v1, vcc, v5, v1
	v_mov_b32_dpp v6, v2 row_bcast:15 row_mask:0xf bank_mask:0xf bound_ctrl:1
	v_addc_co_u32_e32 v2, vcc, 0, v2, vcc
	v_add_co_u32_e32 v5, vcc, 0, v1
	v_addc_co_u32_e32 v2, vcc, v2, v6, vcc
	v_mov_b32_dpp v1, v1 row_bcast:31 row_mask:0xf bank_mask:0xf bound_ctrl:1
	v_add_co_u32_e32 v1, vcc, v5, v1
	v_addc_co_u32_e32 v5, vcc, 0, v2, vcc
	ds_bpermute_b32 v1, v12, v1
	s_nop 0
	v_add_u32_dpp v2, v2, v5 row_bcast:31 row_mask:0xf bank_mask:0xf bound_ctrl:1
	ds_bpermute_b32 v2, v12, v2
	v_cmp_eq_u32_e32 vcc, 0, v3
	s_and_saveexec_b64 s[10:11], vcc
	s_cbranch_execz .LBB936_150
; %bb.149:
	v_lshrrev_b32_e32 v5, 3, v0
	v_and_b32_e32 v5, 24, v5
	s_waitcnt lgkmcnt(0)
	ds_write_b64 v5, v[1:2] offset:64
.LBB936_150:
	s_or_b64 exec, exec, s[10:11]
	v_cmp_gt_u32_e32 vcc, 64, v0
	s_waitcnt lgkmcnt(0)
	s_barrier
	s_and_saveexec_b64 s[10:11], vcc
	s_cbranch_execz .LBB936_152
; %bb.151:
	v_and_b32_e32 v5, 3, v3
	v_lshlrev_b32_e32 v1, 3, v5
	ds_read_b64 v[1:2], v1 offset:64
	v_cmp_ne_u32_e32 vcc, 3, v5
	v_addc_co_u32_e32 v3, vcc, 0, v3, vcc
	v_lshlrev_b32_e32 v3, 2, v3
	s_waitcnt lgkmcnt(0)
	ds_bpermute_b32 v5, v3, v1
	ds_bpermute_b32 v3, v3, v2
	v_or_b32_e32 v4, 8, v4
	s_waitcnt lgkmcnt(1)
	v_add_co_u32_e32 v1, vcc, v1, v5
	v_addc_co_u32_e32 v2, vcc, 0, v2, vcc
	ds_bpermute_b32 v5, v4, v1
	v_add_co_u32_e32 v1, vcc, 0, v1
	s_waitcnt lgkmcnt(1)
	v_addc_co_u32_e32 v2, vcc, v3, v2, vcc
	ds_bpermute_b32 v3, v4, v2
	s_waitcnt lgkmcnt(1)
	v_add_co_u32_e32 v1, vcc, v1, v5
	v_addc_co_u32_e32 v2, vcc, 0, v2, vcc
	v_add_co_u32_e32 v1, vcc, 0, v1
	s_waitcnt lgkmcnt(0)
	v_addc_co_u32_e32 v2, vcc, v2, v3, vcc
.LBB936_152:
	s_or_b64 exec, exec, s[10:11]
	s_branch .LBB936_177
.LBB936_153:
                                        ; implicit-def: $vgpr1_vgpr2
                                        ; implicit-def: $vgpr3_vgpr4
	s_cbranch_execnz .LBB936_178
	s_branch .LBB936_206
.LBB936_154:
	s_branch .LBB936_206
.LBB936_155:
                                        ; implicit-def: $vgpr1_vgpr2
	s_cbranch_execz .LBB936_177
; %bb.156:
	s_sub_i32 s10, s20, s8
	v_mov_b32_e32 v1, 0
	v_cmp_gt_u32_e32 vcc, s10, v0
	v_mov_b32_e32 v2, v1
	v_mov_b32_e32 v3, v1
	;; [unrolled: 1-line block ×3, first 2 shown]
	s_and_saveexec_b64 s[8:9], vcc
	s_cbranch_execz .LBB936_158
; %bb.157:
	v_lshlrev_b32_e32 v2, 3, v0
	global_load_dwordx2 v[5:6], v2, s[0:1]
	global_load_dwordx2 v[7:8], v2, s[2:3]
	v_mov_b32_e32 v3, v1
	v_mov_b32_e32 v4, v1
	s_waitcnt vmcnt(0)
	v_cmp_ne_u64_e32 vcc, v[5:6], v[7:8]
	v_mov_b32_e32 v5, v1
	v_cndmask_b32_e64 v2, 0, 1, vcc
	v_and_b32_e32 v2, 0xffff, v2
	v_mov_b32_e32 v1, v2
	v_mov_b32_e32 v2, v3
	v_mov_b32_e32 v3, v4
	v_mov_b32_e32 v4, v5
.LBB936_158:
	s_or_b64 exec, exec, s[8:9]
	v_or_b32_e32 v5, 0x100, v0
	v_cmp_gt_u32_e32 vcc, s10, v5
	s_and_saveexec_b64 s[8:9], vcc
	s_cbranch_execz .LBB936_160
; %bb.159:
	v_lshlrev_b32_e32 v7, 3, v0
	global_load_dwordx2 v[3:4], v7, s[0:1] offset:2048
	global_load_dwordx2 v[5:6], v7, s[2:3] offset:2048
	s_mov_b32 s2, 0
	s_waitcnt vmcnt(0)
	v_cmp_ne_u64_e64 s[0:1], v[3:4], v[5:6]
	v_mov_b32_e32 v4, s2
	v_cndmask_b32_e64 v3, 0, 1, s[0:1]
.LBB936_160:
	s_or_b64 exec, exec, s[8:9]
	v_cndmask_b32_e32 v3, 0, v3, vcc
	v_cndmask_b32_e32 v4, 0, v4, vcc
	v_add_co_u32_e32 v1, vcc, v3, v1
	v_mbcnt_lo_u32_b32 v3, -1, 0
	v_mbcnt_hi_u32_b32 v3, -1, v3
	v_addc_co_u32_e32 v2, vcc, v4, v2, vcc
	v_and_b32_e32 v4, 63, v3
	v_cmp_ne_u32_e32 vcc, 63, v4
	v_addc_co_u32_e32 v6, vcc, 0, v3, vcc
	v_lshlrev_b32_e32 v6, 2, v6
	ds_bpermute_b32 v8, v6, v1
	ds_bpermute_b32 v7, v6, v2
	s_min_u32 s2, s10, 0x100
	v_and_b32_e32 v5, 0xc0, v0
	v_sub_u32_e64 v5, s2, v5 clamp
	v_add_u32_e32 v6, 1, v4
	v_cmp_lt_u32_e32 vcc, v6, v5
	v_mov_b32_e32 v6, v1
	s_and_saveexec_b64 s[0:1], vcc
	s_cbranch_execz .LBB936_162
; %bb.161:
	s_waitcnt lgkmcnt(1)
	v_add_co_u32_e32 v6, vcc, v1, v8
	v_addc_co_u32_e32 v2, vcc, 0, v2, vcc
	v_add_co_u32_e32 v1, vcc, 0, v6
	s_waitcnt lgkmcnt(0)
	v_addc_co_u32_e32 v2, vcc, v7, v2, vcc
.LBB936_162:
	s_or_b64 exec, exec, s[0:1]
	v_cmp_gt_u32_e32 vcc, 62, v4
	s_waitcnt lgkmcnt(0)
	v_cndmask_b32_e64 v7, 0, 2, vcc
	v_add_lshl_u32 v7, v7, v3, 2
	ds_bpermute_b32 v8, v7, v6
	ds_bpermute_b32 v7, v7, v2
	v_add_u32_e32 v9, 2, v4
	v_cmp_lt_u32_e32 vcc, v9, v5
	s_and_saveexec_b64 s[0:1], vcc
	s_cbranch_execz .LBB936_164
; %bb.163:
	s_waitcnt lgkmcnt(1)
	v_add_co_u32_e32 v6, vcc, v1, v8
	v_addc_co_u32_e32 v2, vcc, 0, v2, vcc
	v_add_co_u32_e32 v1, vcc, 0, v6
	s_waitcnt lgkmcnt(0)
	v_addc_co_u32_e32 v2, vcc, v7, v2, vcc
.LBB936_164:
	s_or_b64 exec, exec, s[0:1]
	v_cmp_gt_u32_e32 vcc, 60, v4
	s_waitcnt lgkmcnt(0)
	v_cndmask_b32_e64 v7, 0, 4, vcc
	v_add_lshl_u32 v7, v7, v3, 2
	ds_bpermute_b32 v8, v7, v6
	ds_bpermute_b32 v7, v7, v2
	v_add_u32_e32 v9, 4, v4
	v_cmp_lt_u32_e32 vcc, v9, v5
	;; [unrolled: 19-line block ×4, first 2 shown]
	s_and_saveexec_b64 s[0:1], vcc
	s_cbranch_execz .LBB936_170
; %bb.169:
	s_waitcnt lgkmcnt(1)
	v_add_co_u32_e32 v6, vcc, v1, v8
	v_addc_co_u32_e32 v2, vcc, 0, v2, vcc
	v_add_co_u32_e32 v1, vcc, 0, v6
	s_waitcnt lgkmcnt(0)
	v_addc_co_u32_e32 v2, vcc, v7, v2, vcc
.LBB936_170:
	s_or_b64 exec, exec, s[0:1]
	s_waitcnt lgkmcnt(0)
	v_lshlrev_b32_e32 v7, 2, v3
	v_or_b32_e32 v8, 0x80, v7
	ds_bpermute_b32 v6, v8, v6
	ds_bpermute_b32 v8, v8, v2
	v_add_u32_e32 v4, 32, v4
	s_waitcnt lgkmcnt(1)
	v_add_co_u32_e32 v6, vcc, v1, v6
	v_addc_co_u32_e32 v9, vcc, 0, v2, vcc
	v_add_co_u32_e32 v6, vcc, 0, v6
	s_waitcnt lgkmcnt(0)
	v_addc_co_u32_e32 v8, vcc, v9, v8, vcc
	v_cmp_lt_u32_e32 vcc, v4, v5
	v_cndmask_b32_e32 v2, v2, v8, vcc
	v_cndmask_b32_e32 v1, v1, v6, vcc
	v_cmp_eq_u32_e32 vcc, 0, v3
	s_and_saveexec_b64 s[0:1], vcc
; %bb.171:
	v_lshrrev_b32_e32 v4, 3, v0
	v_and_b32_e32 v4, 24, v4
	ds_write_b64 v4, v[1:2] offset:160
; %bb.172:
	s_or_b64 exec, exec, s[0:1]
	v_cmp_gt_u32_e32 vcc, 4, v0
	s_waitcnt lgkmcnt(0)
	s_barrier
	s_and_saveexec_b64 s[0:1], vcc
	s_cbranch_execz .LBB936_176
; %bb.173:
	v_lshlrev_b32_e32 v1, 3, v3
	ds_read_b64 v[1:2], v1 offset:160
	v_and_b32_e32 v4, 3, v3
	v_cmp_ne_u32_e32 vcc, 3, v4
	v_addc_co_u32_e32 v3, vcc, 0, v3, vcc
	v_lshlrev_b32_e32 v3, 2, v3
	s_waitcnt lgkmcnt(0)
	ds_bpermute_b32 v6, v3, v1
	ds_bpermute_b32 v5, v3, v2
	s_add_i32 s2, s2, 63
	s_lshr_b32 s8, s2, 6
	v_add_u32_e32 v3, 1, v4
	v_cmp_gt_u32_e32 vcc, s8, v3
	v_mov_b32_e32 v3, v1
	s_and_saveexec_b64 s[2:3], vcc
	s_cbranch_execz .LBB936_175
; %bb.174:
	s_waitcnt lgkmcnt(1)
	v_add_co_u32_e32 v3, vcc, v1, v6
	v_addc_co_u32_e32 v2, vcc, 0, v2, vcc
	v_add_co_u32_e32 v1, vcc, 0, v3
	s_waitcnt lgkmcnt(0)
	v_addc_co_u32_e32 v2, vcc, v5, v2, vcc
.LBB936_175:
	s_or_b64 exec, exec, s[2:3]
	s_waitcnt lgkmcnt(0)
	v_or_b32_e32 v5, 8, v7
	ds_bpermute_b32 v3, v5, v3
	ds_bpermute_b32 v5, v5, v2
	v_add_u32_e32 v4, 2, v4
	s_waitcnt lgkmcnt(1)
	v_add_co_u32_e32 v3, vcc, v1, v3
	v_addc_co_u32_e32 v6, vcc, 0, v2, vcc
	v_add_co_u32_e32 v3, vcc, 0, v3
	s_waitcnt lgkmcnt(0)
	v_addc_co_u32_e32 v5, vcc, v6, v5, vcc
	v_cmp_gt_u32_e32 vcc, s8, v4
	v_cndmask_b32_e32 v2, v2, v5, vcc
	v_cndmask_b32_e32 v1, v1, v3, vcc
.LBB936_176:
	s_or_b64 exec, exec, s[0:1]
.LBB936_177:
	v_mov_b32_e32 v3, s6
	v_cmp_eq_u32_e64 s[0:1], 0, v0
	v_mov_b32_e32 v4, s7
	s_branch .LBB936_206
.LBB936_178:
	s_cmp_eq_u32 s33, 1
                                        ; implicit-def: $vgpr1_vgpr2
                                        ; implicit-def: $vgpr3_vgpr4
	s_cbranch_scc0 .LBB936_206
; %bb.179:
	s_mov_b32 s1, 0
	s_lshl_b32 s0, s6, 8
	s_mov_b32 s7, s1
	s_lshr_b64 s[2:3], s[20:21], 8
	s_cmp_lg_u64 s[2:3], s[6:7]
	v_mbcnt_lo_u32_b32 v3, -1, 0
	s_cbranch_scc0 .LBB936_185
; %bb.180:
	s_lshl_b64 s[2:3], s[0:1], 3
	s_add_u32 s8, s24, s2
	s_addc_u32 s9, s25, s3
	s_add_u32 s2, s26, s2
	v_lshlrev_b32_e32 v4, 3, v0
	s_addc_u32 s3, s27, s3
	global_load_dwordx2 v[1:2], v4, s[8:9]
	global_load_dwordx2 v[6:7], v4, s[2:3]
	v_mov_b32_e32 v5, 0
	v_mbcnt_hi_u32_b32 v4, -1, v3
	s_waitcnt vmcnt(0)
	v_cmp_ne_u64_e32 vcc, v[1:2], v[6:7]
	v_mov_b32_dpp v8, v5 quad_perm:[1,0,3,2] row_mask:0xf bank_mask:0xf bound_ctrl:1
	v_cndmask_b32_e64 v1, 0, 1, vcc
	v_lshlrev_b32_e32 v5, 2, v4
	v_or_b32_e32 v9, 0xfc, v5
	v_mov_b32_dpp v2, v1 quad_perm:[1,0,3,2] row_mask:0xf bank_mask:0xf bound_ctrl:1
	v_add_co_u32_e32 v1, vcc, v2, v1
	v_addc_co_u32_e64 v2, s[2:3], 0, 0, vcc
	v_add_co_u32_e32 v6, vcc, 0, v1
	v_addc_co_u32_e32 v2, vcc, v8, v2, vcc
	v_mov_b32_dpp v1, v1 quad_perm:[2,3,0,1] row_mask:0xf bank_mask:0xf bound_ctrl:1
	v_add_co_u32_e32 v1, vcc, v6, v1
	v_mov_b32_dpp v7, v2 quad_perm:[2,3,0,1] row_mask:0xf bank_mask:0xf bound_ctrl:1
	v_addc_co_u32_e32 v2, vcc, 0, v2, vcc
	v_add_co_u32_e32 v6, vcc, 0, v1
	v_addc_co_u32_e32 v2, vcc, v2, v7, vcc
	v_mov_b32_dpp v1, v1 row_ror:4 row_mask:0xf bank_mask:0xf bound_ctrl:1
	v_add_co_u32_e32 v1, vcc, v6, v1
	v_mov_b32_dpp v7, v2 row_ror:4 row_mask:0xf bank_mask:0xf bound_ctrl:1
	v_addc_co_u32_e32 v2, vcc, 0, v2, vcc
	v_add_co_u32_e32 v6, vcc, 0, v1
	v_addc_co_u32_e32 v2, vcc, v2, v7, vcc
	v_mov_b32_dpp v1, v1 row_ror:8 row_mask:0xf bank_mask:0xf bound_ctrl:1
	v_add_co_u32_e32 v1, vcc, v6, v1
	v_mov_b32_dpp v7, v2 row_ror:8 row_mask:0xf bank_mask:0xf bound_ctrl:1
	v_addc_co_u32_e32 v2, vcc, 0, v2, vcc
	v_add_co_u32_e32 v6, vcc, 0, v1
	v_addc_co_u32_e32 v2, vcc, v2, v7, vcc
	v_mov_b32_dpp v1, v1 row_bcast:15 row_mask:0xf bank_mask:0xf bound_ctrl:1
	v_add_co_u32_e32 v1, vcc, v6, v1
	v_mov_b32_dpp v7, v2 row_bcast:15 row_mask:0xf bank_mask:0xf bound_ctrl:1
	v_addc_co_u32_e32 v2, vcc, 0, v2, vcc
	v_add_co_u32_e32 v6, vcc, 0, v1
	v_addc_co_u32_e32 v2, vcc, v2, v7, vcc
	v_mov_b32_dpp v1, v1 row_bcast:31 row_mask:0xf bank_mask:0xf bound_ctrl:1
	v_add_co_u32_e32 v1, vcc, v6, v1
	v_addc_co_u32_e32 v6, vcc, 0, v2, vcc
	ds_bpermute_b32 v1, v9, v1
	s_nop 0
	v_add_u32_dpp v2, v2, v6 row_bcast:31 row_mask:0xf bank_mask:0xf bound_ctrl:1
	ds_bpermute_b32 v2, v9, v2
	v_cmp_eq_u32_e32 vcc, 0, v4
	s_and_saveexec_b64 s[2:3], vcc
	s_cbranch_execz .LBB936_182
; %bb.181:
	v_lshrrev_b32_e32 v6, 3, v0
	v_and_b32_e32 v6, 24, v6
	s_waitcnt lgkmcnt(0)
	ds_write_b64 v6, v[1:2] offset:32
.LBB936_182:
	s_or_b64 exec, exec, s[2:3]
	v_cmp_gt_u32_e32 vcc, 64, v0
	s_waitcnt lgkmcnt(0)
	s_barrier
	s_and_saveexec_b64 s[2:3], vcc
	s_cbranch_execz .LBB936_184
; %bb.183:
	v_and_b32_e32 v6, 3, v4
	v_lshlrev_b32_e32 v1, 3, v6
	ds_read_b64 v[1:2], v1 offset:32
	v_cmp_ne_u32_e32 vcc, 3, v6
	v_addc_co_u32_e32 v4, vcc, 0, v4, vcc
	v_lshlrev_b32_e32 v4, 2, v4
	s_waitcnt lgkmcnt(0)
	ds_bpermute_b32 v6, v4, v1
	ds_bpermute_b32 v4, v4, v2
	v_or_b32_e32 v5, 8, v5
	s_waitcnt lgkmcnt(1)
	v_add_co_u32_e32 v1, vcc, v1, v6
	v_addc_co_u32_e32 v2, vcc, 0, v2, vcc
	ds_bpermute_b32 v6, v5, v1
	v_add_co_u32_e32 v1, vcc, 0, v1
	s_waitcnt lgkmcnt(1)
	v_addc_co_u32_e32 v2, vcc, v4, v2, vcc
	ds_bpermute_b32 v4, v5, v2
	s_waitcnt lgkmcnt(1)
	v_add_co_u32_e32 v1, vcc, v1, v6
	v_addc_co_u32_e32 v2, vcc, 0, v2, vcc
	v_add_co_u32_e32 v1, vcc, 0, v1
	s_waitcnt lgkmcnt(0)
	v_addc_co_u32_e32 v2, vcc, v2, v4, vcc
.LBB936_184:
	s_or_b64 exec, exec, s[2:3]
	s_branch .LBB936_205
.LBB936_185:
                                        ; implicit-def: $vgpr1_vgpr2
	s_cbranch_execz .LBB936_205
; %bb.186:
	s_sub_i32 s8, s20, s0
	v_cmp_gt_u32_e32 vcc, s8, v0
                                        ; implicit-def: $vgpr1_vgpr2
	s_and_saveexec_b64 s[2:3], vcc
	s_cbranch_execz .LBB936_188
; %bb.187:
	s_lshl_b64 s[0:1], s[0:1], 3
	s_add_u32 s10, s26, s0
	s_addc_u32 s11, s27, s1
	s_add_u32 s0, s24, s0
	v_lshlrev_b32_e32 v6, 3, v0
	s_addc_u32 s1, s25, s1
	global_load_dwordx2 v[1:2], v6, s[0:1]
	global_load_dwordx2 v[4:5], v6, s[10:11]
	s_mov_b32 s0, 0
	s_waitcnt vmcnt(0)
	v_cmp_ne_u64_e32 vcc, v[1:2], v[4:5]
	v_mov_b32_e32 v2, s0
	v_cndmask_b32_e64 v1, 0, 1, vcc
.LBB936_188:
	s_or_b64 exec, exec, s[2:3]
	v_mbcnt_hi_u32_b32 v3, -1, v3
	v_and_b32_e32 v4, 63, v3
	v_cmp_ne_u32_e32 vcc, 63, v4
	v_addc_co_u32_e32 v6, vcc, 0, v3, vcc
	v_lshlrev_b32_e32 v6, 2, v6
	ds_bpermute_b32 v8, v6, v1
	ds_bpermute_b32 v7, v6, v2
	s_min_u32 s2, s8, 0x100
	v_and_b32_e32 v5, 0xc0, v0
	v_sub_u32_e64 v5, s2, v5 clamp
	v_add_u32_e32 v6, 1, v4
	v_cmp_lt_u32_e32 vcc, v6, v5
	v_mov_b32_e32 v6, v1
	s_and_saveexec_b64 s[0:1], vcc
	s_cbranch_execz .LBB936_190
; %bb.189:
	s_waitcnt lgkmcnt(1)
	v_add_co_u32_e32 v6, vcc, v1, v8
	v_addc_co_u32_e32 v2, vcc, 0, v2, vcc
	v_add_co_u32_e32 v1, vcc, 0, v6
	s_waitcnt lgkmcnt(0)
	v_addc_co_u32_e32 v2, vcc, v7, v2, vcc
.LBB936_190:
	s_or_b64 exec, exec, s[0:1]
	v_cmp_gt_u32_e32 vcc, 62, v4
	s_waitcnt lgkmcnt(0)
	v_cndmask_b32_e64 v7, 0, 2, vcc
	v_add_lshl_u32 v7, v7, v3, 2
	ds_bpermute_b32 v8, v7, v6
	ds_bpermute_b32 v7, v7, v2
	v_add_u32_e32 v9, 2, v4
	v_cmp_lt_u32_e32 vcc, v9, v5
	s_and_saveexec_b64 s[0:1], vcc
	s_cbranch_execz .LBB936_192
; %bb.191:
	s_waitcnt lgkmcnt(1)
	v_add_co_u32_e32 v6, vcc, v1, v8
	v_addc_co_u32_e32 v2, vcc, 0, v2, vcc
	v_add_co_u32_e32 v1, vcc, 0, v6
	s_waitcnt lgkmcnt(0)
	v_addc_co_u32_e32 v2, vcc, v7, v2, vcc
.LBB936_192:
	s_or_b64 exec, exec, s[0:1]
	v_cmp_gt_u32_e32 vcc, 60, v4
	s_waitcnt lgkmcnt(0)
	v_cndmask_b32_e64 v7, 0, 4, vcc
	v_add_lshl_u32 v7, v7, v3, 2
	ds_bpermute_b32 v8, v7, v6
	ds_bpermute_b32 v7, v7, v2
	v_add_u32_e32 v9, 4, v4
	v_cmp_lt_u32_e32 vcc, v9, v5
	;; [unrolled: 19-line block ×4, first 2 shown]
	s_and_saveexec_b64 s[0:1], vcc
	s_cbranch_execz .LBB936_198
; %bb.197:
	s_waitcnt lgkmcnt(1)
	v_add_co_u32_e32 v6, vcc, v1, v8
	v_addc_co_u32_e32 v2, vcc, 0, v2, vcc
	v_add_co_u32_e32 v1, vcc, 0, v6
	s_waitcnt lgkmcnt(0)
	v_addc_co_u32_e32 v2, vcc, v7, v2, vcc
.LBB936_198:
	s_or_b64 exec, exec, s[0:1]
	s_waitcnt lgkmcnt(0)
	v_lshlrev_b32_e32 v7, 2, v3
	v_or_b32_e32 v8, 0x80, v7
	ds_bpermute_b32 v6, v8, v6
	ds_bpermute_b32 v8, v8, v2
	v_add_u32_e32 v4, 32, v4
	s_waitcnt lgkmcnt(1)
	v_add_co_u32_e32 v6, vcc, v1, v6
	v_addc_co_u32_e32 v9, vcc, 0, v2, vcc
	v_add_co_u32_e32 v6, vcc, 0, v6
	s_waitcnt lgkmcnt(0)
	v_addc_co_u32_e32 v8, vcc, v9, v8, vcc
	v_cmp_lt_u32_e32 vcc, v4, v5
	v_cndmask_b32_e32 v2, v2, v8, vcc
	v_cndmask_b32_e32 v1, v1, v6, vcc
	v_cmp_eq_u32_e32 vcc, 0, v3
	s_and_saveexec_b64 s[0:1], vcc
; %bb.199:
	v_lshrrev_b32_e32 v4, 3, v0
	v_and_b32_e32 v4, 24, v4
	ds_write_b64 v4, v[1:2] offset:160
; %bb.200:
	s_or_b64 exec, exec, s[0:1]
	v_cmp_gt_u32_e32 vcc, 4, v0
	s_waitcnt lgkmcnt(0)
	s_barrier
	s_and_saveexec_b64 s[0:1], vcc
	s_cbranch_execz .LBB936_204
; %bb.201:
	v_lshlrev_b32_e32 v1, 3, v3
	ds_read_b64 v[1:2], v1 offset:160
	v_and_b32_e32 v4, 3, v3
	v_cmp_ne_u32_e32 vcc, 3, v4
	v_addc_co_u32_e32 v3, vcc, 0, v3, vcc
	v_lshlrev_b32_e32 v3, 2, v3
	s_waitcnt lgkmcnt(0)
	ds_bpermute_b32 v6, v3, v1
	ds_bpermute_b32 v5, v3, v2
	s_add_i32 s2, s2, 63
	s_lshr_b32 s8, s2, 6
	v_add_u32_e32 v3, 1, v4
	v_cmp_gt_u32_e32 vcc, s8, v3
	v_mov_b32_e32 v3, v1
	s_and_saveexec_b64 s[2:3], vcc
	s_cbranch_execz .LBB936_203
; %bb.202:
	s_waitcnt lgkmcnt(1)
	v_add_co_u32_e32 v3, vcc, v1, v6
	v_addc_co_u32_e32 v2, vcc, 0, v2, vcc
	v_add_co_u32_e32 v1, vcc, 0, v3
	s_waitcnt lgkmcnt(0)
	v_addc_co_u32_e32 v2, vcc, v5, v2, vcc
.LBB936_203:
	s_or_b64 exec, exec, s[2:3]
	s_waitcnt lgkmcnt(0)
	v_or_b32_e32 v5, 8, v7
	ds_bpermute_b32 v3, v5, v3
	ds_bpermute_b32 v5, v5, v2
	v_add_u32_e32 v4, 2, v4
	s_waitcnt lgkmcnt(1)
	v_add_co_u32_e32 v3, vcc, v1, v3
	v_addc_co_u32_e32 v6, vcc, 0, v2, vcc
	v_add_co_u32_e32 v3, vcc, 0, v3
	s_waitcnt lgkmcnt(0)
	v_addc_co_u32_e32 v5, vcc, v6, v5, vcc
	v_cmp_gt_u32_e32 vcc, s8, v4
	v_cndmask_b32_e32 v2, v2, v5, vcc
	v_cndmask_b32_e32 v1, v1, v3, vcc
.LBB936_204:
	s_or_b64 exec, exec, s[0:1]
.LBB936_205:
	v_mov_b32_e32 v3, s6
	v_cmp_eq_u32_e64 s[0:1], 0, v0
	v_mov_b32_e32 v4, s7
.LBB936_206:
	s_and_saveexec_b64 s[2:3], s[0:1]
	s_cbranch_execz .LBB936_208
; %bb.207:
	v_lshlrev_b64 v[3:4], 3, v[3:4]
	s_load_dwordx2 s[0:1], s[4:5], 0x30
	v_mov_b32_e32 v0, s23
	v_add_co_u32_e32 v3, vcc, s22, v3
	v_addc_co_u32_e32 v4, vcc, v0, v4, vcc
	s_cmp_lg_u64 s[20:21], 0
	s_cselect_b64 vcc, -1, 0
	v_cndmask_b32_e32 v0, 0, v1, vcc
	v_cndmask_b32_e32 v2, 0, v2, vcc
	s_waitcnt lgkmcnt(0)
	v_mov_b32_e32 v1, s1
	v_add_co_u32_e32 v0, vcc, s0, v0
	v_addc_co_u32_e32 v1, vcc, v2, v1, vcc
	global_store_dwordx2 v[3:4], v[0:1], off
.LBB936_208:
	s_endpgm
	.section	.rodata,"a",@progbits
	.p2align	6, 0x0
	.amdhsa_kernel _ZN7rocprim17ROCPRIM_400000_NS6detail17trampoline_kernelINS0_14default_configENS1_22reduce_config_selectorIlEEZNS1_11reduce_implILb1ES3_N6thrust23THRUST_200600_302600_NS11hip_rocprim26transform_input_iterator_tIlNS8_12zip_iteratorINS8_5tupleINS8_6detail15normal_iteratorINS8_10device_ptrIxEEEESH_NS8_9null_typeESI_SI_SI_SI_SI_SI_SI_EEEENS9_21zip_adj_not_predicateINS8_8equal_toIxEEEEEEPllNS8_4plusIlEEEE10hipError_tPvRmT1_T2_T3_mT4_P12ihipStream_tbEUlT_E1_NS1_11comp_targetILNS1_3genE2ELNS1_11target_archE906ELNS1_3gpuE6ELNS1_3repE0EEENS1_30default_config_static_selectorELNS0_4arch9wavefront6targetE1EEEvSW_
		.amdhsa_group_segment_fixed_size 192
		.amdhsa_private_segment_fixed_size 0
		.amdhsa_kernarg_size 64
		.amdhsa_user_sgpr_count 6
		.amdhsa_user_sgpr_private_segment_buffer 1
		.amdhsa_user_sgpr_dispatch_ptr 0
		.amdhsa_user_sgpr_queue_ptr 0
		.amdhsa_user_sgpr_kernarg_segment_ptr 1
		.amdhsa_user_sgpr_dispatch_id 0
		.amdhsa_user_sgpr_flat_scratch_init 0
		.amdhsa_user_sgpr_private_segment_size 0
		.amdhsa_uses_dynamic_stack 0
		.amdhsa_system_sgpr_private_segment_wavefront_offset 0
		.amdhsa_system_sgpr_workgroup_id_x 1
		.amdhsa_system_sgpr_workgroup_id_y 0
		.amdhsa_system_sgpr_workgroup_id_z 0
		.amdhsa_system_sgpr_workgroup_info 0
		.amdhsa_system_vgpr_workitem_id 0
		.amdhsa_next_free_vgpr 36
		.amdhsa_next_free_sgpr 38
		.amdhsa_reserve_vcc 1
		.amdhsa_reserve_flat_scratch 0
		.amdhsa_float_round_mode_32 0
		.amdhsa_float_round_mode_16_64 0
		.amdhsa_float_denorm_mode_32 3
		.amdhsa_float_denorm_mode_16_64 3
		.amdhsa_dx10_clamp 1
		.amdhsa_ieee_mode 1
		.amdhsa_fp16_overflow 0
		.amdhsa_exception_fp_ieee_invalid_op 0
		.amdhsa_exception_fp_denorm_src 0
		.amdhsa_exception_fp_ieee_div_zero 0
		.amdhsa_exception_fp_ieee_overflow 0
		.amdhsa_exception_fp_ieee_underflow 0
		.amdhsa_exception_fp_ieee_inexact 0
		.amdhsa_exception_int_div_zero 0
	.end_amdhsa_kernel
	.section	.text._ZN7rocprim17ROCPRIM_400000_NS6detail17trampoline_kernelINS0_14default_configENS1_22reduce_config_selectorIlEEZNS1_11reduce_implILb1ES3_N6thrust23THRUST_200600_302600_NS11hip_rocprim26transform_input_iterator_tIlNS8_12zip_iteratorINS8_5tupleINS8_6detail15normal_iteratorINS8_10device_ptrIxEEEESH_NS8_9null_typeESI_SI_SI_SI_SI_SI_SI_EEEENS9_21zip_adj_not_predicateINS8_8equal_toIxEEEEEEPllNS8_4plusIlEEEE10hipError_tPvRmT1_T2_T3_mT4_P12ihipStream_tbEUlT_E1_NS1_11comp_targetILNS1_3genE2ELNS1_11target_archE906ELNS1_3gpuE6ELNS1_3repE0EEENS1_30default_config_static_selectorELNS0_4arch9wavefront6targetE1EEEvSW_,"axG",@progbits,_ZN7rocprim17ROCPRIM_400000_NS6detail17trampoline_kernelINS0_14default_configENS1_22reduce_config_selectorIlEEZNS1_11reduce_implILb1ES3_N6thrust23THRUST_200600_302600_NS11hip_rocprim26transform_input_iterator_tIlNS8_12zip_iteratorINS8_5tupleINS8_6detail15normal_iteratorINS8_10device_ptrIxEEEESH_NS8_9null_typeESI_SI_SI_SI_SI_SI_SI_EEEENS9_21zip_adj_not_predicateINS8_8equal_toIxEEEEEEPllNS8_4plusIlEEEE10hipError_tPvRmT1_T2_T3_mT4_P12ihipStream_tbEUlT_E1_NS1_11comp_targetILNS1_3genE2ELNS1_11target_archE906ELNS1_3gpuE6ELNS1_3repE0EEENS1_30default_config_static_selectorELNS0_4arch9wavefront6targetE1EEEvSW_,comdat
.Lfunc_end936:
	.size	_ZN7rocprim17ROCPRIM_400000_NS6detail17trampoline_kernelINS0_14default_configENS1_22reduce_config_selectorIlEEZNS1_11reduce_implILb1ES3_N6thrust23THRUST_200600_302600_NS11hip_rocprim26transform_input_iterator_tIlNS8_12zip_iteratorINS8_5tupleINS8_6detail15normal_iteratorINS8_10device_ptrIxEEEESH_NS8_9null_typeESI_SI_SI_SI_SI_SI_SI_EEEENS9_21zip_adj_not_predicateINS8_8equal_toIxEEEEEEPllNS8_4plusIlEEEE10hipError_tPvRmT1_T2_T3_mT4_P12ihipStream_tbEUlT_E1_NS1_11comp_targetILNS1_3genE2ELNS1_11target_archE906ELNS1_3gpuE6ELNS1_3repE0EEENS1_30default_config_static_selectorELNS0_4arch9wavefront6targetE1EEEvSW_, .Lfunc_end936-_ZN7rocprim17ROCPRIM_400000_NS6detail17trampoline_kernelINS0_14default_configENS1_22reduce_config_selectorIlEEZNS1_11reduce_implILb1ES3_N6thrust23THRUST_200600_302600_NS11hip_rocprim26transform_input_iterator_tIlNS8_12zip_iteratorINS8_5tupleINS8_6detail15normal_iteratorINS8_10device_ptrIxEEEESH_NS8_9null_typeESI_SI_SI_SI_SI_SI_SI_EEEENS9_21zip_adj_not_predicateINS8_8equal_toIxEEEEEEPllNS8_4plusIlEEEE10hipError_tPvRmT1_T2_T3_mT4_P12ihipStream_tbEUlT_E1_NS1_11comp_targetILNS1_3genE2ELNS1_11target_archE906ELNS1_3gpuE6ELNS1_3repE0EEENS1_30default_config_static_selectorELNS0_4arch9wavefront6targetE1EEEvSW_
                                        ; -- End function
	.set _ZN7rocprim17ROCPRIM_400000_NS6detail17trampoline_kernelINS0_14default_configENS1_22reduce_config_selectorIlEEZNS1_11reduce_implILb1ES3_N6thrust23THRUST_200600_302600_NS11hip_rocprim26transform_input_iterator_tIlNS8_12zip_iteratorINS8_5tupleINS8_6detail15normal_iteratorINS8_10device_ptrIxEEEESH_NS8_9null_typeESI_SI_SI_SI_SI_SI_SI_EEEENS9_21zip_adj_not_predicateINS8_8equal_toIxEEEEEEPllNS8_4plusIlEEEE10hipError_tPvRmT1_T2_T3_mT4_P12ihipStream_tbEUlT_E1_NS1_11comp_targetILNS1_3genE2ELNS1_11target_archE906ELNS1_3gpuE6ELNS1_3repE0EEENS1_30default_config_static_selectorELNS0_4arch9wavefront6targetE1EEEvSW_.num_vgpr, 36
	.set _ZN7rocprim17ROCPRIM_400000_NS6detail17trampoline_kernelINS0_14default_configENS1_22reduce_config_selectorIlEEZNS1_11reduce_implILb1ES3_N6thrust23THRUST_200600_302600_NS11hip_rocprim26transform_input_iterator_tIlNS8_12zip_iteratorINS8_5tupleINS8_6detail15normal_iteratorINS8_10device_ptrIxEEEESH_NS8_9null_typeESI_SI_SI_SI_SI_SI_SI_EEEENS9_21zip_adj_not_predicateINS8_8equal_toIxEEEEEEPllNS8_4plusIlEEEE10hipError_tPvRmT1_T2_T3_mT4_P12ihipStream_tbEUlT_E1_NS1_11comp_targetILNS1_3genE2ELNS1_11target_archE906ELNS1_3gpuE6ELNS1_3repE0EEENS1_30default_config_static_selectorELNS0_4arch9wavefront6targetE1EEEvSW_.num_agpr, 0
	.set _ZN7rocprim17ROCPRIM_400000_NS6detail17trampoline_kernelINS0_14default_configENS1_22reduce_config_selectorIlEEZNS1_11reduce_implILb1ES3_N6thrust23THRUST_200600_302600_NS11hip_rocprim26transform_input_iterator_tIlNS8_12zip_iteratorINS8_5tupleINS8_6detail15normal_iteratorINS8_10device_ptrIxEEEESH_NS8_9null_typeESI_SI_SI_SI_SI_SI_SI_EEEENS9_21zip_adj_not_predicateINS8_8equal_toIxEEEEEEPllNS8_4plusIlEEEE10hipError_tPvRmT1_T2_T3_mT4_P12ihipStream_tbEUlT_E1_NS1_11comp_targetILNS1_3genE2ELNS1_11target_archE906ELNS1_3gpuE6ELNS1_3repE0EEENS1_30default_config_static_selectorELNS0_4arch9wavefront6targetE1EEEvSW_.numbered_sgpr, 38
	.set _ZN7rocprim17ROCPRIM_400000_NS6detail17trampoline_kernelINS0_14default_configENS1_22reduce_config_selectorIlEEZNS1_11reduce_implILb1ES3_N6thrust23THRUST_200600_302600_NS11hip_rocprim26transform_input_iterator_tIlNS8_12zip_iteratorINS8_5tupleINS8_6detail15normal_iteratorINS8_10device_ptrIxEEEESH_NS8_9null_typeESI_SI_SI_SI_SI_SI_SI_EEEENS9_21zip_adj_not_predicateINS8_8equal_toIxEEEEEEPllNS8_4plusIlEEEE10hipError_tPvRmT1_T2_T3_mT4_P12ihipStream_tbEUlT_E1_NS1_11comp_targetILNS1_3genE2ELNS1_11target_archE906ELNS1_3gpuE6ELNS1_3repE0EEENS1_30default_config_static_selectorELNS0_4arch9wavefront6targetE1EEEvSW_.num_named_barrier, 0
	.set _ZN7rocprim17ROCPRIM_400000_NS6detail17trampoline_kernelINS0_14default_configENS1_22reduce_config_selectorIlEEZNS1_11reduce_implILb1ES3_N6thrust23THRUST_200600_302600_NS11hip_rocprim26transform_input_iterator_tIlNS8_12zip_iteratorINS8_5tupleINS8_6detail15normal_iteratorINS8_10device_ptrIxEEEESH_NS8_9null_typeESI_SI_SI_SI_SI_SI_SI_EEEENS9_21zip_adj_not_predicateINS8_8equal_toIxEEEEEEPllNS8_4plusIlEEEE10hipError_tPvRmT1_T2_T3_mT4_P12ihipStream_tbEUlT_E1_NS1_11comp_targetILNS1_3genE2ELNS1_11target_archE906ELNS1_3gpuE6ELNS1_3repE0EEENS1_30default_config_static_selectorELNS0_4arch9wavefront6targetE1EEEvSW_.private_seg_size, 0
	.set _ZN7rocprim17ROCPRIM_400000_NS6detail17trampoline_kernelINS0_14default_configENS1_22reduce_config_selectorIlEEZNS1_11reduce_implILb1ES3_N6thrust23THRUST_200600_302600_NS11hip_rocprim26transform_input_iterator_tIlNS8_12zip_iteratorINS8_5tupleINS8_6detail15normal_iteratorINS8_10device_ptrIxEEEESH_NS8_9null_typeESI_SI_SI_SI_SI_SI_SI_EEEENS9_21zip_adj_not_predicateINS8_8equal_toIxEEEEEEPllNS8_4plusIlEEEE10hipError_tPvRmT1_T2_T3_mT4_P12ihipStream_tbEUlT_E1_NS1_11comp_targetILNS1_3genE2ELNS1_11target_archE906ELNS1_3gpuE6ELNS1_3repE0EEENS1_30default_config_static_selectorELNS0_4arch9wavefront6targetE1EEEvSW_.uses_vcc, 1
	.set _ZN7rocprim17ROCPRIM_400000_NS6detail17trampoline_kernelINS0_14default_configENS1_22reduce_config_selectorIlEEZNS1_11reduce_implILb1ES3_N6thrust23THRUST_200600_302600_NS11hip_rocprim26transform_input_iterator_tIlNS8_12zip_iteratorINS8_5tupleINS8_6detail15normal_iteratorINS8_10device_ptrIxEEEESH_NS8_9null_typeESI_SI_SI_SI_SI_SI_SI_EEEENS9_21zip_adj_not_predicateINS8_8equal_toIxEEEEEEPllNS8_4plusIlEEEE10hipError_tPvRmT1_T2_T3_mT4_P12ihipStream_tbEUlT_E1_NS1_11comp_targetILNS1_3genE2ELNS1_11target_archE906ELNS1_3gpuE6ELNS1_3repE0EEENS1_30default_config_static_selectorELNS0_4arch9wavefront6targetE1EEEvSW_.uses_flat_scratch, 0
	.set _ZN7rocprim17ROCPRIM_400000_NS6detail17trampoline_kernelINS0_14default_configENS1_22reduce_config_selectorIlEEZNS1_11reduce_implILb1ES3_N6thrust23THRUST_200600_302600_NS11hip_rocprim26transform_input_iterator_tIlNS8_12zip_iteratorINS8_5tupleINS8_6detail15normal_iteratorINS8_10device_ptrIxEEEESH_NS8_9null_typeESI_SI_SI_SI_SI_SI_SI_EEEENS9_21zip_adj_not_predicateINS8_8equal_toIxEEEEEEPllNS8_4plusIlEEEE10hipError_tPvRmT1_T2_T3_mT4_P12ihipStream_tbEUlT_E1_NS1_11comp_targetILNS1_3genE2ELNS1_11target_archE906ELNS1_3gpuE6ELNS1_3repE0EEENS1_30default_config_static_selectorELNS0_4arch9wavefront6targetE1EEEvSW_.has_dyn_sized_stack, 0
	.set _ZN7rocprim17ROCPRIM_400000_NS6detail17trampoline_kernelINS0_14default_configENS1_22reduce_config_selectorIlEEZNS1_11reduce_implILb1ES3_N6thrust23THRUST_200600_302600_NS11hip_rocprim26transform_input_iterator_tIlNS8_12zip_iteratorINS8_5tupleINS8_6detail15normal_iteratorINS8_10device_ptrIxEEEESH_NS8_9null_typeESI_SI_SI_SI_SI_SI_SI_EEEENS9_21zip_adj_not_predicateINS8_8equal_toIxEEEEEEPllNS8_4plusIlEEEE10hipError_tPvRmT1_T2_T3_mT4_P12ihipStream_tbEUlT_E1_NS1_11comp_targetILNS1_3genE2ELNS1_11target_archE906ELNS1_3gpuE6ELNS1_3repE0EEENS1_30default_config_static_selectorELNS0_4arch9wavefront6targetE1EEEvSW_.has_recursion, 0
	.set _ZN7rocprim17ROCPRIM_400000_NS6detail17trampoline_kernelINS0_14default_configENS1_22reduce_config_selectorIlEEZNS1_11reduce_implILb1ES3_N6thrust23THRUST_200600_302600_NS11hip_rocprim26transform_input_iterator_tIlNS8_12zip_iteratorINS8_5tupleINS8_6detail15normal_iteratorINS8_10device_ptrIxEEEESH_NS8_9null_typeESI_SI_SI_SI_SI_SI_SI_EEEENS9_21zip_adj_not_predicateINS8_8equal_toIxEEEEEEPllNS8_4plusIlEEEE10hipError_tPvRmT1_T2_T3_mT4_P12ihipStream_tbEUlT_E1_NS1_11comp_targetILNS1_3genE2ELNS1_11target_archE906ELNS1_3gpuE6ELNS1_3repE0EEENS1_30default_config_static_selectorELNS0_4arch9wavefront6targetE1EEEvSW_.has_indirect_call, 0
	.section	.AMDGPU.csdata,"",@progbits
; Kernel info:
; codeLenInByte = 10896
; TotalNumSgprs: 42
; NumVgprs: 36
; ScratchSize: 0
; MemoryBound: 0
; FloatMode: 240
; IeeeMode: 1
; LDSByteSize: 192 bytes/workgroup (compile time only)
; SGPRBlocks: 5
; VGPRBlocks: 8
; NumSGPRsForWavesPerEU: 42
; NumVGPRsForWavesPerEU: 36
; Occupancy: 7
; WaveLimiterHint : 0
; COMPUTE_PGM_RSRC2:SCRATCH_EN: 0
; COMPUTE_PGM_RSRC2:USER_SGPR: 6
; COMPUTE_PGM_RSRC2:TRAP_HANDLER: 0
; COMPUTE_PGM_RSRC2:TGID_X_EN: 1
; COMPUTE_PGM_RSRC2:TGID_Y_EN: 0
; COMPUTE_PGM_RSRC2:TGID_Z_EN: 0
; COMPUTE_PGM_RSRC2:TIDIG_COMP_CNT: 0
	.section	.text._ZN7rocprim17ROCPRIM_400000_NS6detail17trampoline_kernelINS0_14default_configENS1_22reduce_config_selectorIlEEZNS1_11reduce_implILb1ES3_N6thrust23THRUST_200600_302600_NS11hip_rocprim26transform_input_iterator_tIlNS8_12zip_iteratorINS8_5tupleINS8_6detail15normal_iteratorINS8_10device_ptrIxEEEESH_NS8_9null_typeESI_SI_SI_SI_SI_SI_SI_EEEENS9_21zip_adj_not_predicateINS8_8equal_toIxEEEEEEPllNS8_4plusIlEEEE10hipError_tPvRmT1_T2_T3_mT4_P12ihipStream_tbEUlT_E1_NS1_11comp_targetILNS1_3genE10ELNS1_11target_archE1201ELNS1_3gpuE5ELNS1_3repE0EEENS1_30default_config_static_selectorELNS0_4arch9wavefront6targetE1EEEvSW_,"axG",@progbits,_ZN7rocprim17ROCPRIM_400000_NS6detail17trampoline_kernelINS0_14default_configENS1_22reduce_config_selectorIlEEZNS1_11reduce_implILb1ES3_N6thrust23THRUST_200600_302600_NS11hip_rocprim26transform_input_iterator_tIlNS8_12zip_iteratorINS8_5tupleINS8_6detail15normal_iteratorINS8_10device_ptrIxEEEESH_NS8_9null_typeESI_SI_SI_SI_SI_SI_SI_EEEENS9_21zip_adj_not_predicateINS8_8equal_toIxEEEEEEPllNS8_4plusIlEEEE10hipError_tPvRmT1_T2_T3_mT4_P12ihipStream_tbEUlT_E1_NS1_11comp_targetILNS1_3genE10ELNS1_11target_archE1201ELNS1_3gpuE5ELNS1_3repE0EEENS1_30default_config_static_selectorELNS0_4arch9wavefront6targetE1EEEvSW_,comdat
	.protected	_ZN7rocprim17ROCPRIM_400000_NS6detail17trampoline_kernelINS0_14default_configENS1_22reduce_config_selectorIlEEZNS1_11reduce_implILb1ES3_N6thrust23THRUST_200600_302600_NS11hip_rocprim26transform_input_iterator_tIlNS8_12zip_iteratorINS8_5tupleINS8_6detail15normal_iteratorINS8_10device_ptrIxEEEESH_NS8_9null_typeESI_SI_SI_SI_SI_SI_SI_EEEENS9_21zip_adj_not_predicateINS8_8equal_toIxEEEEEEPllNS8_4plusIlEEEE10hipError_tPvRmT1_T2_T3_mT4_P12ihipStream_tbEUlT_E1_NS1_11comp_targetILNS1_3genE10ELNS1_11target_archE1201ELNS1_3gpuE5ELNS1_3repE0EEENS1_30default_config_static_selectorELNS0_4arch9wavefront6targetE1EEEvSW_ ; -- Begin function _ZN7rocprim17ROCPRIM_400000_NS6detail17trampoline_kernelINS0_14default_configENS1_22reduce_config_selectorIlEEZNS1_11reduce_implILb1ES3_N6thrust23THRUST_200600_302600_NS11hip_rocprim26transform_input_iterator_tIlNS8_12zip_iteratorINS8_5tupleINS8_6detail15normal_iteratorINS8_10device_ptrIxEEEESH_NS8_9null_typeESI_SI_SI_SI_SI_SI_SI_EEEENS9_21zip_adj_not_predicateINS8_8equal_toIxEEEEEEPllNS8_4plusIlEEEE10hipError_tPvRmT1_T2_T3_mT4_P12ihipStream_tbEUlT_E1_NS1_11comp_targetILNS1_3genE10ELNS1_11target_archE1201ELNS1_3gpuE5ELNS1_3repE0EEENS1_30default_config_static_selectorELNS0_4arch9wavefront6targetE1EEEvSW_
	.globl	_ZN7rocprim17ROCPRIM_400000_NS6detail17trampoline_kernelINS0_14default_configENS1_22reduce_config_selectorIlEEZNS1_11reduce_implILb1ES3_N6thrust23THRUST_200600_302600_NS11hip_rocprim26transform_input_iterator_tIlNS8_12zip_iteratorINS8_5tupleINS8_6detail15normal_iteratorINS8_10device_ptrIxEEEESH_NS8_9null_typeESI_SI_SI_SI_SI_SI_SI_EEEENS9_21zip_adj_not_predicateINS8_8equal_toIxEEEEEEPllNS8_4plusIlEEEE10hipError_tPvRmT1_T2_T3_mT4_P12ihipStream_tbEUlT_E1_NS1_11comp_targetILNS1_3genE10ELNS1_11target_archE1201ELNS1_3gpuE5ELNS1_3repE0EEENS1_30default_config_static_selectorELNS0_4arch9wavefront6targetE1EEEvSW_
	.p2align	8
	.type	_ZN7rocprim17ROCPRIM_400000_NS6detail17trampoline_kernelINS0_14default_configENS1_22reduce_config_selectorIlEEZNS1_11reduce_implILb1ES3_N6thrust23THRUST_200600_302600_NS11hip_rocprim26transform_input_iterator_tIlNS8_12zip_iteratorINS8_5tupleINS8_6detail15normal_iteratorINS8_10device_ptrIxEEEESH_NS8_9null_typeESI_SI_SI_SI_SI_SI_SI_EEEENS9_21zip_adj_not_predicateINS8_8equal_toIxEEEEEEPllNS8_4plusIlEEEE10hipError_tPvRmT1_T2_T3_mT4_P12ihipStream_tbEUlT_E1_NS1_11comp_targetILNS1_3genE10ELNS1_11target_archE1201ELNS1_3gpuE5ELNS1_3repE0EEENS1_30default_config_static_selectorELNS0_4arch9wavefront6targetE1EEEvSW_,@function
_ZN7rocprim17ROCPRIM_400000_NS6detail17trampoline_kernelINS0_14default_configENS1_22reduce_config_selectorIlEEZNS1_11reduce_implILb1ES3_N6thrust23THRUST_200600_302600_NS11hip_rocprim26transform_input_iterator_tIlNS8_12zip_iteratorINS8_5tupleINS8_6detail15normal_iteratorINS8_10device_ptrIxEEEESH_NS8_9null_typeESI_SI_SI_SI_SI_SI_SI_EEEENS9_21zip_adj_not_predicateINS8_8equal_toIxEEEEEEPllNS8_4plusIlEEEE10hipError_tPvRmT1_T2_T3_mT4_P12ihipStream_tbEUlT_E1_NS1_11comp_targetILNS1_3genE10ELNS1_11target_archE1201ELNS1_3gpuE5ELNS1_3repE0EEENS1_30default_config_static_selectorELNS0_4arch9wavefront6targetE1EEEvSW_: ; @_ZN7rocprim17ROCPRIM_400000_NS6detail17trampoline_kernelINS0_14default_configENS1_22reduce_config_selectorIlEEZNS1_11reduce_implILb1ES3_N6thrust23THRUST_200600_302600_NS11hip_rocprim26transform_input_iterator_tIlNS8_12zip_iteratorINS8_5tupleINS8_6detail15normal_iteratorINS8_10device_ptrIxEEEESH_NS8_9null_typeESI_SI_SI_SI_SI_SI_SI_EEEENS9_21zip_adj_not_predicateINS8_8equal_toIxEEEEEEPllNS8_4plusIlEEEE10hipError_tPvRmT1_T2_T3_mT4_P12ihipStream_tbEUlT_E1_NS1_11comp_targetILNS1_3genE10ELNS1_11target_archE1201ELNS1_3gpuE5ELNS1_3repE0EEENS1_30default_config_static_selectorELNS0_4arch9wavefront6targetE1EEEvSW_
; %bb.0:
	.section	.rodata,"a",@progbits
	.p2align	6, 0x0
	.amdhsa_kernel _ZN7rocprim17ROCPRIM_400000_NS6detail17trampoline_kernelINS0_14default_configENS1_22reduce_config_selectorIlEEZNS1_11reduce_implILb1ES3_N6thrust23THRUST_200600_302600_NS11hip_rocprim26transform_input_iterator_tIlNS8_12zip_iteratorINS8_5tupleINS8_6detail15normal_iteratorINS8_10device_ptrIxEEEESH_NS8_9null_typeESI_SI_SI_SI_SI_SI_SI_EEEENS9_21zip_adj_not_predicateINS8_8equal_toIxEEEEEEPllNS8_4plusIlEEEE10hipError_tPvRmT1_T2_T3_mT4_P12ihipStream_tbEUlT_E1_NS1_11comp_targetILNS1_3genE10ELNS1_11target_archE1201ELNS1_3gpuE5ELNS1_3repE0EEENS1_30default_config_static_selectorELNS0_4arch9wavefront6targetE1EEEvSW_
		.amdhsa_group_segment_fixed_size 0
		.amdhsa_private_segment_fixed_size 0
		.amdhsa_kernarg_size 64
		.amdhsa_user_sgpr_count 6
		.amdhsa_user_sgpr_private_segment_buffer 1
		.amdhsa_user_sgpr_dispatch_ptr 0
		.amdhsa_user_sgpr_queue_ptr 0
		.amdhsa_user_sgpr_kernarg_segment_ptr 1
		.amdhsa_user_sgpr_dispatch_id 0
		.amdhsa_user_sgpr_flat_scratch_init 0
		.amdhsa_user_sgpr_private_segment_size 0
		.amdhsa_uses_dynamic_stack 0
		.amdhsa_system_sgpr_private_segment_wavefront_offset 0
		.amdhsa_system_sgpr_workgroup_id_x 1
		.amdhsa_system_sgpr_workgroup_id_y 0
		.amdhsa_system_sgpr_workgroup_id_z 0
		.amdhsa_system_sgpr_workgroup_info 0
		.amdhsa_system_vgpr_workitem_id 0
		.amdhsa_next_free_vgpr 1
		.amdhsa_next_free_sgpr 0
		.amdhsa_reserve_vcc 0
		.amdhsa_reserve_flat_scratch 0
		.amdhsa_float_round_mode_32 0
		.amdhsa_float_round_mode_16_64 0
		.amdhsa_float_denorm_mode_32 3
		.amdhsa_float_denorm_mode_16_64 3
		.amdhsa_dx10_clamp 1
		.amdhsa_ieee_mode 1
		.amdhsa_fp16_overflow 0
		.amdhsa_exception_fp_ieee_invalid_op 0
		.amdhsa_exception_fp_denorm_src 0
		.amdhsa_exception_fp_ieee_div_zero 0
		.amdhsa_exception_fp_ieee_overflow 0
		.amdhsa_exception_fp_ieee_underflow 0
		.amdhsa_exception_fp_ieee_inexact 0
		.amdhsa_exception_int_div_zero 0
	.end_amdhsa_kernel
	.section	.text._ZN7rocprim17ROCPRIM_400000_NS6detail17trampoline_kernelINS0_14default_configENS1_22reduce_config_selectorIlEEZNS1_11reduce_implILb1ES3_N6thrust23THRUST_200600_302600_NS11hip_rocprim26transform_input_iterator_tIlNS8_12zip_iteratorINS8_5tupleINS8_6detail15normal_iteratorINS8_10device_ptrIxEEEESH_NS8_9null_typeESI_SI_SI_SI_SI_SI_SI_EEEENS9_21zip_adj_not_predicateINS8_8equal_toIxEEEEEEPllNS8_4plusIlEEEE10hipError_tPvRmT1_T2_T3_mT4_P12ihipStream_tbEUlT_E1_NS1_11comp_targetILNS1_3genE10ELNS1_11target_archE1201ELNS1_3gpuE5ELNS1_3repE0EEENS1_30default_config_static_selectorELNS0_4arch9wavefront6targetE1EEEvSW_,"axG",@progbits,_ZN7rocprim17ROCPRIM_400000_NS6detail17trampoline_kernelINS0_14default_configENS1_22reduce_config_selectorIlEEZNS1_11reduce_implILb1ES3_N6thrust23THRUST_200600_302600_NS11hip_rocprim26transform_input_iterator_tIlNS8_12zip_iteratorINS8_5tupleINS8_6detail15normal_iteratorINS8_10device_ptrIxEEEESH_NS8_9null_typeESI_SI_SI_SI_SI_SI_SI_EEEENS9_21zip_adj_not_predicateINS8_8equal_toIxEEEEEEPllNS8_4plusIlEEEE10hipError_tPvRmT1_T2_T3_mT4_P12ihipStream_tbEUlT_E1_NS1_11comp_targetILNS1_3genE10ELNS1_11target_archE1201ELNS1_3gpuE5ELNS1_3repE0EEENS1_30default_config_static_selectorELNS0_4arch9wavefront6targetE1EEEvSW_,comdat
.Lfunc_end937:
	.size	_ZN7rocprim17ROCPRIM_400000_NS6detail17trampoline_kernelINS0_14default_configENS1_22reduce_config_selectorIlEEZNS1_11reduce_implILb1ES3_N6thrust23THRUST_200600_302600_NS11hip_rocprim26transform_input_iterator_tIlNS8_12zip_iteratorINS8_5tupleINS8_6detail15normal_iteratorINS8_10device_ptrIxEEEESH_NS8_9null_typeESI_SI_SI_SI_SI_SI_SI_EEEENS9_21zip_adj_not_predicateINS8_8equal_toIxEEEEEEPllNS8_4plusIlEEEE10hipError_tPvRmT1_T2_T3_mT4_P12ihipStream_tbEUlT_E1_NS1_11comp_targetILNS1_3genE10ELNS1_11target_archE1201ELNS1_3gpuE5ELNS1_3repE0EEENS1_30default_config_static_selectorELNS0_4arch9wavefront6targetE1EEEvSW_, .Lfunc_end937-_ZN7rocprim17ROCPRIM_400000_NS6detail17trampoline_kernelINS0_14default_configENS1_22reduce_config_selectorIlEEZNS1_11reduce_implILb1ES3_N6thrust23THRUST_200600_302600_NS11hip_rocprim26transform_input_iterator_tIlNS8_12zip_iteratorINS8_5tupleINS8_6detail15normal_iteratorINS8_10device_ptrIxEEEESH_NS8_9null_typeESI_SI_SI_SI_SI_SI_SI_EEEENS9_21zip_adj_not_predicateINS8_8equal_toIxEEEEEEPllNS8_4plusIlEEEE10hipError_tPvRmT1_T2_T3_mT4_P12ihipStream_tbEUlT_E1_NS1_11comp_targetILNS1_3genE10ELNS1_11target_archE1201ELNS1_3gpuE5ELNS1_3repE0EEENS1_30default_config_static_selectorELNS0_4arch9wavefront6targetE1EEEvSW_
                                        ; -- End function
	.set _ZN7rocprim17ROCPRIM_400000_NS6detail17trampoline_kernelINS0_14default_configENS1_22reduce_config_selectorIlEEZNS1_11reduce_implILb1ES3_N6thrust23THRUST_200600_302600_NS11hip_rocprim26transform_input_iterator_tIlNS8_12zip_iteratorINS8_5tupleINS8_6detail15normal_iteratorINS8_10device_ptrIxEEEESH_NS8_9null_typeESI_SI_SI_SI_SI_SI_SI_EEEENS9_21zip_adj_not_predicateINS8_8equal_toIxEEEEEEPllNS8_4plusIlEEEE10hipError_tPvRmT1_T2_T3_mT4_P12ihipStream_tbEUlT_E1_NS1_11comp_targetILNS1_3genE10ELNS1_11target_archE1201ELNS1_3gpuE5ELNS1_3repE0EEENS1_30default_config_static_selectorELNS0_4arch9wavefront6targetE1EEEvSW_.num_vgpr, 0
	.set _ZN7rocprim17ROCPRIM_400000_NS6detail17trampoline_kernelINS0_14default_configENS1_22reduce_config_selectorIlEEZNS1_11reduce_implILb1ES3_N6thrust23THRUST_200600_302600_NS11hip_rocprim26transform_input_iterator_tIlNS8_12zip_iteratorINS8_5tupleINS8_6detail15normal_iteratorINS8_10device_ptrIxEEEESH_NS8_9null_typeESI_SI_SI_SI_SI_SI_SI_EEEENS9_21zip_adj_not_predicateINS8_8equal_toIxEEEEEEPllNS8_4plusIlEEEE10hipError_tPvRmT1_T2_T3_mT4_P12ihipStream_tbEUlT_E1_NS1_11comp_targetILNS1_3genE10ELNS1_11target_archE1201ELNS1_3gpuE5ELNS1_3repE0EEENS1_30default_config_static_selectorELNS0_4arch9wavefront6targetE1EEEvSW_.num_agpr, 0
	.set _ZN7rocprim17ROCPRIM_400000_NS6detail17trampoline_kernelINS0_14default_configENS1_22reduce_config_selectorIlEEZNS1_11reduce_implILb1ES3_N6thrust23THRUST_200600_302600_NS11hip_rocprim26transform_input_iterator_tIlNS8_12zip_iteratorINS8_5tupleINS8_6detail15normal_iteratorINS8_10device_ptrIxEEEESH_NS8_9null_typeESI_SI_SI_SI_SI_SI_SI_EEEENS9_21zip_adj_not_predicateINS8_8equal_toIxEEEEEEPllNS8_4plusIlEEEE10hipError_tPvRmT1_T2_T3_mT4_P12ihipStream_tbEUlT_E1_NS1_11comp_targetILNS1_3genE10ELNS1_11target_archE1201ELNS1_3gpuE5ELNS1_3repE0EEENS1_30default_config_static_selectorELNS0_4arch9wavefront6targetE1EEEvSW_.numbered_sgpr, 0
	.set _ZN7rocprim17ROCPRIM_400000_NS6detail17trampoline_kernelINS0_14default_configENS1_22reduce_config_selectorIlEEZNS1_11reduce_implILb1ES3_N6thrust23THRUST_200600_302600_NS11hip_rocprim26transform_input_iterator_tIlNS8_12zip_iteratorINS8_5tupleINS8_6detail15normal_iteratorINS8_10device_ptrIxEEEESH_NS8_9null_typeESI_SI_SI_SI_SI_SI_SI_EEEENS9_21zip_adj_not_predicateINS8_8equal_toIxEEEEEEPllNS8_4plusIlEEEE10hipError_tPvRmT1_T2_T3_mT4_P12ihipStream_tbEUlT_E1_NS1_11comp_targetILNS1_3genE10ELNS1_11target_archE1201ELNS1_3gpuE5ELNS1_3repE0EEENS1_30default_config_static_selectorELNS0_4arch9wavefront6targetE1EEEvSW_.num_named_barrier, 0
	.set _ZN7rocprim17ROCPRIM_400000_NS6detail17trampoline_kernelINS0_14default_configENS1_22reduce_config_selectorIlEEZNS1_11reduce_implILb1ES3_N6thrust23THRUST_200600_302600_NS11hip_rocprim26transform_input_iterator_tIlNS8_12zip_iteratorINS8_5tupleINS8_6detail15normal_iteratorINS8_10device_ptrIxEEEESH_NS8_9null_typeESI_SI_SI_SI_SI_SI_SI_EEEENS9_21zip_adj_not_predicateINS8_8equal_toIxEEEEEEPllNS8_4plusIlEEEE10hipError_tPvRmT1_T2_T3_mT4_P12ihipStream_tbEUlT_E1_NS1_11comp_targetILNS1_3genE10ELNS1_11target_archE1201ELNS1_3gpuE5ELNS1_3repE0EEENS1_30default_config_static_selectorELNS0_4arch9wavefront6targetE1EEEvSW_.private_seg_size, 0
	.set _ZN7rocprim17ROCPRIM_400000_NS6detail17trampoline_kernelINS0_14default_configENS1_22reduce_config_selectorIlEEZNS1_11reduce_implILb1ES3_N6thrust23THRUST_200600_302600_NS11hip_rocprim26transform_input_iterator_tIlNS8_12zip_iteratorINS8_5tupleINS8_6detail15normal_iteratorINS8_10device_ptrIxEEEESH_NS8_9null_typeESI_SI_SI_SI_SI_SI_SI_EEEENS9_21zip_adj_not_predicateINS8_8equal_toIxEEEEEEPllNS8_4plusIlEEEE10hipError_tPvRmT1_T2_T3_mT4_P12ihipStream_tbEUlT_E1_NS1_11comp_targetILNS1_3genE10ELNS1_11target_archE1201ELNS1_3gpuE5ELNS1_3repE0EEENS1_30default_config_static_selectorELNS0_4arch9wavefront6targetE1EEEvSW_.uses_vcc, 0
	.set _ZN7rocprim17ROCPRIM_400000_NS6detail17trampoline_kernelINS0_14default_configENS1_22reduce_config_selectorIlEEZNS1_11reduce_implILb1ES3_N6thrust23THRUST_200600_302600_NS11hip_rocprim26transform_input_iterator_tIlNS8_12zip_iteratorINS8_5tupleINS8_6detail15normal_iteratorINS8_10device_ptrIxEEEESH_NS8_9null_typeESI_SI_SI_SI_SI_SI_SI_EEEENS9_21zip_adj_not_predicateINS8_8equal_toIxEEEEEEPllNS8_4plusIlEEEE10hipError_tPvRmT1_T2_T3_mT4_P12ihipStream_tbEUlT_E1_NS1_11comp_targetILNS1_3genE10ELNS1_11target_archE1201ELNS1_3gpuE5ELNS1_3repE0EEENS1_30default_config_static_selectorELNS0_4arch9wavefront6targetE1EEEvSW_.uses_flat_scratch, 0
	.set _ZN7rocprim17ROCPRIM_400000_NS6detail17trampoline_kernelINS0_14default_configENS1_22reduce_config_selectorIlEEZNS1_11reduce_implILb1ES3_N6thrust23THRUST_200600_302600_NS11hip_rocprim26transform_input_iterator_tIlNS8_12zip_iteratorINS8_5tupleINS8_6detail15normal_iteratorINS8_10device_ptrIxEEEESH_NS8_9null_typeESI_SI_SI_SI_SI_SI_SI_EEEENS9_21zip_adj_not_predicateINS8_8equal_toIxEEEEEEPllNS8_4plusIlEEEE10hipError_tPvRmT1_T2_T3_mT4_P12ihipStream_tbEUlT_E1_NS1_11comp_targetILNS1_3genE10ELNS1_11target_archE1201ELNS1_3gpuE5ELNS1_3repE0EEENS1_30default_config_static_selectorELNS0_4arch9wavefront6targetE1EEEvSW_.has_dyn_sized_stack, 0
	.set _ZN7rocprim17ROCPRIM_400000_NS6detail17trampoline_kernelINS0_14default_configENS1_22reduce_config_selectorIlEEZNS1_11reduce_implILb1ES3_N6thrust23THRUST_200600_302600_NS11hip_rocprim26transform_input_iterator_tIlNS8_12zip_iteratorINS8_5tupleINS8_6detail15normal_iteratorINS8_10device_ptrIxEEEESH_NS8_9null_typeESI_SI_SI_SI_SI_SI_SI_EEEENS9_21zip_adj_not_predicateINS8_8equal_toIxEEEEEEPllNS8_4plusIlEEEE10hipError_tPvRmT1_T2_T3_mT4_P12ihipStream_tbEUlT_E1_NS1_11comp_targetILNS1_3genE10ELNS1_11target_archE1201ELNS1_3gpuE5ELNS1_3repE0EEENS1_30default_config_static_selectorELNS0_4arch9wavefront6targetE1EEEvSW_.has_recursion, 0
	.set _ZN7rocprim17ROCPRIM_400000_NS6detail17trampoline_kernelINS0_14default_configENS1_22reduce_config_selectorIlEEZNS1_11reduce_implILb1ES3_N6thrust23THRUST_200600_302600_NS11hip_rocprim26transform_input_iterator_tIlNS8_12zip_iteratorINS8_5tupleINS8_6detail15normal_iteratorINS8_10device_ptrIxEEEESH_NS8_9null_typeESI_SI_SI_SI_SI_SI_SI_EEEENS9_21zip_adj_not_predicateINS8_8equal_toIxEEEEEEPllNS8_4plusIlEEEE10hipError_tPvRmT1_T2_T3_mT4_P12ihipStream_tbEUlT_E1_NS1_11comp_targetILNS1_3genE10ELNS1_11target_archE1201ELNS1_3gpuE5ELNS1_3repE0EEENS1_30default_config_static_selectorELNS0_4arch9wavefront6targetE1EEEvSW_.has_indirect_call, 0
	.section	.AMDGPU.csdata,"",@progbits
; Kernel info:
; codeLenInByte = 0
; TotalNumSgprs: 4
; NumVgprs: 0
; ScratchSize: 0
; MemoryBound: 0
; FloatMode: 240
; IeeeMode: 1
; LDSByteSize: 0 bytes/workgroup (compile time only)
; SGPRBlocks: 0
; VGPRBlocks: 0
; NumSGPRsForWavesPerEU: 4
; NumVGPRsForWavesPerEU: 1
; Occupancy: 10
; WaveLimiterHint : 0
; COMPUTE_PGM_RSRC2:SCRATCH_EN: 0
; COMPUTE_PGM_RSRC2:USER_SGPR: 6
; COMPUTE_PGM_RSRC2:TRAP_HANDLER: 0
; COMPUTE_PGM_RSRC2:TGID_X_EN: 1
; COMPUTE_PGM_RSRC2:TGID_Y_EN: 0
; COMPUTE_PGM_RSRC2:TGID_Z_EN: 0
; COMPUTE_PGM_RSRC2:TIDIG_COMP_CNT: 0
	.section	.text._ZN7rocprim17ROCPRIM_400000_NS6detail17trampoline_kernelINS0_14default_configENS1_22reduce_config_selectorIlEEZNS1_11reduce_implILb1ES3_N6thrust23THRUST_200600_302600_NS11hip_rocprim26transform_input_iterator_tIlNS8_12zip_iteratorINS8_5tupleINS8_6detail15normal_iteratorINS8_10device_ptrIxEEEESH_NS8_9null_typeESI_SI_SI_SI_SI_SI_SI_EEEENS9_21zip_adj_not_predicateINS8_8equal_toIxEEEEEEPllNS8_4plusIlEEEE10hipError_tPvRmT1_T2_T3_mT4_P12ihipStream_tbEUlT_E1_NS1_11comp_targetILNS1_3genE10ELNS1_11target_archE1200ELNS1_3gpuE4ELNS1_3repE0EEENS1_30default_config_static_selectorELNS0_4arch9wavefront6targetE1EEEvSW_,"axG",@progbits,_ZN7rocprim17ROCPRIM_400000_NS6detail17trampoline_kernelINS0_14default_configENS1_22reduce_config_selectorIlEEZNS1_11reduce_implILb1ES3_N6thrust23THRUST_200600_302600_NS11hip_rocprim26transform_input_iterator_tIlNS8_12zip_iteratorINS8_5tupleINS8_6detail15normal_iteratorINS8_10device_ptrIxEEEESH_NS8_9null_typeESI_SI_SI_SI_SI_SI_SI_EEEENS9_21zip_adj_not_predicateINS8_8equal_toIxEEEEEEPllNS8_4plusIlEEEE10hipError_tPvRmT1_T2_T3_mT4_P12ihipStream_tbEUlT_E1_NS1_11comp_targetILNS1_3genE10ELNS1_11target_archE1200ELNS1_3gpuE4ELNS1_3repE0EEENS1_30default_config_static_selectorELNS0_4arch9wavefront6targetE1EEEvSW_,comdat
	.protected	_ZN7rocprim17ROCPRIM_400000_NS6detail17trampoline_kernelINS0_14default_configENS1_22reduce_config_selectorIlEEZNS1_11reduce_implILb1ES3_N6thrust23THRUST_200600_302600_NS11hip_rocprim26transform_input_iterator_tIlNS8_12zip_iteratorINS8_5tupleINS8_6detail15normal_iteratorINS8_10device_ptrIxEEEESH_NS8_9null_typeESI_SI_SI_SI_SI_SI_SI_EEEENS9_21zip_adj_not_predicateINS8_8equal_toIxEEEEEEPllNS8_4plusIlEEEE10hipError_tPvRmT1_T2_T3_mT4_P12ihipStream_tbEUlT_E1_NS1_11comp_targetILNS1_3genE10ELNS1_11target_archE1200ELNS1_3gpuE4ELNS1_3repE0EEENS1_30default_config_static_selectorELNS0_4arch9wavefront6targetE1EEEvSW_ ; -- Begin function _ZN7rocprim17ROCPRIM_400000_NS6detail17trampoline_kernelINS0_14default_configENS1_22reduce_config_selectorIlEEZNS1_11reduce_implILb1ES3_N6thrust23THRUST_200600_302600_NS11hip_rocprim26transform_input_iterator_tIlNS8_12zip_iteratorINS8_5tupleINS8_6detail15normal_iteratorINS8_10device_ptrIxEEEESH_NS8_9null_typeESI_SI_SI_SI_SI_SI_SI_EEEENS9_21zip_adj_not_predicateINS8_8equal_toIxEEEEEEPllNS8_4plusIlEEEE10hipError_tPvRmT1_T2_T3_mT4_P12ihipStream_tbEUlT_E1_NS1_11comp_targetILNS1_3genE10ELNS1_11target_archE1200ELNS1_3gpuE4ELNS1_3repE0EEENS1_30default_config_static_selectorELNS0_4arch9wavefront6targetE1EEEvSW_
	.globl	_ZN7rocprim17ROCPRIM_400000_NS6detail17trampoline_kernelINS0_14default_configENS1_22reduce_config_selectorIlEEZNS1_11reduce_implILb1ES3_N6thrust23THRUST_200600_302600_NS11hip_rocprim26transform_input_iterator_tIlNS8_12zip_iteratorINS8_5tupleINS8_6detail15normal_iteratorINS8_10device_ptrIxEEEESH_NS8_9null_typeESI_SI_SI_SI_SI_SI_SI_EEEENS9_21zip_adj_not_predicateINS8_8equal_toIxEEEEEEPllNS8_4plusIlEEEE10hipError_tPvRmT1_T2_T3_mT4_P12ihipStream_tbEUlT_E1_NS1_11comp_targetILNS1_3genE10ELNS1_11target_archE1200ELNS1_3gpuE4ELNS1_3repE0EEENS1_30default_config_static_selectorELNS0_4arch9wavefront6targetE1EEEvSW_
	.p2align	8
	.type	_ZN7rocprim17ROCPRIM_400000_NS6detail17trampoline_kernelINS0_14default_configENS1_22reduce_config_selectorIlEEZNS1_11reduce_implILb1ES3_N6thrust23THRUST_200600_302600_NS11hip_rocprim26transform_input_iterator_tIlNS8_12zip_iteratorINS8_5tupleINS8_6detail15normal_iteratorINS8_10device_ptrIxEEEESH_NS8_9null_typeESI_SI_SI_SI_SI_SI_SI_EEEENS9_21zip_adj_not_predicateINS8_8equal_toIxEEEEEEPllNS8_4plusIlEEEE10hipError_tPvRmT1_T2_T3_mT4_P12ihipStream_tbEUlT_E1_NS1_11comp_targetILNS1_3genE10ELNS1_11target_archE1200ELNS1_3gpuE4ELNS1_3repE0EEENS1_30default_config_static_selectorELNS0_4arch9wavefront6targetE1EEEvSW_,@function
_ZN7rocprim17ROCPRIM_400000_NS6detail17trampoline_kernelINS0_14default_configENS1_22reduce_config_selectorIlEEZNS1_11reduce_implILb1ES3_N6thrust23THRUST_200600_302600_NS11hip_rocprim26transform_input_iterator_tIlNS8_12zip_iteratorINS8_5tupleINS8_6detail15normal_iteratorINS8_10device_ptrIxEEEESH_NS8_9null_typeESI_SI_SI_SI_SI_SI_SI_EEEENS9_21zip_adj_not_predicateINS8_8equal_toIxEEEEEEPllNS8_4plusIlEEEE10hipError_tPvRmT1_T2_T3_mT4_P12ihipStream_tbEUlT_E1_NS1_11comp_targetILNS1_3genE10ELNS1_11target_archE1200ELNS1_3gpuE4ELNS1_3repE0EEENS1_30default_config_static_selectorELNS0_4arch9wavefront6targetE1EEEvSW_: ; @_ZN7rocprim17ROCPRIM_400000_NS6detail17trampoline_kernelINS0_14default_configENS1_22reduce_config_selectorIlEEZNS1_11reduce_implILb1ES3_N6thrust23THRUST_200600_302600_NS11hip_rocprim26transform_input_iterator_tIlNS8_12zip_iteratorINS8_5tupleINS8_6detail15normal_iteratorINS8_10device_ptrIxEEEESH_NS8_9null_typeESI_SI_SI_SI_SI_SI_SI_EEEENS9_21zip_adj_not_predicateINS8_8equal_toIxEEEEEEPllNS8_4plusIlEEEE10hipError_tPvRmT1_T2_T3_mT4_P12ihipStream_tbEUlT_E1_NS1_11comp_targetILNS1_3genE10ELNS1_11target_archE1200ELNS1_3gpuE4ELNS1_3repE0EEENS1_30default_config_static_selectorELNS0_4arch9wavefront6targetE1EEEvSW_
; %bb.0:
	.section	.rodata,"a",@progbits
	.p2align	6, 0x0
	.amdhsa_kernel _ZN7rocprim17ROCPRIM_400000_NS6detail17trampoline_kernelINS0_14default_configENS1_22reduce_config_selectorIlEEZNS1_11reduce_implILb1ES3_N6thrust23THRUST_200600_302600_NS11hip_rocprim26transform_input_iterator_tIlNS8_12zip_iteratorINS8_5tupleINS8_6detail15normal_iteratorINS8_10device_ptrIxEEEESH_NS8_9null_typeESI_SI_SI_SI_SI_SI_SI_EEEENS9_21zip_adj_not_predicateINS8_8equal_toIxEEEEEEPllNS8_4plusIlEEEE10hipError_tPvRmT1_T2_T3_mT4_P12ihipStream_tbEUlT_E1_NS1_11comp_targetILNS1_3genE10ELNS1_11target_archE1200ELNS1_3gpuE4ELNS1_3repE0EEENS1_30default_config_static_selectorELNS0_4arch9wavefront6targetE1EEEvSW_
		.amdhsa_group_segment_fixed_size 0
		.amdhsa_private_segment_fixed_size 0
		.amdhsa_kernarg_size 64
		.amdhsa_user_sgpr_count 6
		.amdhsa_user_sgpr_private_segment_buffer 1
		.amdhsa_user_sgpr_dispatch_ptr 0
		.amdhsa_user_sgpr_queue_ptr 0
		.amdhsa_user_sgpr_kernarg_segment_ptr 1
		.amdhsa_user_sgpr_dispatch_id 0
		.amdhsa_user_sgpr_flat_scratch_init 0
		.amdhsa_user_sgpr_private_segment_size 0
		.amdhsa_uses_dynamic_stack 0
		.amdhsa_system_sgpr_private_segment_wavefront_offset 0
		.amdhsa_system_sgpr_workgroup_id_x 1
		.amdhsa_system_sgpr_workgroup_id_y 0
		.amdhsa_system_sgpr_workgroup_id_z 0
		.amdhsa_system_sgpr_workgroup_info 0
		.amdhsa_system_vgpr_workitem_id 0
		.amdhsa_next_free_vgpr 1
		.amdhsa_next_free_sgpr 0
		.amdhsa_reserve_vcc 0
		.amdhsa_reserve_flat_scratch 0
		.amdhsa_float_round_mode_32 0
		.amdhsa_float_round_mode_16_64 0
		.amdhsa_float_denorm_mode_32 3
		.amdhsa_float_denorm_mode_16_64 3
		.amdhsa_dx10_clamp 1
		.amdhsa_ieee_mode 1
		.amdhsa_fp16_overflow 0
		.amdhsa_exception_fp_ieee_invalid_op 0
		.amdhsa_exception_fp_denorm_src 0
		.amdhsa_exception_fp_ieee_div_zero 0
		.amdhsa_exception_fp_ieee_overflow 0
		.amdhsa_exception_fp_ieee_underflow 0
		.amdhsa_exception_fp_ieee_inexact 0
		.amdhsa_exception_int_div_zero 0
	.end_amdhsa_kernel
	.section	.text._ZN7rocprim17ROCPRIM_400000_NS6detail17trampoline_kernelINS0_14default_configENS1_22reduce_config_selectorIlEEZNS1_11reduce_implILb1ES3_N6thrust23THRUST_200600_302600_NS11hip_rocprim26transform_input_iterator_tIlNS8_12zip_iteratorINS8_5tupleINS8_6detail15normal_iteratorINS8_10device_ptrIxEEEESH_NS8_9null_typeESI_SI_SI_SI_SI_SI_SI_EEEENS9_21zip_adj_not_predicateINS8_8equal_toIxEEEEEEPllNS8_4plusIlEEEE10hipError_tPvRmT1_T2_T3_mT4_P12ihipStream_tbEUlT_E1_NS1_11comp_targetILNS1_3genE10ELNS1_11target_archE1200ELNS1_3gpuE4ELNS1_3repE0EEENS1_30default_config_static_selectorELNS0_4arch9wavefront6targetE1EEEvSW_,"axG",@progbits,_ZN7rocprim17ROCPRIM_400000_NS6detail17trampoline_kernelINS0_14default_configENS1_22reduce_config_selectorIlEEZNS1_11reduce_implILb1ES3_N6thrust23THRUST_200600_302600_NS11hip_rocprim26transform_input_iterator_tIlNS8_12zip_iteratorINS8_5tupleINS8_6detail15normal_iteratorINS8_10device_ptrIxEEEESH_NS8_9null_typeESI_SI_SI_SI_SI_SI_SI_EEEENS9_21zip_adj_not_predicateINS8_8equal_toIxEEEEEEPllNS8_4plusIlEEEE10hipError_tPvRmT1_T2_T3_mT4_P12ihipStream_tbEUlT_E1_NS1_11comp_targetILNS1_3genE10ELNS1_11target_archE1200ELNS1_3gpuE4ELNS1_3repE0EEENS1_30default_config_static_selectorELNS0_4arch9wavefront6targetE1EEEvSW_,comdat
.Lfunc_end938:
	.size	_ZN7rocprim17ROCPRIM_400000_NS6detail17trampoline_kernelINS0_14default_configENS1_22reduce_config_selectorIlEEZNS1_11reduce_implILb1ES3_N6thrust23THRUST_200600_302600_NS11hip_rocprim26transform_input_iterator_tIlNS8_12zip_iteratorINS8_5tupleINS8_6detail15normal_iteratorINS8_10device_ptrIxEEEESH_NS8_9null_typeESI_SI_SI_SI_SI_SI_SI_EEEENS9_21zip_adj_not_predicateINS8_8equal_toIxEEEEEEPllNS8_4plusIlEEEE10hipError_tPvRmT1_T2_T3_mT4_P12ihipStream_tbEUlT_E1_NS1_11comp_targetILNS1_3genE10ELNS1_11target_archE1200ELNS1_3gpuE4ELNS1_3repE0EEENS1_30default_config_static_selectorELNS0_4arch9wavefront6targetE1EEEvSW_, .Lfunc_end938-_ZN7rocprim17ROCPRIM_400000_NS6detail17trampoline_kernelINS0_14default_configENS1_22reduce_config_selectorIlEEZNS1_11reduce_implILb1ES3_N6thrust23THRUST_200600_302600_NS11hip_rocprim26transform_input_iterator_tIlNS8_12zip_iteratorINS8_5tupleINS8_6detail15normal_iteratorINS8_10device_ptrIxEEEESH_NS8_9null_typeESI_SI_SI_SI_SI_SI_SI_EEEENS9_21zip_adj_not_predicateINS8_8equal_toIxEEEEEEPllNS8_4plusIlEEEE10hipError_tPvRmT1_T2_T3_mT4_P12ihipStream_tbEUlT_E1_NS1_11comp_targetILNS1_3genE10ELNS1_11target_archE1200ELNS1_3gpuE4ELNS1_3repE0EEENS1_30default_config_static_selectorELNS0_4arch9wavefront6targetE1EEEvSW_
                                        ; -- End function
	.set _ZN7rocprim17ROCPRIM_400000_NS6detail17trampoline_kernelINS0_14default_configENS1_22reduce_config_selectorIlEEZNS1_11reduce_implILb1ES3_N6thrust23THRUST_200600_302600_NS11hip_rocprim26transform_input_iterator_tIlNS8_12zip_iteratorINS8_5tupleINS8_6detail15normal_iteratorINS8_10device_ptrIxEEEESH_NS8_9null_typeESI_SI_SI_SI_SI_SI_SI_EEEENS9_21zip_adj_not_predicateINS8_8equal_toIxEEEEEEPllNS8_4plusIlEEEE10hipError_tPvRmT1_T2_T3_mT4_P12ihipStream_tbEUlT_E1_NS1_11comp_targetILNS1_3genE10ELNS1_11target_archE1200ELNS1_3gpuE4ELNS1_3repE0EEENS1_30default_config_static_selectorELNS0_4arch9wavefront6targetE1EEEvSW_.num_vgpr, 0
	.set _ZN7rocprim17ROCPRIM_400000_NS6detail17trampoline_kernelINS0_14default_configENS1_22reduce_config_selectorIlEEZNS1_11reduce_implILb1ES3_N6thrust23THRUST_200600_302600_NS11hip_rocprim26transform_input_iterator_tIlNS8_12zip_iteratorINS8_5tupleINS8_6detail15normal_iteratorINS8_10device_ptrIxEEEESH_NS8_9null_typeESI_SI_SI_SI_SI_SI_SI_EEEENS9_21zip_adj_not_predicateINS8_8equal_toIxEEEEEEPllNS8_4plusIlEEEE10hipError_tPvRmT1_T2_T3_mT4_P12ihipStream_tbEUlT_E1_NS1_11comp_targetILNS1_3genE10ELNS1_11target_archE1200ELNS1_3gpuE4ELNS1_3repE0EEENS1_30default_config_static_selectorELNS0_4arch9wavefront6targetE1EEEvSW_.num_agpr, 0
	.set _ZN7rocprim17ROCPRIM_400000_NS6detail17trampoline_kernelINS0_14default_configENS1_22reduce_config_selectorIlEEZNS1_11reduce_implILb1ES3_N6thrust23THRUST_200600_302600_NS11hip_rocprim26transform_input_iterator_tIlNS8_12zip_iteratorINS8_5tupleINS8_6detail15normal_iteratorINS8_10device_ptrIxEEEESH_NS8_9null_typeESI_SI_SI_SI_SI_SI_SI_EEEENS9_21zip_adj_not_predicateINS8_8equal_toIxEEEEEEPllNS8_4plusIlEEEE10hipError_tPvRmT1_T2_T3_mT4_P12ihipStream_tbEUlT_E1_NS1_11comp_targetILNS1_3genE10ELNS1_11target_archE1200ELNS1_3gpuE4ELNS1_3repE0EEENS1_30default_config_static_selectorELNS0_4arch9wavefront6targetE1EEEvSW_.numbered_sgpr, 0
	.set _ZN7rocprim17ROCPRIM_400000_NS6detail17trampoline_kernelINS0_14default_configENS1_22reduce_config_selectorIlEEZNS1_11reduce_implILb1ES3_N6thrust23THRUST_200600_302600_NS11hip_rocprim26transform_input_iterator_tIlNS8_12zip_iteratorINS8_5tupleINS8_6detail15normal_iteratorINS8_10device_ptrIxEEEESH_NS8_9null_typeESI_SI_SI_SI_SI_SI_SI_EEEENS9_21zip_adj_not_predicateINS8_8equal_toIxEEEEEEPllNS8_4plusIlEEEE10hipError_tPvRmT1_T2_T3_mT4_P12ihipStream_tbEUlT_E1_NS1_11comp_targetILNS1_3genE10ELNS1_11target_archE1200ELNS1_3gpuE4ELNS1_3repE0EEENS1_30default_config_static_selectorELNS0_4arch9wavefront6targetE1EEEvSW_.num_named_barrier, 0
	.set _ZN7rocprim17ROCPRIM_400000_NS6detail17trampoline_kernelINS0_14default_configENS1_22reduce_config_selectorIlEEZNS1_11reduce_implILb1ES3_N6thrust23THRUST_200600_302600_NS11hip_rocprim26transform_input_iterator_tIlNS8_12zip_iteratorINS8_5tupleINS8_6detail15normal_iteratorINS8_10device_ptrIxEEEESH_NS8_9null_typeESI_SI_SI_SI_SI_SI_SI_EEEENS9_21zip_adj_not_predicateINS8_8equal_toIxEEEEEEPllNS8_4plusIlEEEE10hipError_tPvRmT1_T2_T3_mT4_P12ihipStream_tbEUlT_E1_NS1_11comp_targetILNS1_3genE10ELNS1_11target_archE1200ELNS1_3gpuE4ELNS1_3repE0EEENS1_30default_config_static_selectorELNS0_4arch9wavefront6targetE1EEEvSW_.private_seg_size, 0
	.set _ZN7rocprim17ROCPRIM_400000_NS6detail17trampoline_kernelINS0_14default_configENS1_22reduce_config_selectorIlEEZNS1_11reduce_implILb1ES3_N6thrust23THRUST_200600_302600_NS11hip_rocprim26transform_input_iterator_tIlNS8_12zip_iteratorINS8_5tupleINS8_6detail15normal_iteratorINS8_10device_ptrIxEEEESH_NS8_9null_typeESI_SI_SI_SI_SI_SI_SI_EEEENS9_21zip_adj_not_predicateINS8_8equal_toIxEEEEEEPllNS8_4plusIlEEEE10hipError_tPvRmT1_T2_T3_mT4_P12ihipStream_tbEUlT_E1_NS1_11comp_targetILNS1_3genE10ELNS1_11target_archE1200ELNS1_3gpuE4ELNS1_3repE0EEENS1_30default_config_static_selectorELNS0_4arch9wavefront6targetE1EEEvSW_.uses_vcc, 0
	.set _ZN7rocprim17ROCPRIM_400000_NS6detail17trampoline_kernelINS0_14default_configENS1_22reduce_config_selectorIlEEZNS1_11reduce_implILb1ES3_N6thrust23THRUST_200600_302600_NS11hip_rocprim26transform_input_iterator_tIlNS8_12zip_iteratorINS8_5tupleINS8_6detail15normal_iteratorINS8_10device_ptrIxEEEESH_NS8_9null_typeESI_SI_SI_SI_SI_SI_SI_EEEENS9_21zip_adj_not_predicateINS8_8equal_toIxEEEEEEPllNS8_4plusIlEEEE10hipError_tPvRmT1_T2_T3_mT4_P12ihipStream_tbEUlT_E1_NS1_11comp_targetILNS1_3genE10ELNS1_11target_archE1200ELNS1_3gpuE4ELNS1_3repE0EEENS1_30default_config_static_selectorELNS0_4arch9wavefront6targetE1EEEvSW_.uses_flat_scratch, 0
	.set _ZN7rocprim17ROCPRIM_400000_NS6detail17trampoline_kernelINS0_14default_configENS1_22reduce_config_selectorIlEEZNS1_11reduce_implILb1ES3_N6thrust23THRUST_200600_302600_NS11hip_rocprim26transform_input_iterator_tIlNS8_12zip_iteratorINS8_5tupleINS8_6detail15normal_iteratorINS8_10device_ptrIxEEEESH_NS8_9null_typeESI_SI_SI_SI_SI_SI_SI_EEEENS9_21zip_adj_not_predicateINS8_8equal_toIxEEEEEEPllNS8_4plusIlEEEE10hipError_tPvRmT1_T2_T3_mT4_P12ihipStream_tbEUlT_E1_NS1_11comp_targetILNS1_3genE10ELNS1_11target_archE1200ELNS1_3gpuE4ELNS1_3repE0EEENS1_30default_config_static_selectorELNS0_4arch9wavefront6targetE1EEEvSW_.has_dyn_sized_stack, 0
	.set _ZN7rocprim17ROCPRIM_400000_NS6detail17trampoline_kernelINS0_14default_configENS1_22reduce_config_selectorIlEEZNS1_11reduce_implILb1ES3_N6thrust23THRUST_200600_302600_NS11hip_rocprim26transform_input_iterator_tIlNS8_12zip_iteratorINS8_5tupleINS8_6detail15normal_iteratorINS8_10device_ptrIxEEEESH_NS8_9null_typeESI_SI_SI_SI_SI_SI_SI_EEEENS9_21zip_adj_not_predicateINS8_8equal_toIxEEEEEEPllNS8_4plusIlEEEE10hipError_tPvRmT1_T2_T3_mT4_P12ihipStream_tbEUlT_E1_NS1_11comp_targetILNS1_3genE10ELNS1_11target_archE1200ELNS1_3gpuE4ELNS1_3repE0EEENS1_30default_config_static_selectorELNS0_4arch9wavefront6targetE1EEEvSW_.has_recursion, 0
	.set _ZN7rocprim17ROCPRIM_400000_NS6detail17trampoline_kernelINS0_14default_configENS1_22reduce_config_selectorIlEEZNS1_11reduce_implILb1ES3_N6thrust23THRUST_200600_302600_NS11hip_rocprim26transform_input_iterator_tIlNS8_12zip_iteratorINS8_5tupleINS8_6detail15normal_iteratorINS8_10device_ptrIxEEEESH_NS8_9null_typeESI_SI_SI_SI_SI_SI_SI_EEEENS9_21zip_adj_not_predicateINS8_8equal_toIxEEEEEEPllNS8_4plusIlEEEE10hipError_tPvRmT1_T2_T3_mT4_P12ihipStream_tbEUlT_E1_NS1_11comp_targetILNS1_3genE10ELNS1_11target_archE1200ELNS1_3gpuE4ELNS1_3repE0EEENS1_30default_config_static_selectorELNS0_4arch9wavefront6targetE1EEEvSW_.has_indirect_call, 0
	.section	.AMDGPU.csdata,"",@progbits
; Kernel info:
; codeLenInByte = 0
; TotalNumSgprs: 4
; NumVgprs: 0
; ScratchSize: 0
; MemoryBound: 0
; FloatMode: 240
; IeeeMode: 1
; LDSByteSize: 0 bytes/workgroup (compile time only)
; SGPRBlocks: 0
; VGPRBlocks: 0
; NumSGPRsForWavesPerEU: 4
; NumVGPRsForWavesPerEU: 1
; Occupancy: 10
; WaveLimiterHint : 0
; COMPUTE_PGM_RSRC2:SCRATCH_EN: 0
; COMPUTE_PGM_RSRC2:USER_SGPR: 6
; COMPUTE_PGM_RSRC2:TRAP_HANDLER: 0
; COMPUTE_PGM_RSRC2:TGID_X_EN: 1
; COMPUTE_PGM_RSRC2:TGID_Y_EN: 0
; COMPUTE_PGM_RSRC2:TGID_Z_EN: 0
; COMPUTE_PGM_RSRC2:TIDIG_COMP_CNT: 0
	.section	.text._ZN7rocprim17ROCPRIM_400000_NS6detail17trampoline_kernelINS0_14default_configENS1_22reduce_config_selectorIlEEZNS1_11reduce_implILb1ES3_N6thrust23THRUST_200600_302600_NS11hip_rocprim26transform_input_iterator_tIlNS8_12zip_iteratorINS8_5tupleINS8_6detail15normal_iteratorINS8_10device_ptrIxEEEESH_NS8_9null_typeESI_SI_SI_SI_SI_SI_SI_EEEENS9_21zip_adj_not_predicateINS8_8equal_toIxEEEEEEPllNS8_4plusIlEEEE10hipError_tPvRmT1_T2_T3_mT4_P12ihipStream_tbEUlT_E1_NS1_11comp_targetILNS1_3genE9ELNS1_11target_archE1100ELNS1_3gpuE3ELNS1_3repE0EEENS1_30default_config_static_selectorELNS0_4arch9wavefront6targetE1EEEvSW_,"axG",@progbits,_ZN7rocprim17ROCPRIM_400000_NS6detail17trampoline_kernelINS0_14default_configENS1_22reduce_config_selectorIlEEZNS1_11reduce_implILb1ES3_N6thrust23THRUST_200600_302600_NS11hip_rocprim26transform_input_iterator_tIlNS8_12zip_iteratorINS8_5tupleINS8_6detail15normal_iteratorINS8_10device_ptrIxEEEESH_NS8_9null_typeESI_SI_SI_SI_SI_SI_SI_EEEENS9_21zip_adj_not_predicateINS8_8equal_toIxEEEEEEPllNS8_4plusIlEEEE10hipError_tPvRmT1_T2_T3_mT4_P12ihipStream_tbEUlT_E1_NS1_11comp_targetILNS1_3genE9ELNS1_11target_archE1100ELNS1_3gpuE3ELNS1_3repE0EEENS1_30default_config_static_selectorELNS0_4arch9wavefront6targetE1EEEvSW_,comdat
	.protected	_ZN7rocprim17ROCPRIM_400000_NS6detail17trampoline_kernelINS0_14default_configENS1_22reduce_config_selectorIlEEZNS1_11reduce_implILb1ES3_N6thrust23THRUST_200600_302600_NS11hip_rocprim26transform_input_iterator_tIlNS8_12zip_iteratorINS8_5tupleINS8_6detail15normal_iteratorINS8_10device_ptrIxEEEESH_NS8_9null_typeESI_SI_SI_SI_SI_SI_SI_EEEENS9_21zip_adj_not_predicateINS8_8equal_toIxEEEEEEPllNS8_4plusIlEEEE10hipError_tPvRmT1_T2_T3_mT4_P12ihipStream_tbEUlT_E1_NS1_11comp_targetILNS1_3genE9ELNS1_11target_archE1100ELNS1_3gpuE3ELNS1_3repE0EEENS1_30default_config_static_selectorELNS0_4arch9wavefront6targetE1EEEvSW_ ; -- Begin function _ZN7rocprim17ROCPRIM_400000_NS6detail17trampoline_kernelINS0_14default_configENS1_22reduce_config_selectorIlEEZNS1_11reduce_implILb1ES3_N6thrust23THRUST_200600_302600_NS11hip_rocprim26transform_input_iterator_tIlNS8_12zip_iteratorINS8_5tupleINS8_6detail15normal_iteratorINS8_10device_ptrIxEEEESH_NS8_9null_typeESI_SI_SI_SI_SI_SI_SI_EEEENS9_21zip_adj_not_predicateINS8_8equal_toIxEEEEEEPllNS8_4plusIlEEEE10hipError_tPvRmT1_T2_T3_mT4_P12ihipStream_tbEUlT_E1_NS1_11comp_targetILNS1_3genE9ELNS1_11target_archE1100ELNS1_3gpuE3ELNS1_3repE0EEENS1_30default_config_static_selectorELNS0_4arch9wavefront6targetE1EEEvSW_
	.globl	_ZN7rocprim17ROCPRIM_400000_NS6detail17trampoline_kernelINS0_14default_configENS1_22reduce_config_selectorIlEEZNS1_11reduce_implILb1ES3_N6thrust23THRUST_200600_302600_NS11hip_rocprim26transform_input_iterator_tIlNS8_12zip_iteratorINS8_5tupleINS8_6detail15normal_iteratorINS8_10device_ptrIxEEEESH_NS8_9null_typeESI_SI_SI_SI_SI_SI_SI_EEEENS9_21zip_adj_not_predicateINS8_8equal_toIxEEEEEEPllNS8_4plusIlEEEE10hipError_tPvRmT1_T2_T3_mT4_P12ihipStream_tbEUlT_E1_NS1_11comp_targetILNS1_3genE9ELNS1_11target_archE1100ELNS1_3gpuE3ELNS1_3repE0EEENS1_30default_config_static_selectorELNS0_4arch9wavefront6targetE1EEEvSW_
	.p2align	8
	.type	_ZN7rocprim17ROCPRIM_400000_NS6detail17trampoline_kernelINS0_14default_configENS1_22reduce_config_selectorIlEEZNS1_11reduce_implILb1ES3_N6thrust23THRUST_200600_302600_NS11hip_rocprim26transform_input_iterator_tIlNS8_12zip_iteratorINS8_5tupleINS8_6detail15normal_iteratorINS8_10device_ptrIxEEEESH_NS8_9null_typeESI_SI_SI_SI_SI_SI_SI_EEEENS9_21zip_adj_not_predicateINS8_8equal_toIxEEEEEEPllNS8_4plusIlEEEE10hipError_tPvRmT1_T2_T3_mT4_P12ihipStream_tbEUlT_E1_NS1_11comp_targetILNS1_3genE9ELNS1_11target_archE1100ELNS1_3gpuE3ELNS1_3repE0EEENS1_30default_config_static_selectorELNS0_4arch9wavefront6targetE1EEEvSW_,@function
_ZN7rocprim17ROCPRIM_400000_NS6detail17trampoline_kernelINS0_14default_configENS1_22reduce_config_selectorIlEEZNS1_11reduce_implILb1ES3_N6thrust23THRUST_200600_302600_NS11hip_rocprim26transform_input_iterator_tIlNS8_12zip_iteratorINS8_5tupleINS8_6detail15normal_iteratorINS8_10device_ptrIxEEEESH_NS8_9null_typeESI_SI_SI_SI_SI_SI_SI_EEEENS9_21zip_adj_not_predicateINS8_8equal_toIxEEEEEEPllNS8_4plusIlEEEE10hipError_tPvRmT1_T2_T3_mT4_P12ihipStream_tbEUlT_E1_NS1_11comp_targetILNS1_3genE9ELNS1_11target_archE1100ELNS1_3gpuE3ELNS1_3repE0EEENS1_30default_config_static_selectorELNS0_4arch9wavefront6targetE1EEEvSW_: ; @_ZN7rocprim17ROCPRIM_400000_NS6detail17trampoline_kernelINS0_14default_configENS1_22reduce_config_selectorIlEEZNS1_11reduce_implILb1ES3_N6thrust23THRUST_200600_302600_NS11hip_rocprim26transform_input_iterator_tIlNS8_12zip_iteratorINS8_5tupleINS8_6detail15normal_iteratorINS8_10device_ptrIxEEEESH_NS8_9null_typeESI_SI_SI_SI_SI_SI_SI_EEEENS9_21zip_adj_not_predicateINS8_8equal_toIxEEEEEEPllNS8_4plusIlEEEE10hipError_tPvRmT1_T2_T3_mT4_P12ihipStream_tbEUlT_E1_NS1_11comp_targetILNS1_3genE9ELNS1_11target_archE1100ELNS1_3gpuE3ELNS1_3repE0EEENS1_30default_config_static_selectorELNS0_4arch9wavefront6targetE1EEEvSW_
; %bb.0:
	.section	.rodata,"a",@progbits
	.p2align	6, 0x0
	.amdhsa_kernel _ZN7rocprim17ROCPRIM_400000_NS6detail17trampoline_kernelINS0_14default_configENS1_22reduce_config_selectorIlEEZNS1_11reduce_implILb1ES3_N6thrust23THRUST_200600_302600_NS11hip_rocprim26transform_input_iterator_tIlNS8_12zip_iteratorINS8_5tupleINS8_6detail15normal_iteratorINS8_10device_ptrIxEEEESH_NS8_9null_typeESI_SI_SI_SI_SI_SI_SI_EEEENS9_21zip_adj_not_predicateINS8_8equal_toIxEEEEEEPllNS8_4plusIlEEEE10hipError_tPvRmT1_T2_T3_mT4_P12ihipStream_tbEUlT_E1_NS1_11comp_targetILNS1_3genE9ELNS1_11target_archE1100ELNS1_3gpuE3ELNS1_3repE0EEENS1_30default_config_static_selectorELNS0_4arch9wavefront6targetE1EEEvSW_
		.amdhsa_group_segment_fixed_size 0
		.amdhsa_private_segment_fixed_size 0
		.amdhsa_kernarg_size 64
		.amdhsa_user_sgpr_count 6
		.amdhsa_user_sgpr_private_segment_buffer 1
		.amdhsa_user_sgpr_dispatch_ptr 0
		.amdhsa_user_sgpr_queue_ptr 0
		.amdhsa_user_sgpr_kernarg_segment_ptr 1
		.amdhsa_user_sgpr_dispatch_id 0
		.amdhsa_user_sgpr_flat_scratch_init 0
		.amdhsa_user_sgpr_private_segment_size 0
		.amdhsa_uses_dynamic_stack 0
		.amdhsa_system_sgpr_private_segment_wavefront_offset 0
		.amdhsa_system_sgpr_workgroup_id_x 1
		.amdhsa_system_sgpr_workgroup_id_y 0
		.amdhsa_system_sgpr_workgroup_id_z 0
		.amdhsa_system_sgpr_workgroup_info 0
		.amdhsa_system_vgpr_workitem_id 0
		.amdhsa_next_free_vgpr 1
		.amdhsa_next_free_sgpr 0
		.amdhsa_reserve_vcc 0
		.amdhsa_reserve_flat_scratch 0
		.amdhsa_float_round_mode_32 0
		.amdhsa_float_round_mode_16_64 0
		.amdhsa_float_denorm_mode_32 3
		.amdhsa_float_denorm_mode_16_64 3
		.amdhsa_dx10_clamp 1
		.amdhsa_ieee_mode 1
		.amdhsa_fp16_overflow 0
		.amdhsa_exception_fp_ieee_invalid_op 0
		.amdhsa_exception_fp_denorm_src 0
		.amdhsa_exception_fp_ieee_div_zero 0
		.amdhsa_exception_fp_ieee_overflow 0
		.amdhsa_exception_fp_ieee_underflow 0
		.amdhsa_exception_fp_ieee_inexact 0
		.amdhsa_exception_int_div_zero 0
	.end_amdhsa_kernel
	.section	.text._ZN7rocprim17ROCPRIM_400000_NS6detail17trampoline_kernelINS0_14default_configENS1_22reduce_config_selectorIlEEZNS1_11reduce_implILb1ES3_N6thrust23THRUST_200600_302600_NS11hip_rocprim26transform_input_iterator_tIlNS8_12zip_iteratorINS8_5tupleINS8_6detail15normal_iteratorINS8_10device_ptrIxEEEESH_NS8_9null_typeESI_SI_SI_SI_SI_SI_SI_EEEENS9_21zip_adj_not_predicateINS8_8equal_toIxEEEEEEPllNS8_4plusIlEEEE10hipError_tPvRmT1_T2_T3_mT4_P12ihipStream_tbEUlT_E1_NS1_11comp_targetILNS1_3genE9ELNS1_11target_archE1100ELNS1_3gpuE3ELNS1_3repE0EEENS1_30default_config_static_selectorELNS0_4arch9wavefront6targetE1EEEvSW_,"axG",@progbits,_ZN7rocprim17ROCPRIM_400000_NS6detail17trampoline_kernelINS0_14default_configENS1_22reduce_config_selectorIlEEZNS1_11reduce_implILb1ES3_N6thrust23THRUST_200600_302600_NS11hip_rocprim26transform_input_iterator_tIlNS8_12zip_iteratorINS8_5tupleINS8_6detail15normal_iteratorINS8_10device_ptrIxEEEESH_NS8_9null_typeESI_SI_SI_SI_SI_SI_SI_EEEENS9_21zip_adj_not_predicateINS8_8equal_toIxEEEEEEPllNS8_4plusIlEEEE10hipError_tPvRmT1_T2_T3_mT4_P12ihipStream_tbEUlT_E1_NS1_11comp_targetILNS1_3genE9ELNS1_11target_archE1100ELNS1_3gpuE3ELNS1_3repE0EEENS1_30default_config_static_selectorELNS0_4arch9wavefront6targetE1EEEvSW_,comdat
.Lfunc_end939:
	.size	_ZN7rocprim17ROCPRIM_400000_NS6detail17trampoline_kernelINS0_14default_configENS1_22reduce_config_selectorIlEEZNS1_11reduce_implILb1ES3_N6thrust23THRUST_200600_302600_NS11hip_rocprim26transform_input_iterator_tIlNS8_12zip_iteratorINS8_5tupleINS8_6detail15normal_iteratorINS8_10device_ptrIxEEEESH_NS8_9null_typeESI_SI_SI_SI_SI_SI_SI_EEEENS9_21zip_adj_not_predicateINS8_8equal_toIxEEEEEEPllNS8_4plusIlEEEE10hipError_tPvRmT1_T2_T3_mT4_P12ihipStream_tbEUlT_E1_NS1_11comp_targetILNS1_3genE9ELNS1_11target_archE1100ELNS1_3gpuE3ELNS1_3repE0EEENS1_30default_config_static_selectorELNS0_4arch9wavefront6targetE1EEEvSW_, .Lfunc_end939-_ZN7rocprim17ROCPRIM_400000_NS6detail17trampoline_kernelINS0_14default_configENS1_22reduce_config_selectorIlEEZNS1_11reduce_implILb1ES3_N6thrust23THRUST_200600_302600_NS11hip_rocprim26transform_input_iterator_tIlNS8_12zip_iteratorINS8_5tupleINS8_6detail15normal_iteratorINS8_10device_ptrIxEEEESH_NS8_9null_typeESI_SI_SI_SI_SI_SI_SI_EEEENS9_21zip_adj_not_predicateINS8_8equal_toIxEEEEEEPllNS8_4plusIlEEEE10hipError_tPvRmT1_T2_T3_mT4_P12ihipStream_tbEUlT_E1_NS1_11comp_targetILNS1_3genE9ELNS1_11target_archE1100ELNS1_3gpuE3ELNS1_3repE0EEENS1_30default_config_static_selectorELNS0_4arch9wavefront6targetE1EEEvSW_
                                        ; -- End function
	.set _ZN7rocprim17ROCPRIM_400000_NS6detail17trampoline_kernelINS0_14default_configENS1_22reduce_config_selectorIlEEZNS1_11reduce_implILb1ES3_N6thrust23THRUST_200600_302600_NS11hip_rocprim26transform_input_iterator_tIlNS8_12zip_iteratorINS8_5tupleINS8_6detail15normal_iteratorINS8_10device_ptrIxEEEESH_NS8_9null_typeESI_SI_SI_SI_SI_SI_SI_EEEENS9_21zip_adj_not_predicateINS8_8equal_toIxEEEEEEPllNS8_4plusIlEEEE10hipError_tPvRmT1_T2_T3_mT4_P12ihipStream_tbEUlT_E1_NS1_11comp_targetILNS1_3genE9ELNS1_11target_archE1100ELNS1_3gpuE3ELNS1_3repE0EEENS1_30default_config_static_selectorELNS0_4arch9wavefront6targetE1EEEvSW_.num_vgpr, 0
	.set _ZN7rocprim17ROCPRIM_400000_NS6detail17trampoline_kernelINS0_14default_configENS1_22reduce_config_selectorIlEEZNS1_11reduce_implILb1ES3_N6thrust23THRUST_200600_302600_NS11hip_rocprim26transform_input_iterator_tIlNS8_12zip_iteratorINS8_5tupleINS8_6detail15normal_iteratorINS8_10device_ptrIxEEEESH_NS8_9null_typeESI_SI_SI_SI_SI_SI_SI_EEEENS9_21zip_adj_not_predicateINS8_8equal_toIxEEEEEEPllNS8_4plusIlEEEE10hipError_tPvRmT1_T2_T3_mT4_P12ihipStream_tbEUlT_E1_NS1_11comp_targetILNS1_3genE9ELNS1_11target_archE1100ELNS1_3gpuE3ELNS1_3repE0EEENS1_30default_config_static_selectorELNS0_4arch9wavefront6targetE1EEEvSW_.num_agpr, 0
	.set _ZN7rocprim17ROCPRIM_400000_NS6detail17trampoline_kernelINS0_14default_configENS1_22reduce_config_selectorIlEEZNS1_11reduce_implILb1ES3_N6thrust23THRUST_200600_302600_NS11hip_rocprim26transform_input_iterator_tIlNS8_12zip_iteratorINS8_5tupleINS8_6detail15normal_iteratorINS8_10device_ptrIxEEEESH_NS8_9null_typeESI_SI_SI_SI_SI_SI_SI_EEEENS9_21zip_adj_not_predicateINS8_8equal_toIxEEEEEEPllNS8_4plusIlEEEE10hipError_tPvRmT1_T2_T3_mT4_P12ihipStream_tbEUlT_E1_NS1_11comp_targetILNS1_3genE9ELNS1_11target_archE1100ELNS1_3gpuE3ELNS1_3repE0EEENS1_30default_config_static_selectorELNS0_4arch9wavefront6targetE1EEEvSW_.numbered_sgpr, 0
	.set _ZN7rocprim17ROCPRIM_400000_NS6detail17trampoline_kernelINS0_14default_configENS1_22reduce_config_selectorIlEEZNS1_11reduce_implILb1ES3_N6thrust23THRUST_200600_302600_NS11hip_rocprim26transform_input_iterator_tIlNS8_12zip_iteratorINS8_5tupleINS8_6detail15normal_iteratorINS8_10device_ptrIxEEEESH_NS8_9null_typeESI_SI_SI_SI_SI_SI_SI_EEEENS9_21zip_adj_not_predicateINS8_8equal_toIxEEEEEEPllNS8_4plusIlEEEE10hipError_tPvRmT1_T2_T3_mT4_P12ihipStream_tbEUlT_E1_NS1_11comp_targetILNS1_3genE9ELNS1_11target_archE1100ELNS1_3gpuE3ELNS1_3repE0EEENS1_30default_config_static_selectorELNS0_4arch9wavefront6targetE1EEEvSW_.num_named_barrier, 0
	.set _ZN7rocprim17ROCPRIM_400000_NS6detail17trampoline_kernelINS0_14default_configENS1_22reduce_config_selectorIlEEZNS1_11reduce_implILb1ES3_N6thrust23THRUST_200600_302600_NS11hip_rocprim26transform_input_iterator_tIlNS8_12zip_iteratorINS8_5tupleINS8_6detail15normal_iteratorINS8_10device_ptrIxEEEESH_NS8_9null_typeESI_SI_SI_SI_SI_SI_SI_EEEENS9_21zip_adj_not_predicateINS8_8equal_toIxEEEEEEPllNS8_4plusIlEEEE10hipError_tPvRmT1_T2_T3_mT4_P12ihipStream_tbEUlT_E1_NS1_11comp_targetILNS1_3genE9ELNS1_11target_archE1100ELNS1_3gpuE3ELNS1_3repE0EEENS1_30default_config_static_selectorELNS0_4arch9wavefront6targetE1EEEvSW_.private_seg_size, 0
	.set _ZN7rocprim17ROCPRIM_400000_NS6detail17trampoline_kernelINS0_14default_configENS1_22reduce_config_selectorIlEEZNS1_11reduce_implILb1ES3_N6thrust23THRUST_200600_302600_NS11hip_rocprim26transform_input_iterator_tIlNS8_12zip_iteratorINS8_5tupleINS8_6detail15normal_iteratorINS8_10device_ptrIxEEEESH_NS8_9null_typeESI_SI_SI_SI_SI_SI_SI_EEEENS9_21zip_adj_not_predicateINS8_8equal_toIxEEEEEEPllNS8_4plusIlEEEE10hipError_tPvRmT1_T2_T3_mT4_P12ihipStream_tbEUlT_E1_NS1_11comp_targetILNS1_3genE9ELNS1_11target_archE1100ELNS1_3gpuE3ELNS1_3repE0EEENS1_30default_config_static_selectorELNS0_4arch9wavefront6targetE1EEEvSW_.uses_vcc, 0
	.set _ZN7rocprim17ROCPRIM_400000_NS6detail17trampoline_kernelINS0_14default_configENS1_22reduce_config_selectorIlEEZNS1_11reduce_implILb1ES3_N6thrust23THRUST_200600_302600_NS11hip_rocprim26transform_input_iterator_tIlNS8_12zip_iteratorINS8_5tupleINS8_6detail15normal_iteratorINS8_10device_ptrIxEEEESH_NS8_9null_typeESI_SI_SI_SI_SI_SI_SI_EEEENS9_21zip_adj_not_predicateINS8_8equal_toIxEEEEEEPllNS8_4plusIlEEEE10hipError_tPvRmT1_T2_T3_mT4_P12ihipStream_tbEUlT_E1_NS1_11comp_targetILNS1_3genE9ELNS1_11target_archE1100ELNS1_3gpuE3ELNS1_3repE0EEENS1_30default_config_static_selectorELNS0_4arch9wavefront6targetE1EEEvSW_.uses_flat_scratch, 0
	.set _ZN7rocprim17ROCPRIM_400000_NS6detail17trampoline_kernelINS0_14default_configENS1_22reduce_config_selectorIlEEZNS1_11reduce_implILb1ES3_N6thrust23THRUST_200600_302600_NS11hip_rocprim26transform_input_iterator_tIlNS8_12zip_iteratorINS8_5tupleINS8_6detail15normal_iteratorINS8_10device_ptrIxEEEESH_NS8_9null_typeESI_SI_SI_SI_SI_SI_SI_EEEENS9_21zip_adj_not_predicateINS8_8equal_toIxEEEEEEPllNS8_4plusIlEEEE10hipError_tPvRmT1_T2_T3_mT4_P12ihipStream_tbEUlT_E1_NS1_11comp_targetILNS1_3genE9ELNS1_11target_archE1100ELNS1_3gpuE3ELNS1_3repE0EEENS1_30default_config_static_selectorELNS0_4arch9wavefront6targetE1EEEvSW_.has_dyn_sized_stack, 0
	.set _ZN7rocprim17ROCPRIM_400000_NS6detail17trampoline_kernelINS0_14default_configENS1_22reduce_config_selectorIlEEZNS1_11reduce_implILb1ES3_N6thrust23THRUST_200600_302600_NS11hip_rocprim26transform_input_iterator_tIlNS8_12zip_iteratorINS8_5tupleINS8_6detail15normal_iteratorINS8_10device_ptrIxEEEESH_NS8_9null_typeESI_SI_SI_SI_SI_SI_SI_EEEENS9_21zip_adj_not_predicateINS8_8equal_toIxEEEEEEPllNS8_4plusIlEEEE10hipError_tPvRmT1_T2_T3_mT4_P12ihipStream_tbEUlT_E1_NS1_11comp_targetILNS1_3genE9ELNS1_11target_archE1100ELNS1_3gpuE3ELNS1_3repE0EEENS1_30default_config_static_selectorELNS0_4arch9wavefront6targetE1EEEvSW_.has_recursion, 0
	.set _ZN7rocprim17ROCPRIM_400000_NS6detail17trampoline_kernelINS0_14default_configENS1_22reduce_config_selectorIlEEZNS1_11reduce_implILb1ES3_N6thrust23THRUST_200600_302600_NS11hip_rocprim26transform_input_iterator_tIlNS8_12zip_iteratorINS8_5tupleINS8_6detail15normal_iteratorINS8_10device_ptrIxEEEESH_NS8_9null_typeESI_SI_SI_SI_SI_SI_SI_EEEENS9_21zip_adj_not_predicateINS8_8equal_toIxEEEEEEPllNS8_4plusIlEEEE10hipError_tPvRmT1_T2_T3_mT4_P12ihipStream_tbEUlT_E1_NS1_11comp_targetILNS1_3genE9ELNS1_11target_archE1100ELNS1_3gpuE3ELNS1_3repE0EEENS1_30default_config_static_selectorELNS0_4arch9wavefront6targetE1EEEvSW_.has_indirect_call, 0
	.section	.AMDGPU.csdata,"",@progbits
; Kernel info:
; codeLenInByte = 0
; TotalNumSgprs: 4
; NumVgprs: 0
; ScratchSize: 0
; MemoryBound: 0
; FloatMode: 240
; IeeeMode: 1
; LDSByteSize: 0 bytes/workgroup (compile time only)
; SGPRBlocks: 0
; VGPRBlocks: 0
; NumSGPRsForWavesPerEU: 4
; NumVGPRsForWavesPerEU: 1
; Occupancy: 10
; WaveLimiterHint : 0
; COMPUTE_PGM_RSRC2:SCRATCH_EN: 0
; COMPUTE_PGM_RSRC2:USER_SGPR: 6
; COMPUTE_PGM_RSRC2:TRAP_HANDLER: 0
; COMPUTE_PGM_RSRC2:TGID_X_EN: 1
; COMPUTE_PGM_RSRC2:TGID_Y_EN: 0
; COMPUTE_PGM_RSRC2:TGID_Z_EN: 0
; COMPUTE_PGM_RSRC2:TIDIG_COMP_CNT: 0
	.section	.text._ZN7rocprim17ROCPRIM_400000_NS6detail17trampoline_kernelINS0_14default_configENS1_22reduce_config_selectorIlEEZNS1_11reduce_implILb1ES3_N6thrust23THRUST_200600_302600_NS11hip_rocprim26transform_input_iterator_tIlNS8_12zip_iteratorINS8_5tupleINS8_6detail15normal_iteratorINS8_10device_ptrIxEEEESH_NS8_9null_typeESI_SI_SI_SI_SI_SI_SI_EEEENS9_21zip_adj_not_predicateINS8_8equal_toIxEEEEEEPllNS8_4plusIlEEEE10hipError_tPvRmT1_T2_T3_mT4_P12ihipStream_tbEUlT_E1_NS1_11comp_targetILNS1_3genE8ELNS1_11target_archE1030ELNS1_3gpuE2ELNS1_3repE0EEENS1_30default_config_static_selectorELNS0_4arch9wavefront6targetE1EEEvSW_,"axG",@progbits,_ZN7rocprim17ROCPRIM_400000_NS6detail17trampoline_kernelINS0_14default_configENS1_22reduce_config_selectorIlEEZNS1_11reduce_implILb1ES3_N6thrust23THRUST_200600_302600_NS11hip_rocprim26transform_input_iterator_tIlNS8_12zip_iteratorINS8_5tupleINS8_6detail15normal_iteratorINS8_10device_ptrIxEEEESH_NS8_9null_typeESI_SI_SI_SI_SI_SI_SI_EEEENS9_21zip_adj_not_predicateINS8_8equal_toIxEEEEEEPllNS8_4plusIlEEEE10hipError_tPvRmT1_T2_T3_mT4_P12ihipStream_tbEUlT_E1_NS1_11comp_targetILNS1_3genE8ELNS1_11target_archE1030ELNS1_3gpuE2ELNS1_3repE0EEENS1_30default_config_static_selectorELNS0_4arch9wavefront6targetE1EEEvSW_,comdat
	.protected	_ZN7rocprim17ROCPRIM_400000_NS6detail17trampoline_kernelINS0_14default_configENS1_22reduce_config_selectorIlEEZNS1_11reduce_implILb1ES3_N6thrust23THRUST_200600_302600_NS11hip_rocprim26transform_input_iterator_tIlNS8_12zip_iteratorINS8_5tupleINS8_6detail15normal_iteratorINS8_10device_ptrIxEEEESH_NS8_9null_typeESI_SI_SI_SI_SI_SI_SI_EEEENS9_21zip_adj_not_predicateINS8_8equal_toIxEEEEEEPllNS8_4plusIlEEEE10hipError_tPvRmT1_T2_T3_mT4_P12ihipStream_tbEUlT_E1_NS1_11comp_targetILNS1_3genE8ELNS1_11target_archE1030ELNS1_3gpuE2ELNS1_3repE0EEENS1_30default_config_static_selectorELNS0_4arch9wavefront6targetE1EEEvSW_ ; -- Begin function _ZN7rocprim17ROCPRIM_400000_NS6detail17trampoline_kernelINS0_14default_configENS1_22reduce_config_selectorIlEEZNS1_11reduce_implILb1ES3_N6thrust23THRUST_200600_302600_NS11hip_rocprim26transform_input_iterator_tIlNS8_12zip_iteratorINS8_5tupleINS8_6detail15normal_iteratorINS8_10device_ptrIxEEEESH_NS8_9null_typeESI_SI_SI_SI_SI_SI_SI_EEEENS9_21zip_adj_not_predicateINS8_8equal_toIxEEEEEEPllNS8_4plusIlEEEE10hipError_tPvRmT1_T2_T3_mT4_P12ihipStream_tbEUlT_E1_NS1_11comp_targetILNS1_3genE8ELNS1_11target_archE1030ELNS1_3gpuE2ELNS1_3repE0EEENS1_30default_config_static_selectorELNS0_4arch9wavefront6targetE1EEEvSW_
	.globl	_ZN7rocprim17ROCPRIM_400000_NS6detail17trampoline_kernelINS0_14default_configENS1_22reduce_config_selectorIlEEZNS1_11reduce_implILb1ES3_N6thrust23THRUST_200600_302600_NS11hip_rocprim26transform_input_iterator_tIlNS8_12zip_iteratorINS8_5tupleINS8_6detail15normal_iteratorINS8_10device_ptrIxEEEESH_NS8_9null_typeESI_SI_SI_SI_SI_SI_SI_EEEENS9_21zip_adj_not_predicateINS8_8equal_toIxEEEEEEPllNS8_4plusIlEEEE10hipError_tPvRmT1_T2_T3_mT4_P12ihipStream_tbEUlT_E1_NS1_11comp_targetILNS1_3genE8ELNS1_11target_archE1030ELNS1_3gpuE2ELNS1_3repE0EEENS1_30default_config_static_selectorELNS0_4arch9wavefront6targetE1EEEvSW_
	.p2align	8
	.type	_ZN7rocprim17ROCPRIM_400000_NS6detail17trampoline_kernelINS0_14default_configENS1_22reduce_config_selectorIlEEZNS1_11reduce_implILb1ES3_N6thrust23THRUST_200600_302600_NS11hip_rocprim26transform_input_iterator_tIlNS8_12zip_iteratorINS8_5tupleINS8_6detail15normal_iteratorINS8_10device_ptrIxEEEESH_NS8_9null_typeESI_SI_SI_SI_SI_SI_SI_EEEENS9_21zip_adj_not_predicateINS8_8equal_toIxEEEEEEPllNS8_4plusIlEEEE10hipError_tPvRmT1_T2_T3_mT4_P12ihipStream_tbEUlT_E1_NS1_11comp_targetILNS1_3genE8ELNS1_11target_archE1030ELNS1_3gpuE2ELNS1_3repE0EEENS1_30default_config_static_selectorELNS0_4arch9wavefront6targetE1EEEvSW_,@function
_ZN7rocprim17ROCPRIM_400000_NS6detail17trampoline_kernelINS0_14default_configENS1_22reduce_config_selectorIlEEZNS1_11reduce_implILb1ES3_N6thrust23THRUST_200600_302600_NS11hip_rocprim26transform_input_iterator_tIlNS8_12zip_iteratorINS8_5tupleINS8_6detail15normal_iteratorINS8_10device_ptrIxEEEESH_NS8_9null_typeESI_SI_SI_SI_SI_SI_SI_EEEENS9_21zip_adj_not_predicateINS8_8equal_toIxEEEEEEPllNS8_4plusIlEEEE10hipError_tPvRmT1_T2_T3_mT4_P12ihipStream_tbEUlT_E1_NS1_11comp_targetILNS1_3genE8ELNS1_11target_archE1030ELNS1_3gpuE2ELNS1_3repE0EEENS1_30default_config_static_selectorELNS0_4arch9wavefront6targetE1EEEvSW_: ; @_ZN7rocprim17ROCPRIM_400000_NS6detail17trampoline_kernelINS0_14default_configENS1_22reduce_config_selectorIlEEZNS1_11reduce_implILb1ES3_N6thrust23THRUST_200600_302600_NS11hip_rocprim26transform_input_iterator_tIlNS8_12zip_iteratorINS8_5tupleINS8_6detail15normal_iteratorINS8_10device_ptrIxEEEESH_NS8_9null_typeESI_SI_SI_SI_SI_SI_SI_EEEENS9_21zip_adj_not_predicateINS8_8equal_toIxEEEEEEPllNS8_4plusIlEEEE10hipError_tPvRmT1_T2_T3_mT4_P12ihipStream_tbEUlT_E1_NS1_11comp_targetILNS1_3genE8ELNS1_11target_archE1030ELNS1_3gpuE2ELNS1_3repE0EEENS1_30default_config_static_selectorELNS0_4arch9wavefront6targetE1EEEvSW_
; %bb.0:
	.section	.rodata,"a",@progbits
	.p2align	6, 0x0
	.amdhsa_kernel _ZN7rocprim17ROCPRIM_400000_NS6detail17trampoline_kernelINS0_14default_configENS1_22reduce_config_selectorIlEEZNS1_11reduce_implILb1ES3_N6thrust23THRUST_200600_302600_NS11hip_rocprim26transform_input_iterator_tIlNS8_12zip_iteratorINS8_5tupleINS8_6detail15normal_iteratorINS8_10device_ptrIxEEEESH_NS8_9null_typeESI_SI_SI_SI_SI_SI_SI_EEEENS9_21zip_adj_not_predicateINS8_8equal_toIxEEEEEEPllNS8_4plusIlEEEE10hipError_tPvRmT1_T2_T3_mT4_P12ihipStream_tbEUlT_E1_NS1_11comp_targetILNS1_3genE8ELNS1_11target_archE1030ELNS1_3gpuE2ELNS1_3repE0EEENS1_30default_config_static_selectorELNS0_4arch9wavefront6targetE1EEEvSW_
		.amdhsa_group_segment_fixed_size 0
		.amdhsa_private_segment_fixed_size 0
		.amdhsa_kernarg_size 64
		.amdhsa_user_sgpr_count 6
		.amdhsa_user_sgpr_private_segment_buffer 1
		.amdhsa_user_sgpr_dispatch_ptr 0
		.amdhsa_user_sgpr_queue_ptr 0
		.amdhsa_user_sgpr_kernarg_segment_ptr 1
		.amdhsa_user_sgpr_dispatch_id 0
		.amdhsa_user_sgpr_flat_scratch_init 0
		.amdhsa_user_sgpr_private_segment_size 0
		.amdhsa_uses_dynamic_stack 0
		.amdhsa_system_sgpr_private_segment_wavefront_offset 0
		.amdhsa_system_sgpr_workgroup_id_x 1
		.amdhsa_system_sgpr_workgroup_id_y 0
		.amdhsa_system_sgpr_workgroup_id_z 0
		.amdhsa_system_sgpr_workgroup_info 0
		.amdhsa_system_vgpr_workitem_id 0
		.amdhsa_next_free_vgpr 1
		.amdhsa_next_free_sgpr 0
		.amdhsa_reserve_vcc 0
		.amdhsa_reserve_flat_scratch 0
		.amdhsa_float_round_mode_32 0
		.amdhsa_float_round_mode_16_64 0
		.amdhsa_float_denorm_mode_32 3
		.amdhsa_float_denorm_mode_16_64 3
		.amdhsa_dx10_clamp 1
		.amdhsa_ieee_mode 1
		.amdhsa_fp16_overflow 0
		.amdhsa_exception_fp_ieee_invalid_op 0
		.amdhsa_exception_fp_denorm_src 0
		.amdhsa_exception_fp_ieee_div_zero 0
		.amdhsa_exception_fp_ieee_overflow 0
		.amdhsa_exception_fp_ieee_underflow 0
		.amdhsa_exception_fp_ieee_inexact 0
		.amdhsa_exception_int_div_zero 0
	.end_amdhsa_kernel
	.section	.text._ZN7rocprim17ROCPRIM_400000_NS6detail17trampoline_kernelINS0_14default_configENS1_22reduce_config_selectorIlEEZNS1_11reduce_implILb1ES3_N6thrust23THRUST_200600_302600_NS11hip_rocprim26transform_input_iterator_tIlNS8_12zip_iteratorINS8_5tupleINS8_6detail15normal_iteratorINS8_10device_ptrIxEEEESH_NS8_9null_typeESI_SI_SI_SI_SI_SI_SI_EEEENS9_21zip_adj_not_predicateINS8_8equal_toIxEEEEEEPllNS8_4plusIlEEEE10hipError_tPvRmT1_T2_T3_mT4_P12ihipStream_tbEUlT_E1_NS1_11comp_targetILNS1_3genE8ELNS1_11target_archE1030ELNS1_3gpuE2ELNS1_3repE0EEENS1_30default_config_static_selectorELNS0_4arch9wavefront6targetE1EEEvSW_,"axG",@progbits,_ZN7rocprim17ROCPRIM_400000_NS6detail17trampoline_kernelINS0_14default_configENS1_22reduce_config_selectorIlEEZNS1_11reduce_implILb1ES3_N6thrust23THRUST_200600_302600_NS11hip_rocprim26transform_input_iterator_tIlNS8_12zip_iteratorINS8_5tupleINS8_6detail15normal_iteratorINS8_10device_ptrIxEEEESH_NS8_9null_typeESI_SI_SI_SI_SI_SI_SI_EEEENS9_21zip_adj_not_predicateINS8_8equal_toIxEEEEEEPllNS8_4plusIlEEEE10hipError_tPvRmT1_T2_T3_mT4_P12ihipStream_tbEUlT_E1_NS1_11comp_targetILNS1_3genE8ELNS1_11target_archE1030ELNS1_3gpuE2ELNS1_3repE0EEENS1_30default_config_static_selectorELNS0_4arch9wavefront6targetE1EEEvSW_,comdat
.Lfunc_end940:
	.size	_ZN7rocprim17ROCPRIM_400000_NS6detail17trampoline_kernelINS0_14default_configENS1_22reduce_config_selectorIlEEZNS1_11reduce_implILb1ES3_N6thrust23THRUST_200600_302600_NS11hip_rocprim26transform_input_iterator_tIlNS8_12zip_iteratorINS8_5tupleINS8_6detail15normal_iteratorINS8_10device_ptrIxEEEESH_NS8_9null_typeESI_SI_SI_SI_SI_SI_SI_EEEENS9_21zip_adj_not_predicateINS8_8equal_toIxEEEEEEPllNS8_4plusIlEEEE10hipError_tPvRmT1_T2_T3_mT4_P12ihipStream_tbEUlT_E1_NS1_11comp_targetILNS1_3genE8ELNS1_11target_archE1030ELNS1_3gpuE2ELNS1_3repE0EEENS1_30default_config_static_selectorELNS0_4arch9wavefront6targetE1EEEvSW_, .Lfunc_end940-_ZN7rocprim17ROCPRIM_400000_NS6detail17trampoline_kernelINS0_14default_configENS1_22reduce_config_selectorIlEEZNS1_11reduce_implILb1ES3_N6thrust23THRUST_200600_302600_NS11hip_rocprim26transform_input_iterator_tIlNS8_12zip_iteratorINS8_5tupleINS8_6detail15normal_iteratorINS8_10device_ptrIxEEEESH_NS8_9null_typeESI_SI_SI_SI_SI_SI_SI_EEEENS9_21zip_adj_not_predicateINS8_8equal_toIxEEEEEEPllNS8_4plusIlEEEE10hipError_tPvRmT1_T2_T3_mT4_P12ihipStream_tbEUlT_E1_NS1_11comp_targetILNS1_3genE8ELNS1_11target_archE1030ELNS1_3gpuE2ELNS1_3repE0EEENS1_30default_config_static_selectorELNS0_4arch9wavefront6targetE1EEEvSW_
                                        ; -- End function
	.set _ZN7rocprim17ROCPRIM_400000_NS6detail17trampoline_kernelINS0_14default_configENS1_22reduce_config_selectorIlEEZNS1_11reduce_implILb1ES3_N6thrust23THRUST_200600_302600_NS11hip_rocprim26transform_input_iterator_tIlNS8_12zip_iteratorINS8_5tupleINS8_6detail15normal_iteratorINS8_10device_ptrIxEEEESH_NS8_9null_typeESI_SI_SI_SI_SI_SI_SI_EEEENS9_21zip_adj_not_predicateINS8_8equal_toIxEEEEEEPllNS8_4plusIlEEEE10hipError_tPvRmT1_T2_T3_mT4_P12ihipStream_tbEUlT_E1_NS1_11comp_targetILNS1_3genE8ELNS1_11target_archE1030ELNS1_3gpuE2ELNS1_3repE0EEENS1_30default_config_static_selectorELNS0_4arch9wavefront6targetE1EEEvSW_.num_vgpr, 0
	.set _ZN7rocprim17ROCPRIM_400000_NS6detail17trampoline_kernelINS0_14default_configENS1_22reduce_config_selectorIlEEZNS1_11reduce_implILb1ES3_N6thrust23THRUST_200600_302600_NS11hip_rocprim26transform_input_iterator_tIlNS8_12zip_iteratorINS8_5tupleINS8_6detail15normal_iteratorINS8_10device_ptrIxEEEESH_NS8_9null_typeESI_SI_SI_SI_SI_SI_SI_EEEENS9_21zip_adj_not_predicateINS8_8equal_toIxEEEEEEPllNS8_4plusIlEEEE10hipError_tPvRmT1_T2_T3_mT4_P12ihipStream_tbEUlT_E1_NS1_11comp_targetILNS1_3genE8ELNS1_11target_archE1030ELNS1_3gpuE2ELNS1_3repE0EEENS1_30default_config_static_selectorELNS0_4arch9wavefront6targetE1EEEvSW_.num_agpr, 0
	.set _ZN7rocprim17ROCPRIM_400000_NS6detail17trampoline_kernelINS0_14default_configENS1_22reduce_config_selectorIlEEZNS1_11reduce_implILb1ES3_N6thrust23THRUST_200600_302600_NS11hip_rocprim26transform_input_iterator_tIlNS8_12zip_iteratorINS8_5tupleINS8_6detail15normal_iteratorINS8_10device_ptrIxEEEESH_NS8_9null_typeESI_SI_SI_SI_SI_SI_SI_EEEENS9_21zip_adj_not_predicateINS8_8equal_toIxEEEEEEPllNS8_4plusIlEEEE10hipError_tPvRmT1_T2_T3_mT4_P12ihipStream_tbEUlT_E1_NS1_11comp_targetILNS1_3genE8ELNS1_11target_archE1030ELNS1_3gpuE2ELNS1_3repE0EEENS1_30default_config_static_selectorELNS0_4arch9wavefront6targetE1EEEvSW_.numbered_sgpr, 0
	.set _ZN7rocprim17ROCPRIM_400000_NS6detail17trampoline_kernelINS0_14default_configENS1_22reduce_config_selectorIlEEZNS1_11reduce_implILb1ES3_N6thrust23THRUST_200600_302600_NS11hip_rocprim26transform_input_iterator_tIlNS8_12zip_iteratorINS8_5tupleINS8_6detail15normal_iteratorINS8_10device_ptrIxEEEESH_NS8_9null_typeESI_SI_SI_SI_SI_SI_SI_EEEENS9_21zip_adj_not_predicateINS8_8equal_toIxEEEEEEPllNS8_4plusIlEEEE10hipError_tPvRmT1_T2_T3_mT4_P12ihipStream_tbEUlT_E1_NS1_11comp_targetILNS1_3genE8ELNS1_11target_archE1030ELNS1_3gpuE2ELNS1_3repE0EEENS1_30default_config_static_selectorELNS0_4arch9wavefront6targetE1EEEvSW_.num_named_barrier, 0
	.set _ZN7rocprim17ROCPRIM_400000_NS6detail17trampoline_kernelINS0_14default_configENS1_22reduce_config_selectorIlEEZNS1_11reduce_implILb1ES3_N6thrust23THRUST_200600_302600_NS11hip_rocprim26transform_input_iterator_tIlNS8_12zip_iteratorINS8_5tupleINS8_6detail15normal_iteratorINS8_10device_ptrIxEEEESH_NS8_9null_typeESI_SI_SI_SI_SI_SI_SI_EEEENS9_21zip_adj_not_predicateINS8_8equal_toIxEEEEEEPllNS8_4plusIlEEEE10hipError_tPvRmT1_T2_T3_mT4_P12ihipStream_tbEUlT_E1_NS1_11comp_targetILNS1_3genE8ELNS1_11target_archE1030ELNS1_3gpuE2ELNS1_3repE0EEENS1_30default_config_static_selectorELNS0_4arch9wavefront6targetE1EEEvSW_.private_seg_size, 0
	.set _ZN7rocprim17ROCPRIM_400000_NS6detail17trampoline_kernelINS0_14default_configENS1_22reduce_config_selectorIlEEZNS1_11reduce_implILb1ES3_N6thrust23THRUST_200600_302600_NS11hip_rocprim26transform_input_iterator_tIlNS8_12zip_iteratorINS8_5tupleINS8_6detail15normal_iteratorINS8_10device_ptrIxEEEESH_NS8_9null_typeESI_SI_SI_SI_SI_SI_SI_EEEENS9_21zip_adj_not_predicateINS8_8equal_toIxEEEEEEPllNS8_4plusIlEEEE10hipError_tPvRmT1_T2_T3_mT4_P12ihipStream_tbEUlT_E1_NS1_11comp_targetILNS1_3genE8ELNS1_11target_archE1030ELNS1_3gpuE2ELNS1_3repE0EEENS1_30default_config_static_selectorELNS0_4arch9wavefront6targetE1EEEvSW_.uses_vcc, 0
	.set _ZN7rocprim17ROCPRIM_400000_NS6detail17trampoline_kernelINS0_14default_configENS1_22reduce_config_selectorIlEEZNS1_11reduce_implILb1ES3_N6thrust23THRUST_200600_302600_NS11hip_rocprim26transform_input_iterator_tIlNS8_12zip_iteratorINS8_5tupleINS8_6detail15normal_iteratorINS8_10device_ptrIxEEEESH_NS8_9null_typeESI_SI_SI_SI_SI_SI_SI_EEEENS9_21zip_adj_not_predicateINS8_8equal_toIxEEEEEEPllNS8_4plusIlEEEE10hipError_tPvRmT1_T2_T3_mT4_P12ihipStream_tbEUlT_E1_NS1_11comp_targetILNS1_3genE8ELNS1_11target_archE1030ELNS1_3gpuE2ELNS1_3repE0EEENS1_30default_config_static_selectorELNS0_4arch9wavefront6targetE1EEEvSW_.uses_flat_scratch, 0
	.set _ZN7rocprim17ROCPRIM_400000_NS6detail17trampoline_kernelINS0_14default_configENS1_22reduce_config_selectorIlEEZNS1_11reduce_implILb1ES3_N6thrust23THRUST_200600_302600_NS11hip_rocprim26transform_input_iterator_tIlNS8_12zip_iteratorINS8_5tupleINS8_6detail15normal_iteratorINS8_10device_ptrIxEEEESH_NS8_9null_typeESI_SI_SI_SI_SI_SI_SI_EEEENS9_21zip_adj_not_predicateINS8_8equal_toIxEEEEEEPllNS8_4plusIlEEEE10hipError_tPvRmT1_T2_T3_mT4_P12ihipStream_tbEUlT_E1_NS1_11comp_targetILNS1_3genE8ELNS1_11target_archE1030ELNS1_3gpuE2ELNS1_3repE0EEENS1_30default_config_static_selectorELNS0_4arch9wavefront6targetE1EEEvSW_.has_dyn_sized_stack, 0
	.set _ZN7rocprim17ROCPRIM_400000_NS6detail17trampoline_kernelINS0_14default_configENS1_22reduce_config_selectorIlEEZNS1_11reduce_implILb1ES3_N6thrust23THRUST_200600_302600_NS11hip_rocprim26transform_input_iterator_tIlNS8_12zip_iteratorINS8_5tupleINS8_6detail15normal_iteratorINS8_10device_ptrIxEEEESH_NS8_9null_typeESI_SI_SI_SI_SI_SI_SI_EEEENS9_21zip_adj_not_predicateINS8_8equal_toIxEEEEEEPllNS8_4plusIlEEEE10hipError_tPvRmT1_T2_T3_mT4_P12ihipStream_tbEUlT_E1_NS1_11comp_targetILNS1_3genE8ELNS1_11target_archE1030ELNS1_3gpuE2ELNS1_3repE0EEENS1_30default_config_static_selectorELNS0_4arch9wavefront6targetE1EEEvSW_.has_recursion, 0
	.set _ZN7rocprim17ROCPRIM_400000_NS6detail17trampoline_kernelINS0_14default_configENS1_22reduce_config_selectorIlEEZNS1_11reduce_implILb1ES3_N6thrust23THRUST_200600_302600_NS11hip_rocprim26transform_input_iterator_tIlNS8_12zip_iteratorINS8_5tupleINS8_6detail15normal_iteratorINS8_10device_ptrIxEEEESH_NS8_9null_typeESI_SI_SI_SI_SI_SI_SI_EEEENS9_21zip_adj_not_predicateINS8_8equal_toIxEEEEEEPllNS8_4plusIlEEEE10hipError_tPvRmT1_T2_T3_mT4_P12ihipStream_tbEUlT_E1_NS1_11comp_targetILNS1_3genE8ELNS1_11target_archE1030ELNS1_3gpuE2ELNS1_3repE0EEENS1_30default_config_static_selectorELNS0_4arch9wavefront6targetE1EEEvSW_.has_indirect_call, 0
	.section	.AMDGPU.csdata,"",@progbits
; Kernel info:
; codeLenInByte = 0
; TotalNumSgprs: 4
; NumVgprs: 0
; ScratchSize: 0
; MemoryBound: 0
; FloatMode: 240
; IeeeMode: 1
; LDSByteSize: 0 bytes/workgroup (compile time only)
; SGPRBlocks: 0
; VGPRBlocks: 0
; NumSGPRsForWavesPerEU: 4
; NumVGPRsForWavesPerEU: 1
; Occupancy: 10
; WaveLimiterHint : 0
; COMPUTE_PGM_RSRC2:SCRATCH_EN: 0
; COMPUTE_PGM_RSRC2:USER_SGPR: 6
; COMPUTE_PGM_RSRC2:TRAP_HANDLER: 0
; COMPUTE_PGM_RSRC2:TGID_X_EN: 1
; COMPUTE_PGM_RSRC2:TGID_Y_EN: 0
; COMPUTE_PGM_RSRC2:TGID_Z_EN: 0
; COMPUTE_PGM_RSRC2:TIDIG_COMP_CNT: 0
	.section	.text._ZN7rocprim17ROCPRIM_400000_NS6detail17trampoline_kernelINS0_14default_configENS1_22reduce_config_selectorIlEEZNS1_11reduce_implILb1ES3_N6thrust23THRUST_200600_302600_NS11hip_rocprim26transform_input_iterator_tIlNS8_12zip_iteratorINS8_5tupleINS8_6detail15normal_iteratorINS8_10device_ptrIxEEEESH_NS8_9null_typeESI_SI_SI_SI_SI_SI_SI_EEEENS9_21zip_adj_not_predicateI22is_equal_div_10_uniqueIxEEEEEPllNS8_4plusIlEEEE10hipError_tPvRmT1_T2_T3_mT4_P12ihipStream_tbEUlT_E0_NS1_11comp_targetILNS1_3genE0ELNS1_11target_archE4294967295ELNS1_3gpuE0ELNS1_3repE0EEENS1_30default_config_static_selectorELNS0_4arch9wavefront6targetE1EEEvSW_,"axG",@progbits,_ZN7rocprim17ROCPRIM_400000_NS6detail17trampoline_kernelINS0_14default_configENS1_22reduce_config_selectorIlEEZNS1_11reduce_implILb1ES3_N6thrust23THRUST_200600_302600_NS11hip_rocprim26transform_input_iterator_tIlNS8_12zip_iteratorINS8_5tupleINS8_6detail15normal_iteratorINS8_10device_ptrIxEEEESH_NS8_9null_typeESI_SI_SI_SI_SI_SI_SI_EEEENS9_21zip_adj_not_predicateI22is_equal_div_10_uniqueIxEEEEEPllNS8_4plusIlEEEE10hipError_tPvRmT1_T2_T3_mT4_P12ihipStream_tbEUlT_E0_NS1_11comp_targetILNS1_3genE0ELNS1_11target_archE4294967295ELNS1_3gpuE0ELNS1_3repE0EEENS1_30default_config_static_selectorELNS0_4arch9wavefront6targetE1EEEvSW_,comdat
	.protected	_ZN7rocprim17ROCPRIM_400000_NS6detail17trampoline_kernelINS0_14default_configENS1_22reduce_config_selectorIlEEZNS1_11reduce_implILb1ES3_N6thrust23THRUST_200600_302600_NS11hip_rocprim26transform_input_iterator_tIlNS8_12zip_iteratorINS8_5tupleINS8_6detail15normal_iteratorINS8_10device_ptrIxEEEESH_NS8_9null_typeESI_SI_SI_SI_SI_SI_SI_EEEENS9_21zip_adj_not_predicateI22is_equal_div_10_uniqueIxEEEEEPllNS8_4plusIlEEEE10hipError_tPvRmT1_T2_T3_mT4_P12ihipStream_tbEUlT_E0_NS1_11comp_targetILNS1_3genE0ELNS1_11target_archE4294967295ELNS1_3gpuE0ELNS1_3repE0EEENS1_30default_config_static_selectorELNS0_4arch9wavefront6targetE1EEEvSW_ ; -- Begin function _ZN7rocprim17ROCPRIM_400000_NS6detail17trampoline_kernelINS0_14default_configENS1_22reduce_config_selectorIlEEZNS1_11reduce_implILb1ES3_N6thrust23THRUST_200600_302600_NS11hip_rocprim26transform_input_iterator_tIlNS8_12zip_iteratorINS8_5tupleINS8_6detail15normal_iteratorINS8_10device_ptrIxEEEESH_NS8_9null_typeESI_SI_SI_SI_SI_SI_SI_EEEENS9_21zip_adj_not_predicateI22is_equal_div_10_uniqueIxEEEEEPllNS8_4plusIlEEEE10hipError_tPvRmT1_T2_T3_mT4_P12ihipStream_tbEUlT_E0_NS1_11comp_targetILNS1_3genE0ELNS1_11target_archE4294967295ELNS1_3gpuE0ELNS1_3repE0EEENS1_30default_config_static_selectorELNS0_4arch9wavefront6targetE1EEEvSW_
	.globl	_ZN7rocprim17ROCPRIM_400000_NS6detail17trampoline_kernelINS0_14default_configENS1_22reduce_config_selectorIlEEZNS1_11reduce_implILb1ES3_N6thrust23THRUST_200600_302600_NS11hip_rocprim26transform_input_iterator_tIlNS8_12zip_iteratorINS8_5tupleINS8_6detail15normal_iteratorINS8_10device_ptrIxEEEESH_NS8_9null_typeESI_SI_SI_SI_SI_SI_SI_EEEENS9_21zip_adj_not_predicateI22is_equal_div_10_uniqueIxEEEEEPllNS8_4plusIlEEEE10hipError_tPvRmT1_T2_T3_mT4_P12ihipStream_tbEUlT_E0_NS1_11comp_targetILNS1_3genE0ELNS1_11target_archE4294967295ELNS1_3gpuE0ELNS1_3repE0EEENS1_30default_config_static_selectorELNS0_4arch9wavefront6targetE1EEEvSW_
	.p2align	8
	.type	_ZN7rocprim17ROCPRIM_400000_NS6detail17trampoline_kernelINS0_14default_configENS1_22reduce_config_selectorIlEEZNS1_11reduce_implILb1ES3_N6thrust23THRUST_200600_302600_NS11hip_rocprim26transform_input_iterator_tIlNS8_12zip_iteratorINS8_5tupleINS8_6detail15normal_iteratorINS8_10device_ptrIxEEEESH_NS8_9null_typeESI_SI_SI_SI_SI_SI_SI_EEEENS9_21zip_adj_not_predicateI22is_equal_div_10_uniqueIxEEEEEPllNS8_4plusIlEEEE10hipError_tPvRmT1_T2_T3_mT4_P12ihipStream_tbEUlT_E0_NS1_11comp_targetILNS1_3genE0ELNS1_11target_archE4294967295ELNS1_3gpuE0ELNS1_3repE0EEENS1_30default_config_static_selectorELNS0_4arch9wavefront6targetE1EEEvSW_,@function
_ZN7rocprim17ROCPRIM_400000_NS6detail17trampoline_kernelINS0_14default_configENS1_22reduce_config_selectorIlEEZNS1_11reduce_implILb1ES3_N6thrust23THRUST_200600_302600_NS11hip_rocprim26transform_input_iterator_tIlNS8_12zip_iteratorINS8_5tupleINS8_6detail15normal_iteratorINS8_10device_ptrIxEEEESH_NS8_9null_typeESI_SI_SI_SI_SI_SI_SI_EEEENS9_21zip_adj_not_predicateI22is_equal_div_10_uniqueIxEEEEEPllNS8_4plusIlEEEE10hipError_tPvRmT1_T2_T3_mT4_P12ihipStream_tbEUlT_E0_NS1_11comp_targetILNS1_3genE0ELNS1_11target_archE4294967295ELNS1_3gpuE0ELNS1_3repE0EEENS1_30default_config_static_selectorELNS0_4arch9wavefront6targetE1EEEvSW_: ; @_ZN7rocprim17ROCPRIM_400000_NS6detail17trampoline_kernelINS0_14default_configENS1_22reduce_config_selectorIlEEZNS1_11reduce_implILb1ES3_N6thrust23THRUST_200600_302600_NS11hip_rocprim26transform_input_iterator_tIlNS8_12zip_iteratorINS8_5tupleINS8_6detail15normal_iteratorINS8_10device_ptrIxEEEESH_NS8_9null_typeESI_SI_SI_SI_SI_SI_SI_EEEENS9_21zip_adj_not_predicateI22is_equal_div_10_uniqueIxEEEEEPllNS8_4plusIlEEEE10hipError_tPvRmT1_T2_T3_mT4_P12ihipStream_tbEUlT_E0_NS1_11comp_targetILNS1_3genE0ELNS1_11target_archE4294967295ELNS1_3gpuE0ELNS1_3repE0EEENS1_30default_config_static_selectorELNS0_4arch9wavefront6targetE1EEEvSW_
; %bb.0:
	.section	.rodata,"a",@progbits
	.p2align	6, 0x0
	.amdhsa_kernel _ZN7rocprim17ROCPRIM_400000_NS6detail17trampoline_kernelINS0_14default_configENS1_22reduce_config_selectorIlEEZNS1_11reduce_implILb1ES3_N6thrust23THRUST_200600_302600_NS11hip_rocprim26transform_input_iterator_tIlNS8_12zip_iteratorINS8_5tupleINS8_6detail15normal_iteratorINS8_10device_ptrIxEEEESH_NS8_9null_typeESI_SI_SI_SI_SI_SI_SI_EEEENS9_21zip_adj_not_predicateI22is_equal_div_10_uniqueIxEEEEEPllNS8_4plusIlEEEE10hipError_tPvRmT1_T2_T3_mT4_P12ihipStream_tbEUlT_E0_NS1_11comp_targetILNS1_3genE0ELNS1_11target_archE4294967295ELNS1_3gpuE0ELNS1_3repE0EEENS1_30default_config_static_selectorELNS0_4arch9wavefront6targetE1EEEvSW_
		.amdhsa_group_segment_fixed_size 0
		.amdhsa_private_segment_fixed_size 0
		.amdhsa_kernarg_size 80
		.amdhsa_user_sgpr_count 6
		.amdhsa_user_sgpr_private_segment_buffer 1
		.amdhsa_user_sgpr_dispatch_ptr 0
		.amdhsa_user_sgpr_queue_ptr 0
		.amdhsa_user_sgpr_kernarg_segment_ptr 1
		.amdhsa_user_sgpr_dispatch_id 0
		.amdhsa_user_sgpr_flat_scratch_init 0
		.amdhsa_user_sgpr_private_segment_size 0
		.amdhsa_uses_dynamic_stack 0
		.amdhsa_system_sgpr_private_segment_wavefront_offset 0
		.amdhsa_system_sgpr_workgroup_id_x 1
		.amdhsa_system_sgpr_workgroup_id_y 0
		.amdhsa_system_sgpr_workgroup_id_z 0
		.amdhsa_system_sgpr_workgroup_info 0
		.amdhsa_system_vgpr_workitem_id 0
		.amdhsa_next_free_vgpr 1
		.amdhsa_next_free_sgpr 0
		.amdhsa_reserve_vcc 0
		.amdhsa_reserve_flat_scratch 0
		.amdhsa_float_round_mode_32 0
		.amdhsa_float_round_mode_16_64 0
		.amdhsa_float_denorm_mode_32 3
		.amdhsa_float_denorm_mode_16_64 3
		.amdhsa_dx10_clamp 1
		.amdhsa_ieee_mode 1
		.amdhsa_fp16_overflow 0
		.amdhsa_exception_fp_ieee_invalid_op 0
		.amdhsa_exception_fp_denorm_src 0
		.amdhsa_exception_fp_ieee_div_zero 0
		.amdhsa_exception_fp_ieee_overflow 0
		.amdhsa_exception_fp_ieee_underflow 0
		.amdhsa_exception_fp_ieee_inexact 0
		.amdhsa_exception_int_div_zero 0
	.end_amdhsa_kernel
	.section	.text._ZN7rocprim17ROCPRIM_400000_NS6detail17trampoline_kernelINS0_14default_configENS1_22reduce_config_selectorIlEEZNS1_11reduce_implILb1ES3_N6thrust23THRUST_200600_302600_NS11hip_rocprim26transform_input_iterator_tIlNS8_12zip_iteratorINS8_5tupleINS8_6detail15normal_iteratorINS8_10device_ptrIxEEEESH_NS8_9null_typeESI_SI_SI_SI_SI_SI_SI_EEEENS9_21zip_adj_not_predicateI22is_equal_div_10_uniqueIxEEEEEPllNS8_4plusIlEEEE10hipError_tPvRmT1_T2_T3_mT4_P12ihipStream_tbEUlT_E0_NS1_11comp_targetILNS1_3genE0ELNS1_11target_archE4294967295ELNS1_3gpuE0ELNS1_3repE0EEENS1_30default_config_static_selectorELNS0_4arch9wavefront6targetE1EEEvSW_,"axG",@progbits,_ZN7rocprim17ROCPRIM_400000_NS6detail17trampoline_kernelINS0_14default_configENS1_22reduce_config_selectorIlEEZNS1_11reduce_implILb1ES3_N6thrust23THRUST_200600_302600_NS11hip_rocprim26transform_input_iterator_tIlNS8_12zip_iteratorINS8_5tupleINS8_6detail15normal_iteratorINS8_10device_ptrIxEEEESH_NS8_9null_typeESI_SI_SI_SI_SI_SI_SI_EEEENS9_21zip_adj_not_predicateI22is_equal_div_10_uniqueIxEEEEEPllNS8_4plusIlEEEE10hipError_tPvRmT1_T2_T3_mT4_P12ihipStream_tbEUlT_E0_NS1_11comp_targetILNS1_3genE0ELNS1_11target_archE4294967295ELNS1_3gpuE0ELNS1_3repE0EEENS1_30default_config_static_selectorELNS0_4arch9wavefront6targetE1EEEvSW_,comdat
.Lfunc_end941:
	.size	_ZN7rocprim17ROCPRIM_400000_NS6detail17trampoline_kernelINS0_14default_configENS1_22reduce_config_selectorIlEEZNS1_11reduce_implILb1ES3_N6thrust23THRUST_200600_302600_NS11hip_rocprim26transform_input_iterator_tIlNS8_12zip_iteratorINS8_5tupleINS8_6detail15normal_iteratorINS8_10device_ptrIxEEEESH_NS8_9null_typeESI_SI_SI_SI_SI_SI_SI_EEEENS9_21zip_adj_not_predicateI22is_equal_div_10_uniqueIxEEEEEPllNS8_4plusIlEEEE10hipError_tPvRmT1_T2_T3_mT4_P12ihipStream_tbEUlT_E0_NS1_11comp_targetILNS1_3genE0ELNS1_11target_archE4294967295ELNS1_3gpuE0ELNS1_3repE0EEENS1_30default_config_static_selectorELNS0_4arch9wavefront6targetE1EEEvSW_, .Lfunc_end941-_ZN7rocprim17ROCPRIM_400000_NS6detail17trampoline_kernelINS0_14default_configENS1_22reduce_config_selectorIlEEZNS1_11reduce_implILb1ES3_N6thrust23THRUST_200600_302600_NS11hip_rocprim26transform_input_iterator_tIlNS8_12zip_iteratorINS8_5tupleINS8_6detail15normal_iteratorINS8_10device_ptrIxEEEESH_NS8_9null_typeESI_SI_SI_SI_SI_SI_SI_EEEENS9_21zip_adj_not_predicateI22is_equal_div_10_uniqueIxEEEEEPllNS8_4plusIlEEEE10hipError_tPvRmT1_T2_T3_mT4_P12ihipStream_tbEUlT_E0_NS1_11comp_targetILNS1_3genE0ELNS1_11target_archE4294967295ELNS1_3gpuE0ELNS1_3repE0EEENS1_30default_config_static_selectorELNS0_4arch9wavefront6targetE1EEEvSW_
                                        ; -- End function
	.set _ZN7rocprim17ROCPRIM_400000_NS6detail17trampoline_kernelINS0_14default_configENS1_22reduce_config_selectorIlEEZNS1_11reduce_implILb1ES3_N6thrust23THRUST_200600_302600_NS11hip_rocprim26transform_input_iterator_tIlNS8_12zip_iteratorINS8_5tupleINS8_6detail15normal_iteratorINS8_10device_ptrIxEEEESH_NS8_9null_typeESI_SI_SI_SI_SI_SI_SI_EEEENS9_21zip_adj_not_predicateI22is_equal_div_10_uniqueIxEEEEEPllNS8_4plusIlEEEE10hipError_tPvRmT1_T2_T3_mT4_P12ihipStream_tbEUlT_E0_NS1_11comp_targetILNS1_3genE0ELNS1_11target_archE4294967295ELNS1_3gpuE0ELNS1_3repE0EEENS1_30default_config_static_selectorELNS0_4arch9wavefront6targetE1EEEvSW_.num_vgpr, 0
	.set _ZN7rocprim17ROCPRIM_400000_NS6detail17trampoline_kernelINS0_14default_configENS1_22reduce_config_selectorIlEEZNS1_11reduce_implILb1ES3_N6thrust23THRUST_200600_302600_NS11hip_rocprim26transform_input_iterator_tIlNS8_12zip_iteratorINS8_5tupleINS8_6detail15normal_iteratorINS8_10device_ptrIxEEEESH_NS8_9null_typeESI_SI_SI_SI_SI_SI_SI_EEEENS9_21zip_adj_not_predicateI22is_equal_div_10_uniqueIxEEEEEPllNS8_4plusIlEEEE10hipError_tPvRmT1_T2_T3_mT4_P12ihipStream_tbEUlT_E0_NS1_11comp_targetILNS1_3genE0ELNS1_11target_archE4294967295ELNS1_3gpuE0ELNS1_3repE0EEENS1_30default_config_static_selectorELNS0_4arch9wavefront6targetE1EEEvSW_.num_agpr, 0
	.set _ZN7rocprim17ROCPRIM_400000_NS6detail17trampoline_kernelINS0_14default_configENS1_22reduce_config_selectorIlEEZNS1_11reduce_implILb1ES3_N6thrust23THRUST_200600_302600_NS11hip_rocprim26transform_input_iterator_tIlNS8_12zip_iteratorINS8_5tupleINS8_6detail15normal_iteratorINS8_10device_ptrIxEEEESH_NS8_9null_typeESI_SI_SI_SI_SI_SI_SI_EEEENS9_21zip_adj_not_predicateI22is_equal_div_10_uniqueIxEEEEEPllNS8_4plusIlEEEE10hipError_tPvRmT1_T2_T3_mT4_P12ihipStream_tbEUlT_E0_NS1_11comp_targetILNS1_3genE0ELNS1_11target_archE4294967295ELNS1_3gpuE0ELNS1_3repE0EEENS1_30default_config_static_selectorELNS0_4arch9wavefront6targetE1EEEvSW_.numbered_sgpr, 0
	.set _ZN7rocprim17ROCPRIM_400000_NS6detail17trampoline_kernelINS0_14default_configENS1_22reduce_config_selectorIlEEZNS1_11reduce_implILb1ES3_N6thrust23THRUST_200600_302600_NS11hip_rocprim26transform_input_iterator_tIlNS8_12zip_iteratorINS8_5tupleINS8_6detail15normal_iteratorINS8_10device_ptrIxEEEESH_NS8_9null_typeESI_SI_SI_SI_SI_SI_SI_EEEENS9_21zip_adj_not_predicateI22is_equal_div_10_uniqueIxEEEEEPllNS8_4plusIlEEEE10hipError_tPvRmT1_T2_T3_mT4_P12ihipStream_tbEUlT_E0_NS1_11comp_targetILNS1_3genE0ELNS1_11target_archE4294967295ELNS1_3gpuE0ELNS1_3repE0EEENS1_30default_config_static_selectorELNS0_4arch9wavefront6targetE1EEEvSW_.num_named_barrier, 0
	.set _ZN7rocprim17ROCPRIM_400000_NS6detail17trampoline_kernelINS0_14default_configENS1_22reduce_config_selectorIlEEZNS1_11reduce_implILb1ES3_N6thrust23THRUST_200600_302600_NS11hip_rocprim26transform_input_iterator_tIlNS8_12zip_iteratorINS8_5tupleINS8_6detail15normal_iteratorINS8_10device_ptrIxEEEESH_NS8_9null_typeESI_SI_SI_SI_SI_SI_SI_EEEENS9_21zip_adj_not_predicateI22is_equal_div_10_uniqueIxEEEEEPllNS8_4plusIlEEEE10hipError_tPvRmT1_T2_T3_mT4_P12ihipStream_tbEUlT_E0_NS1_11comp_targetILNS1_3genE0ELNS1_11target_archE4294967295ELNS1_3gpuE0ELNS1_3repE0EEENS1_30default_config_static_selectorELNS0_4arch9wavefront6targetE1EEEvSW_.private_seg_size, 0
	.set _ZN7rocprim17ROCPRIM_400000_NS6detail17trampoline_kernelINS0_14default_configENS1_22reduce_config_selectorIlEEZNS1_11reduce_implILb1ES3_N6thrust23THRUST_200600_302600_NS11hip_rocprim26transform_input_iterator_tIlNS8_12zip_iteratorINS8_5tupleINS8_6detail15normal_iteratorINS8_10device_ptrIxEEEESH_NS8_9null_typeESI_SI_SI_SI_SI_SI_SI_EEEENS9_21zip_adj_not_predicateI22is_equal_div_10_uniqueIxEEEEEPllNS8_4plusIlEEEE10hipError_tPvRmT1_T2_T3_mT4_P12ihipStream_tbEUlT_E0_NS1_11comp_targetILNS1_3genE0ELNS1_11target_archE4294967295ELNS1_3gpuE0ELNS1_3repE0EEENS1_30default_config_static_selectorELNS0_4arch9wavefront6targetE1EEEvSW_.uses_vcc, 0
	.set _ZN7rocprim17ROCPRIM_400000_NS6detail17trampoline_kernelINS0_14default_configENS1_22reduce_config_selectorIlEEZNS1_11reduce_implILb1ES3_N6thrust23THRUST_200600_302600_NS11hip_rocprim26transform_input_iterator_tIlNS8_12zip_iteratorINS8_5tupleINS8_6detail15normal_iteratorINS8_10device_ptrIxEEEESH_NS8_9null_typeESI_SI_SI_SI_SI_SI_SI_EEEENS9_21zip_adj_not_predicateI22is_equal_div_10_uniqueIxEEEEEPllNS8_4plusIlEEEE10hipError_tPvRmT1_T2_T3_mT4_P12ihipStream_tbEUlT_E0_NS1_11comp_targetILNS1_3genE0ELNS1_11target_archE4294967295ELNS1_3gpuE0ELNS1_3repE0EEENS1_30default_config_static_selectorELNS0_4arch9wavefront6targetE1EEEvSW_.uses_flat_scratch, 0
	.set _ZN7rocprim17ROCPRIM_400000_NS6detail17trampoline_kernelINS0_14default_configENS1_22reduce_config_selectorIlEEZNS1_11reduce_implILb1ES3_N6thrust23THRUST_200600_302600_NS11hip_rocprim26transform_input_iterator_tIlNS8_12zip_iteratorINS8_5tupleINS8_6detail15normal_iteratorINS8_10device_ptrIxEEEESH_NS8_9null_typeESI_SI_SI_SI_SI_SI_SI_EEEENS9_21zip_adj_not_predicateI22is_equal_div_10_uniqueIxEEEEEPllNS8_4plusIlEEEE10hipError_tPvRmT1_T2_T3_mT4_P12ihipStream_tbEUlT_E0_NS1_11comp_targetILNS1_3genE0ELNS1_11target_archE4294967295ELNS1_3gpuE0ELNS1_3repE0EEENS1_30default_config_static_selectorELNS0_4arch9wavefront6targetE1EEEvSW_.has_dyn_sized_stack, 0
	.set _ZN7rocprim17ROCPRIM_400000_NS6detail17trampoline_kernelINS0_14default_configENS1_22reduce_config_selectorIlEEZNS1_11reduce_implILb1ES3_N6thrust23THRUST_200600_302600_NS11hip_rocprim26transform_input_iterator_tIlNS8_12zip_iteratorINS8_5tupleINS8_6detail15normal_iteratorINS8_10device_ptrIxEEEESH_NS8_9null_typeESI_SI_SI_SI_SI_SI_SI_EEEENS9_21zip_adj_not_predicateI22is_equal_div_10_uniqueIxEEEEEPllNS8_4plusIlEEEE10hipError_tPvRmT1_T2_T3_mT4_P12ihipStream_tbEUlT_E0_NS1_11comp_targetILNS1_3genE0ELNS1_11target_archE4294967295ELNS1_3gpuE0ELNS1_3repE0EEENS1_30default_config_static_selectorELNS0_4arch9wavefront6targetE1EEEvSW_.has_recursion, 0
	.set _ZN7rocprim17ROCPRIM_400000_NS6detail17trampoline_kernelINS0_14default_configENS1_22reduce_config_selectorIlEEZNS1_11reduce_implILb1ES3_N6thrust23THRUST_200600_302600_NS11hip_rocprim26transform_input_iterator_tIlNS8_12zip_iteratorINS8_5tupleINS8_6detail15normal_iteratorINS8_10device_ptrIxEEEESH_NS8_9null_typeESI_SI_SI_SI_SI_SI_SI_EEEENS9_21zip_adj_not_predicateI22is_equal_div_10_uniqueIxEEEEEPllNS8_4plusIlEEEE10hipError_tPvRmT1_T2_T3_mT4_P12ihipStream_tbEUlT_E0_NS1_11comp_targetILNS1_3genE0ELNS1_11target_archE4294967295ELNS1_3gpuE0ELNS1_3repE0EEENS1_30default_config_static_selectorELNS0_4arch9wavefront6targetE1EEEvSW_.has_indirect_call, 0
	.section	.AMDGPU.csdata,"",@progbits
; Kernel info:
; codeLenInByte = 0
; TotalNumSgprs: 4
; NumVgprs: 0
; ScratchSize: 0
; MemoryBound: 0
; FloatMode: 240
; IeeeMode: 1
; LDSByteSize: 0 bytes/workgroup (compile time only)
; SGPRBlocks: 0
; VGPRBlocks: 0
; NumSGPRsForWavesPerEU: 4
; NumVGPRsForWavesPerEU: 1
; Occupancy: 10
; WaveLimiterHint : 0
; COMPUTE_PGM_RSRC2:SCRATCH_EN: 0
; COMPUTE_PGM_RSRC2:USER_SGPR: 6
; COMPUTE_PGM_RSRC2:TRAP_HANDLER: 0
; COMPUTE_PGM_RSRC2:TGID_X_EN: 1
; COMPUTE_PGM_RSRC2:TGID_Y_EN: 0
; COMPUTE_PGM_RSRC2:TGID_Z_EN: 0
; COMPUTE_PGM_RSRC2:TIDIG_COMP_CNT: 0
	.section	.text._ZN7rocprim17ROCPRIM_400000_NS6detail17trampoline_kernelINS0_14default_configENS1_22reduce_config_selectorIlEEZNS1_11reduce_implILb1ES3_N6thrust23THRUST_200600_302600_NS11hip_rocprim26transform_input_iterator_tIlNS8_12zip_iteratorINS8_5tupleINS8_6detail15normal_iteratorINS8_10device_ptrIxEEEESH_NS8_9null_typeESI_SI_SI_SI_SI_SI_SI_EEEENS9_21zip_adj_not_predicateI22is_equal_div_10_uniqueIxEEEEEPllNS8_4plusIlEEEE10hipError_tPvRmT1_T2_T3_mT4_P12ihipStream_tbEUlT_E0_NS1_11comp_targetILNS1_3genE5ELNS1_11target_archE942ELNS1_3gpuE9ELNS1_3repE0EEENS1_30default_config_static_selectorELNS0_4arch9wavefront6targetE1EEEvSW_,"axG",@progbits,_ZN7rocprim17ROCPRIM_400000_NS6detail17trampoline_kernelINS0_14default_configENS1_22reduce_config_selectorIlEEZNS1_11reduce_implILb1ES3_N6thrust23THRUST_200600_302600_NS11hip_rocprim26transform_input_iterator_tIlNS8_12zip_iteratorINS8_5tupleINS8_6detail15normal_iteratorINS8_10device_ptrIxEEEESH_NS8_9null_typeESI_SI_SI_SI_SI_SI_SI_EEEENS9_21zip_adj_not_predicateI22is_equal_div_10_uniqueIxEEEEEPllNS8_4plusIlEEEE10hipError_tPvRmT1_T2_T3_mT4_P12ihipStream_tbEUlT_E0_NS1_11comp_targetILNS1_3genE5ELNS1_11target_archE942ELNS1_3gpuE9ELNS1_3repE0EEENS1_30default_config_static_selectorELNS0_4arch9wavefront6targetE1EEEvSW_,comdat
	.protected	_ZN7rocprim17ROCPRIM_400000_NS6detail17trampoline_kernelINS0_14default_configENS1_22reduce_config_selectorIlEEZNS1_11reduce_implILb1ES3_N6thrust23THRUST_200600_302600_NS11hip_rocprim26transform_input_iterator_tIlNS8_12zip_iteratorINS8_5tupleINS8_6detail15normal_iteratorINS8_10device_ptrIxEEEESH_NS8_9null_typeESI_SI_SI_SI_SI_SI_SI_EEEENS9_21zip_adj_not_predicateI22is_equal_div_10_uniqueIxEEEEEPllNS8_4plusIlEEEE10hipError_tPvRmT1_T2_T3_mT4_P12ihipStream_tbEUlT_E0_NS1_11comp_targetILNS1_3genE5ELNS1_11target_archE942ELNS1_3gpuE9ELNS1_3repE0EEENS1_30default_config_static_selectorELNS0_4arch9wavefront6targetE1EEEvSW_ ; -- Begin function _ZN7rocprim17ROCPRIM_400000_NS6detail17trampoline_kernelINS0_14default_configENS1_22reduce_config_selectorIlEEZNS1_11reduce_implILb1ES3_N6thrust23THRUST_200600_302600_NS11hip_rocprim26transform_input_iterator_tIlNS8_12zip_iteratorINS8_5tupleINS8_6detail15normal_iteratorINS8_10device_ptrIxEEEESH_NS8_9null_typeESI_SI_SI_SI_SI_SI_SI_EEEENS9_21zip_adj_not_predicateI22is_equal_div_10_uniqueIxEEEEEPllNS8_4plusIlEEEE10hipError_tPvRmT1_T2_T3_mT4_P12ihipStream_tbEUlT_E0_NS1_11comp_targetILNS1_3genE5ELNS1_11target_archE942ELNS1_3gpuE9ELNS1_3repE0EEENS1_30default_config_static_selectorELNS0_4arch9wavefront6targetE1EEEvSW_
	.globl	_ZN7rocprim17ROCPRIM_400000_NS6detail17trampoline_kernelINS0_14default_configENS1_22reduce_config_selectorIlEEZNS1_11reduce_implILb1ES3_N6thrust23THRUST_200600_302600_NS11hip_rocprim26transform_input_iterator_tIlNS8_12zip_iteratorINS8_5tupleINS8_6detail15normal_iteratorINS8_10device_ptrIxEEEESH_NS8_9null_typeESI_SI_SI_SI_SI_SI_SI_EEEENS9_21zip_adj_not_predicateI22is_equal_div_10_uniqueIxEEEEEPllNS8_4plusIlEEEE10hipError_tPvRmT1_T2_T3_mT4_P12ihipStream_tbEUlT_E0_NS1_11comp_targetILNS1_3genE5ELNS1_11target_archE942ELNS1_3gpuE9ELNS1_3repE0EEENS1_30default_config_static_selectorELNS0_4arch9wavefront6targetE1EEEvSW_
	.p2align	8
	.type	_ZN7rocprim17ROCPRIM_400000_NS6detail17trampoline_kernelINS0_14default_configENS1_22reduce_config_selectorIlEEZNS1_11reduce_implILb1ES3_N6thrust23THRUST_200600_302600_NS11hip_rocprim26transform_input_iterator_tIlNS8_12zip_iteratorINS8_5tupleINS8_6detail15normal_iteratorINS8_10device_ptrIxEEEESH_NS8_9null_typeESI_SI_SI_SI_SI_SI_SI_EEEENS9_21zip_adj_not_predicateI22is_equal_div_10_uniqueIxEEEEEPllNS8_4plusIlEEEE10hipError_tPvRmT1_T2_T3_mT4_P12ihipStream_tbEUlT_E0_NS1_11comp_targetILNS1_3genE5ELNS1_11target_archE942ELNS1_3gpuE9ELNS1_3repE0EEENS1_30default_config_static_selectorELNS0_4arch9wavefront6targetE1EEEvSW_,@function
_ZN7rocprim17ROCPRIM_400000_NS6detail17trampoline_kernelINS0_14default_configENS1_22reduce_config_selectorIlEEZNS1_11reduce_implILb1ES3_N6thrust23THRUST_200600_302600_NS11hip_rocprim26transform_input_iterator_tIlNS8_12zip_iteratorINS8_5tupleINS8_6detail15normal_iteratorINS8_10device_ptrIxEEEESH_NS8_9null_typeESI_SI_SI_SI_SI_SI_SI_EEEENS9_21zip_adj_not_predicateI22is_equal_div_10_uniqueIxEEEEEPllNS8_4plusIlEEEE10hipError_tPvRmT1_T2_T3_mT4_P12ihipStream_tbEUlT_E0_NS1_11comp_targetILNS1_3genE5ELNS1_11target_archE942ELNS1_3gpuE9ELNS1_3repE0EEENS1_30default_config_static_selectorELNS0_4arch9wavefront6targetE1EEEvSW_: ; @_ZN7rocprim17ROCPRIM_400000_NS6detail17trampoline_kernelINS0_14default_configENS1_22reduce_config_selectorIlEEZNS1_11reduce_implILb1ES3_N6thrust23THRUST_200600_302600_NS11hip_rocprim26transform_input_iterator_tIlNS8_12zip_iteratorINS8_5tupleINS8_6detail15normal_iteratorINS8_10device_ptrIxEEEESH_NS8_9null_typeESI_SI_SI_SI_SI_SI_SI_EEEENS9_21zip_adj_not_predicateI22is_equal_div_10_uniqueIxEEEEEPllNS8_4plusIlEEEE10hipError_tPvRmT1_T2_T3_mT4_P12ihipStream_tbEUlT_E0_NS1_11comp_targetILNS1_3genE5ELNS1_11target_archE942ELNS1_3gpuE9ELNS1_3repE0EEENS1_30default_config_static_selectorELNS0_4arch9wavefront6targetE1EEEvSW_
; %bb.0:
	.section	.rodata,"a",@progbits
	.p2align	6, 0x0
	.amdhsa_kernel _ZN7rocprim17ROCPRIM_400000_NS6detail17trampoline_kernelINS0_14default_configENS1_22reduce_config_selectorIlEEZNS1_11reduce_implILb1ES3_N6thrust23THRUST_200600_302600_NS11hip_rocprim26transform_input_iterator_tIlNS8_12zip_iteratorINS8_5tupleINS8_6detail15normal_iteratorINS8_10device_ptrIxEEEESH_NS8_9null_typeESI_SI_SI_SI_SI_SI_SI_EEEENS9_21zip_adj_not_predicateI22is_equal_div_10_uniqueIxEEEEEPllNS8_4plusIlEEEE10hipError_tPvRmT1_T2_T3_mT4_P12ihipStream_tbEUlT_E0_NS1_11comp_targetILNS1_3genE5ELNS1_11target_archE942ELNS1_3gpuE9ELNS1_3repE0EEENS1_30default_config_static_selectorELNS0_4arch9wavefront6targetE1EEEvSW_
		.amdhsa_group_segment_fixed_size 0
		.amdhsa_private_segment_fixed_size 0
		.amdhsa_kernarg_size 80
		.amdhsa_user_sgpr_count 6
		.amdhsa_user_sgpr_private_segment_buffer 1
		.amdhsa_user_sgpr_dispatch_ptr 0
		.amdhsa_user_sgpr_queue_ptr 0
		.amdhsa_user_sgpr_kernarg_segment_ptr 1
		.amdhsa_user_sgpr_dispatch_id 0
		.amdhsa_user_sgpr_flat_scratch_init 0
		.amdhsa_user_sgpr_private_segment_size 0
		.amdhsa_uses_dynamic_stack 0
		.amdhsa_system_sgpr_private_segment_wavefront_offset 0
		.amdhsa_system_sgpr_workgroup_id_x 1
		.amdhsa_system_sgpr_workgroup_id_y 0
		.amdhsa_system_sgpr_workgroup_id_z 0
		.amdhsa_system_sgpr_workgroup_info 0
		.amdhsa_system_vgpr_workitem_id 0
		.amdhsa_next_free_vgpr 1
		.amdhsa_next_free_sgpr 0
		.amdhsa_reserve_vcc 0
		.amdhsa_reserve_flat_scratch 0
		.amdhsa_float_round_mode_32 0
		.amdhsa_float_round_mode_16_64 0
		.amdhsa_float_denorm_mode_32 3
		.amdhsa_float_denorm_mode_16_64 3
		.amdhsa_dx10_clamp 1
		.amdhsa_ieee_mode 1
		.amdhsa_fp16_overflow 0
		.amdhsa_exception_fp_ieee_invalid_op 0
		.amdhsa_exception_fp_denorm_src 0
		.amdhsa_exception_fp_ieee_div_zero 0
		.amdhsa_exception_fp_ieee_overflow 0
		.amdhsa_exception_fp_ieee_underflow 0
		.amdhsa_exception_fp_ieee_inexact 0
		.amdhsa_exception_int_div_zero 0
	.end_amdhsa_kernel
	.section	.text._ZN7rocprim17ROCPRIM_400000_NS6detail17trampoline_kernelINS0_14default_configENS1_22reduce_config_selectorIlEEZNS1_11reduce_implILb1ES3_N6thrust23THRUST_200600_302600_NS11hip_rocprim26transform_input_iterator_tIlNS8_12zip_iteratorINS8_5tupleINS8_6detail15normal_iteratorINS8_10device_ptrIxEEEESH_NS8_9null_typeESI_SI_SI_SI_SI_SI_SI_EEEENS9_21zip_adj_not_predicateI22is_equal_div_10_uniqueIxEEEEEPllNS8_4plusIlEEEE10hipError_tPvRmT1_T2_T3_mT4_P12ihipStream_tbEUlT_E0_NS1_11comp_targetILNS1_3genE5ELNS1_11target_archE942ELNS1_3gpuE9ELNS1_3repE0EEENS1_30default_config_static_selectorELNS0_4arch9wavefront6targetE1EEEvSW_,"axG",@progbits,_ZN7rocprim17ROCPRIM_400000_NS6detail17trampoline_kernelINS0_14default_configENS1_22reduce_config_selectorIlEEZNS1_11reduce_implILb1ES3_N6thrust23THRUST_200600_302600_NS11hip_rocprim26transform_input_iterator_tIlNS8_12zip_iteratorINS8_5tupleINS8_6detail15normal_iteratorINS8_10device_ptrIxEEEESH_NS8_9null_typeESI_SI_SI_SI_SI_SI_SI_EEEENS9_21zip_adj_not_predicateI22is_equal_div_10_uniqueIxEEEEEPllNS8_4plusIlEEEE10hipError_tPvRmT1_T2_T3_mT4_P12ihipStream_tbEUlT_E0_NS1_11comp_targetILNS1_3genE5ELNS1_11target_archE942ELNS1_3gpuE9ELNS1_3repE0EEENS1_30default_config_static_selectorELNS0_4arch9wavefront6targetE1EEEvSW_,comdat
.Lfunc_end942:
	.size	_ZN7rocprim17ROCPRIM_400000_NS6detail17trampoline_kernelINS0_14default_configENS1_22reduce_config_selectorIlEEZNS1_11reduce_implILb1ES3_N6thrust23THRUST_200600_302600_NS11hip_rocprim26transform_input_iterator_tIlNS8_12zip_iteratorINS8_5tupleINS8_6detail15normal_iteratorINS8_10device_ptrIxEEEESH_NS8_9null_typeESI_SI_SI_SI_SI_SI_SI_EEEENS9_21zip_adj_not_predicateI22is_equal_div_10_uniqueIxEEEEEPllNS8_4plusIlEEEE10hipError_tPvRmT1_T2_T3_mT4_P12ihipStream_tbEUlT_E0_NS1_11comp_targetILNS1_3genE5ELNS1_11target_archE942ELNS1_3gpuE9ELNS1_3repE0EEENS1_30default_config_static_selectorELNS0_4arch9wavefront6targetE1EEEvSW_, .Lfunc_end942-_ZN7rocprim17ROCPRIM_400000_NS6detail17trampoline_kernelINS0_14default_configENS1_22reduce_config_selectorIlEEZNS1_11reduce_implILb1ES3_N6thrust23THRUST_200600_302600_NS11hip_rocprim26transform_input_iterator_tIlNS8_12zip_iteratorINS8_5tupleINS8_6detail15normal_iteratorINS8_10device_ptrIxEEEESH_NS8_9null_typeESI_SI_SI_SI_SI_SI_SI_EEEENS9_21zip_adj_not_predicateI22is_equal_div_10_uniqueIxEEEEEPllNS8_4plusIlEEEE10hipError_tPvRmT1_T2_T3_mT4_P12ihipStream_tbEUlT_E0_NS1_11comp_targetILNS1_3genE5ELNS1_11target_archE942ELNS1_3gpuE9ELNS1_3repE0EEENS1_30default_config_static_selectorELNS0_4arch9wavefront6targetE1EEEvSW_
                                        ; -- End function
	.set _ZN7rocprim17ROCPRIM_400000_NS6detail17trampoline_kernelINS0_14default_configENS1_22reduce_config_selectorIlEEZNS1_11reduce_implILb1ES3_N6thrust23THRUST_200600_302600_NS11hip_rocprim26transform_input_iterator_tIlNS8_12zip_iteratorINS8_5tupleINS8_6detail15normal_iteratorINS8_10device_ptrIxEEEESH_NS8_9null_typeESI_SI_SI_SI_SI_SI_SI_EEEENS9_21zip_adj_not_predicateI22is_equal_div_10_uniqueIxEEEEEPllNS8_4plusIlEEEE10hipError_tPvRmT1_T2_T3_mT4_P12ihipStream_tbEUlT_E0_NS1_11comp_targetILNS1_3genE5ELNS1_11target_archE942ELNS1_3gpuE9ELNS1_3repE0EEENS1_30default_config_static_selectorELNS0_4arch9wavefront6targetE1EEEvSW_.num_vgpr, 0
	.set _ZN7rocprim17ROCPRIM_400000_NS6detail17trampoline_kernelINS0_14default_configENS1_22reduce_config_selectorIlEEZNS1_11reduce_implILb1ES3_N6thrust23THRUST_200600_302600_NS11hip_rocprim26transform_input_iterator_tIlNS8_12zip_iteratorINS8_5tupleINS8_6detail15normal_iteratorINS8_10device_ptrIxEEEESH_NS8_9null_typeESI_SI_SI_SI_SI_SI_SI_EEEENS9_21zip_adj_not_predicateI22is_equal_div_10_uniqueIxEEEEEPllNS8_4plusIlEEEE10hipError_tPvRmT1_T2_T3_mT4_P12ihipStream_tbEUlT_E0_NS1_11comp_targetILNS1_3genE5ELNS1_11target_archE942ELNS1_3gpuE9ELNS1_3repE0EEENS1_30default_config_static_selectorELNS0_4arch9wavefront6targetE1EEEvSW_.num_agpr, 0
	.set _ZN7rocprim17ROCPRIM_400000_NS6detail17trampoline_kernelINS0_14default_configENS1_22reduce_config_selectorIlEEZNS1_11reduce_implILb1ES3_N6thrust23THRUST_200600_302600_NS11hip_rocprim26transform_input_iterator_tIlNS8_12zip_iteratorINS8_5tupleINS8_6detail15normal_iteratorINS8_10device_ptrIxEEEESH_NS8_9null_typeESI_SI_SI_SI_SI_SI_SI_EEEENS9_21zip_adj_not_predicateI22is_equal_div_10_uniqueIxEEEEEPllNS8_4plusIlEEEE10hipError_tPvRmT1_T2_T3_mT4_P12ihipStream_tbEUlT_E0_NS1_11comp_targetILNS1_3genE5ELNS1_11target_archE942ELNS1_3gpuE9ELNS1_3repE0EEENS1_30default_config_static_selectorELNS0_4arch9wavefront6targetE1EEEvSW_.numbered_sgpr, 0
	.set _ZN7rocprim17ROCPRIM_400000_NS6detail17trampoline_kernelINS0_14default_configENS1_22reduce_config_selectorIlEEZNS1_11reduce_implILb1ES3_N6thrust23THRUST_200600_302600_NS11hip_rocprim26transform_input_iterator_tIlNS8_12zip_iteratorINS8_5tupleINS8_6detail15normal_iteratorINS8_10device_ptrIxEEEESH_NS8_9null_typeESI_SI_SI_SI_SI_SI_SI_EEEENS9_21zip_adj_not_predicateI22is_equal_div_10_uniqueIxEEEEEPllNS8_4plusIlEEEE10hipError_tPvRmT1_T2_T3_mT4_P12ihipStream_tbEUlT_E0_NS1_11comp_targetILNS1_3genE5ELNS1_11target_archE942ELNS1_3gpuE9ELNS1_3repE0EEENS1_30default_config_static_selectorELNS0_4arch9wavefront6targetE1EEEvSW_.num_named_barrier, 0
	.set _ZN7rocprim17ROCPRIM_400000_NS6detail17trampoline_kernelINS0_14default_configENS1_22reduce_config_selectorIlEEZNS1_11reduce_implILb1ES3_N6thrust23THRUST_200600_302600_NS11hip_rocprim26transform_input_iterator_tIlNS8_12zip_iteratorINS8_5tupleINS8_6detail15normal_iteratorINS8_10device_ptrIxEEEESH_NS8_9null_typeESI_SI_SI_SI_SI_SI_SI_EEEENS9_21zip_adj_not_predicateI22is_equal_div_10_uniqueIxEEEEEPllNS8_4plusIlEEEE10hipError_tPvRmT1_T2_T3_mT4_P12ihipStream_tbEUlT_E0_NS1_11comp_targetILNS1_3genE5ELNS1_11target_archE942ELNS1_3gpuE9ELNS1_3repE0EEENS1_30default_config_static_selectorELNS0_4arch9wavefront6targetE1EEEvSW_.private_seg_size, 0
	.set _ZN7rocprim17ROCPRIM_400000_NS6detail17trampoline_kernelINS0_14default_configENS1_22reduce_config_selectorIlEEZNS1_11reduce_implILb1ES3_N6thrust23THRUST_200600_302600_NS11hip_rocprim26transform_input_iterator_tIlNS8_12zip_iteratorINS8_5tupleINS8_6detail15normal_iteratorINS8_10device_ptrIxEEEESH_NS8_9null_typeESI_SI_SI_SI_SI_SI_SI_EEEENS9_21zip_adj_not_predicateI22is_equal_div_10_uniqueIxEEEEEPllNS8_4plusIlEEEE10hipError_tPvRmT1_T2_T3_mT4_P12ihipStream_tbEUlT_E0_NS1_11comp_targetILNS1_3genE5ELNS1_11target_archE942ELNS1_3gpuE9ELNS1_3repE0EEENS1_30default_config_static_selectorELNS0_4arch9wavefront6targetE1EEEvSW_.uses_vcc, 0
	.set _ZN7rocprim17ROCPRIM_400000_NS6detail17trampoline_kernelINS0_14default_configENS1_22reduce_config_selectorIlEEZNS1_11reduce_implILb1ES3_N6thrust23THRUST_200600_302600_NS11hip_rocprim26transform_input_iterator_tIlNS8_12zip_iteratorINS8_5tupleINS8_6detail15normal_iteratorINS8_10device_ptrIxEEEESH_NS8_9null_typeESI_SI_SI_SI_SI_SI_SI_EEEENS9_21zip_adj_not_predicateI22is_equal_div_10_uniqueIxEEEEEPllNS8_4plusIlEEEE10hipError_tPvRmT1_T2_T3_mT4_P12ihipStream_tbEUlT_E0_NS1_11comp_targetILNS1_3genE5ELNS1_11target_archE942ELNS1_3gpuE9ELNS1_3repE0EEENS1_30default_config_static_selectorELNS0_4arch9wavefront6targetE1EEEvSW_.uses_flat_scratch, 0
	.set _ZN7rocprim17ROCPRIM_400000_NS6detail17trampoline_kernelINS0_14default_configENS1_22reduce_config_selectorIlEEZNS1_11reduce_implILb1ES3_N6thrust23THRUST_200600_302600_NS11hip_rocprim26transform_input_iterator_tIlNS8_12zip_iteratorINS8_5tupleINS8_6detail15normal_iteratorINS8_10device_ptrIxEEEESH_NS8_9null_typeESI_SI_SI_SI_SI_SI_SI_EEEENS9_21zip_adj_not_predicateI22is_equal_div_10_uniqueIxEEEEEPllNS8_4plusIlEEEE10hipError_tPvRmT1_T2_T3_mT4_P12ihipStream_tbEUlT_E0_NS1_11comp_targetILNS1_3genE5ELNS1_11target_archE942ELNS1_3gpuE9ELNS1_3repE0EEENS1_30default_config_static_selectorELNS0_4arch9wavefront6targetE1EEEvSW_.has_dyn_sized_stack, 0
	.set _ZN7rocprim17ROCPRIM_400000_NS6detail17trampoline_kernelINS0_14default_configENS1_22reduce_config_selectorIlEEZNS1_11reduce_implILb1ES3_N6thrust23THRUST_200600_302600_NS11hip_rocprim26transform_input_iterator_tIlNS8_12zip_iteratorINS8_5tupleINS8_6detail15normal_iteratorINS8_10device_ptrIxEEEESH_NS8_9null_typeESI_SI_SI_SI_SI_SI_SI_EEEENS9_21zip_adj_not_predicateI22is_equal_div_10_uniqueIxEEEEEPllNS8_4plusIlEEEE10hipError_tPvRmT1_T2_T3_mT4_P12ihipStream_tbEUlT_E0_NS1_11comp_targetILNS1_3genE5ELNS1_11target_archE942ELNS1_3gpuE9ELNS1_3repE0EEENS1_30default_config_static_selectorELNS0_4arch9wavefront6targetE1EEEvSW_.has_recursion, 0
	.set _ZN7rocprim17ROCPRIM_400000_NS6detail17trampoline_kernelINS0_14default_configENS1_22reduce_config_selectorIlEEZNS1_11reduce_implILb1ES3_N6thrust23THRUST_200600_302600_NS11hip_rocprim26transform_input_iterator_tIlNS8_12zip_iteratorINS8_5tupleINS8_6detail15normal_iteratorINS8_10device_ptrIxEEEESH_NS8_9null_typeESI_SI_SI_SI_SI_SI_SI_EEEENS9_21zip_adj_not_predicateI22is_equal_div_10_uniqueIxEEEEEPllNS8_4plusIlEEEE10hipError_tPvRmT1_T2_T3_mT4_P12ihipStream_tbEUlT_E0_NS1_11comp_targetILNS1_3genE5ELNS1_11target_archE942ELNS1_3gpuE9ELNS1_3repE0EEENS1_30default_config_static_selectorELNS0_4arch9wavefront6targetE1EEEvSW_.has_indirect_call, 0
	.section	.AMDGPU.csdata,"",@progbits
; Kernel info:
; codeLenInByte = 0
; TotalNumSgprs: 4
; NumVgprs: 0
; ScratchSize: 0
; MemoryBound: 0
; FloatMode: 240
; IeeeMode: 1
; LDSByteSize: 0 bytes/workgroup (compile time only)
; SGPRBlocks: 0
; VGPRBlocks: 0
; NumSGPRsForWavesPerEU: 4
; NumVGPRsForWavesPerEU: 1
; Occupancy: 10
; WaveLimiterHint : 0
; COMPUTE_PGM_RSRC2:SCRATCH_EN: 0
; COMPUTE_PGM_RSRC2:USER_SGPR: 6
; COMPUTE_PGM_RSRC2:TRAP_HANDLER: 0
; COMPUTE_PGM_RSRC2:TGID_X_EN: 1
; COMPUTE_PGM_RSRC2:TGID_Y_EN: 0
; COMPUTE_PGM_RSRC2:TGID_Z_EN: 0
; COMPUTE_PGM_RSRC2:TIDIG_COMP_CNT: 0
	.section	.text._ZN7rocprim17ROCPRIM_400000_NS6detail17trampoline_kernelINS0_14default_configENS1_22reduce_config_selectorIlEEZNS1_11reduce_implILb1ES3_N6thrust23THRUST_200600_302600_NS11hip_rocprim26transform_input_iterator_tIlNS8_12zip_iteratorINS8_5tupleINS8_6detail15normal_iteratorINS8_10device_ptrIxEEEESH_NS8_9null_typeESI_SI_SI_SI_SI_SI_SI_EEEENS9_21zip_adj_not_predicateI22is_equal_div_10_uniqueIxEEEEEPllNS8_4plusIlEEEE10hipError_tPvRmT1_T2_T3_mT4_P12ihipStream_tbEUlT_E0_NS1_11comp_targetILNS1_3genE4ELNS1_11target_archE910ELNS1_3gpuE8ELNS1_3repE0EEENS1_30default_config_static_selectorELNS0_4arch9wavefront6targetE1EEEvSW_,"axG",@progbits,_ZN7rocprim17ROCPRIM_400000_NS6detail17trampoline_kernelINS0_14default_configENS1_22reduce_config_selectorIlEEZNS1_11reduce_implILb1ES3_N6thrust23THRUST_200600_302600_NS11hip_rocprim26transform_input_iterator_tIlNS8_12zip_iteratorINS8_5tupleINS8_6detail15normal_iteratorINS8_10device_ptrIxEEEESH_NS8_9null_typeESI_SI_SI_SI_SI_SI_SI_EEEENS9_21zip_adj_not_predicateI22is_equal_div_10_uniqueIxEEEEEPllNS8_4plusIlEEEE10hipError_tPvRmT1_T2_T3_mT4_P12ihipStream_tbEUlT_E0_NS1_11comp_targetILNS1_3genE4ELNS1_11target_archE910ELNS1_3gpuE8ELNS1_3repE0EEENS1_30default_config_static_selectorELNS0_4arch9wavefront6targetE1EEEvSW_,comdat
	.protected	_ZN7rocprim17ROCPRIM_400000_NS6detail17trampoline_kernelINS0_14default_configENS1_22reduce_config_selectorIlEEZNS1_11reduce_implILb1ES3_N6thrust23THRUST_200600_302600_NS11hip_rocprim26transform_input_iterator_tIlNS8_12zip_iteratorINS8_5tupleINS8_6detail15normal_iteratorINS8_10device_ptrIxEEEESH_NS8_9null_typeESI_SI_SI_SI_SI_SI_SI_EEEENS9_21zip_adj_not_predicateI22is_equal_div_10_uniqueIxEEEEEPllNS8_4plusIlEEEE10hipError_tPvRmT1_T2_T3_mT4_P12ihipStream_tbEUlT_E0_NS1_11comp_targetILNS1_3genE4ELNS1_11target_archE910ELNS1_3gpuE8ELNS1_3repE0EEENS1_30default_config_static_selectorELNS0_4arch9wavefront6targetE1EEEvSW_ ; -- Begin function _ZN7rocprim17ROCPRIM_400000_NS6detail17trampoline_kernelINS0_14default_configENS1_22reduce_config_selectorIlEEZNS1_11reduce_implILb1ES3_N6thrust23THRUST_200600_302600_NS11hip_rocprim26transform_input_iterator_tIlNS8_12zip_iteratorINS8_5tupleINS8_6detail15normal_iteratorINS8_10device_ptrIxEEEESH_NS8_9null_typeESI_SI_SI_SI_SI_SI_SI_EEEENS9_21zip_adj_not_predicateI22is_equal_div_10_uniqueIxEEEEEPllNS8_4plusIlEEEE10hipError_tPvRmT1_T2_T3_mT4_P12ihipStream_tbEUlT_E0_NS1_11comp_targetILNS1_3genE4ELNS1_11target_archE910ELNS1_3gpuE8ELNS1_3repE0EEENS1_30default_config_static_selectorELNS0_4arch9wavefront6targetE1EEEvSW_
	.globl	_ZN7rocprim17ROCPRIM_400000_NS6detail17trampoline_kernelINS0_14default_configENS1_22reduce_config_selectorIlEEZNS1_11reduce_implILb1ES3_N6thrust23THRUST_200600_302600_NS11hip_rocprim26transform_input_iterator_tIlNS8_12zip_iteratorINS8_5tupleINS8_6detail15normal_iteratorINS8_10device_ptrIxEEEESH_NS8_9null_typeESI_SI_SI_SI_SI_SI_SI_EEEENS9_21zip_adj_not_predicateI22is_equal_div_10_uniqueIxEEEEEPllNS8_4plusIlEEEE10hipError_tPvRmT1_T2_T3_mT4_P12ihipStream_tbEUlT_E0_NS1_11comp_targetILNS1_3genE4ELNS1_11target_archE910ELNS1_3gpuE8ELNS1_3repE0EEENS1_30default_config_static_selectorELNS0_4arch9wavefront6targetE1EEEvSW_
	.p2align	8
	.type	_ZN7rocprim17ROCPRIM_400000_NS6detail17trampoline_kernelINS0_14default_configENS1_22reduce_config_selectorIlEEZNS1_11reduce_implILb1ES3_N6thrust23THRUST_200600_302600_NS11hip_rocprim26transform_input_iterator_tIlNS8_12zip_iteratorINS8_5tupleINS8_6detail15normal_iteratorINS8_10device_ptrIxEEEESH_NS8_9null_typeESI_SI_SI_SI_SI_SI_SI_EEEENS9_21zip_adj_not_predicateI22is_equal_div_10_uniqueIxEEEEEPllNS8_4plusIlEEEE10hipError_tPvRmT1_T2_T3_mT4_P12ihipStream_tbEUlT_E0_NS1_11comp_targetILNS1_3genE4ELNS1_11target_archE910ELNS1_3gpuE8ELNS1_3repE0EEENS1_30default_config_static_selectorELNS0_4arch9wavefront6targetE1EEEvSW_,@function
_ZN7rocprim17ROCPRIM_400000_NS6detail17trampoline_kernelINS0_14default_configENS1_22reduce_config_selectorIlEEZNS1_11reduce_implILb1ES3_N6thrust23THRUST_200600_302600_NS11hip_rocprim26transform_input_iterator_tIlNS8_12zip_iteratorINS8_5tupleINS8_6detail15normal_iteratorINS8_10device_ptrIxEEEESH_NS8_9null_typeESI_SI_SI_SI_SI_SI_SI_EEEENS9_21zip_adj_not_predicateI22is_equal_div_10_uniqueIxEEEEEPllNS8_4plusIlEEEE10hipError_tPvRmT1_T2_T3_mT4_P12ihipStream_tbEUlT_E0_NS1_11comp_targetILNS1_3genE4ELNS1_11target_archE910ELNS1_3gpuE8ELNS1_3repE0EEENS1_30default_config_static_selectorELNS0_4arch9wavefront6targetE1EEEvSW_: ; @_ZN7rocprim17ROCPRIM_400000_NS6detail17trampoline_kernelINS0_14default_configENS1_22reduce_config_selectorIlEEZNS1_11reduce_implILb1ES3_N6thrust23THRUST_200600_302600_NS11hip_rocprim26transform_input_iterator_tIlNS8_12zip_iteratorINS8_5tupleINS8_6detail15normal_iteratorINS8_10device_ptrIxEEEESH_NS8_9null_typeESI_SI_SI_SI_SI_SI_SI_EEEENS9_21zip_adj_not_predicateI22is_equal_div_10_uniqueIxEEEEEPllNS8_4plusIlEEEE10hipError_tPvRmT1_T2_T3_mT4_P12ihipStream_tbEUlT_E0_NS1_11comp_targetILNS1_3genE4ELNS1_11target_archE910ELNS1_3gpuE8ELNS1_3repE0EEENS1_30default_config_static_selectorELNS0_4arch9wavefront6targetE1EEEvSW_
; %bb.0:
	.section	.rodata,"a",@progbits
	.p2align	6, 0x0
	.amdhsa_kernel _ZN7rocprim17ROCPRIM_400000_NS6detail17trampoline_kernelINS0_14default_configENS1_22reduce_config_selectorIlEEZNS1_11reduce_implILb1ES3_N6thrust23THRUST_200600_302600_NS11hip_rocprim26transform_input_iterator_tIlNS8_12zip_iteratorINS8_5tupleINS8_6detail15normal_iteratorINS8_10device_ptrIxEEEESH_NS8_9null_typeESI_SI_SI_SI_SI_SI_SI_EEEENS9_21zip_adj_not_predicateI22is_equal_div_10_uniqueIxEEEEEPllNS8_4plusIlEEEE10hipError_tPvRmT1_T2_T3_mT4_P12ihipStream_tbEUlT_E0_NS1_11comp_targetILNS1_3genE4ELNS1_11target_archE910ELNS1_3gpuE8ELNS1_3repE0EEENS1_30default_config_static_selectorELNS0_4arch9wavefront6targetE1EEEvSW_
		.amdhsa_group_segment_fixed_size 0
		.amdhsa_private_segment_fixed_size 0
		.amdhsa_kernarg_size 80
		.amdhsa_user_sgpr_count 6
		.amdhsa_user_sgpr_private_segment_buffer 1
		.amdhsa_user_sgpr_dispatch_ptr 0
		.amdhsa_user_sgpr_queue_ptr 0
		.amdhsa_user_sgpr_kernarg_segment_ptr 1
		.amdhsa_user_sgpr_dispatch_id 0
		.amdhsa_user_sgpr_flat_scratch_init 0
		.amdhsa_user_sgpr_private_segment_size 0
		.amdhsa_uses_dynamic_stack 0
		.amdhsa_system_sgpr_private_segment_wavefront_offset 0
		.amdhsa_system_sgpr_workgroup_id_x 1
		.amdhsa_system_sgpr_workgroup_id_y 0
		.amdhsa_system_sgpr_workgroup_id_z 0
		.amdhsa_system_sgpr_workgroup_info 0
		.amdhsa_system_vgpr_workitem_id 0
		.amdhsa_next_free_vgpr 1
		.amdhsa_next_free_sgpr 0
		.amdhsa_reserve_vcc 0
		.amdhsa_reserve_flat_scratch 0
		.amdhsa_float_round_mode_32 0
		.amdhsa_float_round_mode_16_64 0
		.amdhsa_float_denorm_mode_32 3
		.amdhsa_float_denorm_mode_16_64 3
		.amdhsa_dx10_clamp 1
		.amdhsa_ieee_mode 1
		.amdhsa_fp16_overflow 0
		.amdhsa_exception_fp_ieee_invalid_op 0
		.amdhsa_exception_fp_denorm_src 0
		.amdhsa_exception_fp_ieee_div_zero 0
		.amdhsa_exception_fp_ieee_overflow 0
		.amdhsa_exception_fp_ieee_underflow 0
		.amdhsa_exception_fp_ieee_inexact 0
		.amdhsa_exception_int_div_zero 0
	.end_amdhsa_kernel
	.section	.text._ZN7rocprim17ROCPRIM_400000_NS6detail17trampoline_kernelINS0_14default_configENS1_22reduce_config_selectorIlEEZNS1_11reduce_implILb1ES3_N6thrust23THRUST_200600_302600_NS11hip_rocprim26transform_input_iterator_tIlNS8_12zip_iteratorINS8_5tupleINS8_6detail15normal_iteratorINS8_10device_ptrIxEEEESH_NS8_9null_typeESI_SI_SI_SI_SI_SI_SI_EEEENS9_21zip_adj_not_predicateI22is_equal_div_10_uniqueIxEEEEEPllNS8_4plusIlEEEE10hipError_tPvRmT1_T2_T3_mT4_P12ihipStream_tbEUlT_E0_NS1_11comp_targetILNS1_3genE4ELNS1_11target_archE910ELNS1_3gpuE8ELNS1_3repE0EEENS1_30default_config_static_selectorELNS0_4arch9wavefront6targetE1EEEvSW_,"axG",@progbits,_ZN7rocprim17ROCPRIM_400000_NS6detail17trampoline_kernelINS0_14default_configENS1_22reduce_config_selectorIlEEZNS1_11reduce_implILb1ES3_N6thrust23THRUST_200600_302600_NS11hip_rocprim26transform_input_iterator_tIlNS8_12zip_iteratorINS8_5tupleINS8_6detail15normal_iteratorINS8_10device_ptrIxEEEESH_NS8_9null_typeESI_SI_SI_SI_SI_SI_SI_EEEENS9_21zip_adj_not_predicateI22is_equal_div_10_uniqueIxEEEEEPllNS8_4plusIlEEEE10hipError_tPvRmT1_T2_T3_mT4_P12ihipStream_tbEUlT_E0_NS1_11comp_targetILNS1_3genE4ELNS1_11target_archE910ELNS1_3gpuE8ELNS1_3repE0EEENS1_30default_config_static_selectorELNS0_4arch9wavefront6targetE1EEEvSW_,comdat
.Lfunc_end943:
	.size	_ZN7rocprim17ROCPRIM_400000_NS6detail17trampoline_kernelINS0_14default_configENS1_22reduce_config_selectorIlEEZNS1_11reduce_implILb1ES3_N6thrust23THRUST_200600_302600_NS11hip_rocprim26transform_input_iterator_tIlNS8_12zip_iteratorINS8_5tupleINS8_6detail15normal_iteratorINS8_10device_ptrIxEEEESH_NS8_9null_typeESI_SI_SI_SI_SI_SI_SI_EEEENS9_21zip_adj_not_predicateI22is_equal_div_10_uniqueIxEEEEEPllNS8_4plusIlEEEE10hipError_tPvRmT1_T2_T3_mT4_P12ihipStream_tbEUlT_E0_NS1_11comp_targetILNS1_3genE4ELNS1_11target_archE910ELNS1_3gpuE8ELNS1_3repE0EEENS1_30default_config_static_selectorELNS0_4arch9wavefront6targetE1EEEvSW_, .Lfunc_end943-_ZN7rocprim17ROCPRIM_400000_NS6detail17trampoline_kernelINS0_14default_configENS1_22reduce_config_selectorIlEEZNS1_11reduce_implILb1ES3_N6thrust23THRUST_200600_302600_NS11hip_rocprim26transform_input_iterator_tIlNS8_12zip_iteratorINS8_5tupleINS8_6detail15normal_iteratorINS8_10device_ptrIxEEEESH_NS8_9null_typeESI_SI_SI_SI_SI_SI_SI_EEEENS9_21zip_adj_not_predicateI22is_equal_div_10_uniqueIxEEEEEPllNS8_4plusIlEEEE10hipError_tPvRmT1_T2_T3_mT4_P12ihipStream_tbEUlT_E0_NS1_11comp_targetILNS1_3genE4ELNS1_11target_archE910ELNS1_3gpuE8ELNS1_3repE0EEENS1_30default_config_static_selectorELNS0_4arch9wavefront6targetE1EEEvSW_
                                        ; -- End function
	.set _ZN7rocprim17ROCPRIM_400000_NS6detail17trampoline_kernelINS0_14default_configENS1_22reduce_config_selectorIlEEZNS1_11reduce_implILb1ES3_N6thrust23THRUST_200600_302600_NS11hip_rocprim26transform_input_iterator_tIlNS8_12zip_iteratorINS8_5tupleINS8_6detail15normal_iteratorINS8_10device_ptrIxEEEESH_NS8_9null_typeESI_SI_SI_SI_SI_SI_SI_EEEENS9_21zip_adj_not_predicateI22is_equal_div_10_uniqueIxEEEEEPllNS8_4plusIlEEEE10hipError_tPvRmT1_T2_T3_mT4_P12ihipStream_tbEUlT_E0_NS1_11comp_targetILNS1_3genE4ELNS1_11target_archE910ELNS1_3gpuE8ELNS1_3repE0EEENS1_30default_config_static_selectorELNS0_4arch9wavefront6targetE1EEEvSW_.num_vgpr, 0
	.set _ZN7rocprim17ROCPRIM_400000_NS6detail17trampoline_kernelINS0_14default_configENS1_22reduce_config_selectorIlEEZNS1_11reduce_implILb1ES3_N6thrust23THRUST_200600_302600_NS11hip_rocprim26transform_input_iterator_tIlNS8_12zip_iteratorINS8_5tupleINS8_6detail15normal_iteratorINS8_10device_ptrIxEEEESH_NS8_9null_typeESI_SI_SI_SI_SI_SI_SI_EEEENS9_21zip_adj_not_predicateI22is_equal_div_10_uniqueIxEEEEEPllNS8_4plusIlEEEE10hipError_tPvRmT1_T2_T3_mT4_P12ihipStream_tbEUlT_E0_NS1_11comp_targetILNS1_3genE4ELNS1_11target_archE910ELNS1_3gpuE8ELNS1_3repE0EEENS1_30default_config_static_selectorELNS0_4arch9wavefront6targetE1EEEvSW_.num_agpr, 0
	.set _ZN7rocprim17ROCPRIM_400000_NS6detail17trampoline_kernelINS0_14default_configENS1_22reduce_config_selectorIlEEZNS1_11reduce_implILb1ES3_N6thrust23THRUST_200600_302600_NS11hip_rocprim26transform_input_iterator_tIlNS8_12zip_iteratorINS8_5tupleINS8_6detail15normal_iteratorINS8_10device_ptrIxEEEESH_NS8_9null_typeESI_SI_SI_SI_SI_SI_SI_EEEENS9_21zip_adj_not_predicateI22is_equal_div_10_uniqueIxEEEEEPllNS8_4plusIlEEEE10hipError_tPvRmT1_T2_T3_mT4_P12ihipStream_tbEUlT_E0_NS1_11comp_targetILNS1_3genE4ELNS1_11target_archE910ELNS1_3gpuE8ELNS1_3repE0EEENS1_30default_config_static_selectorELNS0_4arch9wavefront6targetE1EEEvSW_.numbered_sgpr, 0
	.set _ZN7rocprim17ROCPRIM_400000_NS6detail17trampoline_kernelINS0_14default_configENS1_22reduce_config_selectorIlEEZNS1_11reduce_implILb1ES3_N6thrust23THRUST_200600_302600_NS11hip_rocprim26transform_input_iterator_tIlNS8_12zip_iteratorINS8_5tupleINS8_6detail15normal_iteratorINS8_10device_ptrIxEEEESH_NS8_9null_typeESI_SI_SI_SI_SI_SI_SI_EEEENS9_21zip_adj_not_predicateI22is_equal_div_10_uniqueIxEEEEEPllNS8_4plusIlEEEE10hipError_tPvRmT1_T2_T3_mT4_P12ihipStream_tbEUlT_E0_NS1_11comp_targetILNS1_3genE4ELNS1_11target_archE910ELNS1_3gpuE8ELNS1_3repE0EEENS1_30default_config_static_selectorELNS0_4arch9wavefront6targetE1EEEvSW_.num_named_barrier, 0
	.set _ZN7rocprim17ROCPRIM_400000_NS6detail17trampoline_kernelINS0_14default_configENS1_22reduce_config_selectorIlEEZNS1_11reduce_implILb1ES3_N6thrust23THRUST_200600_302600_NS11hip_rocprim26transform_input_iterator_tIlNS8_12zip_iteratorINS8_5tupleINS8_6detail15normal_iteratorINS8_10device_ptrIxEEEESH_NS8_9null_typeESI_SI_SI_SI_SI_SI_SI_EEEENS9_21zip_adj_not_predicateI22is_equal_div_10_uniqueIxEEEEEPllNS8_4plusIlEEEE10hipError_tPvRmT1_T2_T3_mT4_P12ihipStream_tbEUlT_E0_NS1_11comp_targetILNS1_3genE4ELNS1_11target_archE910ELNS1_3gpuE8ELNS1_3repE0EEENS1_30default_config_static_selectorELNS0_4arch9wavefront6targetE1EEEvSW_.private_seg_size, 0
	.set _ZN7rocprim17ROCPRIM_400000_NS6detail17trampoline_kernelINS0_14default_configENS1_22reduce_config_selectorIlEEZNS1_11reduce_implILb1ES3_N6thrust23THRUST_200600_302600_NS11hip_rocprim26transform_input_iterator_tIlNS8_12zip_iteratorINS8_5tupleINS8_6detail15normal_iteratorINS8_10device_ptrIxEEEESH_NS8_9null_typeESI_SI_SI_SI_SI_SI_SI_EEEENS9_21zip_adj_not_predicateI22is_equal_div_10_uniqueIxEEEEEPllNS8_4plusIlEEEE10hipError_tPvRmT1_T2_T3_mT4_P12ihipStream_tbEUlT_E0_NS1_11comp_targetILNS1_3genE4ELNS1_11target_archE910ELNS1_3gpuE8ELNS1_3repE0EEENS1_30default_config_static_selectorELNS0_4arch9wavefront6targetE1EEEvSW_.uses_vcc, 0
	.set _ZN7rocprim17ROCPRIM_400000_NS6detail17trampoline_kernelINS0_14default_configENS1_22reduce_config_selectorIlEEZNS1_11reduce_implILb1ES3_N6thrust23THRUST_200600_302600_NS11hip_rocprim26transform_input_iterator_tIlNS8_12zip_iteratorINS8_5tupleINS8_6detail15normal_iteratorINS8_10device_ptrIxEEEESH_NS8_9null_typeESI_SI_SI_SI_SI_SI_SI_EEEENS9_21zip_adj_not_predicateI22is_equal_div_10_uniqueIxEEEEEPllNS8_4plusIlEEEE10hipError_tPvRmT1_T2_T3_mT4_P12ihipStream_tbEUlT_E0_NS1_11comp_targetILNS1_3genE4ELNS1_11target_archE910ELNS1_3gpuE8ELNS1_3repE0EEENS1_30default_config_static_selectorELNS0_4arch9wavefront6targetE1EEEvSW_.uses_flat_scratch, 0
	.set _ZN7rocprim17ROCPRIM_400000_NS6detail17trampoline_kernelINS0_14default_configENS1_22reduce_config_selectorIlEEZNS1_11reduce_implILb1ES3_N6thrust23THRUST_200600_302600_NS11hip_rocprim26transform_input_iterator_tIlNS8_12zip_iteratorINS8_5tupleINS8_6detail15normal_iteratorINS8_10device_ptrIxEEEESH_NS8_9null_typeESI_SI_SI_SI_SI_SI_SI_EEEENS9_21zip_adj_not_predicateI22is_equal_div_10_uniqueIxEEEEEPllNS8_4plusIlEEEE10hipError_tPvRmT1_T2_T3_mT4_P12ihipStream_tbEUlT_E0_NS1_11comp_targetILNS1_3genE4ELNS1_11target_archE910ELNS1_3gpuE8ELNS1_3repE0EEENS1_30default_config_static_selectorELNS0_4arch9wavefront6targetE1EEEvSW_.has_dyn_sized_stack, 0
	.set _ZN7rocprim17ROCPRIM_400000_NS6detail17trampoline_kernelINS0_14default_configENS1_22reduce_config_selectorIlEEZNS1_11reduce_implILb1ES3_N6thrust23THRUST_200600_302600_NS11hip_rocprim26transform_input_iterator_tIlNS8_12zip_iteratorINS8_5tupleINS8_6detail15normal_iteratorINS8_10device_ptrIxEEEESH_NS8_9null_typeESI_SI_SI_SI_SI_SI_SI_EEEENS9_21zip_adj_not_predicateI22is_equal_div_10_uniqueIxEEEEEPllNS8_4plusIlEEEE10hipError_tPvRmT1_T2_T3_mT4_P12ihipStream_tbEUlT_E0_NS1_11comp_targetILNS1_3genE4ELNS1_11target_archE910ELNS1_3gpuE8ELNS1_3repE0EEENS1_30default_config_static_selectorELNS0_4arch9wavefront6targetE1EEEvSW_.has_recursion, 0
	.set _ZN7rocprim17ROCPRIM_400000_NS6detail17trampoline_kernelINS0_14default_configENS1_22reduce_config_selectorIlEEZNS1_11reduce_implILb1ES3_N6thrust23THRUST_200600_302600_NS11hip_rocprim26transform_input_iterator_tIlNS8_12zip_iteratorINS8_5tupleINS8_6detail15normal_iteratorINS8_10device_ptrIxEEEESH_NS8_9null_typeESI_SI_SI_SI_SI_SI_SI_EEEENS9_21zip_adj_not_predicateI22is_equal_div_10_uniqueIxEEEEEPllNS8_4plusIlEEEE10hipError_tPvRmT1_T2_T3_mT4_P12ihipStream_tbEUlT_E0_NS1_11comp_targetILNS1_3genE4ELNS1_11target_archE910ELNS1_3gpuE8ELNS1_3repE0EEENS1_30default_config_static_selectorELNS0_4arch9wavefront6targetE1EEEvSW_.has_indirect_call, 0
	.section	.AMDGPU.csdata,"",@progbits
; Kernel info:
; codeLenInByte = 0
; TotalNumSgprs: 4
; NumVgprs: 0
; ScratchSize: 0
; MemoryBound: 0
; FloatMode: 240
; IeeeMode: 1
; LDSByteSize: 0 bytes/workgroup (compile time only)
; SGPRBlocks: 0
; VGPRBlocks: 0
; NumSGPRsForWavesPerEU: 4
; NumVGPRsForWavesPerEU: 1
; Occupancy: 10
; WaveLimiterHint : 0
; COMPUTE_PGM_RSRC2:SCRATCH_EN: 0
; COMPUTE_PGM_RSRC2:USER_SGPR: 6
; COMPUTE_PGM_RSRC2:TRAP_HANDLER: 0
; COMPUTE_PGM_RSRC2:TGID_X_EN: 1
; COMPUTE_PGM_RSRC2:TGID_Y_EN: 0
; COMPUTE_PGM_RSRC2:TGID_Z_EN: 0
; COMPUTE_PGM_RSRC2:TIDIG_COMP_CNT: 0
	.section	.text._ZN7rocprim17ROCPRIM_400000_NS6detail17trampoline_kernelINS0_14default_configENS1_22reduce_config_selectorIlEEZNS1_11reduce_implILb1ES3_N6thrust23THRUST_200600_302600_NS11hip_rocprim26transform_input_iterator_tIlNS8_12zip_iteratorINS8_5tupleINS8_6detail15normal_iteratorINS8_10device_ptrIxEEEESH_NS8_9null_typeESI_SI_SI_SI_SI_SI_SI_EEEENS9_21zip_adj_not_predicateI22is_equal_div_10_uniqueIxEEEEEPllNS8_4plusIlEEEE10hipError_tPvRmT1_T2_T3_mT4_P12ihipStream_tbEUlT_E0_NS1_11comp_targetILNS1_3genE3ELNS1_11target_archE908ELNS1_3gpuE7ELNS1_3repE0EEENS1_30default_config_static_selectorELNS0_4arch9wavefront6targetE1EEEvSW_,"axG",@progbits,_ZN7rocprim17ROCPRIM_400000_NS6detail17trampoline_kernelINS0_14default_configENS1_22reduce_config_selectorIlEEZNS1_11reduce_implILb1ES3_N6thrust23THRUST_200600_302600_NS11hip_rocprim26transform_input_iterator_tIlNS8_12zip_iteratorINS8_5tupleINS8_6detail15normal_iteratorINS8_10device_ptrIxEEEESH_NS8_9null_typeESI_SI_SI_SI_SI_SI_SI_EEEENS9_21zip_adj_not_predicateI22is_equal_div_10_uniqueIxEEEEEPllNS8_4plusIlEEEE10hipError_tPvRmT1_T2_T3_mT4_P12ihipStream_tbEUlT_E0_NS1_11comp_targetILNS1_3genE3ELNS1_11target_archE908ELNS1_3gpuE7ELNS1_3repE0EEENS1_30default_config_static_selectorELNS0_4arch9wavefront6targetE1EEEvSW_,comdat
	.protected	_ZN7rocprim17ROCPRIM_400000_NS6detail17trampoline_kernelINS0_14default_configENS1_22reduce_config_selectorIlEEZNS1_11reduce_implILb1ES3_N6thrust23THRUST_200600_302600_NS11hip_rocprim26transform_input_iterator_tIlNS8_12zip_iteratorINS8_5tupleINS8_6detail15normal_iteratorINS8_10device_ptrIxEEEESH_NS8_9null_typeESI_SI_SI_SI_SI_SI_SI_EEEENS9_21zip_adj_not_predicateI22is_equal_div_10_uniqueIxEEEEEPllNS8_4plusIlEEEE10hipError_tPvRmT1_T2_T3_mT4_P12ihipStream_tbEUlT_E0_NS1_11comp_targetILNS1_3genE3ELNS1_11target_archE908ELNS1_3gpuE7ELNS1_3repE0EEENS1_30default_config_static_selectorELNS0_4arch9wavefront6targetE1EEEvSW_ ; -- Begin function _ZN7rocprim17ROCPRIM_400000_NS6detail17trampoline_kernelINS0_14default_configENS1_22reduce_config_selectorIlEEZNS1_11reduce_implILb1ES3_N6thrust23THRUST_200600_302600_NS11hip_rocprim26transform_input_iterator_tIlNS8_12zip_iteratorINS8_5tupleINS8_6detail15normal_iteratorINS8_10device_ptrIxEEEESH_NS8_9null_typeESI_SI_SI_SI_SI_SI_SI_EEEENS9_21zip_adj_not_predicateI22is_equal_div_10_uniqueIxEEEEEPllNS8_4plusIlEEEE10hipError_tPvRmT1_T2_T3_mT4_P12ihipStream_tbEUlT_E0_NS1_11comp_targetILNS1_3genE3ELNS1_11target_archE908ELNS1_3gpuE7ELNS1_3repE0EEENS1_30default_config_static_selectorELNS0_4arch9wavefront6targetE1EEEvSW_
	.globl	_ZN7rocprim17ROCPRIM_400000_NS6detail17trampoline_kernelINS0_14default_configENS1_22reduce_config_selectorIlEEZNS1_11reduce_implILb1ES3_N6thrust23THRUST_200600_302600_NS11hip_rocprim26transform_input_iterator_tIlNS8_12zip_iteratorINS8_5tupleINS8_6detail15normal_iteratorINS8_10device_ptrIxEEEESH_NS8_9null_typeESI_SI_SI_SI_SI_SI_SI_EEEENS9_21zip_adj_not_predicateI22is_equal_div_10_uniqueIxEEEEEPllNS8_4plusIlEEEE10hipError_tPvRmT1_T2_T3_mT4_P12ihipStream_tbEUlT_E0_NS1_11comp_targetILNS1_3genE3ELNS1_11target_archE908ELNS1_3gpuE7ELNS1_3repE0EEENS1_30default_config_static_selectorELNS0_4arch9wavefront6targetE1EEEvSW_
	.p2align	8
	.type	_ZN7rocprim17ROCPRIM_400000_NS6detail17trampoline_kernelINS0_14default_configENS1_22reduce_config_selectorIlEEZNS1_11reduce_implILb1ES3_N6thrust23THRUST_200600_302600_NS11hip_rocprim26transform_input_iterator_tIlNS8_12zip_iteratorINS8_5tupleINS8_6detail15normal_iteratorINS8_10device_ptrIxEEEESH_NS8_9null_typeESI_SI_SI_SI_SI_SI_SI_EEEENS9_21zip_adj_not_predicateI22is_equal_div_10_uniqueIxEEEEEPllNS8_4plusIlEEEE10hipError_tPvRmT1_T2_T3_mT4_P12ihipStream_tbEUlT_E0_NS1_11comp_targetILNS1_3genE3ELNS1_11target_archE908ELNS1_3gpuE7ELNS1_3repE0EEENS1_30default_config_static_selectorELNS0_4arch9wavefront6targetE1EEEvSW_,@function
_ZN7rocprim17ROCPRIM_400000_NS6detail17trampoline_kernelINS0_14default_configENS1_22reduce_config_selectorIlEEZNS1_11reduce_implILb1ES3_N6thrust23THRUST_200600_302600_NS11hip_rocprim26transform_input_iterator_tIlNS8_12zip_iteratorINS8_5tupleINS8_6detail15normal_iteratorINS8_10device_ptrIxEEEESH_NS8_9null_typeESI_SI_SI_SI_SI_SI_SI_EEEENS9_21zip_adj_not_predicateI22is_equal_div_10_uniqueIxEEEEEPllNS8_4plusIlEEEE10hipError_tPvRmT1_T2_T3_mT4_P12ihipStream_tbEUlT_E0_NS1_11comp_targetILNS1_3genE3ELNS1_11target_archE908ELNS1_3gpuE7ELNS1_3repE0EEENS1_30default_config_static_selectorELNS0_4arch9wavefront6targetE1EEEvSW_: ; @_ZN7rocprim17ROCPRIM_400000_NS6detail17trampoline_kernelINS0_14default_configENS1_22reduce_config_selectorIlEEZNS1_11reduce_implILb1ES3_N6thrust23THRUST_200600_302600_NS11hip_rocprim26transform_input_iterator_tIlNS8_12zip_iteratorINS8_5tupleINS8_6detail15normal_iteratorINS8_10device_ptrIxEEEESH_NS8_9null_typeESI_SI_SI_SI_SI_SI_SI_EEEENS9_21zip_adj_not_predicateI22is_equal_div_10_uniqueIxEEEEEPllNS8_4plusIlEEEE10hipError_tPvRmT1_T2_T3_mT4_P12ihipStream_tbEUlT_E0_NS1_11comp_targetILNS1_3genE3ELNS1_11target_archE908ELNS1_3gpuE7ELNS1_3repE0EEENS1_30default_config_static_selectorELNS0_4arch9wavefront6targetE1EEEvSW_
; %bb.0:
	.section	.rodata,"a",@progbits
	.p2align	6, 0x0
	.amdhsa_kernel _ZN7rocprim17ROCPRIM_400000_NS6detail17trampoline_kernelINS0_14default_configENS1_22reduce_config_selectorIlEEZNS1_11reduce_implILb1ES3_N6thrust23THRUST_200600_302600_NS11hip_rocprim26transform_input_iterator_tIlNS8_12zip_iteratorINS8_5tupleINS8_6detail15normal_iteratorINS8_10device_ptrIxEEEESH_NS8_9null_typeESI_SI_SI_SI_SI_SI_SI_EEEENS9_21zip_adj_not_predicateI22is_equal_div_10_uniqueIxEEEEEPllNS8_4plusIlEEEE10hipError_tPvRmT1_T2_T3_mT4_P12ihipStream_tbEUlT_E0_NS1_11comp_targetILNS1_3genE3ELNS1_11target_archE908ELNS1_3gpuE7ELNS1_3repE0EEENS1_30default_config_static_selectorELNS0_4arch9wavefront6targetE1EEEvSW_
		.amdhsa_group_segment_fixed_size 0
		.amdhsa_private_segment_fixed_size 0
		.amdhsa_kernarg_size 80
		.amdhsa_user_sgpr_count 6
		.amdhsa_user_sgpr_private_segment_buffer 1
		.amdhsa_user_sgpr_dispatch_ptr 0
		.amdhsa_user_sgpr_queue_ptr 0
		.amdhsa_user_sgpr_kernarg_segment_ptr 1
		.amdhsa_user_sgpr_dispatch_id 0
		.amdhsa_user_sgpr_flat_scratch_init 0
		.amdhsa_user_sgpr_private_segment_size 0
		.amdhsa_uses_dynamic_stack 0
		.amdhsa_system_sgpr_private_segment_wavefront_offset 0
		.amdhsa_system_sgpr_workgroup_id_x 1
		.amdhsa_system_sgpr_workgroup_id_y 0
		.amdhsa_system_sgpr_workgroup_id_z 0
		.amdhsa_system_sgpr_workgroup_info 0
		.amdhsa_system_vgpr_workitem_id 0
		.amdhsa_next_free_vgpr 1
		.amdhsa_next_free_sgpr 0
		.amdhsa_reserve_vcc 0
		.amdhsa_reserve_flat_scratch 0
		.amdhsa_float_round_mode_32 0
		.amdhsa_float_round_mode_16_64 0
		.amdhsa_float_denorm_mode_32 3
		.amdhsa_float_denorm_mode_16_64 3
		.amdhsa_dx10_clamp 1
		.amdhsa_ieee_mode 1
		.amdhsa_fp16_overflow 0
		.amdhsa_exception_fp_ieee_invalid_op 0
		.amdhsa_exception_fp_denorm_src 0
		.amdhsa_exception_fp_ieee_div_zero 0
		.amdhsa_exception_fp_ieee_overflow 0
		.amdhsa_exception_fp_ieee_underflow 0
		.amdhsa_exception_fp_ieee_inexact 0
		.amdhsa_exception_int_div_zero 0
	.end_amdhsa_kernel
	.section	.text._ZN7rocprim17ROCPRIM_400000_NS6detail17trampoline_kernelINS0_14default_configENS1_22reduce_config_selectorIlEEZNS1_11reduce_implILb1ES3_N6thrust23THRUST_200600_302600_NS11hip_rocprim26transform_input_iterator_tIlNS8_12zip_iteratorINS8_5tupleINS8_6detail15normal_iteratorINS8_10device_ptrIxEEEESH_NS8_9null_typeESI_SI_SI_SI_SI_SI_SI_EEEENS9_21zip_adj_not_predicateI22is_equal_div_10_uniqueIxEEEEEPllNS8_4plusIlEEEE10hipError_tPvRmT1_T2_T3_mT4_P12ihipStream_tbEUlT_E0_NS1_11comp_targetILNS1_3genE3ELNS1_11target_archE908ELNS1_3gpuE7ELNS1_3repE0EEENS1_30default_config_static_selectorELNS0_4arch9wavefront6targetE1EEEvSW_,"axG",@progbits,_ZN7rocprim17ROCPRIM_400000_NS6detail17trampoline_kernelINS0_14default_configENS1_22reduce_config_selectorIlEEZNS1_11reduce_implILb1ES3_N6thrust23THRUST_200600_302600_NS11hip_rocprim26transform_input_iterator_tIlNS8_12zip_iteratorINS8_5tupleINS8_6detail15normal_iteratorINS8_10device_ptrIxEEEESH_NS8_9null_typeESI_SI_SI_SI_SI_SI_SI_EEEENS9_21zip_adj_not_predicateI22is_equal_div_10_uniqueIxEEEEEPllNS8_4plusIlEEEE10hipError_tPvRmT1_T2_T3_mT4_P12ihipStream_tbEUlT_E0_NS1_11comp_targetILNS1_3genE3ELNS1_11target_archE908ELNS1_3gpuE7ELNS1_3repE0EEENS1_30default_config_static_selectorELNS0_4arch9wavefront6targetE1EEEvSW_,comdat
.Lfunc_end944:
	.size	_ZN7rocprim17ROCPRIM_400000_NS6detail17trampoline_kernelINS0_14default_configENS1_22reduce_config_selectorIlEEZNS1_11reduce_implILb1ES3_N6thrust23THRUST_200600_302600_NS11hip_rocprim26transform_input_iterator_tIlNS8_12zip_iteratorINS8_5tupleINS8_6detail15normal_iteratorINS8_10device_ptrIxEEEESH_NS8_9null_typeESI_SI_SI_SI_SI_SI_SI_EEEENS9_21zip_adj_not_predicateI22is_equal_div_10_uniqueIxEEEEEPllNS8_4plusIlEEEE10hipError_tPvRmT1_T2_T3_mT4_P12ihipStream_tbEUlT_E0_NS1_11comp_targetILNS1_3genE3ELNS1_11target_archE908ELNS1_3gpuE7ELNS1_3repE0EEENS1_30default_config_static_selectorELNS0_4arch9wavefront6targetE1EEEvSW_, .Lfunc_end944-_ZN7rocprim17ROCPRIM_400000_NS6detail17trampoline_kernelINS0_14default_configENS1_22reduce_config_selectorIlEEZNS1_11reduce_implILb1ES3_N6thrust23THRUST_200600_302600_NS11hip_rocprim26transform_input_iterator_tIlNS8_12zip_iteratorINS8_5tupleINS8_6detail15normal_iteratorINS8_10device_ptrIxEEEESH_NS8_9null_typeESI_SI_SI_SI_SI_SI_SI_EEEENS9_21zip_adj_not_predicateI22is_equal_div_10_uniqueIxEEEEEPllNS8_4plusIlEEEE10hipError_tPvRmT1_T2_T3_mT4_P12ihipStream_tbEUlT_E0_NS1_11comp_targetILNS1_3genE3ELNS1_11target_archE908ELNS1_3gpuE7ELNS1_3repE0EEENS1_30default_config_static_selectorELNS0_4arch9wavefront6targetE1EEEvSW_
                                        ; -- End function
	.set _ZN7rocprim17ROCPRIM_400000_NS6detail17trampoline_kernelINS0_14default_configENS1_22reduce_config_selectorIlEEZNS1_11reduce_implILb1ES3_N6thrust23THRUST_200600_302600_NS11hip_rocprim26transform_input_iterator_tIlNS8_12zip_iteratorINS8_5tupleINS8_6detail15normal_iteratorINS8_10device_ptrIxEEEESH_NS8_9null_typeESI_SI_SI_SI_SI_SI_SI_EEEENS9_21zip_adj_not_predicateI22is_equal_div_10_uniqueIxEEEEEPllNS8_4plusIlEEEE10hipError_tPvRmT1_T2_T3_mT4_P12ihipStream_tbEUlT_E0_NS1_11comp_targetILNS1_3genE3ELNS1_11target_archE908ELNS1_3gpuE7ELNS1_3repE0EEENS1_30default_config_static_selectorELNS0_4arch9wavefront6targetE1EEEvSW_.num_vgpr, 0
	.set _ZN7rocprim17ROCPRIM_400000_NS6detail17trampoline_kernelINS0_14default_configENS1_22reduce_config_selectorIlEEZNS1_11reduce_implILb1ES3_N6thrust23THRUST_200600_302600_NS11hip_rocprim26transform_input_iterator_tIlNS8_12zip_iteratorINS8_5tupleINS8_6detail15normal_iteratorINS8_10device_ptrIxEEEESH_NS8_9null_typeESI_SI_SI_SI_SI_SI_SI_EEEENS9_21zip_adj_not_predicateI22is_equal_div_10_uniqueIxEEEEEPllNS8_4plusIlEEEE10hipError_tPvRmT1_T2_T3_mT4_P12ihipStream_tbEUlT_E0_NS1_11comp_targetILNS1_3genE3ELNS1_11target_archE908ELNS1_3gpuE7ELNS1_3repE0EEENS1_30default_config_static_selectorELNS0_4arch9wavefront6targetE1EEEvSW_.num_agpr, 0
	.set _ZN7rocprim17ROCPRIM_400000_NS6detail17trampoline_kernelINS0_14default_configENS1_22reduce_config_selectorIlEEZNS1_11reduce_implILb1ES3_N6thrust23THRUST_200600_302600_NS11hip_rocprim26transform_input_iterator_tIlNS8_12zip_iteratorINS8_5tupleINS8_6detail15normal_iteratorINS8_10device_ptrIxEEEESH_NS8_9null_typeESI_SI_SI_SI_SI_SI_SI_EEEENS9_21zip_adj_not_predicateI22is_equal_div_10_uniqueIxEEEEEPllNS8_4plusIlEEEE10hipError_tPvRmT1_T2_T3_mT4_P12ihipStream_tbEUlT_E0_NS1_11comp_targetILNS1_3genE3ELNS1_11target_archE908ELNS1_3gpuE7ELNS1_3repE0EEENS1_30default_config_static_selectorELNS0_4arch9wavefront6targetE1EEEvSW_.numbered_sgpr, 0
	.set _ZN7rocprim17ROCPRIM_400000_NS6detail17trampoline_kernelINS0_14default_configENS1_22reduce_config_selectorIlEEZNS1_11reduce_implILb1ES3_N6thrust23THRUST_200600_302600_NS11hip_rocprim26transform_input_iterator_tIlNS8_12zip_iteratorINS8_5tupleINS8_6detail15normal_iteratorINS8_10device_ptrIxEEEESH_NS8_9null_typeESI_SI_SI_SI_SI_SI_SI_EEEENS9_21zip_adj_not_predicateI22is_equal_div_10_uniqueIxEEEEEPllNS8_4plusIlEEEE10hipError_tPvRmT1_T2_T3_mT4_P12ihipStream_tbEUlT_E0_NS1_11comp_targetILNS1_3genE3ELNS1_11target_archE908ELNS1_3gpuE7ELNS1_3repE0EEENS1_30default_config_static_selectorELNS0_4arch9wavefront6targetE1EEEvSW_.num_named_barrier, 0
	.set _ZN7rocprim17ROCPRIM_400000_NS6detail17trampoline_kernelINS0_14default_configENS1_22reduce_config_selectorIlEEZNS1_11reduce_implILb1ES3_N6thrust23THRUST_200600_302600_NS11hip_rocprim26transform_input_iterator_tIlNS8_12zip_iteratorINS8_5tupleINS8_6detail15normal_iteratorINS8_10device_ptrIxEEEESH_NS8_9null_typeESI_SI_SI_SI_SI_SI_SI_EEEENS9_21zip_adj_not_predicateI22is_equal_div_10_uniqueIxEEEEEPllNS8_4plusIlEEEE10hipError_tPvRmT1_T2_T3_mT4_P12ihipStream_tbEUlT_E0_NS1_11comp_targetILNS1_3genE3ELNS1_11target_archE908ELNS1_3gpuE7ELNS1_3repE0EEENS1_30default_config_static_selectorELNS0_4arch9wavefront6targetE1EEEvSW_.private_seg_size, 0
	.set _ZN7rocprim17ROCPRIM_400000_NS6detail17trampoline_kernelINS0_14default_configENS1_22reduce_config_selectorIlEEZNS1_11reduce_implILb1ES3_N6thrust23THRUST_200600_302600_NS11hip_rocprim26transform_input_iterator_tIlNS8_12zip_iteratorINS8_5tupleINS8_6detail15normal_iteratorINS8_10device_ptrIxEEEESH_NS8_9null_typeESI_SI_SI_SI_SI_SI_SI_EEEENS9_21zip_adj_not_predicateI22is_equal_div_10_uniqueIxEEEEEPllNS8_4plusIlEEEE10hipError_tPvRmT1_T2_T3_mT4_P12ihipStream_tbEUlT_E0_NS1_11comp_targetILNS1_3genE3ELNS1_11target_archE908ELNS1_3gpuE7ELNS1_3repE0EEENS1_30default_config_static_selectorELNS0_4arch9wavefront6targetE1EEEvSW_.uses_vcc, 0
	.set _ZN7rocprim17ROCPRIM_400000_NS6detail17trampoline_kernelINS0_14default_configENS1_22reduce_config_selectorIlEEZNS1_11reduce_implILb1ES3_N6thrust23THRUST_200600_302600_NS11hip_rocprim26transform_input_iterator_tIlNS8_12zip_iteratorINS8_5tupleINS8_6detail15normal_iteratorINS8_10device_ptrIxEEEESH_NS8_9null_typeESI_SI_SI_SI_SI_SI_SI_EEEENS9_21zip_adj_not_predicateI22is_equal_div_10_uniqueIxEEEEEPllNS8_4plusIlEEEE10hipError_tPvRmT1_T2_T3_mT4_P12ihipStream_tbEUlT_E0_NS1_11comp_targetILNS1_3genE3ELNS1_11target_archE908ELNS1_3gpuE7ELNS1_3repE0EEENS1_30default_config_static_selectorELNS0_4arch9wavefront6targetE1EEEvSW_.uses_flat_scratch, 0
	.set _ZN7rocprim17ROCPRIM_400000_NS6detail17trampoline_kernelINS0_14default_configENS1_22reduce_config_selectorIlEEZNS1_11reduce_implILb1ES3_N6thrust23THRUST_200600_302600_NS11hip_rocprim26transform_input_iterator_tIlNS8_12zip_iteratorINS8_5tupleINS8_6detail15normal_iteratorINS8_10device_ptrIxEEEESH_NS8_9null_typeESI_SI_SI_SI_SI_SI_SI_EEEENS9_21zip_adj_not_predicateI22is_equal_div_10_uniqueIxEEEEEPllNS8_4plusIlEEEE10hipError_tPvRmT1_T2_T3_mT4_P12ihipStream_tbEUlT_E0_NS1_11comp_targetILNS1_3genE3ELNS1_11target_archE908ELNS1_3gpuE7ELNS1_3repE0EEENS1_30default_config_static_selectorELNS0_4arch9wavefront6targetE1EEEvSW_.has_dyn_sized_stack, 0
	.set _ZN7rocprim17ROCPRIM_400000_NS6detail17trampoline_kernelINS0_14default_configENS1_22reduce_config_selectorIlEEZNS1_11reduce_implILb1ES3_N6thrust23THRUST_200600_302600_NS11hip_rocprim26transform_input_iterator_tIlNS8_12zip_iteratorINS8_5tupleINS8_6detail15normal_iteratorINS8_10device_ptrIxEEEESH_NS8_9null_typeESI_SI_SI_SI_SI_SI_SI_EEEENS9_21zip_adj_not_predicateI22is_equal_div_10_uniqueIxEEEEEPllNS8_4plusIlEEEE10hipError_tPvRmT1_T2_T3_mT4_P12ihipStream_tbEUlT_E0_NS1_11comp_targetILNS1_3genE3ELNS1_11target_archE908ELNS1_3gpuE7ELNS1_3repE0EEENS1_30default_config_static_selectorELNS0_4arch9wavefront6targetE1EEEvSW_.has_recursion, 0
	.set _ZN7rocprim17ROCPRIM_400000_NS6detail17trampoline_kernelINS0_14default_configENS1_22reduce_config_selectorIlEEZNS1_11reduce_implILb1ES3_N6thrust23THRUST_200600_302600_NS11hip_rocprim26transform_input_iterator_tIlNS8_12zip_iteratorINS8_5tupleINS8_6detail15normal_iteratorINS8_10device_ptrIxEEEESH_NS8_9null_typeESI_SI_SI_SI_SI_SI_SI_EEEENS9_21zip_adj_not_predicateI22is_equal_div_10_uniqueIxEEEEEPllNS8_4plusIlEEEE10hipError_tPvRmT1_T2_T3_mT4_P12ihipStream_tbEUlT_E0_NS1_11comp_targetILNS1_3genE3ELNS1_11target_archE908ELNS1_3gpuE7ELNS1_3repE0EEENS1_30default_config_static_selectorELNS0_4arch9wavefront6targetE1EEEvSW_.has_indirect_call, 0
	.section	.AMDGPU.csdata,"",@progbits
; Kernel info:
; codeLenInByte = 0
; TotalNumSgprs: 4
; NumVgprs: 0
; ScratchSize: 0
; MemoryBound: 0
; FloatMode: 240
; IeeeMode: 1
; LDSByteSize: 0 bytes/workgroup (compile time only)
; SGPRBlocks: 0
; VGPRBlocks: 0
; NumSGPRsForWavesPerEU: 4
; NumVGPRsForWavesPerEU: 1
; Occupancy: 10
; WaveLimiterHint : 0
; COMPUTE_PGM_RSRC2:SCRATCH_EN: 0
; COMPUTE_PGM_RSRC2:USER_SGPR: 6
; COMPUTE_PGM_RSRC2:TRAP_HANDLER: 0
; COMPUTE_PGM_RSRC2:TGID_X_EN: 1
; COMPUTE_PGM_RSRC2:TGID_Y_EN: 0
; COMPUTE_PGM_RSRC2:TGID_Z_EN: 0
; COMPUTE_PGM_RSRC2:TIDIG_COMP_CNT: 0
	.section	.text._ZN7rocprim17ROCPRIM_400000_NS6detail17trampoline_kernelINS0_14default_configENS1_22reduce_config_selectorIlEEZNS1_11reduce_implILb1ES3_N6thrust23THRUST_200600_302600_NS11hip_rocprim26transform_input_iterator_tIlNS8_12zip_iteratorINS8_5tupleINS8_6detail15normal_iteratorINS8_10device_ptrIxEEEESH_NS8_9null_typeESI_SI_SI_SI_SI_SI_SI_EEEENS9_21zip_adj_not_predicateI22is_equal_div_10_uniqueIxEEEEEPllNS8_4plusIlEEEE10hipError_tPvRmT1_T2_T3_mT4_P12ihipStream_tbEUlT_E0_NS1_11comp_targetILNS1_3genE2ELNS1_11target_archE906ELNS1_3gpuE6ELNS1_3repE0EEENS1_30default_config_static_selectorELNS0_4arch9wavefront6targetE1EEEvSW_,"axG",@progbits,_ZN7rocprim17ROCPRIM_400000_NS6detail17trampoline_kernelINS0_14default_configENS1_22reduce_config_selectorIlEEZNS1_11reduce_implILb1ES3_N6thrust23THRUST_200600_302600_NS11hip_rocprim26transform_input_iterator_tIlNS8_12zip_iteratorINS8_5tupleINS8_6detail15normal_iteratorINS8_10device_ptrIxEEEESH_NS8_9null_typeESI_SI_SI_SI_SI_SI_SI_EEEENS9_21zip_adj_not_predicateI22is_equal_div_10_uniqueIxEEEEEPllNS8_4plusIlEEEE10hipError_tPvRmT1_T2_T3_mT4_P12ihipStream_tbEUlT_E0_NS1_11comp_targetILNS1_3genE2ELNS1_11target_archE906ELNS1_3gpuE6ELNS1_3repE0EEENS1_30default_config_static_selectorELNS0_4arch9wavefront6targetE1EEEvSW_,comdat
	.protected	_ZN7rocprim17ROCPRIM_400000_NS6detail17trampoline_kernelINS0_14default_configENS1_22reduce_config_selectorIlEEZNS1_11reduce_implILb1ES3_N6thrust23THRUST_200600_302600_NS11hip_rocprim26transform_input_iterator_tIlNS8_12zip_iteratorINS8_5tupleINS8_6detail15normal_iteratorINS8_10device_ptrIxEEEESH_NS8_9null_typeESI_SI_SI_SI_SI_SI_SI_EEEENS9_21zip_adj_not_predicateI22is_equal_div_10_uniqueIxEEEEEPllNS8_4plusIlEEEE10hipError_tPvRmT1_T2_T3_mT4_P12ihipStream_tbEUlT_E0_NS1_11comp_targetILNS1_3genE2ELNS1_11target_archE906ELNS1_3gpuE6ELNS1_3repE0EEENS1_30default_config_static_selectorELNS0_4arch9wavefront6targetE1EEEvSW_ ; -- Begin function _ZN7rocprim17ROCPRIM_400000_NS6detail17trampoline_kernelINS0_14default_configENS1_22reduce_config_selectorIlEEZNS1_11reduce_implILb1ES3_N6thrust23THRUST_200600_302600_NS11hip_rocprim26transform_input_iterator_tIlNS8_12zip_iteratorINS8_5tupleINS8_6detail15normal_iteratorINS8_10device_ptrIxEEEESH_NS8_9null_typeESI_SI_SI_SI_SI_SI_SI_EEEENS9_21zip_adj_not_predicateI22is_equal_div_10_uniqueIxEEEEEPllNS8_4plusIlEEEE10hipError_tPvRmT1_T2_T3_mT4_P12ihipStream_tbEUlT_E0_NS1_11comp_targetILNS1_3genE2ELNS1_11target_archE906ELNS1_3gpuE6ELNS1_3repE0EEENS1_30default_config_static_selectorELNS0_4arch9wavefront6targetE1EEEvSW_
	.globl	_ZN7rocprim17ROCPRIM_400000_NS6detail17trampoline_kernelINS0_14default_configENS1_22reduce_config_selectorIlEEZNS1_11reduce_implILb1ES3_N6thrust23THRUST_200600_302600_NS11hip_rocprim26transform_input_iterator_tIlNS8_12zip_iteratorINS8_5tupleINS8_6detail15normal_iteratorINS8_10device_ptrIxEEEESH_NS8_9null_typeESI_SI_SI_SI_SI_SI_SI_EEEENS9_21zip_adj_not_predicateI22is_equal_div_10_uniqueIxEEEEEPllNS8_4plusIlEEEE10hipError_tPvRmT1_T2_T3_mT4_P12ihipStream_tbEUlT_E0_NS1_11comp_targetILNS1_3genE2ELNS1_11target_archE906ELNS1_3gpuE6ELNS1_3repE0EEENS1_30default_config_static_selectorELNS0_4arch9wavefront6targetE1EEEvSW_
	.p2align	8
	.type	_ZN7rocprim17ROCPRIM_400000_NS6detail17trampoline_kernelINS0_14default_configENS1_22reduce_config_selectorIlEEZNS1_11reduce_implILb1ES3_N6thrust23THRUST_200600_302600_NS11hip_rocprim26transform_input_iterator_tIlNS8_12zip_iteratorINS8_5tupleINS8_6detail15normal_iteratorINS8_10device_ptrIxEEEESH_NS8_9null_typeESI_SI_SI_SI_SI_SI_SI_EEEENS9_21zip_adj_not_predicateI22is_equal_div_10_uniqueIxEEEEEPllNS8_4plusIlEEEE10hipError_tPvRmT1_T2_T3_mT4_P12ihipStream_tbEUlT_E0_NS1_11comp_targetILNS1_3genE2ELNS1_11target_archE906ELNS1_3gpuE6ELNS1_3repE0EEENS1_30default_config_static_selectorELNS0_4arch9wavefront6targetE1EEEvSW_,@function
_ZN7rocprim17ROCPRIM_400000_NS6detail17trampoline_kernelINS0_14default_configENS1_22reduce_config_selectorIlEEZNS1_11reduce_implILb1ES3_N6thrust23THRUST_200600_302600_NS11hip_rocprim26transform_input_iterator_tIlNS8_12zip_iteratorINS8_5tupleINS8_6detail15normal_iteratorINS8_10device_ptrIxEEEESH_NS8_9null_typeESI_SI_SI_SI_SI_SI_SI_EEEENS9_21zip_adj_not_predicateI22is_equal_div_10_uniqueIxEEEEEPllNS8_4plusIlEEEE10hipError_tPvRmT1_T2_T3_mT4_P12ihipStream_tbEUlT_E0_NS1_11comp_targetILNS1_3genE2ELNS1_11target_archE906ELNS1_3gpuE6ELNS1_3repE0EEENS1_30default_config_static_selectorELNS0_4arch9wavefront6targetE1EEEvSW_: ; @_ZN7rocprim17ROCPRIM_400000_NS6detail17trampoline_kernelINS0_14default_configENS1_22reduce_config_selectorIlEEZNS1_11reduce_implILb1ES3_N6thrust23THRUST_200600_302600_NS11hip_rocprim26transform_input_iterator_tIlNS8_12zip_iteratorINS8_5tupleINS8_6detail15normal_iteratorINS8_10device_ptrIxEEEESH_NS8_9null_typeESI_SI_SI_SI_SI_SI_SI_EEEENS9_21zip_adj_not_predicateI22is_equal_div_10_uniqueIxEEEEEPllNS8_4plusIlEEEE10hipError_tPvRmT1_T2_T3_mT4_P12ihipStream_tbEUlT_E0_NS1_11comp_targetILNS1_3genE2ELNS1_11target_archE906ELNS1_3gpuE6ELNS1_3repE0EEENS1_30default_config_static_selectorELNS0_4arch9wavefront6targetE1EEEvSW_
; %bb.0:
	s_load_dwordx8 s[8:15], s[4:5], 0x18
	s_load_dwordx4 s[0:3], s[4:5], 0x0
	s_load_dwordx4 s[16:19], s[4:5], 0x38
	v_lshlrev_b32_e32 v6, 3, v0
	v_mbcnt_lo_u32_b32 v5, -1, 0
	s_waitcnt lgkmcnt(0)
	s_lshl_b64 s[4:5], s[8:9], 3
	s_add_u32 s0, s0, s4
	s_addc_u32 s1, s1, s5
	s_add_u32 s20, s2, s4
	s_addc_u32 s21, s3, s5
	s_lshl_b32 s4, s6, 9
	s_mov_b32 s5, 0
	s_lshr_b64 s[8:9], s[10:11], 9
	s_lshl_b64 s[2:3], s[4:5], 3
	s_add_u32 s0, s0, s2
	s_addc_u32 s1, s1, s3
	s_add_u32 s2, s20, s2
	s_mov_b32 s7, s5
	s_addc_u32 s3, s21, s3
	s_cmp_lg_u64 s[8:9], s[6:7]
	s_cbranch_scc0 .LBB945_6
; %bb.1:
	global_load_dword v1, v6, s[0:1]
	global_load_dword v2, v6, s[2:3]
	global_load_dword v7, v6, s[2:3] offset:2048
	global_load_dword v8, v6, s[0:1] offset:2048
	s_mov_b32 s5, 0x66666667
	v_mov_b32_e32 v4, 0
	v_mbcnt_hi_u32_b32 v3, -1, v5
	s_waitcnt vmcnt(3)
	v_mul_hi_i32 v1, v1, s5
	s_waitcnt vmcnt(2)
	v_mul_hi_i32 v2, v2, s5
	s_waitcnt vmcnt(1)
	v_mul_hi_i32 v7, v7, s5
	s_waitcnt vmcnt(0)
	v_mul_hi_i32 v8, v8, s5
	v_lshrrev_b32_e32 v11, 31, v1
	v_ashrrev_i32_e32 v1, 2, v1
	v_lshrrev_b32_e32 v12, 31, v2
	v_ashrrev_i32_e32 v2, 2, v2
	;; [unrolled: 2-line block ×4, first 2 shown]
	v_add_u32_e32 v1, v1, v11
	v_add_u32_e32 v2, v2, v12
	;; [unrolled: 1-line block ×4, first 2 shown]
	v_cmp_ne_u32_e32 vcc, v1, v2
	v_cndmask_b32_e64 v1, 0, 1, vcc
	v_cmp_ne_u32_e32 vcc, v8, v7
	v_addc_co_u32_e32 v1, vcc, 0, v1, vcc
	v_mov_b32_dpp v9, v4 quad_perm:[1,0,3,2] row_mask:0xf bank_mask:0xf bound_ctrl:1
	s_nop 0
	v_mov_b32_dpp v2, v1 quad_perm:[1,0,3,2] row_mask:0xf bank_mask:0xf bound_ctrl:1
	v_add_co_u32_e32 v1, vcc, v1, v2
	v_addc_co_u32_e64 v2, s[8:9], 0, 0, vcc
	v_add_co_u32_e32 v7, vcc, 0, v1
	v_addc_co_u32_e32 v2, vcc, v9, v2, vcc
	v_mov_b32_dpp v1, v1 quad_perm:[2,3,0,1] row_mask:0xf bank_mask:0xf bound_ctrl:1
	v_add_co_u32_e32 v1, vcc, v7, v1
	v_mov_b32_dpp v8, v2 quad_perm:[2,3,0,1] row_mask:0xf bank_mask:0xf bound_ctrl:1
	v_addc_co_u32_e32 v2, vcc, 0, v2, vcc
	v_add_co_u32_e32 v7, vcc, 0, v1
	v_addc_co_u32_e32 v2, vcc, v2, v8, vcc
	v_mov_b32_dpp v1, v1 row_ror:4 row_mask:0xf bank_mask:0xf bound_ctrl:1
	v_add_co_u32_e32 v1, vcc, v7, v1
	v_mov_b32_dpp v8, v2 row_ror:4 row_mask:0xf bank_mask:0xf bound_ctrl:1
	v_addc_co_u32_e32 v2, vcc, 0, v2, vcc
	v_add_co_u32_e32 v7, vcc, 0, v1
	v_addc_co_u32_e32 v2, vcc, v2, v8, vcc
	v_mov_b32_dpp v1, v1 row_ror:8 row_mask:0xf bank_mask:0xf bound_ctrl:1
	v_add_co_u32_e32 v1, vcc, v7, v1
	v_mov_b32_dpp v8, v2 row_ror:8 row_mask:0xf bank_mask:0xf bound_ctrl:1
	v_addc_co_u32_e32 v2, vcc, 0, v2, vcc
	v_add_co_u32_e32 v7, vcc, 0, v1
	v_addc_co_u32_e32 v2, vcc, v2, v8, vcc
	v_mov_b32_dpp v1, v1 row_bcast:15 row_mask:0xf bank_mask:0xf bound_ctrl:1
	v_add_co_u32_e32 v1, vcc, v7, v1
	v_mov_b32_dpp v8, v2 row_bcast:15 row_mask:0xf bank_mask:0xf bound_ctrl:1
	v_addc_co_u32_e32 v2, vcc, 0, v2, vcc
	v_add_co_u32_e32 v7, vcc, 0, v1
	v_addc_co_u32_e32 v2, vcc, v2, v8, vcc
	v_mov_b32_dpp v1, v1 row_bcast:31 row_mask:0xf bank_mask:0xf bound_ctrl:1
	v_add_co_u32_e32 v1, vcc, v7, v1
	v_lshlrev_b32_e32 v4, 2, v3
	v_addc_co_u32_e32 v7, vcc, 0, v2, vcc
	v_or_b32_e32 v10, 0xfc, v4
	s_nop 0
	v_add_u32_dpp v2, v2, v7 row_bcast:31 row_mask:0xf bank_mask:0xf bound_ctrl:1
	ds_bpermute_b32 v1, v10, v1
	ds_bpermute_b32 v2, v10, v2
	v_cmp_eq_u32_e32 vcc, 0, v3
	s_and_saveexec_b64 s[8:9], vcc
	s_cbranch_execz .LBB945_3
; %bb.2:
	v_lshrrev_b32_e32 v7, 3, v0
	v_and_b32_e32 v7, 24, v7
	s_waitcnt lgkmcnt(0)
	ds_write_b64 v7, v[1:2]
.LBB945_3:
	s_or_b64 exec, exec, s[8:9]
	v_cmp_gt_u32_e32 vcc, 64, v0
	s_waitcnt lgkmcnt(0)
	s_barrier
	s_and_saveexec_b64 s[8:9], vcc
	s_cbranch_execz .LBB945_5
; %bb.4:
	v_and_b32_e32 v7, 3, v3
	v_lshlrev_b32_e32 v1, 3, v7
	ds_read_b64 v[1:2], v1
	v_cmp_ne_u32_e32 vcc, 3, v7
	v_addc_co_u32_e32 v3, vcc, 0, v3, vcc
	v_lshlrev_b32_e32 v3, 2, v3
	s_waitcnt lgkmcnt(0)
	ds_bpermute_b32 v7, v3, v1
	ds_bpermute_b32 v3, v3, v2
	v_or_b32_e32 v4, 8, v4
	s_waitcnt lgkmcnt(1)
	v_add_co_u32_e32 v1, vcc, v1, v7
	v_addc_co_u32_e32 v2, vcc, 0, v2, vcc
	ds_bpermute_b32 v7, v4, v1
	v_add_co_u32_e32 v1, vcc, 0, v1
	s_waitcnt lgkmcnt(1)
	v_addc_co_u32_e32 v2, vcc, v3, v2, vcc
	ds_bpermute_b32 v3, v4, v2
	s_waitcnt lgkmcnt(1)
	v_add_co_u32_e32 v1, vcc, v1, v7
	v_addc_co_u32_e32 v2, vcc, 0, v2, vcc
	v_add_co_u32_e32 v1, vcc, 0, v1
	s_waitcnt lgkmcnt(0)
	v_addc_co_u32_e32 v2, vcc, v2, v3, vcc
.LBB945_5:
	s_or_b64 exec, exec, s[8:9]
	s_branch .LBB945_28
.LBB945_6:
                                        ; implicit-def: $vgpr1_vgpr2
	s_cbranch_execz .LBB945_28
; %bb.7:
	s_sub_i32 s8, s10, s4
	v_mov_b32_e32 v1, 0
	v_cmp_gt_u32_e32 vcc, s8, v0
	v_mov_b32_e32 v2, v1
	v_mov_b32_e32 v3, v1
	;; [unrolled: 1-line block ×3, first 2 shown]
	s_and_saveexec_b64 s[4:5], vcc
	s_cbranch_execz .LBB945_9
; %bb.8:
	global_load_dword v2, v6, s[0:1]
	global_load_dword v3, v6, s[2:3]
	s_mov_b32 s9, 0x66666667
	v_mov_b32_e32 v8, v1
	v_mov_b32_e32 v9, v1
	;; [unrolled: 1-line block ×3, first 2 shown]
	s_waitcnt vmcnt(1)
	v_mul_hi_i32 v2, v2, s9
	s_waitcnt vmcnt(0)
	v_mul_hi_i32 v3, v3, s9
	v_lshrrev_b32_e32 v4, 31, v2
	v_ashrrev_i32_e32 v2, 2, v2
	v_lshrrev_b32_e32 v7, 31, v3
	v_ashrrev_i32_e32 v3, 2, v3
	v_add_u32_e32 v2, v2, v4
	v_add_u32_e32 v3, v3, v7
	v_cmp_ne_u32_e32 vcc, v2, v3
	v_cndmask_b32_e64 v2, 0, 1, vcc
	v_and_b32_e32 v7, 0xffff, v2
	v_mov_b32_e32 v1, v7
	v_mov_b32_e32 v2, v8
	;; [unrolled: 1-line block ×4, first 2 shown]
.LBB945_9:
	s_or_b64 exec, exec, s[4:5]
	v_or_b32_e32 v7, 0x100, v0
	v_cmp_gt_u32_e32 vcc, s8, v7
	s_and_saveexec_b64 s[4:5], vcc
	s_cbranch_execz .LBB945_11
; %bb.10:
	global_load_dword v3, v6, s[0:1] offset:2048
	global_load_dword v4, v6, s[2:3] offset:2048
	s_mov_b32 s0, 0x66666667
	s_mov_b32 s2, 0
	s_waitcnt vmcnt(1)
	v_mul_hi_i32 v3, v3, s0
	s_waitcnt vmcnt(0)
	v_mul_hi_i32 v4, v4, s0
	v_lshrrev_b32_e32 v6, 31, v3
	v_ashrrev_i32_e32 v3, 2, v3
	v_lshrrev_b32_e32 v7, 31, v4
	v_ashrrev_i32_e32 v4, 2, v4
	v_add_u32_e32 v3, v3, v6
	v_add_u32_e32 v4, v4, v7
	v_cmp_ne_u32_e64 s[0:1], v3, v4
	v_cndmask_b32_e64 v3, 0, 1, s[0:1]
	v_mov_b32_e32 v4, s2
.LBB945_11:
	s_or_b64 exec, exec, s[4:5]
	v_cndmask_b32_e32 v3, 0, v3, vcc
	v_cndmask_b32_e32 v4, 0, v4, vcc
	v_add_co_u32_e32 v1, vcc, v3, v1
	v_mbcnt_hi_u32_b32 v3, -1, v5
	v_addc_co_u32_e32 v2, vcc, v4, v2, vcc
	v_and_b32_e32 v4, 63, v3
	v_cmp_ne_u32_e32 vcc, 63, v4
	v_addc_co_u32_e32 v6, vcc, 0, v3, vcc
	v_lshlrev_b32_e32 v6, 2, v6
	ds_bpermute_b32 v8, v6, v1
	ds_bpermute_b32 v7, v6, v2
	s_min_u32 s2, s8, 0x100
	v_and_b32_e32 v5, 0xc0, v0
	v_sub_u32_e64 v5, s2, v5 clamp
	v_add_u32_e32 v6, 1, v4
	v_cmp_lt_u32_e32 vcc, v6, v5
	v_mov_b32_e32 v6, v1
	s_and_saveexec_b64 s[0:1], vcc
	s_cbranch_execz .LBB945_13
; %bb.12:
	s_waitcnt lgkmcnt(1)
	v_add_co_u32_e32 v6, vcc, v1, v8
	v_addc_co_u32_e32 v2, vcc, 0, v2, vcc
	v_add_co_u32_e32 v1, vcc, 0, v6
	s_waitcnt lgkmcnt(0)
	v_addc_co_u32_e32 v2, vcc, v7, v2, vcc
.LBB945_13:
	s_or_b64 exec, exec, s[0:1]
	v_cmp_gt_u32_e32 vcc, 62, v4
	s_waitcnt lgkmcnt(0)
	v_cndmask_b32_e64 v7, 0, 2, vcc
	v_add_lshl_u32 v7, v7, v3, 2
	ds_bpermute_b32 v8, v7, v6
	ds_bpermute_b32 v7, v7, v2
	v_add_u32_e32 v9, 2, v4
	v_cmp_lt_u32_e32 vcc, v9, v5
	s_and_saveexec_b64 s[0:1], vcc
	s_cbranch_execz .LBB945_15
; %bb.14:
	s_waitcnt lgkmcnt(1)
	v_add_co_u32_e32 v6, vcc, v1, v8
	v_addc_co_u32_e32 v2, vcc, 0, v2, vcc
	v_add_co_u32_e32 v1, vcc, 0, v6
	s_waitcnt lgkmcnt(0)
	v_addc_co_u32_e32 v2, vcc, v7, v2, vcc
.LBB945_15:
	s_or_b64 exec, exec, s[0:1]
	v_cmp_gt_u32_e32 vcc, 60, v4
	s_waitcnt lgkmcnt(0)
	v_cndmask_b32_e64 v7, 0, 4, vcc
	v_add_lshl_u32 v7, v7, v3, 2
	ds_bpermute_b32 v8, v7, v6
	ds_bpermute_b32 v7, v7, v2
	v_add_u32_e32 v9, 4, v4
	v_cmp_lt_u32_e32 vcc, v9, v5
	;; [unrolled: 19-line block ×4, first 2 shown]
	s_and_saveexec_b64 s[0:1], vcc
	s_cbranch_execz .LBB945_21
; %bb.20:
	s_waitcnt lgkmcnt(1)
	v_add_co_u32_e32 v6, vcc, v1, v8
	v_addc_co_u32_e32 v2, vcc, 0, v2, vcc
	v_add_co_u32_e32 v1, vcc, 0, v6
	s_waitcnt lgkmcnt(0)
	v_addc_co_u32_e32 v2, vcc, v7, v2, vcc
.LBB945_21:
	s_or_b64 exec, exec, s[0:1]
	s_waitcnt lgkmcnt(0)
	v_lshlrev_b32_e32 v7, 2, v3
	v_or_b32_e32 v8, 0x80, v7
	ds_bpermute_b32 v6, v8, v6
	ds_bpermute_b32 v8, v8, v2
	v_add_u32_e32 v4, 32, v4
	s_waitcnt lgkmcnt(1)
	v_add_co_u32_e32 v6, vcc, v1, v6
	v_addc_co_u32_e32 v9, vcc, 0, v2, vcc
	v_add_co_u32_e32 v6, vcc, 0, v6
	s_waitcnt lgkmcnt(0)
	v_addc_co_u32_e32 v8, vcc, v9, v8, vcc
	v_cmp_lt_u32_e32 vcc, v4, v5
	v_cndmask_b32_e32 v2, v2, v8, vcc
	v_cndmask_b32_e32 v1, v1, v6, vcc
	v_cmp_eq_u32_e32 vcc, 0, v3
	s_and_saveexec_b64 s[0:1], vcc
; %bb.22:
	v_lshrrev_b32_e32 v4, 3, v0
	v_and_b32_e32 v4, 24, v4
	ds_write_b64 v4, v[1:2] offset:32
; %bb.23:
	s_or_b64 exec, exec, s[0:1]
	v_cmp_gt_u32_e32 vcc, 4, v0
	s_waitcnt lgkmcnt(0)
	s_barrier
	s_and_saveexec_b64 s[0:1], vcc
	s_cbranch_execz .LBB945_27
; %bb.24:
	v_lshlrev_b32_e32 v1, 3, v3
	ds_read_b64 v[1:2], v1 offset:32
	v_and_b32_e32 v4, 3, v3
	v_cmp_ne_u32_e32 vcc, 3, v4
	v_addc_co_u32_e32 v3, vcc, 0, v3, vcc
	v_lshlrev_b32_e32 v3, 2, v3
	s_waitcnt lgkmcnt(0)
	ds_bpermute_b32 v6, v3, v1
	ds_bpermute_b32 v5, v3, v2
	s_add_i32 s2, s2, 63
	s_lshr_b32 s4, s2, 6
	v_add_u32_e32 v3, 1, v4
	v_cmp_gt_u32_e32 vcc, s4, v3
	v_mov_b32_e32 v3, v1
	s_and_saveexec_b64 s[2:3], vcc
	s_cbranch_execz .LBB945_26
; %bb.25:
	s_waitcnt lgkmcnt(1)
	v_add_co_u32_e32 v3, vcc, v1, v6
	v_addc_co_u32_e32 v2, vcc, 0, v2, vcc
	v_add_co_u32_e32 v1, vcc, 0, v3
	s_waitcnt lgkmcnt(0)
	v_addc_co_u32_e32 v2, vcc, v5, v2, vcc
.LBB945_26:
	s_or_b64 exec, exec, s[2:3]
	s_waitcnt lgkmcnt(0)
	v_or_b32_e32 v5, 8, v7
	ds_bpermute_b32 v3, v5, v3
	ds_bpermute_b32 v5, v5, v2
	v_add_u32_e32 v4, 2, v4
	s_waitcnt lgkmcnt(1)
	v_add_co_u32_e32 v3, vcc, v1, v3
	v_addc_co_u32_e32 v6, vcc, 0, v2, vcc
	v_add_co_u32_e32 v3, vcc, 0, v3
	s_waitcnt lgkmcnt(0)
	v_addc_co_u32_e32 v5, vcc, v6, v5, vcc
	v_cmp_gt_u32_e32 vcc, s4, v4
	v_cndmask_b32_e32 v2, v2, v5, vcc
	v_cndmask_b32_e32 v1, v1, v3, vcc
.LBB945_27:
	s_or_b64 exec, exec, s[0:1]
.LBB945_28:
	v_cmp_eq_u32_e32 vcc, 0, v0
	s_and_saveexec_b64 s[0:1], vcc
	s_cbranch_execnz .LBB945_30
; %bb.29:
	s_endpgm
.LBB945_30:
	s_mul_i32 s0, s16, s15
	s_mul_hi_u32 s1, s16, s14
	s_add_i32 s0, s1, s0
	s_mul_i32 s1, s17, s14
	s_add_i32 s1, s0, s1
	s_mul_i32 s0, s16, s14
	s_lshl_b64 s[0:1], s[0:1], 3
	s_add_u32 s2, s12, s0
	s_addc_u32 s3, s13, s1
	s_cmp_eq_u64 s[10:11], 0
	v_mov_b32_e32 v0, s19
	s_cselect_b64 vcc, -1, 0
	s_lshl_b64 s[0:1], s[6:7], 3
	v_cndmask_b32_e32 v2, v2, v0, vcc
	v_mov_b32_e32 v0, s18
	s_add_u32 s0, s2, s0
	v_cndmask_b32_e32 v1, v1, v0, vcc
	s_addc_u32 s1, s3, s1
	v_mov_b32_e32 v0, 0
	global_store_dwordx2 v0, v[1:2], s[0:1]
	s_endpgm
	.section	.rodata,"a",@progbits
	.p2align	6, 0x0
	.amdhsa_kernel _ZN7rocprim17ROCPRIM_400000_NS6detail17trampoline_kernelINS0_14default_configENS1_22reduce_config_selectorIlEEZNS1_11reduce_implILb1ES3_N6thrust23THRUST_200600_302600_NS11hip_rocprim26transform_input_iterator_tIlNS8_12zip_iteratorINS8_5tupleINS8_6detail15normal_iteratorINS8_10device_ptrIxEEEESH_NS8_9null_typeESI_SI_SI_SI_SI_SI_SI_EEEENS9_21zip_adj_not_predicateI22is_equal_div_10_uniqueIxEEEEEPllNS8_4plusIlEEEE10hipError_tPvRmT1_T2_T3_mT4_P12ihipStream_tbEUlT_E0_NS1_11comp_targetILNS1_3genE2ELNS1_11target_archE906ELNS1_3gpuE6ELNS1_3repE0EEENS1_30default_config_static_selectorELNS0_4arch9wavefront6targetE1EEEvSW_
		.amdhsa_group_segment_fixed_size 64
		.amdhsa_private_segment_fixed_size 0
		.amdhsa_kernarg_size 80
		.amdhsa_user_sgpr_count 6
		.amdhsa_user_sgpr_private_segment_buffer 1
		.amdhsa_user_sgpr_dispatch_ptr 0
		.amdhsa_user_sgpr_queue_ptr 0
		.amdhsa_user_sgpr_kernarg_segment_ptr 1
		.amdhsa_user_sgpr_dispatch_id 0
		.amdhsa_user_sgpr_flat_scratch_init 0
		.amdhsa_user_sgpr_private_segment_size 0
		.amdhsa_uses_dynamic_stack 0
		.amdhsa_system_sgpr_private_segment_wavefront_offset 0
		.amdhsa_system_sgpr_workgroup_id_x 1
		.amdhsa_system_sgpr_workgroup_id_y 0
		.amdhsa_system_sgpr_workgroup_id_z 0
		.amdhsa_system_sgpr_workgroup_info 0
		.amdhsa_system_vgpr_workitem_id 0
		.amdhsa_next_free_vgpr 15
		.amdhsa_next_free_sgpr 22
		.amdhsa_reserve_vcc 1
		.amdhsa_reserve_flat_scratch 0
		.amdhsa_float_round_mode_32 0
		.amdhsa_float_round_mode_16_64 0
		.amdhsa_float_denorm_mode_32 3
		.amdhsa_float_denorm_mode_16_64 3
		.amdhsa_dx10_clamp 1
		.amdhsa_ieee_mode 1
		.amdhsa_fp16_overflow 0
		.amdhsa_exception_fp_ieee_invalid_op 0
		.amdhsa_exception_fp_denorm_src 0
		.amdhsa_exception_fp_ieee_div_zero 0
		.amdhsa_exception_fp_ieee_overflow 0
		.amdhsa_exception_fp_ieee_underflow 0
		.amdhsa_exception_fp_ieee_inexact 0
		.amdhsa_exception_int_div_zero 0
	.end_amdhsa_kernel
	.section	.text._ZN7rocprim17ROCPRIM_400000_NS6detail17trampoline_kernelINS0_14default_configENS1_22reduce_config_selectorIlEEZNS1_11reduce_implILb1ES3_N6thrust23THRUST_200600_302600_NS11hip_rocprim26transform_input_iterator_tIlNS8_12zip_iteratorINS8_5tupleINS8_6detail15normal_iteratorINS8_10device_ptrIxEEEESH_NS8_9null_typeESI_SI_SI_SI_SI_SI_SI_EEEENS9_21zip_adj_not_predicateI22is_equal_div_10_uniqueIxEEEEEPllNS8_4plusIlEEEE10hipError_tPvRmT1_T2_T3_mT4_P12ihipStream_tbEUlT_E0_NS1_11comp_targetILNS1_3genE2ELNS1_11target_archE906ELNS1_3gpuE6ELNS1_3repE0EEENS1_30default_config_static_selectorELNS0_4arch9wavefront6targetE1EEEvSW_,"axG",@progbits,_ZN7rocprim17ROCPRIM_400000_NS6detail17trampoline_kernelINS0_14default_configENS1_22reduce_config_selectorIlEEZNS1_11reduce_implILb1ES3_N6thrust23THRUST_200600_302600_NS11hip_rocprim26transform_input_iterator_tIlNS8_12zip_iteratorINS8_5tupleINS8_6detail15normal_iteratorINS8_10device_ptrIxEEEESH_NS8_9null_typeESI_SI_SI_SI_SI_SI_SI_EEEENS9_21zip_adj_not_predicateI22is_equal_div_10_uniqueIxEEEEEPllNS8_4plusIlEEEE10hipError_tPvRmT1_T2_T3_mT4_P12ihipStream_tbEUlT_E0_NS1_11comp_targetILNS1_3genE2ELNS1_11target_archE906ELNS1_3gpuE6ELNS1_3repE0EEENS1_30default_config_static_selectorELNS0_4arch9wavefront6targetE1EEEvSW_,comdat
.Lfunc_end945:
	.size	_ZN7rocprim17ROCPRIM_400000_NS6detail17trampoline_kernelINS0_14default_configENS1_22reduce_config_selectorIlEEZNS1_11reduce_implILb1ES3_N6thrust23THRUST_200600_302600_NS11hip_rocprim26transform_input_iterator_tIlNS8_12zip_iteratorINS8_5tupleINS8_6detail15normal_iteratorINS8_10device_ptrIxEEEESH_NS8_9null_typeESI_SI_SI_SI_SI_SI_SI_EEEENS9_21zip_adj_not_predicateI22is_equal_div_10_uniqueIxEEEEEPllNS8_4plusIlEEEE10hipError_tPvRmT1_T2_T3_mT4_P12ihipStream_tbEUlT_E0_NS1_11comp_targetILNS1_3genE2ELNS1_11target_archE906ELNS1_3gpuE6ELNS1_3repE0EEENS1_30default_config_static_selectorELNS0_4arch9wavefront6targetE1EEEvSW_, .Lfunc_end945-_ZN7rocprim17ROCPRIM_400000_NS6detail17trampoline_kernelINS0_14default_configENS1_22reduce_config_selectorIlEEZNS1_11reduce_implILb1ES3_N6thrust23THRUST_200600_302600_NS11hip_rocprim26transform_input_iterator_tIlNS8_12zip_iteratorINS8_5tupleINS8_6detail15normal_iteratorINS8_10device_ptrIxEEEESH_NS8_9null_typeESI_SI_SI_SI_SI_SI_SI_EEEENS9_21zip_adj_not_predicateI22is_equal_div_10_uniqueIxEEEEEPllNS8_4plusIlEEEE10hipError_tPvRmT1_T2_T3_mT4_P12ihipStream_tbEUlT_E0_NS1_11comp_targetILNS1_3genE2ELNS1_11target_archE906ELNS1_3gpuE6ELNS1_3repE0EEENS1_30default_config_static_selectorELNS0_4arch9wavefront6targetE1EEEvSW_
                                        ; -- End function
	.set _ZN7rocprim17ROCPRIM_400000_NS6detail17trampoline_kernelINS0_14default_configENS1_22reduce_config_selectorIlEEZNS1_11reduce_implILb1ES3_N6thrust23THRUST_200600_302600_NS11hip_rocprim26transform_input_iterator_tIlNS8_12zip_iteratorINS8_5tupleINS8_6detail15normal_iteratorINS8_10device_ptrIxEEEESH_NS8_9null_typeESI_SI_SI_SI_SI_SI_SI_EEEENS9_21zip_adj_not_predicateI22is_equal_div_10_uniqueIxEEEEEPllNS8_4plusIlEEEE10hipError_tPvRmT1_T2_T3_mT4_P12ihipStream_tbEUlT_E0_NS1_11comp_targetILNS1_3genE2ELNS1_11target_archE906ELNS1_3gpuE6ELNS1_3repE0EEENS1_30default_config_static_selectorELNS0_4arch9wavefront6targetE1EEEvSW_.num_vgpr, 15
	.set _ZN7rocprim17ROCPRIM_400000_NS6detail17trampoline_kernelINS0_14default_configENS1_22reduce_config_selectorIlEEZNS1_11reduce_implILb1ES3_N6thrust23THRUST_200600_302600_NS11hip_rocprim26transform_input_iterator_tIlNS8_12zip_iteratorINS8_5tupleINS8_6detail15normal_iteratorINS8_10device_ptrIxEEEESH_NS8_9null_typeESI_SI_SI_SI_SI_SI_SI_EEEENS9_21zip_adj_not_predicateI22is_equal_div_10_uniqueIxEEEEEPllNS8_4plusIlEEEE10hipError_tPvRmT1_T2_T3_mT4_P12ihipStream_tbEUlT_E0_NS1_11comp_targetILNS1_3genE2ELNS1_11target_archE906ELNS1_3gpuE6ELNS1_3repE0EEENS1_30default_config_static_selectorELNS0_4arch9wavefront6targetE1EEEvSW_.num_agpr, 0
	.set _ZN7rocprim17ROCPRIM_400000_NS6detail17trampoline_kernelINS0_14default_configENS1_22reduce_config_selectorIlEEZNS1_11reduce_implILb1ES3_N6thrust23THRUST_200600_302600_NS11hip_rocprim26transform_input_iterator_tIlNS8_12zip_iteratorINS8_5tupleINS8_6detail15normal_iteratorINS8_10device_ptrIxEEEESH_NS8_9null_typeESI_SI_SI_SI_SI_SI_SI_EEEENS9_21zip_adj_not_predicateI22is_equal_div_10_uniqueIxEEEEEPllNS8_4plusIlEEEE10hipError_tPvRmT1_T2_T3_mT4_P12ihipStream_tbEUlT_E0_NS1_11comp_targetILNS1_3genE2ELNS1_11target_archE906ELNS1_3gpuE6ELNS1_3repE0EEENS1_30default_config_static_selectorELNS0_4arch9wavefront6targetE1EEEvSW_.numbered_sgpr, 22
	.set _ZN7rocprim17ROCPRIM_400000_NS6detail17trampoline_kernelINS0_14default_configENS1_22reduce_config_selectorIlEEZNS1_11reduce_implILb1ES3_N6thrust23THRUST_200600_302600_NS11hip_rocprim26transform_input_iterator_tIlNS8_12zip_iteratorINS8_5tupleINS8_6detail15normal_iteratorINS8_10device_ptrIxEEEESH_NS8_9null_typeESI_SI_SI_SI_SI_SI_SI_EEEENS9_21zip_adj_not_predicateI22is_equal_div_10_uniqueIxEEEEEPllNS8_4plusIlEEEE10hipError_tPvRmT1_T2_T3_mT4_P12ihipStream_tbEUlT_E0_NS1_11comp_targetILNS1_3genE2ELNS1_11target_archE906ELNS1_3gpuE6ELNS1_3repE0EEENS1_30default_config_static_selectorELNS0_4arch9wavefront6targetE1EEEvSW_.num_named_barrier, 0
	.set _ZN7rocprim17ROCPRIM_400000_NS6detail17trampoline_kernelINS0_14default_configENS1_22reduce_config_selectorIlEEZNS1_11reduce_implILb1ES3_N6thrust23THRUST_200600_302600_NS11hip_rocprim26transform_input_iterator_tIlNS8_12zip_iteratorINS8_5tupleINS8_6detail15normal_iteratorINS8_10device_ptrIxEEEESH_NS8_9null_typeESI_SI_SI_SI_SI_SI_SI_EEEENS9_21zip_adj_not_predicateI22is_equal_div_10_uniqueIxEEEEEPllNS8_4plusIlEEEE10hipError_tPvRmT1_T2_T3_mT4_P12ihipStream_tbEUlT_E0_NS1_11comp_targetILNS1_3genE2ELNS1_11target_archE906ELNS1_3gpuE6ELNS1_3repE0EEENS1_30default_config_static_selectorELNS0_4arch9wavefront6targetE1EEEvSW_.private_seg_size, 0
	.set _ZN7rocprim17ROCPRIM_400000_NS6detail17trampoline_kernelINS0_14default_configENS1_22reduce_config_selectorIlEEZNS1_11reduce_implILb1ES3_N6thrust23THRUST_200600_302600_NS11hip_rocprim26transform_input_iterator_tIlNS8_12zip_iteratorINS8_5tupleINS8_6detail15normal_iteratorINS8_10device_ptrIxEEEESH_NS8_9null_typeESI_SI_SI_SI_SI_SI_SI_EEEENS9_21zip_adj_not_predicateI22is_equal_div_10_uniqueIxEEEEEPllNS8_4plusIlEEEE10hipError_tPvRmT1_T2_T3_mT4_P12ihipStream_tbEUlT_E0_NS1_11comp_targetILNS1_3genE2ELNS1_11target_archE906ELNS1_3gpuE6ELNS1_3repE0EEENS1_30default_config_static_selectorELNS0_4arch9wavefront6targetE1EEEvSW_.uses_vcc, 1
	.set _ZN7rocprim17ROCPRIM_400000_NS6detail17trampoline_kernelINS0_14default_configENS1_22reduce_config_selectorIlEEZNS1_11reduce_implILb1ES3_N6thrust23THRUST_200600_302600_NS11hip_rocprim26transform_input_iterator_tIlNS8_12zip_iteratorINS8_5tupleINS8_6detail15normal_iteratorINS8_10device_ptrIxEEEESH_NS8_9null_typeESI_SI_SI_SI_SI_SI_SI_EEEENS9_21zip_adj_not_predicateI22is_equal_div_10_uniqueIxEEEEEPllNS8_4plusIlEEEE10hipError_tPvRmT1_T2_T3_mT4_P12ihipStream_tbEUlT_E0_NS1_11comp_targetILNS1_3genE2ELNS1_11target_archE906ELNS1_3gpuE6ELNS1_3repE0EEENS1_30default_config_static_selectorELNS0_4arch9wavefront6targetE1EEEvSW_.uses_flat_scratch, 0
	.set _ZN7rocprim17ROCPRIM_400000_NS6detail17trampoline_kernelINS0_14default_configENS1_22reduce_config_selectorIlEEZNS1_11reduce_implILb1ES3_N6thrust23THRUST_200600_302600_NS11hip_rocprim26transform_input_iterator_tIlNS8_12zip_iteratorINS8_5tupleINS8_6detail15normal_iteratorINS8_10device_ptrIxEEEESH_NS8_9null_typeESI_SI_SI_SI_SI_SI_SI_EEEENS9_21zip_adj_not_predicateI22is_equal_div_10_uniqueIxEEEEEPllNS8_4plusIlEEEE10hipError_tPvRmT1_T2_T3_mT4_P12ihipStream_tbEUlT_E0_NS1_11comp_targetILNS1_3genE2ELNS1_11target_archE906ELNS1_3gpuE6ELNS1_3repE0EEENS1_30default_config_static_selectorELNS0_4arch9wavefront6targetE1EEEvSW_.has_dyn_sized_stack, 0
	.set _ZN7rocprim17ROCPRIM_400000_NS6detail17trampoline_kernelINS0_14default_configENS1_22reduce_config_selectorIlEEZNS1_11reduce_implILb1ES3_N6thrust23THRUST_200600_302600_NS11hip_rocprim26transform_input_iterator_tIlNS8_12zip_iteratorINS8_5tupleINS8_6detail15normal_iteratorINS8_10device_ptrIxEEEESH_NS8_9null_typeESI_SI_SI_SI_SI_SI_SI_EEEENS9_21zip_adj_not_predicateI22is_equal_div_10_uniqueIxEEEEEPllNS8_4plusIlEEEE10hipError_tPvRmT1_T2_T3_mT4_P12ihipStream_tbEUlT_E0_NS1_11comp_targetILNS1_3genE2ELNS1_11target_archE906ELNS1_3gpuE6ELNS1_3repE0EEENS1_30default_config_static_selectorELNS0_4arch9wavefront6targetE1EEEvSW_.has_recursion, 0
	.set _ZN7rocprim17ROCPRIM_400000_NS6detail17trampoline_kernelINS0_14default_configENS1_22reduce_config_selectorIlEEZNS1_11reduce_implILb1ES3_N6thrust23THRUST_200600_302600_NS11hip_rocprim26transform_input_iterator_tIlNS8_12zip_iteratorINS8_5tupleINS8_6detail15normal_iteratorINS8_10device_ptrIxEEEESH_NS8_9null_typeESI_SI_SI_SI_SI_SI_SI_EEEENS9_21zip_adj_not_predicateI22is_equal_div_10_uniqueIxEEEEEPllNS8_4plusIlEEEE10hipError_tPvRmT1_T2_T3_mT4_P12ihipStream_tbEUlT_E0_NS1_11comp_targetILNS1_3genE2ELNS1_11target_archE906ELNS1_3gpuE6ELNS1_3repE0EEENS1_30default_config_static_selectorELNS0_4arch9wavefront6targetE1EEEvSW_.has_indirect_call, 0
	.section	.AMDGPU.csdata,"",@progbits
; Kernel info:
; codeLenInByte = 1816
; TotalNumSgprs: 26
; NumVgprs: 15
; ScratchSize: 0
; MemoryBound: 0
; FloatMode: 240
; IeeeMode: 1
; LDSByteSize: 64 bytes/workgroup (compile time only)
; SGPRBlocks: 3
; VGPRBlocks: 3
; NumSGPRsForWavesPerEU: 26
; NumVGPRsForWavesPerEU: 15
; Occupancy: 10
; WaveLimiterHint : 0
; COMPUTE_PGM_RSRC2:SCRATCH_EN: 0
; COMPUTE_PGM_RSRC2:USER_SGPR: 6
; COMPUTE_PGM_RSRC2:TRAP_HANDLER: 0
; COMPUTE_PGM_RSRC2:TGID_X_EN: 1
; COMPUTE_PGM_RSRC2:TGID_Y_EN: 0
; COMPUTE_PGM_RSRC2:TGID_Z_EN: 0
; COMPUTE_PGM_RSRC2:TIDIG_COMP_CNT: 0
	.section	.text._ZN7rocprim17ROCPRIM_400000_NS6detail17trampoline_kernelINS0_14default_configENS1_22reduce_config_selectorIlEEZNS1_11reduce_implILb1ES3_N6thrust23THRUST_200600_302600_NS11hip_rocprim26transform_input_iterator_tIlNS8_12zip_iteratorINS8_5tupleINS8_6detail15normal_iteratorINS8_10device_ptrIxEEEESH_NS8_9null_typeESI_SI_SI_SI_SI_SI_SI_EEEENS9_21zip_adj_not_predicateI22is_equal_div_10_uniqueIxEEEEEPllNS8_4plusIlEEEE10hipError_tPvRmT1_T2_T3_mT4_P12ihipStream_tbEUlT_E0_NS1_11comp_targetILNS1_3genE10ELNS1_11target_archE1201ELNS1_3gpuE5ELNS1_3repE0EEENS1_30default_config_static_selectorELNS0_4arch9wavefront6targetE1EEEvSW_,"axG",@progbits,_ZN7rocprim17ROCPRIM_400000_NS6detail17trampoline_kernelINS0_14default_configENS1_22reduce_config_selectorIlEEZNS1_11reduce_implILb1ES3_N6thrust23THRUST_200600_302600_NS11hip_rocprim26transform_input_iterator_tIlNS8_12zip_iteratorINS8_5tupleINS8_6detail15normal_iteratorINS8_10device_ptrIxEEEESH_NS8_9null_typeESI_SI_SI_SI_SI_SI_SI_EEEENS9_21zip_adj_not_predicateI22is_equal_div_10_uniqueIxEEEEEPllNS8_4plusIlEEEE10hipError_tPvRmT1_T2_T3_mT4_P12ihipStream_tbEUlT_E0_NS1_11comp_targetILNS1_3genE10ELNS1_11target_archE1201ELNS1_3gpuE5ELNS1_3repE0EEENS1_30default_config_static_selectorELNS0_4arch9wavefront6targetE1EEEvSW_,comdat
	.protected	_ZN7rocprim17ROCPRIM_400000_NS6detail17trampoline_kernelINS0_14default_configENS1_22reduce_config_selectorIlEEZNS1_11reduce_implILb1ES3_N6thrust23THRUST_200600_302600_NS11hip_rocprim26transform_input_iterator_tIlNS8_12zip_iteratorINS8_5tupleINS8_6detail15normal_iteratorINS8_10device_ptrIxEEEESH_NS8_9null_typeESI_SI_SI_SI_SI_SI_SI_EEEENS9_21zip_adj_not_predicateI22is_equal_div_10_uniqueIxEEEEEPllNS8_4plusIlEEEE10hipError_tPvRmT1_T2_T3_mT4_P12ihipStream_tbEUlT_E0_NS1_11comp_targetILNS1_3genE10ELNS1_11target_archE1201ELNS1_3gpuE5ELNS1_3repE0EEENS1_30default_config_static_selectorELNS0_4arch9wavefront6targetE1EEEvSW_ ; -- Begin function _ZN7rocprim17ROCPRIM_400000_NS6detail17trampoline_kernelINS0_14default_configENS1_22reduce_config_selectorIlEEZNS1_11reduce_implILb1ES3_N6thrust23THRUST_200600_302600_NS11hip_rocprim26transform_input_iterator_tIlNS8_12zip_iteratorINS8_5tupleINS8_6detail15normal_iteratorINS8_10device_ptrIxEEEESH_NS8_9null_typeESI_SI_SI_SI_SI_SI_SI_EEEENS9_21zip_adj_not_predicateI22is_equal_div_10_uniqueIxEEEEEPllNS8_4plusIlEEEE10hipError_tPvRmT1_T2_T3_mT4_P12ihipStream_tbEUlT_E0_NS1_11comp_targetILNS1_3genE10ELNS1_11target_archE1201ELNS1_3gpuE5ELNS1_3repE0EEENS1_30default_config_static_selectorELNS0_4arch9wavefront6targetE1EEEvSW_
	.globl	_ZN7rocprim17ROCPRIM_400000_NS6detail17trampoline_kernelINS0_14default_configENS1_22reduce_config_selectorIlEEZNS1_11reduce_implILb1ES3_N6thrust23THRUST_200600_302600_NS11hip_rocprim26transform_input_iterator_tIlNS8_12zip_iteratorINS8_5tupleINS8_6detail15normal_iteratorINS8_10device_ptrIxEEEESH_NS8_9null_typeESI_SI_SI_SI_SI_SI_SI_EEEENS9_21zip_adj_not_predicateI22is_equal_div_10_uniqueIxEEEEEPllNS8_4plusIlEEEE10hipError_tPvRmT1_T2_T3_mT4_P12ihipStream_tbEUlT_E0_NS1_11comp_targetILNS1_3genE10ELNS1_11target_archE1201ELNS1_3gpuE5ELNS1_3repE0EEENS1_30default_config_static_selectorELNS0_4arch9wavefront6targetE1EEEvSW_
	.p2align	8
	.type	_ZN7rocprim17ROCPRIM_400000_NS6detail17trampoline_kernelINS0_14default_configENS1_22reduce_config_selectorIlEEZNS1_11reduce_implILb1ES3_N6thrust23THRUST_200600_302600_NS11hip_rocprim26transform_input_iterator_tIlNS8_12zip_iteratorINS8_5tupleINS8_6detail15normal_iteratorINS8_10device_ptrIxEEEESH_NS8_9null_typeESI_SI_SI_SI_SI_SI_SI_EEEENS9_21zip_adj_not_predicateI22is_equal_div_10_uniqueIxEEEEEPllNS8_4plusIlEEEE10hipError_tPvRmT1_T2_T3_mT4_P12ihipStream_tbEUlT_E0_NS1_11comp_targetILNS1_3genE10ELNS1_11target_archE1201ELNS1_3gpuE5ELNS1_3repE0EEENS1_30default_config_static_selectorELNS0_4arch9wavefront6targetE1EEEvSW_,@function
_ZN7rocprim17ROCPRIM_400000_NS6detail17trampoline_kernelINS0_14default_configENS1_22reduce_config_selectorIlEEZNS1_11reduce_implILb1ES3_N6thrust23THRUST_200600_302600_NS11hip_rocprim26transform_input_iterator_tIlNS8_12zip_iteratorINS8_5tupleINS8_6detail15normal_iteratorINS8_10device_ptrIxEEEESH_NS8_9null_typeESI_SI_SI_SI_SI_SI_SI_EEEENS9_21zip_adj_not_predicateI22is_equal_div_10_uniqueIxEEEEEPllNS8_4plusIlEEEE10hipError_tPvRmT1_T2_T3_mT4_P12ihipStream_tbEUlT_E0_NS1_11comp_targetILNS1_3genE10ELNS1_11target_archE1201ELNS1_3gpuE5ELNS1_3repE0EEENS1_30default_config_static_selectorELNS0_4arch9wavefront6targetE1EEEvSW_: ; @_ZN7rocprim17ROCPRIM_400000_NS6detail17trampoline_kernelINS0_14default_configENS1_22reduce_config_selectorIlEEZNS1_11reduce_implILb1ES3_N6thrust23THRUST_200600_302600_NS11hip_rocprim26transform_input_iterator_tIlNS8_12zip_iteratorINS8_5tupleINS8_6detail15normal_iteratorINS8_10device_ptrIxEEEESH_NS8_9null_typeESI_SI_SI_SI_SI_SI_SI_EEEENS9_21zip_adj_not_predicateI22is_equal_div_10_uniqueIxEEEEEPllNS8_4plusIlEEEE10hipError_tPvRmT1_T2_T3_mT4_P12ihipStream_tbEUlT_E0_NS1_11comp_targetILNS1_3genE10ELNS1_11target_archE1201ELNS1_3gpuE5ELNS1_3repE0EEENS1_30default_config_static_selectorELNS0_4arch9wavefront6targetE1EEEvSW_
; %bb.0:
	.section	.rodata,"a",@progbits
	.p2align	6, 0x0
	.amdhsa_kernel _ZN7rocprim17ROCPRIM_400000_NS6detail17trampoline_kernelINS0_14default_configENS1_22reduce_config_selectorIlEEZNS1_11reduce_implILb1ES3_N6thrust23THRUST_200600_302600_NS11hip_rocprim26transform_input_iterator_tIlNS8_12zip_iteratorINS8_5tupleINS8_6detail15normal_iteratorINS8_10device_ptrIxEEEESH_NS8_9null_typeESI_SI_SI_SI_SI_SI_SI_EEEENS9_21zip_adj_not_predicateI22is_equal_div_10_uniqueIxEEEEEPllNS8_4plusIlEEEE10hipError_tPvRmT1_T2_T3_mT4_P12ihipStream_tbEUlT_E0_NS1_11comp_targetILNS1_3genE10ELNS1_11target_archE1201ELNS1_3gpuE5ELNS1_3repE0EEENS1_30default_config_static_selectorELNS0_4arch9wavefront6targetE1EEEvSW_
		.amdhsa_group_segment_fixed_size 0
		.amdhsa_private_segment_fixed_size 0
		.amdhsa_kernarg_size 80
		.amdhsa_user_sgpr_count 6
		.amdhsa_user_sgpr_private_segment_buffer 1
		.amdhsa_user_sgpr_dispatch_ptr 0
		.amdhsa_user_sgpr_queue_ptr 0
		.amdhsa_user_sgpr_kernarg_segment_ptr 1
		.amdhsa_user_sgpr_dispatch_id 0
		.amdhsa_user_sgpr_flat_scratch_init 0
		.amdhsa_user_sgpr_private_segment_size 0
		.amdhsa_uses_dynamic_stack 0
		.amdhsa_system_sgpr_private_segment_wavefront_offset 0
		.amdhsa_system_sgpr_workgroup_id_x 1
		.amdhsa_system_sgpr_workgroup_id_y 0
		.amdhsa_system_sgpr_workgroup_id_z 0
		.amdhsa_system_sgpr_workgroup_info 0
		.amdhsa_system_vgpr_workitem_id 0
		.amdhsa_next_free_vgpr 1
		.amdhsa_next_free_sgpr 0
		.amdhsa_reserve_vcc 0
		.amdhsa_reserve_flat_scratch 0
		.amdhsa_float_round_mode_32 0
		.amdhsa_float_round_mode_16_64 0
		.amdhsa_float_denorm_mode_32 3
		.amdhsa_float_denorm_mode_16_64 3
		.amdhsa_dx10_clamp 1
		.amdhsa_ieee_mode 1
		.amdhsa_fp16_overflow 0
		.amdhsa_exception_fp_ieee_invalid_op 0
		.amdhsa_exception_fp_denorm_src 0
		.amdhsa_exception_fp_ieee_div_zero 0
		.amdhsa_exception_fp_ieee_overflow 0
		.amdhsa_exception_fp_ieee_underflow 0
		.amdhsa_exception_fp_ieee_inexact 0
		.amdhsa_exception_int_div_zero 0
	.end_amdhsa_kernel
	.section	.text._ZN7rocprim17ROCPRIM_400000_NS6detail17trampoline_kernelINS0_14default_configENS1_22reduce_config_selectorIlEEZNS1_11reduce_implILb1ES3_N6thrust23THRUST_200600_302600_NS11hip_rocprim26transform_input_iterator_tIlNS8_12zip_iteratorINS8_5tupleINS8_6detail15normal_iteratorINS8_10device_ptrIxEEEESH_NS8_9null_typeESI_SI_SI_SI_SI_SI_SI_EEEENS9_21zip_adj_not_predicateI22is_equal_div_10_uniqueIxEEEEEPllNS8_4plusIlEEEE10hipError_tPvRmT1_T2_T3_mT4_P12ihipStream_tbEUlT_E0_NS1_11comp_targetILNS1_3genE10ELNS1_11target_archE1201ELNS1_3gpuE5ELNS1_3repE0EEENS1_30default_config_static_selectorELNS0_4arch9wavefront6targetE1EEEvSW_,"axG",@progbits,_ZN7rocprim17ROCPRIM_400000_NS6detail17trampoline_kernelINS0_14default_configENS1_22reduce_config_selectorIlEEZNS1_11reduce_implILb1ES3_N6thrust23THRUST_200600_302600_NS11hip_rocprim26transform_input_iterator_tIlNS8_12zip_iteratorINS8_5tupleINS8_6detail15normal_iteratorINS8_10device_ptrIxEEEESH_NS8_9null_typeESI_SI_SI_SI_SI_SI_SI_EEEENS9_21zip_adj_not_predicateI22is_equal_div_10_uniqueIxEEEEEPllNS8_4plusIlEEEE10hipError_tPvRmT1_T2_T3_mT4_P12ihipStream_tbEUlT_E0_NS1_11comp_targetILNS1_3genE10ELNS1_11target_archE1201ELNS1_3gpuE5ELNS1_3repE0EEENS1_30default_config_static_selectorELNS0_4arch9wavefront6targetE1EEEvSW_,comdat
.Lfunc_end946:
	.size	_ZN7rocprim17ROCPRIM_400000_NS6detail17trampoline_kernelINS0_14default_configENS1_22reduce_config_selectorIlEEZNS1_11reduce_implILb1ES3_N6thrust23THRUST_200600_302600_NS11hip_rocprim26transform_input_iterator_tIlNS8_12zip_iteratorINS8_5tupleINS8_6detail15normal_iteratorINS8_10device_ptrIxEEEESH_NS8_9null_typeESI_SI_SI_SI_SI_SI_SI_EEEENS9_21zip_adj_not_predicateI22is_equal_div_10_uniqueIxEEEEEPllNS8_4plusIlEEEE10hipError_tPvRmT1_T2_T3_mT4_P12ihipStream_tbEUlT_E0_NS1_11comp_targetILNS1_3genE10ELNS1_11target_archE1201ELNS1_3gpuE5ELNS1_3repE0EEENS1_30default_config_static_selectorELNS0_4arch9wavefront6targetE1EEEvSW_, .Lfunc_end946-_ZN7rocprim17ROCPRIM_400000_NS6detail17trampoline_kernelINS0_14default_configENS1_22reduce_config_selectorIlEEZNS1_11reduce_implILb1ES3_N6thrust23THRUST_200600_302600_NS11hip_rocprim26transform_input_iterator_tIlNS8_12zip_iteratorINS8_5tupleINS8_6detail15normal_iteratorINS8_10device_ptrIxEEEESH_NS8_9null_typeESI_SI_SI_SI_SI_SI_SI_EEEENS9_21zip_adj_not_predicateI22is_equal_div_10_uniqueIxEEEEEPllNS8_4plusIlEEEE10hipError_tPvRmT1_T2_T3_mT4_P12ihipStream_tbEUlT_E0_NS1_11comp_targetILNS1_3genE10ELNS1_11target_archE1201ELNS1_3gpuE5ELNS1_3repE0EEENS1_30default_config_static_selectorELNS0_4arch9wavefront6targetE1EEEvSW_
                                        ; -- End function
	.set _ZN7rocprim17ROCPRIM_400000_NS6detail17trampoline_kernelINS0_14default_configENS1_22reduce_config_selectorIlEEZNS1_11reduce_implILb1ES3_N6thrust23THRUST_200600_302600_NS11hip_rocprim26transform_input_iterator_tIlNS8_12zip_iteratorINS8_5tupleINS8_6detail15normal_iteratorINS8_10device_ptrIxEEEESH_NS8_9null_typeESI_SI_SI_SI_SI_SI_SI_EEEENS9_21zip_adj_not_predicateI22is_equal_div_10_uniqueIxEEEEEPllNS8_4plusIlEEEE10hipError_tPvRmT1_T2_T3_mT4_P12ihipStream_tbEUlT_E0_NS1_11comp_targetILNS1_3genE10ELNS1_11target_archE1201ELNS1_3gpuE5ELNS1_3repE0EEENS1_30default_config_static_selectorELNS0_4arch9wavefront6targetE1EEEvSW_.num_vgpr, 0
	.set _ZN7rocprim17ROCPRIM_400000_NS6detail17trampoline_kernelINS0_14default_configENS1_22reduce_config_selectorIlEEZNS1_11reduce_implILb1ES3_N6thrust23THRUST_200600_302600_NS11hip_rocprim26transform_input_iterator_tIlNS8_12zip_iteratorINS8_5tupleINS8_6detail15normal_iteratorINS8_10device_ptrIxEEEESH_NS8_9null_typeESI_SI_SI_SI_SI_SI_SI_EEEENS9_21zip_adj_not_predicateI22is_equal_div_10_uniqueIxEEEEEPllNS8_4plusIlEEEE10hipError_tPvRmT1_T2_T3_mT4_P12ihipStream_tbEUlT_E0_NS1_11comp_targetILNS1_3genE10ELNS1_11target_archE1201ELNS1_3gpuE5ELNS1_3repE0EEENS1_30default_config_static_selectorELNS0_4arch9wavefront6targetE1EEEvSW_.num_agpr, 0
	.set _ZN7rocprim17ROCPRIM_400000_NS6detail17trampoline_kernelINS0_14default_configENS1_22reduce_config_selectorIlEEZNS1_11reduce_implILb1ES3_N6thrust23THRUST_200600_302600_NS11hip_rocprim26transform_input_iterator_tIlNS8_12zip_iteratorINS8_5tupleINS8_6detail15normal_iteratorINS8_10device_ptrIxEEEESH_NS8_9null_typeESI_SI_SI_SI_SI_SI_SI_EEEENS9_21zip_adj_not_predicateI22is_equal_div_10_uniqueIxEEEEEPllNS8_4plusIlEEEE10hipError_tPvRmT1_T2_T3_mT4_P12ihipStream_tbEUlT_E0_NS1_11comp_targetILNS1_3genE10ELNS1_11target_archE1201ELNS1_3gpuE5ELNS1_3repE0EEENS1_30default_config_static_selectorELNS0_4arch9wavefront6targetE1EEEvSW_.numbered_sgpr, 0
	.set _ZN7rocprim17ROCPRIM_400000_NS6detail17trampoline_kernelINS0_14default_configENS1_22reduce_config_selectorIlEEZNS1_11reduce_implILb1ES3_N6thrust23THRUST_200600_302600_NS11hip_rocprim26transform_input_iterator_tIlNS8_12zip_iteratorINS8_5tupleINS8_6detail15normal_iteratorINS8_10device_ptrIxEEEESH_NS8_9null_typeESI_SI_SI_SI_SI_SI_SI_EEEENS9_21zip_adj_not_predicateI22is_equal_div_10_uniqueIxEEEEEPllNS8_4plusIlEEEE10hipError_tPvRmT1_T2_T3_mT4_P12ihipStream_tbEUlT_E0_NS1_11comp_targetILNS1_3genE10ELNS1_11target_archE1201ELNS1_3gpuE5ELNS1_3repE0EEENS1_30default_config_static_selectorELNS0_4arch9wavefront6targetE1EEEvSW_.num_named_barrier, 0
	.set _ZN7rocprim17ROCPRIM_400000_NS6detail17trampoline_kernelINS0_14default_configENS1_22reduce_config_selectorIlEEZNS1_11reduce_implILb1ES3_N6thrust23THRUST_200600_302600_NS11hip_rocprim26transform_input_iterator_tIlNS8_12zip_iteratorINS8_5tupleINS8_6detail15normal_iteratorINS8_10device_ptrIxEEEESH_NS8_9null_typeESI_SI_SI_SI_SI_SI_SI_EEEENS9_21zip_adj_not_predicateI22is_equal_div_10_uniqueIxEEEEEPllNS8_4plusIlEEEE10hipError_tPvRmT1_T2_T3_mT4_P12ihipStream_tbEUlT_E0_NS1_11comp_targetILNS1_3genE10ELNS1_11target_archE1201ELNS1_3gpuE5ELNS1_3repE0EEENS1_30default_config_static_selectorELNS0_4arch9wavefront6targetE1EEEvSW_.private_seg_size, 0
	.set _ZN7rocprim17ROCPRIM_400000_NS6detail17trampoline_kernelINS0_14default_configENS1_22reduce_config_selectorIlEEZNS1_11reduce_implILb1ES3_N6thrust23THRUST_200600_302600_NS11hip_rocprim26transform_input_iterator_tIlNS8_12zip_iteratorINS8_5tupleINS8_6detail15normal_iteratorINS8_10device_ptrIxEEEESH_NS8_9null_typeESI_SI_SI_SI_SI_SI_SI_EEEENS9_21zip_adj_not_predicateI22is_equal_div_10_uniqueIxEEEEEPllNS8_4plusIlEEEE10hipError_tPvRmT1_T2_T3_mT4_P12ihipStream_tbEUlT_E0_NS1_11comp_targetILNS1_3genE10ELNS1_11target_archE1201ELNS1_3gpuE5ELNS1_3repE0EEENS1_30default_config_static_selectorELNS0_4arch9wavefront6targetE1EEEvSW_.uses_vcc, 0
	.set _ZN7rocprim17ROCPRIM_400000_NS6detail17trampoline_kernelINS0_14default_configENS1_22reduce_config_selectorIlEEZNS1_11reduce_implILb1ES3_N6thrust23THRUST_200600_302600_NS11hip_rocprim26transform_input_iterator_tIlNS8_12zip_iteratorINS8_5tupleINS8_6detail15normal_iteratorINS8_10device_ptrIxEEEESH_NS8_9null_typeESI_SI_SI_SI_SI_SI_SI_EEEENS9_21zip_adj_not_predicateI22is_equal_div_10_uniqueIxEEEEEPllNS8_4plusIlEEEE10hipError_tPvRmT1_T2_T3_mT4_P12ihipStream_tbEUlT_E0_NS1_11comp_targetILNS1_3genE10ELNS1_11target_archE1201ELNS1_3gpuE5ELNS1_3repE0EEENS1_30default_config_static_selectorELNS0_4arch9wavefront6targetE1EEEvSW_.uses_flat_scratch, 0
	.set _ZN7rocprim17ROCPRIM_400000_NS6detail17trampoline_kernelINS0_14default_configENS1_22reduce_config_selectorIlEEZNS1_11reduce_implILb1ES3_N6thrust23THRUST_200600_302600_NS11hip_rocprim26transform_input_iterator_tIlNS8_12zip_iteratorINS8_5tupleINS8_6detail15normal_iteratorINS8_10device_ptrIxEEEESH_NS8_9null_typeESI_SI_SI_SI_SI_SI_SI_EEEENS9_21zip_adj_not_predicateI22is_equal_div_10_uniqueIxEEEEEPllNS8_4plusIlEEEE10hipError_tPvRmT1_T2_T3_mT4_P12ihipStream_tbEUlT_E0_NS1_11comp_targetILNS1_3genE10ELNS1_11target_archE1201ELNS1_3gpuE5ELNS1_3repE0EEENS1_30default_config_static_selectorELNS0_4arch9wavefront6targetE1EEEvSW_.has_dyn_sized_stack, 0
	.set _ZN7rocprim17ROCPRIM_400000_NS6detail17trampoline_kernelINS0_14default_configENS1_22reduce_config_selectorIlEEZNS1_11reduce_implILb1ES3_N6thrust23THRUST_200600_302600_NS11hip_rocprim26transform_input_iterator_tIlNS8_12zip_iteratorINS8_5tupleINS8_6detail15normal_iteratorINS8_10device_ptrIxEEEESH_NS8_9null_typeESI_SI_SI_SI_SI_SI_SI_EEEENS9_21zip_adj_not_predicateI22is_equal_div_10_uniqueIxEEEEEPllNS8_4plusIlEEEE10hipError_tPvRmT1_T2_T3_mT4_P12ihipStream_tbEUlT_E0_NS1_11comp_targetILNS1_3genE10ELNS1_11target_archE1201ELNS1_3gpuE5ELNS1_3repE0EEENS1_30default_config_static_selectorELNS0_4arch9wavefront6targetE1EEEvSW_.has_recursion, 0
	.set _ZN7rocprim17ROCPRIM_400000_NS6detail17trampoline_kernelINS0_14default_configENS1_22reduce_config_selectorIlEEZNS1_11reduce_implILb1ES3_N6thrust23THRUST_200600_302600_NS11hip_rocprim26transform_input_iterator_tIlNS8_12zip_iteratorINS8_5tupleINS8_6detail15normal_iteratorINS8_10device_ptrIxEEEESH_NS8_9null_typeESI_SI_SI_SI_SI_SI_SI_EEEENS9_21zip_adj_not_predicateI22is_equal_div_10_uniqueIxEEEEEPllNS8_4plusIlEEEE10hipError_tPvRmT1_T2_T3_mT4_P12ihipStream_tbEUlT_E0_NS1_11comp_targetILNS1_3genE10ELNS1_11target_archE1201ELNS1_3gpuE5ELNS1_3repE0EEENS1_30default_config_static_selectorELNS0_4arch9wavefront6targetE1EEEvSW_.has_indirect_call, 0
	.section	.AMDGPU.csdata,"",@progbits
; Kernel info:
; codeLenInByte = 0
; TotalNumSgprs: 4
; NumVgprs: 0
; ScratchSize: 0
; MemoryBound: 0
; FloatMode: 240
; IeeeMode: 1
; LDSByteSize: 0 bytes/workgroup (compile time only)
; SGPRBlocks: 0
; VGPRBlocks: 0
; NumSGPRsForWavesPerEU: 4
; NumVGPRsForWavesPerEU: 1
; Occupancy: 10
; WaveLimiterHint : 0
; COMPUTE_PGM_RSRC2:SCRATCH_EN: 0
; COMPUTE_PGM_RSRC2:USER_SGPR: 6
; COMPUTE_PGM_RSRC2:TRAP_HANDLER: 0
; COMPUTE_PGM_RSRC2:TGID_X_EN: 1
; COMPUTE_PGM_RSRC2:TGID_Y_EN: 0
; COMPUTE_PGM_RSRC2:TGID_Z_EN: 0
; COMPUTE_PGM_RSRC2:TIDIG_COMP_CNT: 0
	.section	.text._ZN7rocprim17ROCPRIM_400000_NS6detail17trampoline_kernelINS0_14default_configENS1_22reduce_config_selectorIlEEZNS1_11reduce_implILb1ES3_N6thrust23THRUST_200600_302600_NS11hip_rocprim26transform_input_iterator_tIlNS8_12zip_iteratorINS8_5tupleINS8_6detail15normal_iteratorINS8_10device_ptrIxEEEESH_NS8_9null_typeESI_SI_SI_SI_SI_SI_SI_EEEENS9_21zip_adj_not_predicateI22is_equal_div_10_uniqueIxEEEEEPllNS8_4plusIlEEEE10hipError_tPvRmT1_T2_T3_mT4_P12ihipStream_tbEUlT_E0_NS1_11comp_targetILNS1_3genE10ELNS1_11target_archE1200ELNS1_3gpuE4ELNS1_3repE0EEENS1_30default_config_static_selectorELNS0_4arch9wavefront6targetE1EEEvSW_,"axG",@progbits,_ZN7rocprim17ROCPRIM_400000_NS6detail17trampoline_kernelINS0_14default_configENS1_22reduce_config_selectorIlEEZNS1_11reduce_implILb1ES3_N6thrust23THRUST_200600_302600_NS11hip_rocprim26transform_input_iterator_tIlNS8_12zip_iteratorINS8_5tupleINS8_6detail15normal_iteratorINS8_10device_ptrIxEEEESH_NS8_9null_typeESI_SI_SI_SI_SI_SI_SI_EEEENS9_21zip_adj_not_predicateI22is_equal_div_10_uniqueIxEEEEEPllNS8_4plusIlEEEE10hipError_tPvRmT1_T2_T3_mT4_P12ihipStream_tbEUlT_E0_NS1_11comp_targetILNS1_3genE10ELNS1_11target_archE1200ELNS1_3gpuE4ELNS1_3repE0EEENS1_30default_config_static_selectorELNS0_4arch9wavefront6targetE1EEEvSW_,comdat
	.protected	_ZN7rocprim17ROCPRIM_400000_NS6detail17trampoline_kernelINS0_14default_configENS1_22reduce_config_selectorIlEEZNS1_11reduce_implILb1ES3_N6thrust23THRUST_200600_302600_NS11hip_rocprim26transform_input_iterator_tIlNS8_12zip_iteratorINS8_5tupleINS8_6detail15normal_iteratorINS8_10device_ptrIxEEEESH_NS8_9null_typeESI_SI_SI_SI_SI_SI_SI_EEEENS9_21zip_adj_not_predicateI22is_equal_div_10_uniqueIxEEEEEPllNS8_4plusIlEEEE10hipError_tPvRmT1_T2_T3_mT4_P12ihipStream_tbEUlT_E0_NS1_11comp_targetILNS1_3genE10ELNS1_11target_archE1200ELNS1_3gpuE4ELNS1_3repE0EEENS1_30default_config_static_selectorELNS0_4arch9wavefront6targetE1EEEvSW_ ; -- Begin function _ZN7rocprim17ROCPRIM_400000_NS6detail17trampoline_kernelINS0_14default_configENS1_22reduce_config_selectorIlEEZNS1_11reduce_implILb1ES3_N6thrust23THRUST_200600_302600_NS11hip_rocprim26transform_input_iterator_tIlNS8_12zip_iteratorINS8_5tupleINS8_6detail15normal_iteratorINS8_10device_ptrIxEEEESH_NS8_9null_typeESI_SI_SI_SI_SI_SI_SI_EEEENS9_21zip_adj_not_predicateI22is_equal_div_10_uniqueIxEEEEEPllNS8_4plusIlEEEE10hipError_tPvRmT1_T2_T3_mT4_P12ihipStream_tbEUlT_E0_NS1_11comp_targetILNS1_3genE10ELNS1_11target_archE1200ELNS1_3gpuE4ELNS1_3repE0EEENS1_30default_config_static_selectorELNS0_4arch9wavefront6targetE1EEEvSW_
	.globl	_ZN7rocprim17ROCPRIM_400000_NS6detail17trampoline_kernelINS0_14default_configENS1_22reduce_config_selectorIlEEZNS1_11reduce_implILb1ES3_N6thrust23THRUST_200600_302600_NS11hip_rocprim26transform_input_iterator_tIlNS8_12zip_iteratorINS8_5tupleINS8_6detail15normal_iteratorINS8_10device_ptrIxEEEESH_NS8_9null_typeESI_SI_SI_SI_SI_SI_SI_EEEENS9_21zip_adj_not_predicateI22is_equal_div_10_uniqueIxEEEEEPllNS8_4plusIlEEEE10hipError_tPvRmT1_T2_T3_mT4_P12ihipStream_tbEUlT_E0_NS1_11comp_targetILNS1_3genE10ELNS1_11target_archE1200ELNS1_3gpuE4ELNS1_3repE0EEENS1_30default_config_static_selectorELNS0_4arch9wavefront6targetE1EEEvSW_
	.p2align	8
	.type	_ZN7rocprim17ROCPRIM_400000_NS6detail17trampoline_kernelINS0_14default_configENS1_22reduce_config_selectorIlEEZNS1_11reduce_implILb1ES3_N6thrust23THRUST_200600_302600_NS11hip_rocprim26transform_input_iterator_tIlNS8_12zip_iteratorINS8_5tupleINS8_6detail15normal_iteratorINS8_10device_ptrIxEEEESH_NS8_9null_typeESI_SI_SI_SI_SI_SI_SI_EEEENS9_21zip_adj_not_predicateI22is_equal_div_10_uniqueIxEEEEEPllNS8_4plusIlEEEE10hipError_tPvRmT1_T2_T3_mT4_P12ihipStream_tbEUlT_E0_NS1_11comp_targetILNS1_3genE10ELNS1_11target_archE1200ELNS1_3gpuE4ELNS1_3repE0EEENS1_30default_config_static_selectorELNS0_4arch9wavefront6targetE1EEEvSW_,@function
_ZN7rocprim17ROCPRIM_400000_NS6detail17trampoline_kernelINS0_14default_configENS1_22reduce_config_selectorIlEEZNS1_11reduce_implILb1ES3_N6thrust23THRUST_200600_302600_NS11hip_rocprim26transform_input_iterator_tIlNS8_12zip_iteratorINS8_5tupleINS8_6detail15normal_iteratorINS8_10device_ptrIxEEEESH_NS8_9null_typeESI_SI_SI_SI_SI_SI_SI_EEEENS9_21zip_adj_not_predicateI22is_equal_div_10_uniqueIxEEEEEPllNS8_4plusIlEEEE10hipError_tPvRmT1_T2_T3_mT4_P12ihipStream_tbEUlT_E0_NS1_11comp_targetILNS1_3genE10ELNS1_11target_archE1200ELNS1_3gpuE4ELNS1_3repE0EEENS1_30default_config_static_selectorELNS0_4arch9wavefront6targetE1EEEvSW_: ; @_ZN7rocprim17ROCPRIM_400000_NS6detail17trampoline_kernelINS0_14default_configENS1_22reduce_config_selectorIlEEZNS1_11reduce_implILb1ES3_N6thrust23THRUST_200600_302600_NS11hip_rocprim26transform_input_iterator_tIlNS8_12zip_iteratorINS8_5tupleINS8_6detail15normal_iteratorINS8_10device_ptrIxEEEESH_NS8_9null_typeESI_SI_SI_SI_SI_SI_SI_EEEENS9_21zip_adj_not_predicateI22is_equal_div_10_uniqueIxEEEEEPllNS8_4plusIlEEEE10hipError_tPvRmT1_T2_T3_mT4_P12ihipStream_tbEUlT_E0_NS1_11comp_targetILNS1_3genE10ELNS1_11target_archE1200ELNS1_3gpuE4ELNS1_3repE0EEENS1_30default_config_static_selectorELNS0_4arch9wavefront6targetE1EEEvSW_
; %bb.0:
	.section	.rodata,"a",@progbits
	.p2align	6, 0x0
	.amdhsa_kernel _ZN7rocprim17ROCPRIM_400000_NS6detail17trampoline_kernelINS0_14default_configENS1_22reduce_config_selectorIlEEZNS1_11reduce_implILb1ES3_N6thrust23THRUST_200600_302600_NS11hip_rocprim26transform_input_iterator_tIlNS8_12zip_iteratorINS8_5tupleINS8_6detail15normal_iteratorINS8_10device_ptrIxEEEESH_NS8_9null_typeESI_SI_SI_SI_SI_SI_SI_EEEENS9_21zip_adj_not_predicateI22is_equal_div_10_uniqueIxEEEEEPllNS8_4plusIlEEEE10hipError_tPvRmT1_T2_T3_mT4_P12ihipStream_tbEUlT_E0_NS1_11comp_targetILNS1_3genE10ELNS1_11target_archE1200ELNS1_3gpuE4ELNS1_3repE0EEENS1_30default_config_static_selectorELNS0_4arch9wavefront6targetE1EEEvSW_
		.amdhsa_group_segment_fixed_size 0
		.amdhsa_private_segment_fixed_size 0
		.amdhsa_kernarg_size 80
		.amdhsa_user_sgpr_count 6
		.amdhsa_user_sgpr_private_segment_buffer 1
		.amdhsa_user_sgpr_dispatch_ptr 0
		.amdhsa_user_sgpr_queue_ptr 0
		.amdhsa_user_sgpr_kernarg_segment_ptr 1
		.amdhsa_user_sgpr_dispatch_id 0
		.amdhsa_user_sgpr_flat_scratch_init 0
		.amdhsa_user_sgpr_private_segment_size 0
		.amdhsa_uses_dynamic_stack 0
		.amdhsa_system_sgpr_private_segment_wavefront_offset 0
		.amdhsa_system_sgpr_workgroup_id_x 1
		.amdhsa_system_sgpr_workgroup_id_y 0
		.amdhsa_system_sgpr_workgroup_id_z 0
		.amdhsa_system_sgpr_workgroup_info 0
		.amdhsa_system_vgpr_workitem_id 0
		.amdhsa_next_free_vgpr 1
		.amdhsa_next_free_sgpr 0
		.amdhsa_reserve_vcc 0
		.amdhsa_reserve_flat_scratch 0
		.amdhsa_float_round_mode_32 0
		.amdhsa_float_round_mode_16_64 0
		.amdhsa_float_denorm_mode_32 3
		.amdhsa_float_denorm_mode_16_64 3
		.amdhsa_dx10_clamp 1
		.amdhsa_ieee_mode 1
		.amdhsa_fp16_overflow 0
		.amdhsa_exception_fp_ieee_invalid_op 0
		.amdhsa_exception_fp_denorm_src 0
		.amdhsa_exception_fp_ieee_div_zero 0
		.amdhsa_exception_fp_ieee_overflow 0
		.amdhsa_exception_fp_ieee_underflow 0
		.amdhsa_exception_fp_ieee_inexact 0
		.amdhsa_exception_int_div_zero 0
	.end_amdhsa_kernel
	.section	.text._ZN7rocprim17ROCPRIM_400000_NS6detail17trampoline_kernelINS0_14default_configENS1_22reduce_config_selectorIlEEZNS1_11reduce_implILb1ES3_N6thrust23THRUST_200600_302600_NS11hip_rocprim26transform_input_iterator_tIlNS8_12zip_iteratorINS8_5tupleINS8_6detail15normal_iteratorINS8_10device_ptrIxEEEESH_NS8_9null_typeESI_SI_SI_SI_SI_SI_SI_EEEENS9_21zip_adj_not_predicateI22is_equal_div_10_uniqueIxEEEEEPllNS8_4plusIlEEEE10hipError_tPvRmT1_T2_T3_mT4_P12ihipStream_tbEUlT_E0_NS1_11comp_targetILNS1_3genE10ELNS1_11target_archE1200ELNS1_3gpuE4ELNS1_3repE0EEENS1_30default_config_static_selectorELNS0_4arch9wavefront6targetE1EEEvSW_,"axG",@progbits,_ZN7rocprim17ROCPRIM_400000_NS6detail17trampoline_kernelINS0_14default_configENS1_22reduce_config_selectorIlEEZNS1_11reduce_implILb1ES3_N6thrust23THRUST_200600_302600_NS11hip_rocprim26transform_input_iterator_tIlNS8_12zip_iteratorINS8_5tupleINS8_6detail15normal_iteratorINS8_10device_ptrIxEEEESH_NS8_9null_typeESI_SI_SI_SI_SI_SI_SI_EEEENS9_21zip_adj_not_predicateI22is_equal_div_10_uniqueIxEEEEEPllNS8_4plusIlEEEE10hipError_tPvRmT1_T2_T3_mT4_P12ihipStream_tbEUlT_E0_NS1_11comp_targetILNS1_3genE10ELNS1_11target_archE1200ELNS1_3gpuE4ELNS1_3repE0EEENS1_30default_config_static_selectorELNS0_4arch9wavefront6targetE1EEEvSW_,comdat
.Lfunc_end947:
	.size	_ZN7rocprim17ROCPRIM_400000_NS6detail17trampoline_kernelINS0_14default_configENS1_22reduce_config_selectorIlEEZNS1_11reduce_implILb1ES3_N6thrust23THRUST_200600_302600_NS11hip_rocprim26transform_input_iterator_tIlNS8_12zip_iteratorINS8_5tupleINS8_6detail15normal_iteratorINS8_10device_ptrIxEEEESH_NS8_9null_typeESI_SI_SI_SI_SI_SI_SI_EEEENS9_21zip_adj_not_predicateI22is_equal_div_10_uniqueIxEEEEEPllNS8_4plusIlEEEE10hipError_tPvRmT1_T2_T3_mT4_P12ihipStream_tbEUlT_E0_NS1_11comp_targetILNS1_3genE10ELNS1_11target_archE1200ELNS1_3gpuE4ELNS1_3repE0EEENS1_30default_config_static_selectorELNS0_4arch9wavefront6targetE1EEEvSW_, .Lfunc_end947-_ZN7rocprim17ROCPRIM_400000_NS6detail17trampoline_kernelINS0_14default_configENS1_22reduce_config_selectorIlEEZNS1_11reduce_implILb1ES3_N6thrust23THRUST_200600_302600_NS11hip_rocprim26transform_input_iterator_tIlNS8_12zip_iteratorINS8_5tupleINS8_6detail15normal_iteratorINS8_10device_ptrIxEEEESH_NS8_9null_typeESI_SI_SI_SI_SI_SI_SI_EEEENS9_21zip_adj_not_predicateI22is_equal_div_10_uniqueIxEEEEEPllNS8_4plusIlEEEE10hipError_tPvRmT1_T2_T3_mT4_P12ihipStream_tbEUlT_E0_NS1_11comp_targetILNS1_3genE10ELNS1_11target_archE1200ELNS1_3gpuE4ELNS1_3repE0EEENS1_30default_config_static_selectorELNS0_4arch9wavefront6targetE1EEEvSW_
                                        ; -- End function
	.set _ZN7rocprim17ROCPRIM_400000_NS6detail17trampoline_kernelINS0_14default_configENS1_22reduce_config_selectorIlEEZNS1_11reduce_implILb1ES3_N6thrust23THRUST_200600_302600_NS11hip_rocprim26transform_input_iterator_tIlNS8_12zip_iteratorINS8_5tupleINS8_6detail15normal_iteratorINS8_10device_ptrIxEEEESH_NS8_9null_typeESI_SI_SI_SI_SI_SI_SI_EEEENS9_21zip_adj_not_predicateI22is_equal_div_10_uniqueIxEEEEEPllNS8_4plusIlEEEE10hipError_tPvRmT1_T2_T3_mT4_P12ihipStream_tbEUlT_E0_NS1_11comp_targetILNS1_3genE10ELNS1_11target_archE1200ELNS1_3gpuE4ELNS1_3repE0EEENS1_30default_config_static_selectorELNS0_4arch9wavefront6targetE1EEEvSW_.num_vgpr, 0
	.set _ZN7rocprim17ROCPRIM_400000_NS6detail17trampoline_kernelINS0_14default_configENS1_22reduce_config_selectorIlEEZNS1_11reduce_implILb1ES3_N6thrust23THRUST_200600_302600_NS11hip_rocprim26transform_input_iterator_tIlNS8_12zip_iteratorINS8_5tupleINS8_6detail15normal_iteratorINS8_10device_ptrIxEEEESH_NS8_9null_typeESI_SI_SI_SI_SI_SI_SI_EEEENS9_21zip_adj_not_predicateI22is_equal_div_10_uniqueIxEEEEEPllNS8_4plusIlEEEE10hipError_tPvRmT1_T2_T3_mT4_P12ihipStream_tbEUlT_E0_NS1_11comp_targetILNS1_3genE10ELNS1_11target_archE1200ELNS1_3gpuE4ELNS1_3repE0EEENS1_30default_config_static_selectorELNS0_4arch9wavefront6targetE1EEEvSW_.num_agpr, 0
	.set _ZN7rocprim17ROCPRIM_400000_NS6detail17trampoline_kernelINS0_14default_configENS1_22reduce_config_selectorIlEEZNS1_11reduce_implILb1ES3_N6thrust23THRUST_200600_302600_NS11hip_rocprim26transform_input_iterator_tIlNS8_12zip_iteratorINS8_5tupleINS8_6detail15normal_iteratorINS8_10device_ptrIxEEEESH_NS8_9null_typeESI_SI_SI_SI_SI_SI_SI_EEEENS9_21zip_adj_not_predicateI22is_equal_div_10_uniqueIxEEEEEPllNS8_4plusIlEEEE10hipError_tPvRmT1_T2_T3_mT4_P12ihipStream_tbEUlT_E0_NS1_11comp_targetILNS1_3genE10ELNS1_11target_archE1200ELNS1_3gpuE4ELNS1_3repE0EEENS1_30default_config_static_selectorELNS0_4arch9wavefront6targetE1EEEvSW_.numbered_sgpr, 0
	.set _ZN7rocprim17ROCPRIM_400000_NS6detail17trampoline_kernelINS0_14default_configENS1_22reduce_config_selectorIlEEZNS1_11reduce_implILb1ES3_N6thrust23THRUST_200600_302600_NS11hip_rocprim26transform_input_iterator_tIlNS8_12zip_iteratorINS8_5tupleINS8_6detail15normal_iteratorINS8_10device_ptrIxEEEESH_NS8_9null_typeESI_SI_SI_SI_SI_SI_SI_EEEENS9_21zip_adj_not_predicateI22is_equal_div_10_uniqueIxEEEEEPllNS8_4plusIlEEEE10hipError_tPvRmT1_T2_T3_mT4_P12ihipStream_tbEUlT_E0_NS1_11comp_targetILNS1_3genE10ELNS1_11target_archE1200ELNS1_3gpuE4ELNS1_3repE0EEENS1_30default_config_static_selectorELNS0_4arch9wavefront6targetE1EEEvSW_.num_named_barrier, 0
	.set _ZN7rocprim17ROCPRIM_400000_NS6detail17trampoline_kernelINS0_14default_configENS1_22reduce_config_selectorIlEEZNS1_11reduce_implILb1ES3_N6thrust23THRUST_200600_302600_NS11hip_rocprim26transform_input_iterator_tIlNS8_12zip_iteratorINS8_5tupleINS8_6detail15normal_iteratorINS8_10device_ptrIxEEEESH_NS8_9null_typeESI_SI_SI_SI_SI_SI_SI_EEEENS9_21zip_adj_not_predicateI22is_equal_div_10_uniqueIxEEEEEPllNS8_4plusIlEEEE10hipError_tPvRmT1_T2_T3_mT4_P12ihipStream_tbEUlT_E0_NS1_11comp_targetILNS1_3genE10ELNS1_11target_archE1200ELNS1_3gpuE4ELNS1_3repE0EEENS1_30default_config_static_selectorELNS0_4arch9wavefront6targetE1EEEvSW_.private_seg_size, 0
	.set _ZN7rocprim17ROCPRIM_400000_NS6detail17trampoline_kernelINS0_14default_configENS1_22reduce_config_selectorIlEEZNS1_11reduce_implILb1ES3_N6thrust23THRUST_200600_302600_NS11hip_rocprim26transform_input_iterator_tIlNS8_12zip_iteratorINS8_5tupleINS8_6detail15normal_iteratorINS8_10device_ptrIxEEEESH_NS8_9null_typeESI_SI_SI_SI_SI_SI_SI_EEEENS9_21zip_adj_not_predicateI22is_equal_div_10_uniqueIxEEEEEPllNS8_4plusIlEEEE10hipError_tPvRmT1_T2_T3_mT4_P12ihipStream_tbEUlT_E0_NS1_11comp_targetILNS1_3genE10ELNS1_11target_archE1200ELNS1_3gpuE4ELNS1_3repE0EEENS1_30default_config_static_selectorELNS0_4arch9wavefront6targetE1EEEvSW_.uses_vcc, 0
	.set _ZN7rocprim17ROCPRIM_400000_NS6detail17trampoline_kernelINS0_14default_configENS1_22reduce_config_selectorIlEEZNS1_11reduce_implILb1ES3_N6thrust23THRUST_200600_302600_NS11hip_rocprim26transform_input_iterator_tIlNS8_12zip_iteratorINS8_5tupleINS8_6detail15normal_iteratorINS8_10device_ptrIxEEEESH_NS8_9null_typeESI_SI_SI_SI_SI_SI_SI_EEEENS9_21zip_adj_not_predicateI22is_equal_div_10_uniqueIxEEEEEPllNS8_4plusIlEEEE10hipError_tPvRmT1_T2_T3_mT4_P12ihipStream_tbEUlT_E0_NS1_11comp_targetILNS1_3genE10ELNS1_11target_archE1200ELNS1_3gpuE4ELNS1_3repE0EEENS1_30default_config_static_selectorELNS0_4arch9wavefront6targetE1EEEvSW_.uses_flat_scratch, 0
	.set _ZN7rocprim17ROCPRIM_400000_NS6detail17trampoline_kernelINS0_14default_configENS1_22reduce_config_selectorIlEEZNS1_11reduce_implILb1ES3_N6thrust23THRUST_200600_302600_NS11hip_rocprim26transform_input_iterator_tIlNS8_12zip_iteratorINS8_5tupleINS8_6detail15normal_iteratorINS8_10device_ptrIxEEEESH_NS8_9null_typeESI_SI_SI_SI_SI_SI_SI_EEEENS9_21zip_adj_not_predicateI22is_equal_div_10_uniqueIxEEEEEPllNS8_4plusIlEEEE10hipError_tPvRmT1_T2_T3_mT4_P12ihipStream_tbEUlT_E0_NS1_11comp_targetILNS1_3genE10ELNS1_11target_archE1200ELNS1_3gpuE4ELNS1_3repE0EEENS1_30default_config_static_selectorELNS0_4arch9wavefront6targetE1EEEvSW_.has_dyn_sized_stack, 0
	.set _ZN7rocprim17ROCPRIM_400000_NS6detail17trampoline_kernelINS0_14default_configENS1_22reduce_config_selectorIlEEZNS1_11reduce_implILb1ES3_N6thrust23THRUST_200600_302600_NS11hip_rocprim26transform_input_iterator_tIlNS8_12zip_iteratorINS8_5tupleINS8_6detail15normal_iteratorINS8_10device_ptrIxEEEESH_NS8_9null_typeESI_SI_SI_SI_SI_SI_SI_EEEENS9_21zip_adj_not_predicateI22is_equal_div_10_uniqueIxEEEEEPllNS8_4plusIlEEEE10hipError_tPvRmT1_T2_T3_mT4_P12ihipStream_tbEUlT_E0_NS1_11comp_targetILNS1_3genE10ELNS1_11target_archE1200ELNS1_3gpuE4ELNS1_3repE0EEENS1_30default_config_static_selectorELNS0_4arch9wavefront6targetE1EEEvSW_.has_recursion, 0
	.set _ZN7rocprim17ROCPRIM_400000_NS6detail17trampoline_kernelINS0_14default_configENS1_22reduce_config_selectorIlEEZNS1_11reduce_implILb1ES3_N6thrust23THRUST_200600_302600_NS11hip_rocprim26transform_input_iterator_tIlNS8_12zip_iteratorINS8_5tupleINS8_6detail15normal_iteratorINS8_10device_ptrIxEEEESH_NS8_9null_typeESI_SI_SI_SI_SI_SI_SI_EEEENS9_21zip_adj_not_predicateI22is_equal_div_10_uniqueIxEEEEEPllNS8_4plusIlEEEE10hipError_tPvRmT1_T2_T3_mT4_P12ihipStream_tbEUlT_E0_NS1_11comp_targetILNS1_3genE10ELNS1_11target_archE1200ELNS1_3gpuE4ELNS1_3repE0EEENS1_30default_config_static_selectorELNS0_4arch9wavefront6targetE1EEEvSW_.has_indirect_call, 0
	.section	.AMDGPU.csdata,"",@progbits
; Kernel info:
; codeLenInByte = 0
; TotalNumSgprs: 4
; NumVgprs: 0
; ScratchSize: 0
; MemoryBound: 0
; FloatMode: 240
; IeeeMode: 1
; LDSByteSize: 0 bytes/workgroup (compile time only)
; SGPRBlocks: 0
; VGPRBlocks: 0
; NumSGPRsForWavesPerEU: 4
; NumVGPRsForWavesPerEU: 1
; Occupancy: 10
; WaveLimiterHint : 0
; COMPUTE_PGM_RSRC2:SCRATCH_EN: 0
; COMPUTE_PGM_RSRC2:USER_SGPR: 6
; COMPUTE_PGM_RSRC2:TRAP_HANDLER: 0
; COMPUTE_PGM_RSRC2:TGID_X_EN: 1
; COMPUTE_PGM_RSRC2:TGID_Y_EN: 0
; COMPUTE_PGM_RSRC2:TGID_Z_EN: 0
; COMPUTE_PGM_RSRC2:TIDIG_COMP_CNT: 0
	.section	.text._ZN7rocprim17ROCPRIM_400000_NS6detail17trampoline_kernelINS0_14default_configENS1_22reduce_config_selectorIlEEZNS1_11reduce_implILb1ES3_N6thrust23THRUST_200600_302600_NS11hip_rocprim26transform_input_iterator_tIlNS8_12zip_iteratorINS8_5tupleINS8_6detail15normal_iteratorINS8_10device_ptrIxEEEESH_NS8_9null_typeESI_SI_SI_SI_SI_SI_SI_EEEENS9_21zip_adj_not_predicateI22is_equal_div_10_uniqueIxEEEEEPllNS8_4plusIlEEEE10hipError_tPvRmT1_T2_T3_mT4_P12ihipStream_tbEUlT_E0_NS1_11comp_targetILNS1_3genE9ELNS1_11target_archE1100ELNS1_3gpuE3ELNS1_3repE0EEENS1_30default_config_static_selectorELNS0_4arch9wavefront6targetE1EEEvSW_,"axG",@progbits,_ZN7rocprim17ROCPRIM_400000_NS6detail17trampoline_kernelINS0_14default_configENS1_22reduce_config_selectorIlEEZNS1_11reduce_implILb1ES3_N6thrust23THRUST_200600_302600_NS11hip_rocprim26transform_input_iterator_tIlNS8_12zip_iteratorINS8_5tupleINS8_6detail15normal_iteratorINS8_10device_ptrIxEEEESH_NS8_9null_typeESI_SI_SI_SI_SI_SI_SI_EEEENS9_21zip_adj_not_predicateI22is_equal_div_10_uniqueIxEEEEEPllNS8_4plusIlEEEE10hipError_tPvRmT1_T2_T3_mT4_P12ihipStream_tbEUlT_E0_NS1_11comp_targetILNS1_3genE9ELNS1_11target_archE1100ELNS1_3gpuE3ELNS1_3repE0EEENS1_30default_config_static_selectorELNS0_4arch9wavefront6targetE1EEEvSW_,comdat
	.protected	_ZN7rocprim17ROCPRIM_400000_NS6detail17trampoline_kernelINS0_14default_configENS1_22reduce_config_selectorIlEEZNS1_11reduce_implILb1ES3_N6thrust23THRUST_200600_302600_NS11hip_rocprim26transform_input_iterator_tIlNS8_12zip_iteratorINS8_5tupleINS8_6detail15normal_iteratorINS8_10device_ptrIxEEEESH_NS8_9null_typeESI_SI_SI_SI_SI_SI_SI_EEEENS9_21zip_adj_not_predicateI22is_equal_div_10_uniqueIxEEEEEPllNS8_4plusIlEEEE10hipError_tPvRmT1_T2_T3_mT4_P12ihipStream_tbEUlT_E0_NS1_11comp_targetILNS1_3genE9ELNS1_11target_archE1100ELNS1_3gpuE3ELNS1_3repE0EEENS1_30default_config_static_selectorELNS0_4arch9wavefront6targetE1EEEvSW_ ; -- Begin function _ZN7rocprim17ROCPRIM_400000_NS6detail17trampoline_kernelINS0_14default_configENS1_22reduce_config_selectorIlEEZNS1_11reduce_implILb1ES3_N6thrust23THRUST_200600_302600_NS11hip_rocprim26transform_input_iterator_tIlNS8_12zip_iteratorINS8_5tupleINS8_6detail15normal_iteratorINS8_10device_ptrIxEEEESH_NS8_9null_typeESI_SI_SI_SI_SI_SI_SI_EEEENS9_21zip_adj_not_predicateI22is_equal_div_10_uniqueIxEEEEEPllNS8_4plusIlEEEE10hipError_tPvRmT1_T2_T3_mT4_P12ihipStream_tbEUlT_E0_NS1_11comp_targetILNS1_3genE9ELNS1_11target_archE1100ELNS1_3gpuE3ELNS1_3repE0EEENS1_30default_config_static_selectorELNS0_4arch9wavefront6targetE1EEEvSW_
	.globl	_ZN7rocprim17ROCPRIM_400000_NS6detail17trampoline_kernelINS0_14default_configENS1_22reduce_config_selectorIlEEZNS1_11reduce_implILb1ES3_N6thrust23THRUST_200600_302600_NS11hip_rocprim26transform_input_iterator_tIlNS8_12zip_iteratorINS8_5tupleINS8_6detail15normal_iteratorINS8_10device_ptrIxEEEESH_NS8_9null_typeESI_SI_SI_SI_SI_SI_SI_EEEENS9_21zip_adj_not_predicateI22is_equal_div_10_uniqueIxEEEEEPllNS8_4plusIlEEEE10hipError_tPvRmT1_T2_T3_mT4_P12ihipStream_tbEUlT_E0_NS1_11comp_targetILNS1_3genE9ELNS1_11target_archE1100ELNS1_3gpuE3ELNS1_3repE0EEENS1_30default_config_static_selectorELNS0_4arch9wavefront6targetE1EEEvSW_
	.p2align	8
	.type	_ZN7rocprim17ROCPRIM_400000_NS6detail17trampoline_kernelINS0_14default_configENS1_22reduce_config_selectorIlEEZNS1_11reduce_implILb1ES3_N6thrust23THRUST_200600_302600_NS11hip_rocprim26transform_input_iterator_tIlNS8_12zip_iteratorINS8_5tupleINS8_6detail15normal_iteratorINS8_10device_ptrIxEEEESH_NS8_9null_typeESI_SI_SI_SI_SI_SI_SI_EEEENS9_21zip_adj_not_predicateI22is_equal_div_10_uniqueIxEEEEEPllNS8_4plusIlEEEE10hipError_tPvRmT1_T2_T3_mT4_P12ihipStream_tbEUlT_E0_NS1_11comp_targetILNS1_3genE9ELNS1_11target_archE1100ELNS1_3gpuE3ELNS1_3repE0EEENS1_30default_config_static_selectorELNS0_4arch9wavefront6targetE1EEEvSW_,@function
_ZN7rocprim17ROCPRIM_400000_NS6detail17trampoline_kernelINS0_14default_configENS1_22reduce_config_selectorIlEEZNS1_11reduce_implILb1ES3_N6thrust23THRUST_200600_302600_NS11hip_rocprim26transform_input_iterator_tIlNS8_12zip_iteratorINS8_5tupleINS8_6detail15normal_iteratorINS8_10device_ptrIxEEEESH_NS8_9null_typeESI_SI_SI_SI_SI_SI_SI_EEEENS9_21zip_adj_not_predicateI22is_equal_div_10_uniqueIxEEEEEPllNS8_4plusIlEEEE10hipError_tPvRmT1_T2_T3_mT4_P12ihipStream_tbEUlT_E0_NS1_11comp_targetILNS1_3genE9ELNS1_11target_archE1100ELNS1_3gpuE3ELNS1_3repE0EEENS1_30default_config_static_selectorELNS0_4arch9wavefront6targetE1EEEvSW_: ; @_ZN7rocprim17ROCPRIM_400000_NS6detail17trampoline_kernelINS0_14default_configENS1_22reduce_config_selectorIlEEZNS1_11reduce_implILb1ES3_N6thrust23THRUST_200600_302600_NS11hip_rocprim26transform_input_iterator_tIlNS8_12zip_iteratorINS8_5tupleINS8_6detail15normal_iteratorINS8_10device_ptrIxEEEESH_NS8_9null_typeESI_SI_SI_SI_SI_SI_SI_EEEENS9_21zip_adj_not_predicateI22is_equal_div_10_uniqueIxEEEEEPllNS8_4plusIlEEEE10hipError_tPvRmT1_T2_T3_mT4_P12ihipStream_tbEUlT_E0_NS1_11comp_targetILNS1_3genE9ELNS1_11target_archE1100ELNS1_3gpuE3ELNS1_3repE0EEENS1_30default_config_static_selectorELNS0_4arch9wavefront6targetE1EEEvSW_
; %bb.0:
	.section	.rodata,"a",@progbits
	.p2align	6, 0x0
	.amdhsa_kernel _ZN7rocprim17ROCPRIM_400000_NS6detail17trampoline_kernelINS0_14default_configENS1_22reduce_config_selectorIlEEZNS1_11reduce_implILb1ES3_N6thrust23THRUST_200600_302600_NS11hip_rocprim26transform_input_iterator_tIlNS8_12zip_iteratorINS8_5tupleINS8_6detail15normal_iteratorINS8_10device_ptrIxEEEESH_NS8_9null_typeESI_SI_SI_SI_SI_SI_SI_EEEENS9_21zip_adj_not_predicateI22is_equal_div_10_uniqueIxEEEEEPllNS8_4plusIlEEEE10hipError_tPvRmT1_T2_T3_mT4_P12ihipStream_tbEUlT_E0_NS1_11comp_targetILNS1_3genE9ELNS1_11target_archE1100ELNS1_3gpuE3ELNS1_3repE0EEENS1_30default_config_static_selectorELNS0_4arch9wavefront6targetE1EEEvSW_
		.amdhsa_group_segment_fixed_size 0
		.amdhsa_private_segment_fixed_size 0
		.amdhsa_kernarg_size 80
		.amdhsa_user_sgpr_count 6
		.amdhsa_user_sgpr_private_segment_buffer 1
		.amdhsa_user_sgpr_dispatch_ptr 0
		.amdhsa_user_sgpr_queue_ptr 0
		.amdhsa_user_sgpr_kernarg_segment_ptr 1
		.amdhsa_user_sgpr_dispatch_id 0
		.amdhsa_user_sgpr_flat_scratch_init 0
		.amdhsa_user_sgpr_private_segment_size 0
		.amdhsa_uses_dynamic_stack 0
		.amdhsa_system_sgpr_private_segment_wavefront_offset 0
		.amdhsa_system_sgpr_workgroup_id_x 1
		.amdhsa_system_sgpr_workgroup_id_y 0
		.amdhsa_system_sgpr_workgroup_id_z 0
		.amdhsa_system_sgpr_workgroup_info 0
		.amdhsa_system_vgpr_workitem_id 0
		.amdhsa_next_free_vgpr 1
		.amdhsa_next_free_sgpr 0
		.amdhsa_reserve_vcc 0
		.amdhsa_reserve_flat_scratch 0
		.amdhsa_float_round_mode_32 0
		.amdhsa_float_round_mode_16_64 0
		.amdhsa_float_denorm_mode_32 3
		.amdhsa_float_denorm_mode_16_64 3
		.amdhsa_dx10_clamp 1
		.amdhsa_ieee_mode 1
		.amdhsa_fp16_overflow 0
		.amdhsa_exception_fp_ieee_invalid_op 0
		.amdhsa_exception_fp_denorm_src 0
		.amdhsa_exception_fp_ieee_div_zero 0
		.amdhsa_exception_fp_ieee_overflow 0
		.amdhsa_exception_fp_ieee_underflow 0
		.amdhsa_exception_fp_ieee_inexact 0
		.amdhsa_exception_int_div_zero 0
	.end_amdhsa_kernel
	.section	.text._ZN7rocprim17ROCPRIM_400000_NS6detail17trampoline_kernelINS0_14default_configENS1_22reduce_config_selectorIlEEZNS1_11reduce_implILb1ES3_N6thrust23THRUST_200600_302600_NS11hip_rocprim26transform_input_iterator_tIlNS8_12zip_iteratorINS8_5tupleINS8_6detail15normal_iteratorINS8_10device_ptrIxEEEESH_NS8_9null_typeESI_SI_SI_SI_SI_SI_SI_EEEENS9_21zip_adj_not_predicateI22is_equal_div_10_uniqueIxEEEEEPllNS8_4plusIlEEEE10hipError_tPvRmT1_T2_T3_mT4_P12ihipStream_tbEUlT_E0_NS1_11comp_targetILNS1_3genE9ELNS1_11target_archE1100ELNS1_3gpuE3ELNS1_3repE0EEENS1_30default_config_static_selectorELNS0_4arch9wavefront6targetE1EEEvSW_,"axG",@progbits,_ZN7rocprim17ROCPRIM_400000_NS6detail17trampoline_kernelINS0_14default_configENS1_22reduce_config_selectorIlEEZNS1_11reduce_implILb1ES3_N6thrust23THRUST_200600_302600_NS11hip_rocprim26transform_input_iterator_tIlNS8_12zip_iteratorINS8_5tupleINS8_6detail15normal_iteratorINS8_10device_ptrIxEEEESH_NS8_9null_typeESI_SI_SI_SI_SI_SI_SI_EEEENS9_21zip_adj_not_predicateI22is_equal_div_10_uniqueIxEEEEEPllNS8_4plusIlEEEE10hipError_tPvRmT1_T2_T3_mT4_P12ihipStream_tbEUlT_E0_NS1_11comp_targetILNS1_3genE9ELNS1_11target_archE1100ELNS1_3gpuE3ELNS1_3repE0EEENS1_30default_config_static_selectorELNS0_4arch9wavefront6targetE1EEEvSW_,comdat
.Lfunc_end948:
	.size	_ZN7rocprim17ROCPRIM_400000_NS6detail17trampoline_kernelINS0_14default_configENS1_22reduce_config_selectorIlEEZNS1_11reduce_implILb1ES3_N6thrust23THRUST_200600_302600_NS11hip_rocprim26transform_input_iterator_tIlNS8_12zip_iteratorINS8_5tupleINS8_6detail15normal_iteratorINS8_10device_ptrIxEEEESH_NS8_9null_typeESI_SI_SI_SI_SI_SI_SI_EEEENS9_21zip_adj_not_predicateI22is_equal_div_10_uniqueIxEEEEEPllNS8_4plusIlEEEE10hipError_tPvRmT1_T2_T3_mT4_P12ihipStream_tbEUlT_E0_NS1_11comp_targetILNS1_3genE9ELNS1_11target_archE1100ELNS1_3gpuE3ELNS1_3repE0EEENS1_30default_config_static_selectorELNS0_4arch9wavefront6targetE1EEEvSW_, .Lfunc_end948-_ZN7rocprim17ROCPRIM_400000_NS6detail17trampoline_kernelINS0_14default_configENS1_22reduce_config_selectorIlEEZNS1_11reduce_implILb1ES3_N6thrust23THRUST_200600_302600_NS11hip_rocprim26transform_input_iterator_tIlNS8_12zip_iteratorINS8_5tupleINS8_6detail15normal_iteratorINS8_10device_ptrIxEEEESH_NS8_9null_typeESI_SI_SI_SI_SI_SI_SI_EEEENS9_21zip_adj_not_predicateI22is_equal_div_10_uniqueIxEEEEEPllNS8_4plusIlEEEE10hipError_tPvRmT1_T2_T3_mT4_P12ihipStream_tbEUlT_E0_NS1_11comp_targetILNS1_3genE9ELNS1_11target_archE1100ELNS1_3gpuE3ELNS1_3repE0EEENS1_30default_config_static_selectorELNS0_4arch9wavefront6targetE1EEEvSW_
                                        ; -- End function
	.set _ZN7rocprim17ROCPRIM_400000_NS6detail17trampoline_kernelINS0_14default_configENS1_22reduce_config_selectorIlEEZNS1_11reduce_implILb1ES3_N6thrust23THRUST_200600_302600_NS11hip_rocprim26transform_input_iterator_tIlNS8_12zip_iteratorINS8_5tupleINS8_6detail15normal_iteratorINS8_10device_ptrIxEEEESH_NS8_9null_typeESI_SI_SI_SI_SI_SI_SI_EEEENS9_21zip_adj_not_predicateI22is_equal_div_10_uniqueIxEEEEEPllNS8_4plusIlEEEE10hipError_tPvRmT1_T2_T3_mT4_P12ihipStream_tbEUlT_E0_NS1_11comp_targetILNS1_3genE9ELNS1_11target_archE1100ELNS1_3gpuE3ELNS1_3repE0EEENS1_30default_config_static_selectorELNS0_4arch9wavefront6targetE1EEEvSW_.num_vgpr, 0
	.set _ZN7rocprim17ROCPRIM_400000_NS6detail17trampoline_kernelINS0_14default_configENS1_22reduce_config_selectorIlEEZNS1_11reduce_implILb1ES3_N6thrust23THRUST_200600_302600_NS11hip_rocprim26transform_input_iterator_tIlNS8_12zip_iteratorINS8_5tupleINS8_6detail15normal_iteratorINS8_10device_ptrIxEEEESH_NS8_9null_typeESI_SI_SI_SI_SI_SI_SI_EEEENS9_21zip_adj_not_predicateI22is_equal_div_10_uniqueIxEEEEEPllNS8_4plusIlEEEE10hipError_tPvRmT1_T2_T3_mT4_P12ihipStream_tbEUlT_E0_NS1_11comp_targetILNS1_3genE9ELNS1_11target_archE1100ELNS1_3gpuE3ELNS1_3repE0EEENS1_30default_config_static_selectorELNS0_4arch9wavefront6targetE1EEEvSW_.num_agpr, 0
	.set _ZN7rocprim17ROCPRIM_400000_NS6detail17trampoline_kernelINS0_14default_configENS1_22reduce_config_selectorIlEEZNS1_11reduce_implILb1ES3_N6thrust23THRUST_200600_302600_NS11hip_rocprim26transform_input_iterator_tIlNS8_12zip_iteratorINS8_5tupleINS8_6detail15normal_iteratorINS8_10device_ptrIxEEEESH_NS8_9null_typeESI_SI_SI_SI_SI_SI_SI_EEEENS9_21zip_adj_not_predicateI22is_equal_div_10_uniqueIxEEEEEPllNS8_4plusIlEEEE10hipError_tPvRmT1_T2_T3_mT4_P12ihipStream_tbEUlT_E0_NS1_11comp_targetILNS1_3genE9ELNS1_11target_archE1100ELNS1_3gpuE3ELNS1_3repE0EEENS1_30default_config_static_selectorELNS0_4arch9wavefront6targetE1EEEvSW_.numbered_sgpr, 0
	.set _ZN7rocprim17ROCPRIM_400000_NS6detail17trampoline_kernelINS0_14default_configENS1_22reduce_config_selectorIlEEZNS1_11reduce_implILb1ES3_N6thrust23THRUST_200600_302600_NS11hip_rocprim26transform_input_iterator_tIlNS8_12zip_iteratorINS8_5tupleINS8_6detail15normal_iteratorINS8_10device_ptrIxEEEESH_NS8_9null_typeESI_SI_SI_SI_SI_SI_SI_EEEENS9_21zip_adj_not_predicateI22is_equal_div_10_uniqueIxEEEEEPllNS8_4plusIlEEEE10hipError_tPvRmT1_T2_T3_mT4_P12ihipStream_tbEUlT_E0_NS1_11comp_targetILNS1_3genE9ELNS1_11target_archE1100ELNS1_3gpuE3ELNS1_3repE0EEENS1_30default_config_static_selectorELNS0_4arch9wavefront6targetE1EEEvSW_.num_named_barrier, 0
	.set _ZN7rocprim17ROCPRIM_400000_NS6detail17trampoline_kernelINS0_14default_configENS1_22reduce_config_selectorIlEEZNS1_11reduce_implILb1ES3_N6thrust23THRUST_200600_302600_NS11hip_rocprim26transform_input_iterator_tIlNS8_12zip_iteratorINS8_5tupleINS8_6detail15normal_iteratorINS8_10device_ptrIxEEEESH_NS8_9null_typeESI_SI_SI_SI_SI_SI_SI_EEEENS9_21zip_adj_not_predicateI22is_equal_div_10_uniqueIxEEEEEPllNS8_4plusIlEEEE10hipError_tPvRmT1_T2_T3_mT4_P12ihipStream_tbEUlT_E0_NS1_11comp_targetILNS1_3genE9ELNS1_11target_archE1100ELNS1_3gpuE3ELNS1_3repE0EEENS1_30default_config_static_selectorELNS0_4arch9wavefront6targetE1EEEvSW_.private_seg_size, 0
	.set _ZN7rocprim17ROCPRIM_400000_NS6detail17trampoline_kernelINS0_14default_configENS1_22reduce_config_selectorIlEEZNS1_11reduce_implILb1ES3_N6thrust23THRUST_200600_302600_NS11hip_rocprim26transform_input_iterator_tIlNS8_12zip_iteratorINS8_5tupleINS8_6detail15normal_iteratorINS8_10device_ptrIxEEEESH_NS8_9null_typeESI_SI_SI_SI_SI_SI_SI_EEEENS9_21zip_adj_not_predicateI22is_equal_div_10_uniqueIxEEEEEPllNS8_4plusIlEEEE10hipError_tPvRmT1_T2_T3_mT4_P12ihipStream_tbEUlT_E0_NS1_11comp_targetILNS1_3genE9ELNS1_11target_archE1100ELNS1_3gpuE3ELNS1_3repE0EEENS1_30default_config_static_selectorELNS0_4arch9wavefront6targetE1EEEvSW_.uses_vcc, 0
	.set _ZN7rocprim17ROCPRIM_400000_NS6detail17trampoline_kernelINS0_14default_configENS1_22reduce_config_selectorIlEEZNS1_11reduce_implILb1ES3_N6thrust23THRUST_200600_302600_NS11hip_rocprim26transform_input_iterator_tIlNS8_12zip_iteratorINS8_5tupleINS8_6detail15normal_iteratorINS8_10device_ptrIxEEEESH_NS8_9null_typeESI_SI_SI_SI_SI_SI_SI_EEEENS9_21zip_adj_not_predicateI22is_equal_div_10_uniqueIxEEEEEPllNS8_4plusIlEEEE10hipError_tPvRmT1_T2_T3_mT4_P12ihipStream_tbEUlT_E0_NS1_11comp_targetILNS1_3genE9ELNS1_11target_archE1100ELNS1_3gpuE3ELNS1_3repE0EEENS1_30default_config_static_selectorELNS0_4arch9wavefront6targetE1EEEvSW_.uses_flat_scratch, 0
	.set _ZN7rocprim17ROCPRIM_400000_NS6detail17trampoline_kernelINS0_14default_configENS1_22reduce_config_selectorIlEEZNS1_11reduce_implILb1ES3_N6thrust23THRUST_200600_302600_NS11hip_rocprim26transform_input_iterator_tIlNS8_12zip_iteratorINS8_5tupleINS8_6detail15normal_iteratorINS8_10device_ptrIxEEEESH_NS8_9null_typeESI_SI_SI_SI_SI_SI_SI_EEEENS9_21zip_adj_not_predicateI22is_equal_div_10_uniqueIxEEEEEPllNS8_4plusIlEEEE10hipError_tPvRmT1_T2_T3_mT4_P12ihipStream_tbEUlT_E0_NS1_11comp_targetILNS1_3genE9ELNS1_11target_archE1100ELNS1_3gpuE3ELNS1_3repE0EEENS1_30default_config_static_selectorELNS0_4arch9wavefront6targetE1EEEvSW_.has_dyn_sized_stack, 0
	.set _ZN7rocprim17ROCPRIM_400000_NS6detail17trampoline_kernelINS0_14default_configENS1_22reduce_config_selectorIlEEZNS1_11reduce_implILb1ES3_N6thrust23THRUST_200600_302600_NS11hip_rocprim26transform_input_iterator_tIlNS8_12zip_iteratorINS8_5tupleINS8_6detail15normal_iteratorINS8_10device_ptrIxEEEESH_NS8_9null_typeESI_SI_SI_SI_SI_SI_SI_EEEENS9_21zip_adj_not_predicateI22is_equal_div_10_uniqueIxEEEEEPllNS8_4plusIlEEEE10hipError_tPvRmT1_T2_T3_mT4_P12ihipStream_tbEUlT_E0_NS1_11comp_targetILNS1_3genE9ELNS1_11target_archE1100ELNS1_3gpuE3ELNS1_3repE0EEENS1_30default_config_static_selectorELNS0_4arch9wavefront6targetE1EEEvSW_.has_recursion, 0
	.set _ZN7rocprim17ROCPRIM_400000_NS6detail17trampoline_kernelINS0_14default_configENS1_22reduce_config_selectorIlEEZNS1_11reduce_implILb1ES3_N6thrust23THRUST_200600_302600_NS11hip_rocprim26transform_input_iterator_tIlNS8_12zip_iteratorINS8_5tupleINS8_6detail15normal_iteratorINS8_10device_ptrIxEEEESH_NS8_9null_typeESI_SI_SI_SI_SI_SI_SI_EEEENS9_21zip_adj_not_predicateI22is_equal_div_10_uniqueIxEEEEEPllNS8_4plusIlEEEE10hipError_tPvRmT1_T2_T3_mT4_P12ihipStream_tbEUlT_E0_NS1_11comp_targetILNS1_3genE9ELNS1_11target_archE1100ELNS1_3gpuE3ELNS1_3repE0EEENS1_30default_config_static_selectorELNS0_4arch9wavefront6targetE1EEEvSW_.has_indirect_call, 0
	.section	.AMDGPU.csdata,"",@progbits
; Kernel info:
; codeLenInByte = 0
; TotalNumSgprs: 4
; NumVgprs: 0
; ScratchSize: 0
; MemoryBound: 0
; FloatMode: 240
; IeeeMode: 1
; LDSByteSize: 0 bytes/workgroup (compile time only)
; SGPRBlocks: 0
; VGPRBlocks: 0
; NumSGPRsForWavesPerEU: 4
; NumVGPRsForWavesPerEU: 1
; Occupancy: 10
; WaveLimiterHint : 0
; COMPUTE_PGM_RSRC2:SCRATCH_EN: 0
; COMPUTE_PGM_RSRC2:USER_SGPR: 6
; COMPUTE_PGM_RSRC2:TRAP_HANDLER: 0
; COMPUTE_PGM_RSRC2:TGID_X_EN: 1
; COMPUTE_PGM_RSRC2:TGID_Y_EN: 0
; COMPUTE_PGM_RSRC2:TGID_Z_EN: 0
; COMPUTE_PGM_RSRC2:TIDIG_COMP_CNT: 0
	.section	.text._ZN7rocprim17ROCPRIM_400000_NS6detail17trampoline_kernelINS0_14default_configENS1_22reduce_config_selectorIlEEZNS1_11reduce_implILb1ES3_N6thrust23THRUST_200600_302600_NS11hip_rocprim26transform_input_iterator_tIlNS8_12zip_iteratorINS8_5tupleINS8_6detail15normal_iteratorINS8_10device_ptrIxEEEESH_NS8_9null_typeESI_SI_SI_SI_SI_SI_SI_EEEENS9_21zip_adj_not_predicateI22is_equal_div_10_uniqueIxEEEEEPllNS8_4plusIlEEEE10hipError_tPvRmT1_T2_T3_mT4_P12ihipStream_tbEUlT_E0_NS1_11comp_targetILNS1_3genE8ELNS1_11target_archE1030ELNS1_3gpuE2ELNS1_3repE0EEENS1_30default_config_static_selectorELNS0_4arch9wavefront6targetE1EEEvSW_,"axG",@progbits,_ZN7rocprim17ROCPRIM_400000_NS6detail17trampoline_kernelINS0_14default_configENS1_22reduce_config_selectorIlEEZNS1_11reduce_implILb1ES3_N6thrust23THRUST_200600_302600_NS11hip_rocprim26transform_input_iterator_tIlNS8_12zip_iteratorINS8_5tupleINS8_6detail15normal_iteratorINS8_10device_ptrIxEEEESH_NS8_9null_typeESI_SI_SI_SI_SI_SI_SI_EEEENS9_21zip_adj_not_predicateI22is_equal_div_10_uniqueIxEEEEEPllNS8_4plusIlEEEE10hipError_tPvRmT1_T2_T3_mT4_P12ihipStream_tbEUlT_E0_NS1_11comp_targetILNS1_3genE8ELNS1_11target_archE1030ELNS1_3gpuE2ELNS1_3repE0EEENS1_30default_config_static_selectorELNS0_4arch9wavefront6targetE1EEEvSW_,comdat
	.protected	_ZN7rocprim17ROCPRIM_400000_NS6detail17trampoline_kernelINS0_14default_configENS1_22reduce_config_selectorIlEEZNS1_11reduce_implILb1ES3_N6thrust23THRUST_200600_302600_NS11hip_rocprim26transform_input_iterator_tIlNS8_12zip_iteratorINS8_5tupleINS8_6detail15normal_iteratorINS8_10device_ptrIxEEEESH_NS8_9null_typeESI_SI_SI_SI_SI_SI_SI_EEEENS9_21zip_adj_not_predicateI22is_equal_div_10_uniqueIxEEEEEPllNS8_4plusIlEEEE10hipError_tPvRmT1_T2_T3_mT4_P12ihipStream_tbEUlT_E0_NS1_11comp_targetILNS1_3genE8ELNS1_11target_archE1030ELNS1_3gpuE2ELNS1_3repE0EEENS1_30default_config_static_selectorELNS0_4arch9wavefront6targetE1EEEvSW_ ; -- Begin function _ZN7rocprim17ROCPRIM_400000_NS6detail17trampoline_kernelINS0_14default_configENS1_22reduce_config_selectorIlEEZNS1_11reduce_implILb1ES3_N6thrust23THRUST_200600_302600_NS11hip_rocprim26transform_input_iterator_tIlNS8_12zip_iteratorINS8_5tupleINS8_6detail15normal_iteratorINS8_10device_ptrIxEEEESH_NS8_9null_typeESI_SI_SI_SI_SI_SI_SI_EEEENS9_21zip_adj_not_predicateI22is_equal_div_10_uniqueIxEEEEEPllNS8_4plusIlEEEE10hipError_tPvRmT1_T2_T3_mT4_P12ihipStream_tbEUlT_E0_NS1_11comp_targetILNS1_3genE8ELNS1_11target_archE1030ELNS1_3gpuE2ELNS1_3repE0EEENS1_30default_config_static_selectorELNS0_4arch9wavefront6targetE1EEEvSW_
	.globl	_ZN7rocprim17ROCPRIM_400000_NS6detail17trampoline_kernelINS0_14default_configENS1_22reduce_config_selectorIlEEZNS1_11reduce_implILb1ES3_N6thrust23THRUST_200600_302600_NS11hip_rocprim26transform_input_iterator_tIlNS8_12zip_iteratorINS8_5tupleINS8_6detail15normal_iteratorINS8_10device_ptrIxEEEESH_NS8_9null_typeESI_SI_SI_SI_SI_SI_SI_EEEENS9_21zip_adj_not_predicateI22is_equal_div_10_uniqueIxEEEEEPllNS8_4plusIlEEEE10hipError_tPvRmT1_T2_T3_mT4_P12ihipStream_tbEUlT_E0_NS1_11comp_targetILNS1_3genE8ELNS1_11target_archE1030ELNS1_3gpuE2ELNS1_3repE0EEENS1_30default_config_static_selectorELNS0_4arch9wavefront6targetE1EEEvSW_
	.p2align	8
	.type	_ZN7rocprim17ROCPRIM_400000_NS6detail17trampoline_kernelINS0_14default_configENS1_22reduce_config_selectorIlEEZNS1_11reduce_implILb1ES3_N6thrust23THRUST_200600_302600_NS11hip_rocprim26transform_input_iterator_tIlNS8_12zip_iteratorINS8_5tupleINS8_6detail15normal_iteratorINS8_10device_ptrIxEEEESH_NS8_9null_typeESI_SI_SI_SI_SI_SI_SI_EEEENS9_21zip_adj_not_predicateI22is_equal_div_10_uniqueIxEEEEEPllNS8_4plusIlEEEE10hipError_tPvRmT1_T2_T3_mT4_P12ihipStream_tbEUlT_E0_NS1_11comp_targetILNS1_3genE8ELNS1_11target_archE1030ELNS1_3gpuE2ELNS1_3repE0EEENS1_30default_config_static_selectorELNS0_4arch9wavefront6targetE1EEEvSW_,@function
_ZN7rocprim17ROCPRIM_400000_NS6detail17trampoline_kernelINS0_14default_configENS1_22reduce_config_selectorIlEEZNS1_11reduce_implILb1ES3_N6thrust23THRUST_200600_302600_NS11hip_rocprim26transform_input_iterator_tIlNS8_12zip_iteratorINS8_5tupleINS8_6detail15normal_iteratorINS8_10device_ptrIxEEEESH_NS8_9null_typeESI_SI_SI_SI_SI_SI_SI_EEEENS9_21zip_adj_not_predicateI22is_equal_div_10_uniqueIxEEEEEPllNS8_4plusIlEEEE10hipError_tPvRmT1_T2_T3_mT4_P12ihipStream_tbEUlT_E0_NS1_11comp_targetILNS1_3genE8ELNS1_11target_archE1030ELNS1_3gpuE2ELNS1_3repE0EEENS1_30default_config_static_selectorELNS0_4arch9wavefront6targetE1EEEvSW_: ; @_ZN7rocprim17ROCPRIM_400000_NS6detail17trampoline_kernelINS0_14default_configENS1_22reduce_config_selectorIlEEZNS1_11reduce_implILb1ES3_N6thrust23THRUST_200600_302600_NS11hip_rocprim26transform_input_iterator_tIlNS8_12zip_iteratorINS8_5tupleINS8_6detail15normal_iteratorINS8_10device_ptrIxEEEESH_NS8_9null_typeESI_SI_SI_SI_SI_SI_SI_EEEENS9_21zip_adj_not_predicateI22is_equal_div_10_uniqueIxEEEEEPllNS8_4plusIlEEEE10hipError_tPvRmT1_T2_T3_mT4_P12ihipStream_tbEUlT_E0_NS1_11comp_targetILNS1_3genE8ELNS1_11target_archE1030ELNS1_3gpuE2ELNS1_3repE0EEENS1_30default_config_static_selectorELNS0_4arch9wavefront6targetE1EEEvSW_
; %bb.0:
	.section	.rodata,"a",@progbits
	.p2align	6, 0x0
	.amdhsa_kernel _ZN7rocprim17ROCPRIM_400000_NS6detail17trampoline_kernelINS0_14default_configENS1_22reduce_config_selectorIlEEZNS1_11reduce_implILb1ES3_N6thrust23THRUST_200600_302600_NS11hip_rocprim26transform_input_iterator_tIlNS8_12zip_iteratorINS8_5tupleINS8_6detail15normal_iteratorINS8_10device_ptrIxEEEESH_NS8_9null_typeESI_SI_SI_SI_SI_SI_SI_EEEENS9_21zip_adj_not_predicateI22is_equal_div_10_uniqueIxEEEEEPllNS8_4plusIlEEEE10hipError_tPvRmT1_T2_T3_mT4_P12ihipStream_tbEUlT_E0_NS1_11comp_targetILNS1_3genE8ELNS1_11target_archE1030ELNS1_3gpuE2ELNS1_3repE0EEENS1_30default_config_static_selectorELNS0_4arch9wavefront6targetE1EEEvSW_
		.amdhsa_group_segment_fixed_size 0
		.amdhsa_private_segment_fixed_size 0
		.amdhsa_kernarg_size 80
		.amdhsa_user_sgpr_count 6
		.amdhsa_user_sgpr_private_segment_buffer 1
		.amdhsa_user_sgpr_dispatch_ptr 0
		.amdhsa_user_sgpr_queue_ptr 0
		.amdhsa_user_sgpr_kernarg_segment_ptr 1
		.amdhsa_user_sgpr_dispatch_id 0
		.amdhsa_user_sgpr_flat_scratch_init 0
		.amdhsa_user_sgpr_private_segment_size 0
		.amdhsa_uses_dynamic_stack 0
		.amdhsa_system_sgpr_private_segment_wavefront_offset 0
		.amdhsa_system_sgpr_workgroup_id_x 1
		.amdhsa_system_sgpr_workgroup_id_y 0
		.amdhsa_system_sgpr_workgroup_id_z 0
		.amdhsa_system_sgpr_workgroup_info 0
		.amdhsa_system_vgpr_workitem_id 0
		.amdhsa_next_free_vgpr 1
		.amdhsa_next_free_sgpr 0
		.amdhsa_reserve_vcc 0
		.amdhsa_reserve_flat_scratch 0
		.amdhsa_float_round_mode_32 0
		.amdhsa_float_round_mode_16_64 0
		.amdhsa_float_denorm_mode_32 3
		.amdhsa_float_denorm_mode_16_64 3
		.amdhsa_dx10_clamp 1
		.amdhsa_ieee_mode 1
		.amdhsa_fp16_overflow 0
		.amdhsa_exception_fp_ieee_invalid_op 0
		.amdhsa_exception_fp_denorm_src 0
		.amdhsa_exception_fp_ieee_div_zero 0
		.amdhsa_exception_fp_ieee_overflow 0
		.amdhsa_exception_fp_ieee_underflow 0
		.amdhsa_exception_fp_ieee_inexact 0
		.amdhsa_exception_int_div_zero 0
	.end_amdhsa_kernel
	.section	.text._ZN7rocprim17ROCPRIM_400000_NS6detail17trampoline_kernelINS0_14default_configENS1_22reduce_config_selectorIlEEZNS1_11reduce_implILb1ES3_N6thrust23THRUST_200600_302600_NS11hip_rocprim26transform_input_iterator_tIlNS8_12zip_iteratorINS8_5tupleINS8_6detail15normal_iteratorINS8_10device_ptrIxEEEESH_NS8_9null_typeESI_SI_SI_SI_SI_SI_SI_EEEENS9_21zip_adj_not_predicateI22is_equal_div_10_uniqueIxEEEEEPllNS8_4plusIlEEEE10hipError_tPvRmT1_T2_T3_mT4_P12ihipStream_tbEUlT_E0_NS1_11comp_targetILNS1_3genE8ELNS1_11target_archE1030ELNS1_3gpuE2ELNS1_3repE0EEENS1_30default_config_static_selectorELNS0_4arch9wavefront6targetE1EEEvSW_,"axG",@progbits,_ZN7rocprim17ROCPRIM_400000_NS6detail17trampoline_kernelINS0_14default_configENS1_22reduce_config_selectorIlEEZNS1_11reduce_implILb1ES3_N6thrust23THRUST_200600_302600_NS11hip_rocprim26transform_input_iterator_tIlNS8_12zip_iteratorINS8_5tupleINS8_6detail15normal_iteratorINS8_10device_ptrIxEEEESH_NS8_9null_typeESI_SI_SI_SI_SI_SI_SI_EEEENS9_21zip_adj_not_predicateI22is_equal_div_10_uniqueIxEEEEEPllNS8_4plusIlEEEE10hipError_tPvRmT1_T2_T3_mT4_P12ihipStream_tbEUlT_E0_NS1_11comp_targetILNS1_3genE8ELNS1_11target_archE1030ELNS1_3gpuE2ELNS1_3repE0EEENS1_30default_config_static_selectorELNS0_4arch9wavefront6targetE1EEEvSW_,comdat
.Lfunc_end949:
	.size	_ZN7rocprim17ROCPRIM_400000_NS6detail17trampoline_kernelINS0_14default_configENS1_22reduce_config_selectorIlEEZNS1_11reduce_implILb1ES3_N6thrust23THRUST_200600_302600_NS11hip_rocprim26transform_input_iterator_tIlNS8_12zip_iteratorINS8_5tupleINS8_6detail15normal_iteratorINS8_10device_ptrIxEEEESH_NS8_9null_typeESI_SI_SI_SI_SI_SI_SI_EEEENS9_21zip_adj_not_predicateI22is_equal_div_10_uniqueIxEEEEEPllNS8_4plusIlEEEE10hipError_tPvRmT1_T2_T3_mT4_P12ihipStream_tbEUlT_E0_NS1_11comp_targetILNS1_3genE8ELNS1_11target_archE1030ELNS1_3gpuE2ELNS1_3repE0EEENS1_30default_config_static_selectorELNS0_4arch9wavefront6targetE1EEEvSW_, .Lfunc_end949-_ZN7rocprim17ROCPRIM_400000_NS6detail17trampoline_kernelINS0_14default_configENS1_22reduce_config_selectorIlEEZNS1_11reduce_implILb1ES3_N6thrust23THRUST_200600_302600_NS11hip_rocprim26transform_input_iterator_tIlNS8_12zip_iteratorINS8_5tupleINS8_6detail15normal_iteratorINS8_10device_ptrIxEEEESH_NS8_9null_typeESI_SI_SI_SI_SI_SI_SI_EEEENS9_21zip_adj_not_predicateI22is_equal_div_10_uniqueIxEEEEEPllNS8_4plusIlEEEE10hipError_tPvRmT1_T2_T3_mT4_P12ihipStream_tbEUlT_E0_NS1_11comp_targetILNS1_3genE8ELNS1_11target_archE1030ELNS1_3gpuE2ELNS1_3repE0EEENS1_30default_config_static_selectorELNS0_4arch9wavefront6targetE1EEEvSW_
                                        ; -- End function
	.set _ZN7rocprim17ROCPRIM_400000_NS6detail17trampoline_kernelINS0_14default_configENS1_22reduce_config_selectorIlEEZNS1_11reduce_implILb1ES3_N6thrust23THRUST_200600_302600_NS11hip_rocprim26transform_input_iterator_tIlNS8_12zip_iteratorINS8_5tupleINS8_6detail15normal_iteratorINS8_10device_ptrIxEEEESH_NS8_9null_typeESI_SI_SI_SI_SI_SI_SI_EEEENS9_21zip_adj_not_predicateI22is_equal_div_10_uniqueIxEEEEEPllNS8_4plusIlEEEE10hipError_tPvRmT1_T2_T3_mT4_P12ihipStream_tbEUlT_E0_NS1_11comp_targetILNS1_3genE8ELNS1_11target_archE1030ELNS1_3gpuE2ELNS1_3repE0EEENS1_30default_config_static_selectorELNS0_4arch9wavefront6targetE1EEEvSW_.num_vgpr, 0
	.set _ZN7rocprim17ROCPRIM_400000_NS6detail17trampoline_kernelINS0_14default_configENS1_22reduce_config_selectorIlEEZNS1_11reduce_implILb1ES3_N6thrust23THRUST_200600_302600_NS11hip_rocprim26transform_input_iterator_tIlNS8_12zip_iteratorINS8_5tupleINS8_6detail15normal_iteratorINS8_10device_ptrIxEEEESH_NS8_9null_typeESI_SI_SI_SI_SI_SI_SI_EEEENS9_21zip_adj_not_predicateI22is_equal_div_10_uniqueIxEEEEEPllNS8_4plusIlEEEE10hipError_tPvRmT1_T2_T3_mT4_P12ihipStream_tbEUlT_E0_NS1_11comp_targetILNS1_3genE8ELNS1_11target_archE1030ELNS1_3gpuE2ELNS1_3repE0EEENS1_30default_config_static_selectorELNS0_4arch9wavefront6targetE1EEEvSW_.num_agpr, 0
	.set _ZN7rocprim17ROCPRIM_400000_NS6detail17trampoline_kernelINS0_14default_configENS1_22reduce_config_selectorIlEEZNS1_11reduce_implILb1ES3_N6thrust23THRUST_200600_302600_NS11hip_rocprim26transform_input_iterator_tIlNS8_12zip_iteratorINS8_5tupleINS8_6detail15normal_iteratorINS8_10device_ptrIxEEEESH_NS8_9null_typeESI_SI_SI_SI_SI_SI_SI_EEEENS9_21zip_adj_not_predicateI22is_equal_div_10_uniqueIxEEEEEPllNS8_4plusIlEEEE10hipError_tPvRmT1_T2_T3_mT4_P12ihipStream_tbEUlT_E0_NS1_11comp_targetILNS1_3genE8ELNS1_11target_archE1030ELNS1_3gpuE2ELNS1_3repE0EEENS1_30default_config_static_selectorELNS0_4arch9wavefront6targetE1EEEvSW_.numbered_sgpr, 0
	.set _ZN7rocprim17ROCPRIM_400000_NS6detail17trampoline_kernelINS0_14default_configENS1_22reduce_config_selectorIlEEZNS1_11reduce_implILb1ES3_N6thrust23THRUST_200600_302600_NS11hip_rocprim26transform_input_iterator_tIlNS8_12zip_iteratorINS8_5tupleINS8_6detail15normal_iteratorINS8_10device_ptrIxEEEESH_NS8_9null_typeESI_SI_SI_SI_SI_SI_SI_EEEENS9_21zip_adj_not_predicateI22is_equal_div_10_uniqueIxEEEEEPllNS8_4plusIlEEEE10hipError_tPvRmT1_T2_T3_mT4_P12ihipStream_tbEUlT_E0_NS1_11comp_targetILNS1_3genE8ELNS1_11target_archE1030ELNS1_3gpuE2ELNS1_3repE0EEENS1_30default_config_static_selectorELNS0_4arch9wavefront6targetE1EEEvSW_.num_named_barrier, 0
	.set _ZN7rocprim17ROCPRIM_400000_NS6detail17trampoline_kernelINS0_14default_configENS1_22reduce_config_selectorIlEEZNS1_11reduce_implILb1ES3_N6thrust23THRUST_200600_302600_NS11hip_rocprim26transform_input_iterator_tIlNS8_12zip_iteratorINS8_5tupleINS8_6detail15normal_iteratorINS8_10device_ptrIxEEEESH_NS8_9null_typeESI_SI_SI_SI_SI_SI_SI_EEEENS9_21zip_adj_not_predicateI22is_equal_div_10_uniqueIxEEEEEPllNS8_4plusIlEEEE10hipError_tPvRmT1_T2_T3_mT4_P12ihipStream_tbEUlT_E0_NS1_11comp_targetILNS1_3genE8ELNS1_11target_archE1030ELNS1_3gpuE2ELNS1_3repE0EEENS1_30default_config_static_selectorELNS0_4arch9wavefront6targetE1EEEvSW_.private_seg_size, 0
	.set _ZN7rocprim17ROCPRIM_400000_NS6detail17trampoline_kernelINS0_14default_configENS1_22reduce_config_selectorIlEEZNS1_11reduce_implILb1ES3_N6thrust23THRUST_200600_302600_NS11hip_rocprim26transform_input_iterator_tIlNS8_12zip_iteratorINS8_5tupleINS8_6detail15normal_iteratorINS8_10device_ptrIxEEEESH_NS8_9null_typeESI_SI_SI_SI_SI_SI_SI_EEEENS9_21zip_adj_not_predicateI22is_equal_div_10_uniqueIxEEEEEPllNS8_4plusIlEEEE10hipError_tPvRmT1_T2_T3_mT4_P12ihipStream_tbEUlT_E0_NS1_11comp_targetILNS1_3genE8ELNS1_11target_archE1030ELNS1_3gpuE2ELNS1_3repE0EEENS1_30default_config_static_selectorELNS0_4arch9wavefront6targetE1EEEvSW_.uses_vcc, 0
	.set _ZN7rocprim17ROCPRIM_400000_NS6detail17trampoline_kernelINS0_14default_configENS1_22reduce_config_selectorIlEEZNS1_11reduce_implILb1ES3_N6thrust23THRUST_200600_302600_NS11hip_rocprim26transform_input_iterator_tIlNS8_12zip_iteratorINS8_5tupleINS8_6detail15normal_iteratorINS8_10device_ptrIxEEEESH_NS8_9null_typeESI_SI_SI_SI_SI_SI_SI_EEEENS9_21zip_adj_not_predicateI22is_equal_div_10_uniqueIxEEEEEPllNS8_4plusIlEEEE10hipError_tPvRmT1_T2_T3_mT4_P12ihipStream_tbEUlT_E0_NS1_11comp_targetILNS1_3genE8ELNS1_11target_archE1030ELNS1_3gpuE2ELNS1_3repE0EEENS1_30default_config_static_selectorELNS0_4arch9wavefront6targetE1EEEvSW_.uses_flat_scratch, 0
	.set _ZN7rocprim17ROCPRIM_400000_NS6detail17trampoline_kernelINS0_14default_configENS1_22reduce_config_selectorIlEEZNS1_11reduce_implILb1ES3_N6thrust23THRUST_200600_302600_NS11hip_rocprim26transform_input_iterator_tIlNS8_12zip_iteratorINS8_5tupleINS8_6detail15normal_iteratorINS8_10device_ptrIxEEEESH_NS8_9null_typeESI_SI_SI_SI_SI_SI_SI_EEEENS9_21zip_adj_not_predicateI22is_equal_div_10_uniqueIxEEEEEPllNS8_4plusIlEEEE10hipError_tPvRmT1_T2_T3_mT4_P12ihipStream_tbEUlT_E0_NS1_11comp_targetILNS1_3genE8ELNS1_11target_archE1030ELNS1_3gpuE2ELNS1_3repE0EEENS1_30default_config_static_selectorELNS0_4arch9wavefront6targetE1EEEvSW_.has_dyn_sized_stack, 0
	.set _ZN7rocprim17ROCPRIM_400000_NS6detail17trampoline_kernelINS0_14default_configENS1_22reduce_config_selectorIlEEZNS1_11reduce_implILb1ES3_N6thrust23THRUST_200600_302600_NS11hip_rocprim26transform_input_iterator_tIlNS8_12zip_iteratorINS8_5tupleINS8_6detail15normal_iteratorINS8_10device_ptrIxEEEESH_NS8_9null_typeESI_SI_SI_SI_SI_SI_SI_EEEENS9_21zip_adj_not_predicateI22is_equal_div_10_uniqueIxEEEEEPllNS8_4plusIlEEEE10hipError_tPvRmT1_T2_T3_mT4_P12ihipStream_tbEUlT_E0_NS1_11comp_targetILNS1_3genE8ELNS1_11target_archE1030ELNS1_3gpuE2ELNS1_3repE0EEENS1_30default_config_static_selectorELNS0_4arch9wavefront6targetE1EEEvSW_.has_recursion, 0
	.set _ZN7rocprim17ROCPRIM_400000_NS6detail17trampoline_kernelINS0_14default_configENS1_22reduce_config_selectorIlEEZNS1_11reduce_implILb1ES3_N6thrust23THRUST_200600_302600_NS11hip_rocprim26transform_input_iterator_tIlNS8_12zip_iteratorINS8_5tupleINS8_6detail15normal_iteratorINS8_10device_ptrIxEEEESH_NS8_9null_typeESI_SI_SI_SI_SI_SI_SI_EEEENS9_21zip_adj_not_predicateI22is_equal_div_10_uniqueIxEEEEEPllNS8_4plusIlEEEE10hipError_tPvRmT1_T2_T3_mT4_P12ihipStream_tbEUlT_E0_NS1_11comp_targetILNS1_3genE8ELNS1_11target_archE1030ELNS1_3gpuE2ELNS1_3repE0EEENS1_30default_config_static_selectorELNS0_4arch9wavefront6targetE1EEEvSW_.has_indirect_call, 0
	.section	.AMDGPU.csdata,"",@progbits
; Kernel info:
; codeLenInByte = 0
; TotalNumSgprs: 4
; NumVgprs: 0
; ScratchSize: 0
; MemoryBound: 0
; FloatMode: 240
; IeeeMode: 1
; LDSByteSize: 0 bytes/workgroup (compile time only)
; SGPRBlocks: 0
; VGPRBlocks: 0
; NumSGPRsForWavesPerEU: 4
; NumVGPRsForWavesPerEU: 1
; Occupancy: 10
; WaveLimiterHint : 0
; COMPUTE_PGM_RSRC2:SCRATCH_EN: 0
; COMPUTE_PGM_RSRC2:USER_SGPR: 6
; COMPUTE_PGM_RSRC2:TRAP_HANDLER: 0
; COMPUTE_PGM_RSRC2:TGID_X_EN: 1
; COMPUTE_PGM_RSRC2:TGID_Y_EN: 0
; COMPUTE_PGM_RSRC2:TGID_Z_EN: 0
; COMPUTE_PGM_RSRC2:TIDIG_COMP_CNT: 0
	.section	.text._ZN7rocprim17ROCPRIM_400000_NS6detail17trampoline_kernelINS0_14default_configENS1_22reduce_config_selectorIlEEZNS1_11reduce_implILb1ES3_N6thrust23THRUST_200600_302600_NS11hip_rocprim26transform_input_iterator_tIlNS8_12zip_iteratorINS8_5tupleINS8_6detail15normal_iteratorINS8_10device_ptrIxEEEESH_NS8_9null_typeESI_SI_SI_SI_SI_SI_SI_EEEENS9_21zip_adj_not_predicateI22is_equal_div_10_uniqueIxEEEEEPllNS8_4plusIlEEEE10hipError_tPvRmT1_T2_T3_mT4_P12ihipStream_tbEUlT_E1_NS1_11comp_targetILNS1_3genE0ELNS1_11target_archE4294967295ELNS1_3gpuE0ELNS1_3repE0EEENS1_30default_config_static_selectorELNS0_4arch9wavefront6targetE1EEEvSW_,"axG",@progbits,_ZN7rocprim17ROCPRIM_400000_NS6detail17trampoline_kernelINS0_14default_configENS1_22reduce_config_selectorIlEEZNS1_11reduce_implILb1ES3_N6thrust23THRUST_200600_302600_NS11hip_rocprim26transform_input_iterator_tIlNS8_12zip_iteratorINS8_5tupleINS8_6detail15normal_iteratorINS8_10device_ptrIxEEEESH_NS8_9null_typeESI_SI_SI_SI_SI_SI_SI_EEEENS9_21zip_adj_not_predicateI22is_equal_div_10_uniqueIxEEEEEPllNS8_4plusIlEEEE10hipError_tPvRmT1_T2_T3_mT4_P12ihipStream_tbEUlT_E1_NS1_11comp_targetILNS1_3genE0ELNS1_11target_archE4294967295ELNS1_3gpuE0ELNS1_3repE0EEENS1_30default_config_static_selectorELNS0_4arch9wavefront6targetE1EEEvSW_,comdat
	.protected	_ZN7rocprim17ROCPRIM_400000_NS6detail17trampoline_kernelINS0_14default_configENS1_22reduce_config_selectorIlEEZNS1_11reduce_implILb1ES3_N6thrust23THRUST_200600_302600_NS11hip_rocprim26transform_input_iterator_tIlNS8_12zip_iteratorINS8_5tupleINS8_6detail15normal_iteratorINS8_10device_ptrIxEEEESH_NS8_9null_typeESI_SI_SI_SI_SI_SI_SI_EEEENS9_21zip_adj_not_predicateI22is_equal_div_10_uniqueIxEEEEEPllNS8_4plusIlEEEE10hipError_tPvRmT1_T2_T3_mT4_P12ihipStream_tbEUlT_E1_NS1_11comp_targetILNS1_3genE0ELNS1_11target_archE4294967295ELNS1_3gpuE0ELNS1_3repE0EEENS1_30default_config_static_selectorELNS0_4arch9wavefront6targetE1EEEvSW_ ; -- Begin function _ZN7rocprim17ROCPRIM_400000_NS6detail17trampoline_kernelINS0_14default_configENS1_22reduce_config_selectorIlEEZNS1_11reduce_implILb1ES3_N6thrust23THRUST_200600_302600_NS11hip_rocprim26transform_input_iterator_tIlNS8_12zip_iteratorINS8_5tupleINS8_6detail15normal_iteratorINS8_10device_ptrIxEEEESH_NS8_9null_typeESI_SI_SI_SI_SI_SI_SI_EEEENS9_21zip_adj_not_predicateI22is_equal_div_10_uniqueIxEEEEEPllNS8_4plusIlEEEE10hipError_tPvRmT1_T2_T3_mT4_P12ihipStream_tbEUlT_E1_NS1_11comp_targetILNS1_3genE0ELNS1_11target_archE4294967295ELNS1_3gpuE0ELNS1_3repE0EEENS1_30default_config_static_selectorELNS0_4arch9wavefront6targetE1EEEvSW_
	.globl	_ZN7rocprim17ROCPRIM_400000_NS6detail17trampoline_kernelINS0_14default_configENS1_22reduce_config_selectorIlEEZNS1_11reduce_implILb1ES3_N6thrust23THRUST_200600_302600_NS11hip_rocprim26transform_input_iterator_tIlNS8_12zip_iteratorINS8_5tupleINS8_6detail15normal_iteratorINS8_10device_ptrIxEEEESH_NS8_9null_typeESI_SI_SI_SI_SI_SI_SI_EEEENS9_21zip_adj_not_predicateI22is_equal_div_10_uniqueIxEEEEEPllNS8_4plusIlEEEE10hipError_tPvRmT1_T2_T3_mT4_P12ihipStream_tbEUlT_E1_NS1_11comp_targetILNS1_3genE0ELNS1_11target_archE4294967295ELNS1_3gpuE0ELNS1_3repE0EEENS1_30default_config_static_selectorELNS0_4arch9wavefront6targetE1EEEvSW_
	.p2align	8
	.type	_ZN7rocprim17ROCPRIM_400000_NS6detail17trampoline_kernelINS0_14default_configENS1_22reduce_config_selectorIlEEZNS1_11reduce_implILb1ES3_N6thrust23THRUST_200600_302600_NS11hip_rocprim26transform_input_iterator_tIlNS8_12zip_iteratorINS8_5tupleINS8_6detail15normal_iteratorINS8_10device_ptrIxEEEESH_NS8_9null_typeESI_SI_SI_SI_SI_SI_SI_EEEENS9_21zip_adj_not_predicateI22is_equal_div_10_uniqueIxEEEEEPllNS8_4plusIlEEEE10hipError_tPvRmT1_T2_T3_mT4_P12ihipStream_tbEUlT_E1_NS1_11comp_targetILNS1_3genE0ELNS1_11target_archE4294967295ELNS1_3gpuE0ELNS1_3repE0EEENS1_30default_config_static_selectorELNS0_4arch9wavefront6targetE1EEEvSW_,@function
_ZN7rocprim17ROCPRIM_400000_NS6detail17trampoline_kernelINS0_14default_configENS1_22reduce_config_selectorIlEEZNS1_11reduce_implILb1ES3_N6thrust23THRUST_200600_302600_NS11hip_rocprim26transform_input_iterator_tIlNS8_12zip_iteratorINS8_5tupleINS8_6detail15normal_iteratorINS8_10device_ptrIxEEEESH_NS8_9null_typeESI_SI_SI_SI_SI_SI_SI_EEEENS9_21zip_adj_not_predicateI22is_equal_div_10_uniqueIxEEEEEPllNS8_4plusIlEEEE10hipError_tPvRmT1_T2_T3_mT4_P12ihipStream_tbEUlT_E1_NS1_11comp_targetILNS1_3genE0ELNS1_11target_archE4294967295ELNS1_3gpuE0ELNS1_3repE0EEENS1_30default_config_static_selectorELNS0_4arch9wavefront6targetE1EEEvSW_: ; @_ZN7rocprim17ROCPRIM_400000_NS6detail17trampoline_kernelINS0_14default_configENS1_22reduce_config_selectorIlEEZNS1_11reduce_implILb1ES3_N6thrust23THRUST_200600_302600_NS11hip_rocprim26transform_input_iterator_tIlNS8_12zip_iteratorINS8_5tupleINS8_6detail15normal_iteratorINS8_10device_ptrIxEEEESH_NS8_9null_typeESI_SI_SI_SI_SI_SI_SI_EEEENS9_21zip_adj_not_predicateI22is_equal_div_10_uniqueIxEEEEEPllNS8_4plusIlEEEE10hipError_tPvRmT1_T2_T3_mT4_P12ihipStream_tbEUlT_E1_NS1_11comp_targetILNS1_3genE0ELNS1_11target_archE4294967295ELNS1_3gpuE0ELNS1_3repE0EEENS1_30default_config_static_selectorELNS0_4arch9wavefront6targetE1EEEvSW_
; %bb.0:
	.section	.rodata,"a",@progbits
	.p2align	6, 0x0
	.amdhsa_kernel _ZN7rocprim17ROCPRIM_400000_NS6detail17trampoline_kernelINS0_14default_configENS1_22reduce_config_selectorIlEEZNS1_11reduce_implILb1ES3_N6thrust23THRUST_200600_302600_NS11hip_rocprim26transform_input_iterator_tIlNS8_12zip_iteratorINS8_5tupleINS8_6detail15normal_iteratorINS8_10device_ptrIxEEEESH_NS8_9null_typeESI_SI_SI_SI_SI_SI_SI_EEEENS9_21zip_adj_not_predicateI22is_equal_div_10_uniqueIxEEEEEPllNS8_4plusIlEEEE10hipError_tPvRmT1_T2_T3_mT4_P12ihipStream_tbEUlT_E1_NS1_11comp_targetILNS1_3genE0ELNS1_11target_archE4294967295ELNS1_3gpuE0ELNS1_3repE0EEENS1_30default_config_static_selectorELNS0_4arch9wavefront6targetE1EEEvSW_
		.amdhsa_group_segment_fixed_size 0
		.amdhsa_private_segment_fixed_size 0
		.amdhsa_kernarg_size 64
		.amdhsa_user_sgpr_count 6
		.amdhsa_user_sgpr_private_segment_buffer 1
		.amdhsa_user_sgpr_dispatch_ptr 0
		.amdhsa_user_sgpr_queue_ptr 0
		.amdhsa_user_sgpr_kernarg_segment_ptr 1
		.amdhsa_user_sgpr_dispatch_id 0
		.amdhsa_user_sgpr_flat_scratch_init 0
		.amdhsa_user_sgpr_private_segment_size 0
		.amdhsa_uses_dynamic_stack 0
		.amdhsa_system_sgpr_private_segment_wavefront_offset 0
		.amdhsa_system_sgpr_workgroup_id_x 1
		.amdhsa_system_sgpr_workgroup_id_y 0
		.amdhsa_system_sgpr_workgroup_id_z 0
		.amdhsa_system_sgpr_workgroup_info 0
		.amdhsa_system_vgpr_workitem_id 0
		.amdhsa_next_free_vgpr 1
		.amdhsa_next_free_sgpr 0
		.amdhsa_reserve_vcc 0
		.amdhsa_reserve_flat_scratch 0
		.amdhsa_float_round_mode_32 0
		.amdhsa_float_round_mode_16_64 0
		.amdhsa_float_denorm_mode_32 3
		.amdhsa_float_denorm_mode_16_64 3
		.amdhsa_dx10_clamp 1
		.amdhsa_ieee_mode 1
		.amdhsa_fp16_overflow 0
		.amdhsa_exception_fp_ieee_invalid_op 0
		.amdhsa_exception_fp_denorm_src 0
		.amdhsa_exception_fp_ieee_div_zero 0
		.amdhsa_exception_fp_ieee_overflow 0
		.amdhsa_exception_fp_ieee_underflow 0
		.amdhsa_exception_fp_ieee_inexact 0
		.amdhsa_exception_int_div_zero 0
	.end_amdhsa_kernel
	.section	.text._ZN7rocprim17ROCPRIM_400000_NS6detail17trampoline_kernelINS0_14default_configENS1_22reduce_config_selectorIlEEZNS1_11reduce_implILb1ES3_N6thrust23THRUST_200600_302600_NS11hip_rocprim26transform_input_iterator_tIlNS8_12zip_iteratorINS8_5tupleINS8_6detail15normal_iteratorINS8_10device_ptrIxEEEESH_NS8_9null_typeESI_SI_SI_SI_SI_SI_SI_EEEENS9_21zip_adj_not_predicateI22is_equal_div_10_uniqueIxEEEEEPllNS8_4plusIlEEEE10hipError_tPvRmT1_T2_T3_mT4_P12ihipStream_tbEUlT_E1_NS1_11comp_targetILNS1_3genE0ELNS1_11target_archE4294967295ELNS1_3gpuE0ELNS1_3repE0EEENS1_30default_config_static_selectorELNS0_4arch9wavefront6targetE1EEEvSW_,"axG",@progbits,_ZN7rocprim17ROCPRIM_400000_NS6detail17trampoline_kernelINS0_14default_configENS1_22reduce_config_selectorIlEEZNS1_11reduce_implILb1ES3_N6thrust23THRUST_200600_302600_NS11hip_rocprim26transform_input_iterator_tIlNS8_12zip_iteratorINS8_5tupleINS8_6detail15normal_iteratorINS8_10device_ptrIxEEEESH_NS8_9null_typeESI_SI_SI_SI_SI_SI_SI_EEEENS9_21zip_adj_not_predicateI22is_equal_div_10_uniqueIxEEEEEPllNS8_4plusIlEEEE10hipError_tPvRmT1_T2_T3_mT4_P12ihipStream_tbEUlT_E1_NS1_11comp_targetILNS1_3genE0ELNS1_11target_archE4294967295ELNS1_3gpuE0ELNS1_3repE0EEENS1_30default_config_static_selectorELNS0_4arch9wavefront6targetE1EEEvSW_,comdat
.Lfunc_end950:
	.size	_ZN7rocprim17ROCPRIM_400000_NS6detail17trampoline_kernelINS0_14default_configENS1_22reduce_config_selectorIlEEZNS1_11reduce_implILb1ES3_N6thrust23THRUST_200600_302600_NS11hip_rocprim26transform_input_iterator_tIlNS8_12zip_iteratorINS8_5tupleINS8_6detail15normal_iteratorINS8_10device_ptrIxEEEESH_NS8_9null_typeESI_SI_SI_SI_SI_SI_SI_EEEENS9_21zip_adj_not_predicateI22is_equal_div_10_uniqueIxEEEEEPllNS8_4plusIlEEEE10hipError_tPvRmT1_T2_T3_mT4_P12ihipStream_tbEUlT_E1_NS1_11comp_targetILNS1_3genE0ELNS1_11target_archE4294967295ELNS1_3gpuE0ELNS1_3repE0EEENS1_30default_config_static_selectorELNS0_4arch9wavefront6targetE1EEEvSW_, .Lfunc_end950-_ZN7rocprim17ROCPRIM_400000_NS6detail17trampoline_kernelINS0_14default_configENS1_22reduce_config_selectorIlEEZNS1_11reduce_implILb1ES3_N6thrust23THRUST_200600_302600_NS11hip_rocprim26transform_input_iterator_tIlNS8_12zip_iteratorINS8_5tupleINS8_6detail15normal_iteratorINS8_10device_ptrIxEEEESH_NS8_9null_typeESI_SI_SI_SI_SI_SI_SI_EEEENS9_21zip_adj_not_predicateI22is_equal_div_10_uniqueIxEEEEEPllNS8_4plusIlEEEE10hipError_tPvRmT1_T2_T3_mT4_P12ihipStream_tbEUlT_E1_NS1_11comp_targetILNS1_3genE0ELNS1_11target_archE4294967295ELNS1_3gpuE0ELNS1_3repE0EEENS1_30default_config_static_selectorELNS0_4arch9wavefront6targetE1EEEvSW_
                                        ; -- End function
	.set _ZN7rocprim17ROCPRIM_400000_NS6detail17trampoline_kernelINS0_14default_configENS1_22reduce_config_selectorIlEEZNS1_11reduce_implILb1ES3_N6thrust23THRUST_200600_302600_NS11hip_rocprim26transform_input_iterator_tIlNS8_12zip_iteratorINS8_5tupleINS8_6detail15normal_iteratorINS8_10device_ptrIxEEEESH_NS8_9null_typeESI_SI_SI_SI_SI_SI_SI_EEEENS9_21zip_adj_not_predicateI22is_equal_div_10_uniqueIxEEEEEPllNS8_4plusIlEEEE10hipError_tPvRmT1_T2_T3_mT4_P12ihipStream_tbEUlT_E1_NS1_11comp_targetILNS1_3genE0ELNS1_11target_archE4294967295ELNS1_3gpuE0ELNS1_3repE0EEENS1_30default_config_static_selectorELNS0_4arch9wavefront6targetE1EEEvSW_.num_vgpr, 0
	.set _ZN7rocprim17ROCPRIM_400000_NS6detail17trampoline_kernelINS0_14default_configENS1_22reduce_config_selectorIlEEZNS1_11reduce_implILb1ES3_N6thrust23THRUST_200600_302600_NS11hip_rocprim26transform_input_iterator_tIlNS8_12zip_iteratorINS8_5tupleINS8_6detail15normal_iteratorINS8_10device_ptrIxEEEESH_NS8_9null_typeESI_SI_SI_SI_SI_SI_SI_EEEENS9_21zip_adj_not_predicateI22is_equal_div_10_uniqueIxEEEEEPllNS8_4plusIlEEEE10hipError_tPvRmT1_T2_T3_mT4_P12ihipStream_tbEUlT_E1_NS1_11comp_targetILNS1_3genE0ELNS1_11target_archE4294967295ELNS1_3gpuE0ELNS1_3repE0EEENS1_30default_config_static_selectorELNS0_4arch9wavefront6targetE1EEEvSW_.num_agpr, 0
	.set _ZN7rocprim17ROCPRIM_400000_NS6detail17trampoline_kernelINS0_14default_configENS1_22reduce_config_selectorIlEEZNS1_11reduce_implILb1ES3_N6thrust23THRUST_200600_302600_NS11hip_rocprim26transform_input_iterator_tIlNS8_12zip_iteratorINS8_5tupleINS8_6detail15normal_iteratorINS8_10device_ptrIxEEEESH_NS8_9null_typeESI_SI_SI_SI_SI_SI_SI_EEEENS9_21zip_adj_not_predicateI22is_equal_div_10_uniqueIxEEEEEPllNS8_4plusIlEEEE10hipError_tPvRmT1_T2_T3_mT4_P12ihipStream_tbEUlT_E1_NS1_11comp_targetILNS1_3genE0ELNS1_11target_archE4294967295ELNS1_3gpuE0ELNS1_3repE0EEENS1_30default_config_static_selectorELNS0_4arch9wavefront6targetE1EEEvSW_.numbered_sgpr, 0
	.set _ZN7rocprim17ROCPRIM_400000_NS6detail17trampoline_kernelINS0_14default_configENS1_22reduce_config_selectorIlEEZNS1_11reduce_implILb1ES3_N6thrust23THRUST_200600_302600_NS11hip_rocprim26transform_input_iterator_tIlNS8_12zip_iteratorINS8_5tupleINS8_6detail15normal_iteratorINS8_10device_ptrIxEEEESH_NS8_9null_typeESI_SI_SI_SI_SI_SI_SI_EEEENS9_21zip_adj_not_predicateI22is_equal_div_10_uniqueIxEEEEEPllNS8_4plusIlEEEE10hipError_tPvRmT1_T2_T3_mT4_P12ihipStream_tbEUlT_E1_NS1_11comp_targetILNS1_3genE0ELNS1_11target_archE4294967295ELNS1_3gpuE0ELNS1_3repE0EEENS1_30default_config_static_selectorELNS0_4arch9wavefront6targetE1EEEvSW_.num_named_barrier, 0
	.set _ZN7rocprim17ROCPRIM_400000_NS6detail17trampoline_kernelINS0_14default_configENS1_22reduce_config_selectorIlEEZNS1_11reduce_implILb1ES3_N6thrust23THRUST_200600_302600_NS11hip_rocprim26transform_input_iterator_tIlNS8_12zip_iteratorINS8_5tupleINS8_6detail15normal_iteratorINS8_10device_ptrIxEEEESH_NS8_9null_typeESI_SI_SI_SI_SI_SI_SI_EEEENS9_21zip_adj_not_predicateI22is_equal_div_10_uniqueIxEEEEEPllNS8_4plusIlEEEE10hipError_tPvRmT1_T2_T3_mT4_P12ihipStream_tbEUlT_E1_NS1_11comp_targetILNS1_3genE0ELNS1_11target_archE4294967295ELNS1_3gpuE0ELNS1_3repE0EEENS1_30default_config_static_selectorELNS0_4arch9wavefront6targetE1EEEvSW_.private_seg_size, 0
	.set _ZN7rocprim17ROCPRIM_400000_NS6detail17trampoline_kernelINS0_14default_configENS1_22reduce_config_selectorIlEEZNS1_11reduce_implILb1ES3_N6thrust23THRUST_200600_302600_NS11hip_rocprim26transform_input_iterator_tIlNS8_12zip_iteratorINS8_5tupleINS8_6detail15normal_iteratorINS8_10device_ptrIxEEEESH_NS8_9null_typeESI_SI_SI_SI_SI_SI_SI_EEEENS9_21zip_adj_not_predicateI22is_equal_div_10_uniqueIxEEEEEPllNS8_4plusIlEEEE10hipError_tPvRmT1_T2_T3_mT4_P12ihipStream_tbEUlT_E1_NS1_11comp_targetILNS1_3genE0ELNS1_11target_archE4294967295ELNS1_3gpuE0ELNS1_3repE0EEENS1_30default_config_static_selectorELNS0_4arch9wavefront6targetE1EEEvSW_.uses_vcc, 0
	.set _ZN7rocprim17ROCPRIM_400000_NS6detail17trampoline_kernelINS0_14default_configENS1_22reduce_config_selectorIlEEZNS1_11reduce_implILb1ES3_N6thrust23THRUST_200600_302600_NS11hip_rocprim26transform_input_iterator_tIlNS8_12zip_iteratorINS8_5tupleINS8_6detail15normal_iteratorINS8_10device_ptrIxEEEESH_NS8_9null_typeESI_SI_SI_SI_SI_SI_SI_EEEENS9_21zip_adj_not_predicateI22is_equal_div_10_uniqueIxEEEEEPllNS8_4plusIlEEEE10hipError_tPvRmT1_T2_T3_mT4_P12ihipStream_tbEUlT_E1_NS1_11comp_targetILNS1_3genE0ELNS1_11target_archE4294967295ELNS1_3gpuE0ELNS1_3repE0EEENS1_30default_config_static_selectorELNS0_4arch9wavefront6targetE1EEEvSW_.uses_flat_scratch, 0
	.set _ZN7rocprim17ROCPRIM_400000_NS6detail17trampoline_kernelINS0_14default_configENS1_22reduce_config_selectorIlEEZNS1_11reduce_implILb1ES3_N6thrust23THRUST_200600_302600_NS11hip_rocprim26transform_input_iterator_tIlNS8_12zip_iteratorINS8_5tupleINS8_6detail15normal_iteratorINS8_10device_ptrIxEEEESH_NS8_9null_typeESI_SI_SI_SI_SI_SI_SI_EEEENS9_21zip_adj_not_predicateI22is_equal_div_10_uniqueIxEEEEEPllNS8_4plusIlEEEE10hipError_tPvRmT1_T2_T3_mT4_P12ihipStream_tbEUlT_E1_NS1_11comp_targetILNS1_3genE0ELNS1_11target_archE4294967295ELNS1_3gpuE0ELNS1_3repE0EEENS1_30default_config_static_selectorELNS0_4arch9wavefront6targetE1EEEvSW_.has_dyn_sized_stack, 0
	.set _ZN7rocprim17ROCPRIM_400000_NS6detail17trampoline_kernelINS0_14default_configENS1_22reduce_config_selectorIlEEZNS1_11reduce_implILb1ES3_N6thrust23THRUST_200600_302600_NS11hip_rocprim26transform_input_iterator_tIlNS8_12zip_iteratorINS8_5tupleINS8_6detail15normal_iteratorINS8_10device_ptrIxEEEESH_NS8_9null_typeESI_SI_SI_SI_SI_SI_SI_EEEENS9_21zip_adj_not_predicateI22is_equal_div_10_uniqueIxEEEEEPllNS8_4plusIlEEEE10hipError_tPvRmT1_T2_T3_mT4_P12ihipStream_tbEUlT_E1_NS1_11comp_targetILNS1_3genE0ELNS1_11target_archE4294967295ELNS1_3gpuE0ELNS1_3repE0EEENS1_30default_config_static_selectorELNS0_4arch9wavefront6targetE1EEEvSW_.has_recursion, 0
	.set _ZN7rocprim17ROCPRIM_400000_NS6detail17trampoline_kernelINS0_14default_configENS1_22reduce_config_selectorIlEEZNS1_11reduce_implILb1ES3_N6thrust23THRUST_200600_302600_NS11hip_rocprim26transform_input_iterator_tIlNS8_12zip_iteratorINS8_5tupleINS8_6detail15normal_iteratorINS8_10device_ptrIxEEEESH_NS8_9null_typeESI_SI_SI_SI_SI_SI_SI_EEEENS9_21zip_adj_not_predicateI22is_equal_div_10_uniqueIxEEEEEPllNS8_4plusIlEEEE10hipError_tPvRmT1_T2_T3_mT4_P12ihipStream_tbEUlT_E1_NS1_11comp_targetILNS1_3genE0ELNS1_11target_archE4294967295ELNS1_3gpuE0ELNS1_3repE0EEENS1_30default_config_static_selectorELNS0_4arch9wavefront6targetE1EEEvSW_.has_indirect_call, 0
	.section	.AMDGPU.csdata,"",@progbits
; Kernel info:
; codeLenInByte = 0
; TotalNumSgprs: 4
; NumVgprs: 0
; ScratchSize: 0
; MemoryBound: 0
; FloatMode: 240
; IeeeMode: 1
; LDSByteSize: 0 bytes/workgroup (compile time only)
; SGPRBlocks: 0
; VGPRBlocks: 0
; NumSGPRsForWavesPerEU: 4
; NumVGPRsForWavesPerEU: 1
; Occupancy: 10
; WaveLimiterHint : 0
; COMPUTE_PGM_RSRC2:SCRATCH_EN: 0
; COMPUTE_PGM_RSRC2:USER_SGPR: 6
; COMPUTE_PGM_RSRC2:TRAP_HANDLER: 0
; COMPUTE_PGM_RSRC2:TGID_X_EN: 1
; COMPUTE_PGM_RSRC2:TGID_Y_EN: 0
; COMPUTE_PGM_RSRC2:TGID_Z_EN: 0
; COMPUTE_PGM_RSRC2:TIDIG_COMP_CNT: 0
	.section	.text._ZN7rocprim17ROCPRIM_400000_NS6detail17trampoline_kernelINS0_14default_configENS1_22reduce_config_selectorIlEEZNS1_11reduce_implILb1ES3_N6thrust23THRUST_200600_302600_NS11hip_rocprim26transform_input_iterator_tIlNS8_12zip_iteratorINS8_5tupleINS8_6detail15normal_iteratorINS8_10device_ptrIxEEEESH_NS8_9null_typeESI_SI_SI_SI_SI_SI_SI_EEEENS9_21zip_adj_not_predicateI22is_equal_div_10_uniqueIxEEEEEPllNS8_4plusIlEEEE10hipError_tPvRmT1_T2_T3_mT4_P12ihipStream_tbEUlT_E1_NS1_11comp_targetILNS1_3genE5ELNS1_11target_archE942ELNS1_3gpuE9ELNS1_3repE0EEENS1_30default_config_static_selectorELNS0_4arch9wavefront6targetE1EEEvSW_,"axG",@progbits,_ZN7rocprim17ROCPRIM_400000_NS6detail17trampoline_kernelINS0_14default_configENS1_22reduce_config_selectorIlEEZNS1_11reduce_implILb1ES3_N6thrust23THRUST_200600_302600_NS11hip_rocprim26transform_input_iterator_tIlNS8_12zip_iteratorINS8_5tupleINS8_6detail15normal_iteratorINS8_10device_ptrIxEEEESH_NS8_9null_typeESI_SI_SI_SI_SI_SI_SI_EEEENS9_21zip_adj_not_predicateI22is_equal_div_10_uniqueIxEEEEEPllNS8_4plusIlEEEE10hipError_tPvRmT1_T2_T3_mT4_P12ihipStream_tbEUlT_E1_NS1_11comp_targetILNS1_3genE5ELNS1_11target_archE942ELNS1_3gpuE9ELNS1_3repE0EEENS1_30default_config_static_selectorELNS0_4arch9wavefront6targetE1EEEvSW_,comdat
	.protected	_ZN7rocprim17ROCPRIM_400000_NS6detail17trampoline_kernelINS0_14default_configENS1_22reduce_config_selectorIlEEZNS1_11reduce_implILb1ES3_N6thrust23THRUST_200600_302600_NS11hip_rocprim26transform_input_iterator_tIlNS8_12zip_iteratorINS8_5tupleINS8_6detail15normal_iteratorINS8_10device_ptrIxEEEESH_NS8_9null_typeESI_SI_SI_SI_SI_SI_SI_EEEENS9_21zip_adj_not_predicateI22is_equal_div_10_uniqueIxEEEEEPllNS8_4plusIlEEEE10hipError_tPvRmT1_T2_T3_mT4_P12ihipStream_tbEUlT_E1_NS1_11comp_targetILNS1_3genE5ELNS1_11target_archE942ELNS1_3gpuE9ELNS1_3repE0EEENS1_30default_config_static_selectorELNS0_4arch9wavefront6targetE1EEEvSW_ ; -- Begin function _ZN7rocprim17ROCPRIM_400000_NS6detail17trampoline_kernelINS0_14default_configENS1_22reduce_config_selectorIlEEZNS1_11reduce_implILb1ES3_N6thrust23THRUST_200600_302600_NS11hip_rocprim26transform_input_iterator_tIlNS8_12zip_iteratorINS8_5tupleINS8_6detail15normal_iteratorINS8_10device_ptrIxEEEESH_NS8_9null_typeESI_SI_SI_SI_SI_SI_SI_EEEENS9_21zip_adj_not_predicateI22is_equal_div_10_uniqueIxEEEEEPllNS8_4plusIlEEEE10hipError_tPvRmT1_T2_T3_mT4_P12ihipStream_tbEUlT_E1_NS1_11comp_targetILNS1_3genE5ELNS1_11target_archE942ELNS1_3gpuE9ELNS1_3repE0EEENS1_30default_config_static_selectorELNS0_4arch9wavefront6targetE1EEEvSW_
	.globl	_ZN7rocprim17ROCPRIM_400000_NS6detail17trampoline_kernelINS0_14default_configENS1_22reduce_config_selectorIlEEZNS1_11reduce_implILb1ES3_N6thrust23THRUST_200600_302600_NS11hip_rocprim26transform_input_iterator_tIlNS8_12zip_iteratorINS8_5tupleINS8_6detail15normal_iteratorINS8_10device_ptrIxEEEESH_NS8_9null_typeESI_SI_SI_SI_SI_SI_SI_EEEENS9_21zip_adj_not_predicateI22is_equal_div_10_uniqueIxEEEEEPllNS8_4plusIlEEEE10hipError_tPvRmT1_T2_T3_mT4_P12ihipStream_tbEUlT_E1_NS1_11comp_targetILNS1_3genE5ELNS1_11target_archE942ELNS1_3gpuE9ELNS1_3repE0EEENS1_30default_config_static_selectorELNS0_4arch9wavefront6targetE1EEEvSW_
	.p2align	8
	.type	_ZN7rocprim17ROCPRIM_400000_NS6detail17trampoline_kernelINS0_14default_configENS1_22reduce_config_selectorIlEEZNS1_11reduce_implILb1ES3_N6thrust23THRUST_200600_302600_NS11hip_rocprim26transform_input_iterator_tIlNS8_12zip_iteratorINS8_5tupleINS8_6detail15normal_iteratorINS8_10device_ptrIxEEEESH_NS8_9null_typeESI_SI_SI_SI_SI_SI_SI_EEEENS9_21zip_adj_not_predicateI22is_equal_div_10_uniqueIxEEEEEPllNS8_4plusIlEEEE10hipError_tPvRmT1_T2_T3_mT4_P12ihipStream_tbEUlT_E1_NS1_11comp_targetILNS1_3genE5ELNS1_11target_archE942ELNS1_3gpuE9ELNS1_3repE0EEENS1_30default_config_static_selectorELNS0_4arch9wavefront6targetE1EEEvSW_,@function
_ZN7rocprim17ROCPRIM_400000_NS6detail17trampoline_kernelINS0_14default_configENS1_22reduce_config_selectorIlEEZNS1_11reduce_implILb1ES3_N6thrust23THRUST_200600_302600_NS11hip_rocprim26transform_input_iterator_tIlNS8_12zip_iteratorINS8_5tupleINS8_6detail15normal_iteratorINS8_10device_ptrIxEEEESH_NS8_9null_typeESI_SI_SI_SI_SI_SI_SI_EEEENS9_21zip_adj_not_predicateI22is_equal_div_10_uniqueIxEEEEEPllNS8_4plusIlEEEE10hipError_tPvRmT1_T2_T3_mT4_P12ihipStream_tbEUlT_E1_NS1_11comp_targetILNS1_3genE5ELNS1_11target_archE942ELNS1_3gpuE9ELNS1_3repE0EEENS1_30default_config_static_selectorELNS0_4arch9wavefront6targetE1EEEvSW_: ; @_ZN7rocprim17ROCPRIM_400000_NS6detail17trampoline_kernelINS0_14default_configENS1_22reduce_config_selectorIlEEZNS1_11reduce_implILb1ES3_N6thrust23THRUST_200600_302600_NS11hip_rocprim26transform_input_iterator_tIlNS8_12zip_iteratorINS8_5tupleINS8_6detail15normal_iteratorINS8_10device_ptrIxEEEESH_NS8_9null_typeESI_SI_SI_SI_SI_SI_SI_EEEENS9_21zip_adj_not_predicateI22is_equal_div_10_uniqueIxEEEEEPllNS8_4plusIlEEEE10hipError_tPvRmT1_T2_T3_mT4_P12ihipStream_tbEUlT_E1_NS1_11comp_targetILNS1_3genE5ELNS1_11target_archE942ELNS1_3gpuE9ELNS1_3repE0EEENS1_30default_config_static_selectorELNS0_4arch9wavefront6targetE1EEEvSW_
; %bb.0:
	.section	.rodata,"a",@progbits
	.p2align	6, 0x0
	.amdhsa_kernel _ZN7rocprim17ROCPRIM_400000_NS6detail17trampoline_kernelINS0_14default_configENS1_22reduce_config_selectorIlEEZNS1_11reduce_implILb1ES3_N6thrust23THRUST_200600_302600_NS11hip_rocprim26transform_input_iterator_tIlNS8_12zip_iteratorINS8_5tupleINS8_6detail15normal_iteratorINS8_10device_ptrIxEEEESH_NS8_9null_typeESI_SI_SI_SI_SI_SI_SI_EEEENS9_21zip_adj_not_predicateI22is_equal_div_10_uniqueIxEEEEEPllNS8_4plusIlEEEE10hipError_tPvRmT1_T2_T3_mT4_P12ihipStream_tbEUlT_E1_NS1_11comp_targetILNS1_3genE5ELNS1_11target_archE942ELNS1_3gpuE9ELNS1_3repE0EEENS1_30default_config_static_selectorELNS0_4arch9wavefront6targetE1EEEvSW_
		.amdhsa_group_segment_fixed_size 0
		.amdhsa_private_segment_fixed_size 0
		.amdhsa_kernarg_size 64
		.amdhsa_user_sgpr_count 6
		.amdhsa_user_sgpr_private_segment_buffer 1
		.amdhsa_user_sgpr_dispatch_ptr 0
		.amdhsa_user_sgpr_queue_ptr 0
		.amdhsa_user_sgpr_kernarg_segment_ptr 1
		.amdhsa_user_sgpr_dispatch_id 0
		.amdhsa_user_sgpr_flat_scratch_init 0
		.amdhsa_user_sgpr_private_segment_size 0
		.amdhsa_uses_dynamic_stack 0
		.amdhsa_system_sgpr_private_segment_wavefront_offset 0
		.amdhsa_system_sgpr_workgroup_id_x 1
		.amdhsa_system_sgpr_workgroup_id_y 0
		.amdhsa_system_sgpr_workgroup_id_z 0
		.amdhsa_system_sgpr_workgroup_info 0
		.amdhsa_system_vgpr_workitem_id 0
		.amdhsa_next_free_vgpr 1
		.amdhsa_next_free_sgpr 0
		.amdhsa_reserve_vcc 0
		.amdhsa_reserve_flat_scratch 0
		.amdhsa_float_round_mode_32 0
		.amdhsa_float_round_mode_16_64 0
		.amdhsa_float_denorm_mode_32 3
		.amdhsa_float_denorm_mode_16_64 3
		.amdhsa_dx10_clamp 1
		.amdhsa_ieee_mode 1
		.amdhsa_fp16_overflow 0
		.amdhsa_exception_fp_ieee_invalid_op 0
		.amdhsa_exception_fp_denorm_src 0
		.amdhsa_exception_fp_ieee_div_zero 0
		.amdhsa_exception_fp_ieee_overflow 0
		.amdhsa_exception_fp_ieee_underflow 0
		.amdhsa_exception_fp_ieee_inexact 0
		.amdhsa_exception_int_div_zero 0
	.end_amdhsa_kernel
	.section	.text._ZN7rocprim17ROCPRIM_400000_NS6detail17trampoline_kernelINS0_14default_configENS1_22reduce_config_selectorIlEEZNS1_11reduce_implILb1ES3_N6thrust23THRUST_200600_302600_NS11hip_rocprim26transform_input_iterator_tIlNS8_12zip_iteratorINS8_5tupleINS8_6detail15normal_iteratorINS8_10device_ptrIxEEEESH_NS8_9null_typeESI_SI_SI_SI_SI_SI_SI_EEEENS9_21zip_adj_not_predicateI22is_equal_div_10_uniqueIxEEEEEPllNS8_4plusIlEEEE10hipError_tPvRmT1_T2_T3_mT4_P12ihipStream_tbEUlT_E1_NS1_11comp_targetILNS1_3genE5ELNS1_11target_archE942ELNS1_3gpuE9ELNS1_3repE0EEENS1_30default_config_static_selectorELNS0_4arch9wavefront6targetE1EEEvSW_,"axG",@progbits,_ZN7rocprim17ROCPRIM_400000_NS6detail17trampoline_kernelINS0_14default_configENS1_22reduce_config_selectorIlEEZNS1_11reduce_implILb1ES3_N6thrust23THRUST_200600_302600_NS11hip_rocprim26transform_input_iterator_tIlNS8_12zip_iteratorINS8_5tupleINS8_6detail15normal_iteratorINS8_10device_ptrIxEEEESH_NS8_9null_typeESI_SI_SI_SI_SI_SI_SI_EEEENS9_21zip_adj_not_predicateI22is_equal_div_10_uniqueIxEEEEEPllNS8_4plusIlEEEE10hipError_tPvRmT1_T2_T3_mT4_P12ihipStream_tbEUlT_E1_NS1_11comp_targetILNS1_3genE5ELNS1_11target_archE942ELNS1_3gpuE9ELNS1_3repE0EEENS1_30default_config_static_selectorELNS0_4arch9wavefront6targetE1EEEvSW_,comdat
.Lfunc_end951:
	.size	_ZN7rocprim17ROCPRIM_400000_NS6detail17trampoline_kernelINS0_14default_configENS1_22reduce_config_selectorIlEEZNS1_11reduce_implILb1ES3_N6thrust23THRUST_200600_302600_NS11hip_rocprim26transform_input_iterator_tIlNS8_12zip_iteratorINS8_5tupleINS8_6detail15normal_iteratorINS8_10device_ptrIxEEEESH_NS8_9null_typeESI_SI_SI_SI_SI_SI_SI_EEEENS9_21zip_adj_not_predicateI22is_equal_div_10_uniqueIxEEEEEPllNS8_4plusIlEEEE10hipError_tPvRmT1_T2_T3_mT4_P12ihipStream_tbEUlT_E1_NS1_11comp_targetILNS1_3genE5ELNS1_11target_archE942ELNS1_3gpuE9ELNS1_3repE0EEENS1_30default_config_static_selectorELNS0_4arch9wavefront6targetE1EEEvSW_, .Lfunc_end951-_ZN7rocprim17ROCPRIM_400000_NS6detail17trampoline_kernelINS0_14default_configENS1_22reduce_config_selectorIlEEZNS1_11reduce_implILb1ES3_N6thrust23THRUST_200600_302600_NS11hip_rocprim26transform_input_iterator_tIlNS8_12zip_iteratorINS8_5tupleINS8_6detail15normal_iteratorINS8_10device_ptrIxEEEESH_NS8_9null_typeESI_SI_SI_SI_SI_SI_SI_EEEENS9_21zip_adj_not_predicateI22is_equal_div_10_uniqueIxEEEEEPllNS8_4plusIlEEEE10hipError_tPvRmT1_T2_T3_mT4_P12ihipStream_tbEUlT_E1_NS1_11comp_targetILNS1_3genE5ELNS1_11target_archE942ELNS1_3gpuE9ELNS1_3repE0EEENS1_30default_config_static_selectorELNS0_4arch9wavefront6targetE1EEEvSW_
                                        ; -- End function
	.set _ZN7rocprim17ROCPRIM_400000_NS6detail17trampoline_kernelINS0_14default_configENS1_22reduce_config_selectorIlEEZNS1_11reduce_implILb1ES3_N6thrust23THRUST_200600_302600_NS11hip_rocprim26transform_input_iterator_tIlNS8_12zip_iteratorINS8_5tupleINS8_6detail15normal_iteratorINS8_10device_ptrIxEEEESH_NS8_9null_typeESI_SI_SI_SI_SI_SI_SI_EEEENS9_21zip_adj_not_predicateI22is_equal_div_10_uniqueIxEEEEEPllNS8_4plusIlEEEE10hipError_tPvRmT1_T2_T3_mT4_P12ihipStream_tbEUlT_E1_NS1_11comp_targetILNS1_3genE5ELNS1_11target_archE942ELNS1_3gpuE9ELNS1_3repE0EEENS1_30default_config_static_selectorELNS0_4arch9wavefront6targetE1EEEvSW_.num_vgpr, 0
	.set _ZN7rocprim17ROCPRIM_400000_NS6detail17trampoline_kernelINS0_14default_configENS1_22reduce_config_selectorIlEEZNS1_11reduce_implILb1ES3_N6thrust23THRUST_200600_302600_NS11hip_rocprim26transform_input_iterator_tIlNS8_12zip_iteratorINS8_5tupleINS8_6detail15normal_iteratorINS8_10device_ptrIxEEEESH_NS8_9null_typeESI_SI_SI_SI_SI_SI_SI_EEEENS9_21zip_adj_not_predicateI22is_equal_div_10_uniqueIxEEEEEPllNS8_4plusIlEEEE10hipError_tPvRmT1_T2_T3_mT4_P12ihipStream_tbEUlT_E1_NS1_11comp_targetILNS1_3genE5ELNS1_11target_archE942ELNS1_3gpuE9ELNS1_3repE0EEENS1_30default_config_static_selectorELNS0_4arch9wavefront6targetE1EEEvSW_.num_agpr, 0
	.set _ZN7rocprim17ROCPRIM_400000_NS6detail17trampoline_kernelINS0_14default_configENS1_22reduce_config_selectorIlEEZNS1_11reduce_implILb1ES3_N6thrust23THRUST_200600_302600_NS11hip_rocprim26transform_input_iterator_tIlNS8_12zip_iteratorINS8_5tupleINS8_6detail15normal_iteratorINS8_10device_ptrIxEEEESH_NS8_9null_typeESI_SI_SI_SI_SI_SI_SI_EEEENS9_21zip_adj_not_predicateI22is_equal_div_10_uniqueIxEEEEEPllNS8_4plusIlEEEE10hipError_tPvRmT1_T2_T3_mT4_P12ihipStream_tbEUlT_E1_NS1_11comp_targetILNS1_3genE5ELNS1_11target_archE942ELNS1_3gpuE9ELNS1_3repE0EEENS1_30default_config_static_selectorELNS0_4arch9wavefront6targetE1EEEvSW_.numbered_sgpr, 0
	.set _ZN7rocprim17ROCPRIM_400000_NS6detail17trampoline_kernelINS0_14default_configENS1_22reduce_config_selectorIlEEZNS1_11reduce_implILb1ES3_N6thrust23THRUST_200600_302600_NS11hip_rocprim26transform_input_iterator_tIlNS8_12zip_iteratorINS8_5tupleINS8_6detail15normal_iteratorINS8_10device_ptrIxEEEESH_NS8_9null_typeESI_SI_SI_SI_SI_SI_SI_EEEENS9_21zip_adj_not_predicateI22is_equal_div_10_uniqueIxEEEEEPllNS8_4plusIlEEEE10hipError_tPvRmT1_T2_T3_mT4_P12ihipStream_tbEUlT_E1_NS1_11comp_targetILNS1_3genE5ELNS1_11target_archE942ELNS1_3gpuE9ELNS1_3repE0EEENS1_30default_config_static_selectorELNS0_4arch9wavefront6targetE1EEEvSW_.num_named_barrier, 0
	.set _ZN7rocprim17ROCPRIM_400000_NS6detail17trampoline_kernelINS0_14default_configENS1_22reduce_config_selectorIlEEZNS1_11reduce_implILb1ES3_N6thrust23THRUST_200600_302600_NS11hip_rocprim26transform_input_iterator_tIlNS8_12zip_iteratorINS8_5tupleINS8_6detail15normal_iteratorINS8_10device_ptrIxEEEESH_NS8_9null_typeESI_SI_SI_SI_SI_SI_SI_EEEENS9_21zip_adj_not_predicateI22is_equal_div_10_uniqueIxEEEEEPllNS8_4plusIlEEEE10hipError_tPvRmT1_T2_T3_mT4_P12ihipStream_tbEUlT_E1_NS1_11comp_targetILNS1_3genE5ELNS1_11target_archE942ELNS1_3gpuE9ELNS1_3repE0EEENS1_30default_config_static_selectorELNS0_4arch9wavefront6targetE1EEEvSW_.private_seg_size, 0
	.set _ZN7rocprim17ROCPRIM_400000_NS6detail17trampoline_kernelINS0_14default_configENS1_22reduce_config_selectorIlEEZNS1_11reduce_implILb1ES3_N6thrust23THRUST_200600_302600_NS11hip_rocprim26transform_input_iterator_tIlNS8_12zip_iteratorINS8_5tupleINS8_6detail15normal_iteratorINS8_10device_ptrIxEEEESH_NS8_9null_typeESI_SI_SI_SI_SI_SI_SI_EEEENS9_21zip_adj_not_predicateI22is_equal_div_10_uniqueIxEEEEEPllNS8_4plusIlEEEE10hipError_tPvRmT1_T2_T3_mT4_P12ihipStream_tbEUlT_E1_NS1_11comp_targetILNS1_3genE5ELNS1_11target_archE942ELNS1_3gpuE9ELNS1_3repE0EEENS1_30default_config_static_selectorELNS0_4arch9wavefront6targetE1EEEvSW_.uses_vcc, 0
	.set _ZN7rocprim17ROCPRIM_400000_NS6detail17trampoline_kernelINS0_14default_configENS1_22reduce_config_selectorIlEEZNS1_11reduce_implILb1ES3_N6thrust23THRUST_200600_302600_NS11hip_rocprim26transform_input_iterator_tIlNS8_12zip_iteratorINS8_5tupleINS8_6detail15normal_iteratorINS8_10device_ptrIxEEEESH_NS8_9null_typeESI_SI_SI_SI_SI_SI_SI_EEEENS9_21zip_adj_not_predicateI22is_equal_div_10_uniqueIxEEEEEPllNS8_4plusIlEEEE10hipError_tPvRmT1_T2_T3_mT4_P12ihipStream_tbEUlT_E1_NS1_11comp_targetILNS1_3genE5ELNS1_11target_archE942ELNS1_3gpuE9ELNS1_3repE0EEENS1_30default_config_static_selectorELNS0_4arch9wavefront6targetE1EEEvSW_.uses_flat_scratch, 0
	.set _ZN7rocprim17ROCPRIM_400000_NS6detail17trampoline_kernelINS0_14default_configENS1_22reduce_config_selectorIlEEZNS1_11reduce_implILb1ES3_N6thrust23THRUST_200600_302600_NS11hip_rocprim26transform_input_iterator_tIlNS8_12zip_iteratorINS8_5tupleINS8_6detail15normal_iteratorINS8_10device_ptrIxEEEESH_NS8_9null_typeESI_SI_SI_SI_SI_SI_SI_EEEENS9_21zip_adj_not_predicateI22is_equal_div_10_uniqueIxEEEEEPllNS8_4plusIlEEEE10hipError_tPvRmT1_T2_T3_mT4_P12ihipStream_tbEUlT_E1_NS1_11comp_targetILNS1_3genE5ELNS1_11target_archE942ELNS1_3gpuE9ELNS1_3repE0EEENS1_30default_config_static_selectorELNS0_4arch9wavefront6targetE1EEEvSW_.has_dyn_sized_stack, 0
	.set _ZN7rocprim17ROCPRIM_400000_NS6detail17trampoline_kernelINS0_14default_configENS1_22reduce_config_selectorIlEEZNS1_11reduce_implILb1ES3_N6thrust23THRUST_200600_302600_NS11hip_rocprim26transform_input_iterator_tIlNS8_12zip_iteratorINS8_5tupleINS8_6detail15normal_iteratorINS8_10device_ptrIxEEEESH_NS8_9null_typeESI_SI_SI_SI_SI_SI_SI_EEEENS9_21zip_adj_not_predicateI22is_equal_div_10_uniqueIxEEEEEPllNS8_4plusIlEEEE10hipError_tPvRmT1_T2_T3_mT4_P12ihipStream_tbEUlT_E1_NS1_11comp_targetILNS1_3genE5ELNS1_11target_archE942ELNS1_3gpuE9ELNS1_3repE0EEENS1_30default_config_static_selectorELNS0_4arch9wavefront6targetE1EEEvSW_.has_recursion, 0
	.set _ZN7rocprim17ROCPRIM_400000_NS6detail17trampoline_kernelINS0_14default_configENS1_22reduce_config_selectorIlEEZNS1_11reduce_implILb1ES3_N6thrust23THRUST_200600_302600_NS11hip_rocprim26transform_input_iterator_tIlNS8_12zip_iteratorINS8_5tupleINS8_6detail15normal_iteratorINS8_10device_ptrIxEEEESH_NS8_9null_typeESI_SI_SI_SI_SI_SI_SI_EEEENS9_21zip_adj_not_predicateI22is_equal_div_10_uniqueIxEEEEEPllNS8_4plusIlEEEE10hipError_tPvRmT1_T2_T3_mT4_P12ihipStream_tbEUlT_E1_NS1_11comp_targetILNS1_3genE5ELNS1_11target_archE942ELNS1_3gpuE9ELNS1_3repE0EEENS1_30default_config_static_selectorELNS0_4arch9wavefront6targetE1EEEvSW_.has_indirect_call, 0
	.section	.AMDGPU.csdata,"",@progbits
; Kernel info:
; codeLenInByte = 0
; TotalNumSgprs: 4
; NumVgprs: 0
; ScratchSize: 0
; MemoryBound: 0
; FloatMode: 240
; IeeeMode: 1
; LDSByteSize: 0 bytes/workgroup (compile time only)
; SGPRBlocks: 0
; VGPRBlocks: 0
; NumSGPRsForWavesPerEU: 4
; NumVGPRsForWavesPerEU: 1
; Occupancy: 10
; WaveLimiterHint : 0
; COMPUTE_PGM_RSRC2:SCRATCH_EN: 0
; COMPUTE_PGM_RSRC2:USER_SGPR: 6
; COMPUTE_PGM_RSRC2:TRAP_HANDLER: 0
; COMPUTE_PGM_RSRC2:TGID_X_EN: 1
; COMPUTE_PGM_RSRC2:TGID_Y_EN: 0
; COMPUTE_PGM_RSRC2:TGID_Z_EN: 0
; COMPUTE_PGM_RSRC2:TIDIG_COMP_CNT: 0
	.section	.text._ZN7rocprim17ROCPRIM_400000_NS6detail17trampoline_kernelINS0_14default_configENS1_22reduce_config_selectorIlEEZNS1_11reduce_implILb1ES3_N6thrust23THRUST_200600_302600_NS11hip_rocprim26transform_input_iterator_tIlNS8_12zip_iteratorINS8_5tupleINS8_6detail15normal_iteratorINS8_10device_ptrIxEEEESH_NS8_9null_typeESI_SI_SI_SI_SI_SI_SI_EEEENS9_21zip_adj_not_predicateI22is_equal_div_10_uniqueIxEEEEEPllNS8_4plusIlEEEE10hipError_tPvRmT1_T2_T3_mT4_P12ihipStream_tbEUlT_E1_NS1_11comp_targetILNS1_3genE4ELNS1_11target_archE910ELNS1_3gpuE8ELNS1_3repE0EEENS1_30default_config_static_selectorELNS0_4arch9wavefront6targetE1EEEvSW_,"axG",@progbits,_ZN7rocprim17ROCPRIM_400000_NS6detail17trampoline_kernelINS0_14default_configENS1_22reduce_config_selectorIlEEZNS1_11reduce_implILb1ES3_N6thrust23THRUST_200600_302600_NS11hip_rocprim26transform_input_iterator_tIlNS8_12zip_iteratorINS8_5tupleINS8_6detail15normal_iteratorINS8_10device_ptrIxEEEESH_NS8_9null_typeESI_SI_SI_SI_SI_SI_SI_EEEENS9_21zip_adj_not_predicateI22is_equal_div_10_uniqueIxEEEEEPllNS8_4plusIlEEEE10hipError_tPvRmT1_T2_T3_mT4_P12ihipStream_tbEUlT_E1_NS1_11comp_targetILNS1_3genE4ELNS1_11target_archE910ELNS1_3gpuE8ELNS1_3repE0EEENS1_30default_config_static_selectorELNS0_4arch9wavefront6targetE1EEEvSW_,comdat
	.protected	_ZN7rocprim17ROCPRIM_400000_NS6detail17trampoline_kernelINS0_14default_configENS1_22reduce_config_selectorIlEEZNS1_11reduce_implILb1ES3_N6thrust23THRUST_200600_302600_NS11hip_rocprim26transform_input_iterator_tIlNS8_12zip_iteratorINS8_5tupleINS8_6detail15normal_iteratorINS8_10device_ptrIxEEEESH_NS8_9null_typeESI_SI_SI_SI_SI_SI_SI_EEEENS9_21zip_adj_not_predicateI22is_equal_div_10_uniqueIxEEEEEPllNS8_4plusIlEEEE10hipError_tPvRmT1_T2_T3_mT4_P12ihipStream_tbEUlT_E1_NS1_11comp_targetILNS1_3genE4ELNS1_11target_archE910ELNS1_3gpuE8ELNS1_3repE0EEENS1_30default_config_static_selectorELNS0_4arch9wavefront6targetE1EEEvSW_ ; -- Begin function _ZN7rocprim17ROCPRIM_400000_NS6detail17trampoline_kernelINS0_14default_configENS1_22reduce_config_selectorIlEEZNS1_11reduce_implILb1ES3_N6thrust23THRUST_200600_302600_NS11hip_rocprim26transform_input_iterator_tIlNS8_12zip_iteratorINS8_5tupleINS8_6detail15normal_iteratorINS8_10device_ptrIxEEEESH_NS8_9null_typeESI_SI_SI_SI_SI_SI_SI_EEEENS9_21zip_adj_not_predicateI22is_equal_div_10_uniqueIxEEEEEPllNS8_4plusIlEEEE10hipError_tPvRmT1_T2_T3_mT4_P12ihipStream_tbEUlT_E1_NS1_11comp_targetILNS1_3genE4ELNS1_11target_archE910ELNS1_3gpuE8ELNS1_3repE0EEENS1_30default_config_static_selectorELNS0_4arch9wavefront6targetE1EEEvSW_
	.globl	_ZN7rocprim17ROCPRIM_400000_NS6detail17trampoline_kernelINS0_14default_configENS1_22reduce_config_selectorIlEEZNS1_11reduce_implILb1ES3_N6thrust23THRUST_200600_302600_NS11hip_rocprim26transform_input_iterator_tIlNS8_12zip_iteratorINS8_5tupleINS8_6detail15normal_iteratorINS8_10device_ptrIxEEEESH_NS8_9null_typeESI_SI_SI_SI_SI_SI_SI_EEEENS9_21zip_adj_not_predicateI22is_equal_div_10_uniqueIxEEEEEPllNS8_4plusIlEEEE10hipError_tPvRmT1_T2_T3_mT4_P12ihipStream_tbEUlT_E1_NS1_11comp_targetILNS1_3genE4ELNS1_11target_archE910ELNS1_3gpuE8ELNS1_3repE0EEENS1_30default_config_static_selectorELNS0_4arch9wavefront6targetE1EEEvSW_
	.p2align	8
	.type	_ZN7rocprim17ROCPRIM_400000_NS6detail17trampoline_kernelINS0_14default_configENS1_22reduce_config_selectorIlEEZNS1_11reduce_implILb1ES3_N6thrust23THRUST_200600_302600_NS11hip_rocprim26transform_input_iterator_tIlNS8_12zip_iteratorINS8_5tupleINS8_6detail15normal_iteratorINS8_10device_ptrIxEEEESH_NS8_9null_typeESI_SI_SI_SI_SI_SI_SI_EEEENS9_21zip_adj_not_predicateI22is_equal_div_10_uniqueIxEEEEEPllNS8_4plusIlEEEE10hipError_tPvRmT1_T2_T3_mT4_P12ihipStream_tbEUlT_E1_NS1_11comp_targetILNS1_3genE4ELNS1_11target_archE910ELNS1_3gpuE8ELNS1_3repE0EEENS1_30default_config_static_selectorELNS0_4arch9wavefront6targetE1EEEvSW_,@function
_ZN7rocprim17ROCPRIM_400000_NS6detail17trampoline_kernelINS0_14default_configENS1_22reduce_config_selectorIlEEZNS1_11reduce_implILb1ES3_N6thrust23THRUST_200600_302600_NS11hip_rocprim26transform_input_iterator_tIlNS8_12zip_iteratorINS8_5tupleINS8_6detail15normal_iteratorINS8_10device_ptrIxEEEESH_NS8_9null_typeESI_SI_SI_SI_SI_SI_SI_EEEENS9_21zip_adj_not_predicateI22is_equal_div_10_uniqueIxEEEEEPllNS8_4plusIlEEEE10hipError_tPvRmT1_T2_T3_mT4_P12ihipStream_tbEUlT_E1_NS1_11comp_targetILNS1_3genE4ELNS1_11target_archE910ELNS1_3gpuE8ELNS1_3repE0EEENS1_30default_config_static_selectorELNS0_4arch9wavefront6targetE1EEEvSW_: ; @_ZN7rocprim17ROCPRIM_400000_NS6detail17trampoline_kernelINS0_14default_configENS1_22reduce_config_selectorIlEEZNS1_11reduce_implILb1ES3_N6thrust23THRUST_200600_302600_NS11hip_rocprim26transform_input_iterator_tIlNS8_12zip_iteratorINS8_5tupleINS8_6detail15normal_iteratorINS8_10device_ptrIxEEEESH_NS8_9null_typeESI_SI_SI_SI_SI_SI_SI_EEEENS9_21zip_adj_not_predicateI22is_equal_div_10_uniqueIxEEEEEPllNS8_4plusIlEEEE10hipError_tPvRmT1_T2_T3_mT4_P12ihipStream_tbEUlT_E1_NS1_11comp_targetILNS1_3genE4ELNS1_11target_archE910ELNS1_3gpuE8ELNS1_3repE0EEENS1_30default_config_static_selectorELNS0_4arch9wavefront6targetE1EEEvSW_
; %bb.0:
	.section	.rodata,"a",@progbits
	.p2align	6, 0x0
	.amdhsa_kernel _ZN7rocprim17ROCPRIM_400000_NS6detail17trampoline_kernelINS0_14default_configENS1_22reduce_config_selectorIlEEZNS1_11reduce_implILb1ES3_N6thrust23THRUST_200600_302600_NS11hip_rocprim26transform_input_iterator_tIlNS8_12zip_iteratorINS8_5tupleINS8_6detail15normal_iteratorINS8_10device_ptrIxEEEESH_NS8_9null_typeESI_SI_SI_SI_SI_SI_SI_EEEENS9_21zip_adj_not_predicateI22is_equal_div_10_uniqueIxEEEEEPllNS8_4plusIlEEEE10hipError_tPvRmT1_T2_T3_mT4_P12ihipStream_tbEUlT_E1_NS1_11comp_targetILNS1_3genE4ELNS1_11target_archE910ELNS1_3gpuE8ELNS1_3repE0EEENS1_30default_config_static_selectorELNS0_4arch9wavefront6targetE1EEEvSW_
		.amdhsa_group_segment_fixed_size 0
		.amdhsa_private_segment_fixed_size 0
		.amdhsa_kernarg_size 64
		.amdhsa_user_sgpr_count 6
		.amdhsa_user_sgpr_private_segment_buffer 1
		.amdhsa_user_sgpr_dispatch_ptr 0
		.amdhsa_user_sgpr_queue_ptr 0
		.amdhsa_user_sgpr_kernarg_segment_ptr 1
		.amdhsa_user_sgpr_dispatch_id 0
		.amdhsa_user_sgpr_flat_scratch_init 0
		.amdhsa_user_sgpr_private_segment_size 0
		.amdhsa_uses_dynamic_stack 0
		.amdhsa_system_sgpr_private_segment_wavefront_offset 0
		.amdhsa_system_sgpr_workgroup_id_x 1
		.amdhsa_system_sgpr_workgroup_id_y 0
		.amdhsa_system_sgpr_workgroup_id_z 0
		.amdhsa_system_sgpr_workgroup_info 0
		.amdhsa_system_vgpr_workitem_id 0
		.amdhsa_next_free_vgpr 1
		.amdhsa_next_free_sgpr 0
		.amdhsa_reserve_vcc 0
		.amdhsa_reserve_flat_scratch 0
		.amdhsa_float_round_mode_32 0
		.amdhsa_float_round_mode_16_64 0
		.amdhsa_float_denorm_mode_32 3
		.amdhsa_float_denorm_mode_16_64 3
		.amdhsa_dx10_clamp 1
		.amdhsa_ieee_mode 1
		.amdhsa_fp16_overflow 0
		.amdhsa_exception_fp_ieee_invalid_op 0
		.amdhsa_exception_fp_denorm_src 0
		.amdhsa_exception_fp_ieee_div_zero 0
		.amdhsa_exception_fp_ieee_overflow 0
		.amdhsa_exception_fp_ieee_underflow 0
		.amdhsa_exception_fp_ieee_inexact 0
		.amdhsa_exception_int_div_zero 0
	.end_amdhsa_kernel
	.section	.text._ZN7rocprim17ROCPRIM_400000_NS6detail17trampoline_kernelINS0_14default_configENS1_22reduce_config_selectorIlEEZNS1_11reduce_implILb1ES3_N6thrust23THRUST_200600_302600_NS11hip_rocprim26transform_input_iterator_tIlNS8_12zip_iteratorINS8_5tupleINS8_6detail15normal_iteratorINS8_10device_ptrIxEEEESH_NS8_9null_typeESI_SI_SI_SI_SI_SI_SI_EEEENS9_21zip_adj_not_predicateI22is_equal_div_10_uniqueIxEEEEEPllNS8_4plusIlEEEE10hipError_tPvRmT1_T2_T3_mT4_P12ihipStream_tbEUlT_E1_NS1_11comp_targetILNS1_3genE4ELNS1_11target_archE910ELNS1_3gpuE8ELNS1_3repE0EEENS1_30default_config_static_selectorELNS0_4arch9wavefront6targetE1EEEvSW_,"axG",@progbits,_ZN7rocprim17ROCPRIM_400000_NS6detail17trampoline_kernelINS0_14default_configENS1_22reduce_config_selectorIlEEZNS1_11reduce_implILb1ES3_N6thrust23THRUST_200600_302600_NS11hip_rocprim26transform_input_iterator_tIlNS8_12zip_iteratorINS8_5tupleINS8_6detail15normal_iteratorINS8_10device_ptrIxEEEESH_NS8_9null_typeESI_SI_SI_SI_SI_SI_SI_EEEENS9_21zip_adj_not_predicateI22is_equal_div_10_uniqueIxEEEEEPllNS8_4plusIlEEEE10hipError_tPvRmT1_T2_T3_mT4_P12ihipStream_tbEUlT_E1_NS1_11comp_targetILNS1_3genE4ELNS1_11target_archE910ELNS1_3gpuE8ELNS1_3repE0EEENS1_30default_config_static_selectorELNS0_4arch9wavefront6targetE1EEEvSW_,comdat
.Lfunc_end952:
	.size	_ZN7rocprim17ROCPRIM_400000_NS6detail17trampoline_kernelINS0_14default_configENS1_22reduce_config_selectorIlEEZNS1_11reduce_implILb1ES3_N6thrust23THRUST_200600_302600_NS11hip_rocprim26transform_input_iterator_tIlNS8_12zip_iteratorINS8_5tupleINS8_6detail15normal_iteratorINS8_10device_ptrIxEEEESH_NS8_9null_typeESI_SI_SI_SI_SI_SI_SI_EEEENS9_21zip_adj_not_predicateI22is_equal_div_10_uniqueIxEEEEEPllNS8_4plusIlEEEE10hipError_tPvRmT1_T2_T3_mT4_P12ihipStream_tbEUlT_E1_NS1_11comp_targetILNS1_3genE4ELNS1_11target_archE910ELNS1_3gpuE8ELNS1_3repE0EEENS1_30default_config_static_selectorELNS0_4arch9wavefront6targetE1EEEvSW_, .Lfunc_end952-_ZN7rocprim17ROCPRIM_400000_NS6detail17trampoline_kernelINS0_14default_configENS1_22reduce_config_selectorIlEEZNS1_11reduce_implILb1ES3_N6thrust23THRUST_200600_302600_NS11hip_rocprim26transform_input_iterator_tIlNS8_12zip_iteratorINS8_5tupleINS8_6detail15normal_iteratorINS8_10device_ptrIxEEEESH_NS8_9null_typeESI_SI_SI_SI_SI_SI_SI_EEEENS9_21zip_adj_not_predicateI22is_equal_div_10_uniqueIxEEEEEPllNS8_4plusIlEEEE10hipError_tPvRmT1_T2_T3_mT4_P12ihipStream_tbEUlT_E1_NS1_11comp_targetILNS1_3genE4ELNS1_11target_archE910ELNS1_3gpuE8ELNS1_3repE0EEENS1_30default_config_static_selectorELNS0_4arch9wavefront6targetE1EEEvSW_
                                        ; -- End function
	.set _ZN7rocprim17ROCPRIM_400000_NS6detail17trampoline_kernelINS0_14default_configENS1_22reduce_config_selectorIlEEZNS1_11reduce_implILb1ES3_N6thrust23THRUST_200600_302600_NS11hip_rocprim26transform_input_iterator_tIlNS8_12zip_iteratorINS8_5tupleINS8_6detail15normal_iteratorINS8_10device_ptrIxEEEESH_NS8_9null_typeESI_SI_SI_SI_SI_SI_SI_EEEENS9_21zip_adj_not_predicateI22is_equal_div_10_uniqueIxEEEEEPllNS8_4plusIlEEEE10hipError_tPvRmT1_T2_T3_mT4_P12ihipStream_tbEUlT_E1_NS1_11comp_targetILNS1_3genE4ELNS1_11target_archE910ELNS1_3gpuE8ELNS1_3repE0EEENS1_30default_config_static_selectorELNS0_4arch9wavefront6targetE1EEEvSW_.num_vgpr, 0
	.set _ZN7rocprim17ROCPRIM_400000_NS6detail17trampoline_kernelINS0_14default_configENS1_22reduce_config_selectorIlEEZNS1_11reduce_implILb1ES3_N6thrust23THRUST_200600_302600_NS11hip_rocprim26transform_input_iterator_tIlNS8_12zip_iteratorINS8_5tupleINS8_6detail15normal_iteratorINS8_10device_ptrIxEEEESH_NS8_9null_typeESI_SI_SI_SI_SI_SI_SI_EEEENS9_21zip_adj_not_predicateI22is_equal_div_10_uniqueIxEEEEEPllNS8_4plusIlEEEE10hipError_tPvRmT1_T2_T3_mT4_P12ihipStream_tbEUlT_E1_NS1_11comp_targetILNS1_3genE4ELNS1_11target_archE910ELNS1_3gpuE8ELNS1_3repE0EEENS1_30default_config_static_selectorELNS0_4arch9wavefront6targetE1EEEvSW_.num_agpr, 0
	.set _ZN7rocprim17ROCPRIM_400000_NS6detail17trampoline_kernelINS0_14default_configENS1_22reduce_config_selectorIlEEZNS1_11reduce_implILb1ES3_N6thrust23THRUST_200600_302600_NS11hip_rocprim26transform_input_iterator_tIlNS8_12zip_iteratorINS8_5tupleINS8_6detail15normal_iteratorINS8_10device_ptrIxEEEESH_NS8_9null_typeESI_SI_SI_SI_SI_SI_SI_EEEENS9_21zip_adj_not_predicateI22is_equal_div_10_uniqueIxEEEEEPllNS8_4plusIlEEEE10hipError_tPvRmT1_T2_T3_mT4_P12ihipStream_tbEUlT_E1_NS1_11comp_targetILNS1_3genE4ELNS1_11target_archE910ELNS1_3gpuE8ELNS1_3repE0EEENS1_30default_config_static_selectorELNS0_4arch9wavefront6targetE1EEEvSW_.numbered_sgpr, 0
	.set _ZN7rocprim17ROCPRIM_400000_NS6detail17trampoline_kernelINS0_14default_configENS1_22reduce_config_selectorIlEEZNS1_11reduce_implILb1ES3_N6thrust23THRUST_200600_302600_NS11hip_rocprim26transform_input_iterator_tIlNS8_12zip_iteratorINS8_5tupleINS8_6detail15normal_iteratorINS8_10device_ptrIxEEEESH_NS8_9null_typeESI_SI_SI_SI_SI_SI_SI_EEEENS9_21zip_adj_not_predicateI22is_equal_div_10_uniqueIxEEEEEPllNS8_4plusIlEEEE10hipError_tPvRmT1_T2_T3_mT4_P12ihipStream_tbEUlT_E1_NS1_11comp_targetILNS1_3genE4ELNS1_11target_archE910ELNS1_3gpuE8ELNS1_3repE0EEENS1_30default_config_static_selectorELNS0_4arch9wavefront6targetE1EEEvSW_.num_named_barrier, 0
	.set _ZN7rocprim17ROCPRIM_400000_NS6detail17trampoline_kernelINS0_14default_configENS1_22reduce_config_selectorIlEEZNS1_11reduce_implILb1ES3_N6thrust23THRUST_200600_302600_NS11hip_rocprim26transform_input_iterator_tIlNS8_12zip_iteratorINS8_5tupleINS8_6detail15normal_iteratorINS8_10device_ptrIxEEEESH_NS8_9null_typeESI_SI_SI_SI_SI_SI_SI_EEEENS9_21zip_adj_not_predicateI22is_equal_div_10_uniqueIxEEEEEPllNS8_4plusIlEEEE10hipError_tPvRmT1_T2_T3_mT4_P12ihipStream_tbEUlT_E1_NS1_11comp_targetILNS1_3genE4ELNS1_11target_archE910ELNS1_3gpuE8ELNS1_3repE0EEENS1_30default_config_static_selectorELNS0_4arch9wavefront6targetE1EEEvSW_.private_seg_size, 0
	.set _ZN7rocprim17ROCPRIM_400000_NS6detail17trampoline_kernelINS0_14default_configENS1_22reduce_config_selectorIlEEZNS1_11reduce_implILb1ES3_N6thrust23THRUST_200600_302600_NS11hip_rocprim26transform_input_iterator_tIlNS8_12zip_iteratorINS8_5tupleINS8_6detail15normal_iteratorINS8_10device_ptrIxEEEESH_NS8_9null_typeESI_SI_SI_SI_SI_SI_SI_EEEENS9_21zip_adj_not_predicateI22is_equal_div_10_uniqueIxEEEEEPllNS8_4plusIlEEEE10hipError_tPvRmT1_T2_T3_mT4_P12ihipStream_tbEUlT_E1_NS1_11comp_targetILNS1_3genE4ELNS1_11target_archE910ELNS1_3gpuE8ELNS1_3repE0EEENS1_30default_config_static_selectorELNS0_4arch9wavefront6targetE1EEEvSW_.uses_vcc, 0
	.set _ZN7rocprim17ROCPRIM_400000_NS6detail17trampoline_kernelINS0_14default_configENS1_22reduce_config_selectorIlEEZNS1_11reduce_implILb1ES3_N6thrust23THRUST_200600_302600_NS11hip_rocprim26transform_input_iterator_tIlNS8_12zip_iteratorINS8_5tupleINS8_6detail15normal_iteratorINS8_10device_ptrIxEEEESH_NS8_9null_typeESI_SI_SI_SI_SI_SI_SI_EEEENS9_21zip_adj_not_predicateI22is_equal_div_10_uniqueIxEEEEEPllNS8_4plusIlEEEE10hipError_tPvRmT1_T2_T3_mT4_P12ihipStream_tbEUlT_E1_NS1_11comp_targetILNS1_3genE4ELNS1_11target_archE910ELNS1_3gpuE8ELNS1_3repE0EEENS1_30default_config_static_selectorELNS0_4arch9wavefront6targetE1EEEvSW_.uses_flat_scratch, 0
	.set _ZN7rocprim17ROCPRIM_400000_NS6detail17trampoline_kernelINS0_14default_configENS1_22reduce_config_selectorIlEEZNS1_11reduce_implILb1ES3_N6thrust23THRUST_200600_302600_NS11hip_rocprim26transform_input_iterator_tIlNS8_12zip_iteratorINS8_5tupleINS8_6detail15normal_iteratorINS8_10device_ptrIxEEEESH_NS8_9null_typeESI_SI_SI_SI_SI_SI_SI_EEEENS9_21zip_adj_not_predicateI22is_equal_div_10_uniqueIxEEEEEPllNS8_4plusIlEEEE10hipError_tPvRmT1_T2_T3_mT4_P12ihipStream_tbEUlT_E1_NS1_11comp_targetILNS1_3genE4ELNS1_11target_archE910ELNS1_3gpuE8ELNS1_3repE0EEENS1_30default_config_static_selectorELNS0_4arch9wavefront6targetE1EEEvSW_.has_dyn_sized_stack, 0
	.set _ZN7rocprim17ROCPRIM_400000_NS6detail17trampoline_kernelINS0_14default_configENS1_22reduce_config_selectorIlEEZNS1_11reduce_implILb1ES3_N6thrust23THRUST_200600_302600_NS11hip_rocprim26transform_input_iterator_tIlNS8_12zip_iteratorINS8_5tupleINS8_6detail15normal_iteratorINS8_10device_ptrIxEEEESH_NS8_9null_typeESI_SI_SI_SI_SI_SI_SI_EEEENS9_21zip_adj_not_predicateI22is_equal_div_10_uniqueIxEEEEEPllNS8_4plusIlEEEE10hipError_tPvRmT1_T2_T3_mT4_P12ihipStream_tbEUlT_E1_NS1_11comp_targetILNS1_3genE4ELNS1_11target_archE910ELNS1_3gpuE8ELNS1_3repE0EEENS1_30default_config_static_selectorELNS0_4arch9wavefront6targetE1EEEvSW_.has_recursion, 0
	.set _ZN7rocprim17ROCPRIM_400000_NS6detail17trampoline_kernelINS0_14default_configENS1_22reduce_config_selectorIlEEZNS1_11reduce_implILb1ES3_N6thrust23THRUST_200600_302600_NS11hip_rocprim26transform_input_iterator_tIlNS8_12zip_iteratorINS8_5tupleINS8_6detail15normal_iteratorINS8_10device_ptrIxEEEESH_NS8_9null_typeESI_SI_SI_SI_SI_SI_SI_EEEENS9_21zip_adj_not_predicateI22is_equal_div_10_uniqueIxEEEEEPllNS8_4plusIlEEEE10hipError_tPvRmT1_T2_T3_mT4_P12ihipStream_tbEUlT_E1_NS1_11comp_targetILNS1_3genE4ELNS1_11target_archE910ELNS1_3gpuE8ELNS1_3repE0EEENS1_30default_config_static_selectorELNS0_4arch9wavefront6targetE1EEEvSW_.has_indirect_call, 0
	.section	.AMDGPU.csdata,"",@progbits
; Kernel info:
; codeLenInByte = 0
; TotalNumSgprs: 4
; NumVgprs: 0
; ScratchSize: 0
; MemoryBound: 0
; FloatMode: 240
; IeeeMode: 1
; LDSByteSize: 0 bytes/workgroup (compile time only)
; SGPRBlocks: 0
; VGPRBlocks: 0
; NumSGPRsForWavesPerEU: 4
; NumVGPRsForWavesPerEU: 1
; Occupancy: 10
; WaveLimiterHint : 0
; COMPUTE_PGM_RSRC2:SCRATCH_EN: 0
; COMPUTE_PGM_RSRC2:USER_SGPR: 6
; COMPUTE_PGM_RSRC2:TRAP_HANDLER: 0
; COMPUTE_PGM_RSRC2:TGID_X_EN: 1
; COMPUTE_PGM_RSRC2:TGID_Y_EN: 0
; COMPUTE_PGM_RSRC2:TGID_Z_EN: 0
; COMPUTE_PGM_RSRC2:TIDIG_COMP_CNT: 0
	.section	.text._ZN7rocprim17ROCPRIM_400000_NS6detail17trampoline_kernelINS0_14default_configENS1_22reduce_config_selectorIlEEZNS1_11reduce_implILb1ES3_N6thrust23THRUST_200600_302600_NS11hip_rocprim26transform_input_iterator_tIlNS8_12zip_iteratorINS8_5tupleINS8_6detail15normal_iteratorINS8_10device_ptrIxEEEESH_NS8_9null_typeESI_SI_SI_SI_SI_SI_SI_EEEENS9_21zip_adj_not_predicateI22is_equal_div_10_uniqueIxEEEEEPllNS8_4plusIlEEEE10hipError_tPvRmT1_T2_T3_mT4_P12ihipStream_tbEUlT_E1_NS1_11comp_targetILNS1_3genE3ELNS1_11target_archE908ELNS1_3gpuE7ELNS1_3repE0EEENS1_30default_config_static_selectorELNS0_4arch9wavefront6targetE1EEEvSW_,"axG",@progbits,_ZN7rocprim17ROCPRIM_400000_NS6detail17trampoline_kernelINS0_14default_configENS1_22reduce_config_selectorIlEEZNS1_11reduce_implILb1ES3_N6thrust23THRUST_200600_302600_NS11hip_rocprim26transform_input_iterator_tIlNS8_12zip_iteratorINS8_5tupleINS8_6detail15normal_iteratorINS8_10device_ptrIxEEEESH_NS8_9null_typeESI_SI_SI_SI_SI_SI_SI_EEEENS9_21zip_adj_not_predicateI22is_equal_div_10_uniqueIxEEEEEPllNS8_4plusIlEEEE10hipError_tPvRmT1_T2_T3_mT4_P12ihipStream_tbEUlT_E1_NS1_11comp_targetILNS1_3genE3ELNS1_11target_archE908ELNS1_3gpuE7ELNS1_3repE0EEENS1_30default_config_static_selectorELNS0_4arch9wavefront6targetE1EEEvSW_,comdat
	.protected	_ZN7rocprim17ROCPRIM_400000_NS6detail17trampoline_kernelINS0_14default_configENS1_22reduce_config_selectorIlEEZNS1_11reduce_implILb1ES3_N6thrust23THRUST_200600_302600_NS11hip_rocprim26transform_input_iterator_tIlNS8_12zip_iteratorINS8_5tupleINS8_6detail15normal_iteratorINS8_10device_ptrIxEEEESH_NS8_9null_typeESI_SI_SI_SI_SI_SI_SI_EEEENS9_21zip_adj_not_predicateI22is_equal_div_10_uniqueIxEEEEEPllNS8_4plusIlEEEE10hipError_tPvRmT1_T2_T3_mT4_P12ihipStream_tbEUlT_E1_NS1_11comp_targetILNS1_3genE3ELNS1_11target_archE908ELNS1_3gpuE7ELNS1_3repE0EEENS1_30default_config_static_selectorELNS0_4arch9wavefront6targetE1EEEvSW_ ; -- Begin function _ZN7rocprim17ROCPRIM_400000_NS6detail17trampoline_kernelINS0_14default_configENS1_22reduce_config_selectorIlEEZNS1_11reduce_implILb1ES3_N6thrust23THRUST_200600_302600_NS11hip_rocprim26transform_input_iterator_tIlNS8_12zip_iteratorINS8_5tupleINS8_6detail15normal_iteratorINS8_10device_ptrIxEEEESH_NS8_9null_typeESI_SI_SI_SI_SI_SI_SI_EEEENS9_21zip_adj_not_predicateI22is_equal_div_10_uniqueIxEEEEEPllNS8_4plusIlEEEE10hipError_tPvRmT1_T2_T3_mT4_P12ihipStream_tbEUlT_E1_NS1_11comp_targetILNS1_3genE3ELNS1_11target_archE908ELNS1_3gpuE7ELNS1_3repE0EEENS1_30default_config_static_selectorELNS0_4arch9wavefront6targetE1EEEvSW_
	.globl	_ZN7rocprim17ROCPRIM_400000_NS6detail17trampoline_kernelINS0_14default_configENS1_22reduce_config_selectorIlEEZNS1_11reduce_implILb1ES3_N6thrust23THRUST_200600_302600_NS11hip_rocprim26transform_input_iterator_tIlNS8_12zip_iteratorINS8_5tupleINS8_6detail15normal_iteratorINS8_10device_ptrIxEEEESH_NS8_9null_typeESI_SI_SI_SI_SI_SI_SI_EEEENS9_21zip_adj_not_predicateI22is_equal_div_10_uniqueIxEEEEEPllNS8_4plusIlEEEE10hipError_tPvRmT1_T2_T3_mT4_P12ihipStream_tbEUlT_E1_NS1_11comp_targetILNS1_3genE3ELNS1_11target_archE908ELNS1_3gpuE7ELNS1_3repE0EEENS1_30default_config_static_selectorELNS0_4arch9wavefront6targetE1EEEvSW_
	.p2align	8
	.type	_ZN7rocprim17ROCPRIM_400000_NS6detail17trampoline_kernelINS0_14default_configENS1_22reduce_config_selectorIlEEZNS1_11reduce_implILb1ES3_N6thrust23THRUST_200600_302600_NS11hip_rocprim26transform_input_iterator_tIlNS8_12zip_iteratorINS8_5tupleINS8_6detail15normal_iteratorINS8_10device_ptrIxEEEESH_NS8_9null_typeESI_SI_SI_SI_SI_SI_SI_EEEENS9_21zip_adj_not_predicateI22is_equal_div_10_uniqueIxEEEEEPllNS8_4plusIlEEEE10hipError_tPvRmT1_T2_T3_mT4_P12ihipStream_tbEUlT_E1_NS1_11comp_targetILNS1_3genE3ELNS1_11target_archE908ELNS1_3gpuE7ELNS1_3repE0EEENS1_30default_config_static_selectorELNS0_4arch9wavefront6targetE1EEEvSW_,@function
_ZN7rocprim17ROCPRIM_400000_NS6detail17trampoline_kernelINS0_14default_configENS1_22reduce_config_selectorIlEEZNS1_11reduce_implILb1ES3_N6thrust23THRUST_200600_302600_NS11hip_rocprim26transform_input_iterator_tIlNS8_12zip_iteratorINS8_5tupleINS8_6detail15normal_iteratorINS8_10device_ptrIxEEEESH_NS8_9null_typeESI_SI_SI_SI_SI_SI_SI_EEEENS9_21zip_adj_not_predicateI22is_equal_div_10_uniqueIxEEEEEPllNS8_4plusIlEEEE10hipError_tPvRmT1_T2_T3_mT4_P12ihipStream_tbEUlT_E1_NS1_11comp_targetILNS1_3genE3ELNS1_11target_archE908ELNS1_3gpuE7ELNS1_3repE0EEENS1_30default_config_static_selectorELNS0_4arch9wavefront6targetE1EEEvSW_: ; @_ZN7rocprim17ROCPRIM_400000_NS6detail17trampoline_kernelINS0_14default_configENS1_22reduce_config_selectorIlEEZNS1_11reduce_implILb1ES3_N6thrust23THRUST_200600_302600_NS11hip_rocprim26transform_input_iterator_tIlNS8_12zip_iteratorINS8_5tupleINS8_6detail15normal_iteratorINS8_10device_ptrIxEEEESH_NS8_9null_typeESI_SI_SI_SI_SI_SI_SI_EEEENS9_21zip_adj_not_predicateI22is_equal_div_10_uniqueIxEEEEEPllNS8_4plusIlEEEE10hipError_tPvRmT1_T2_T3_mT4_P12ihipStream_tbEUlT_E1_NS1_11comp_targetILNS1_3genE3ELNS1_11target_archE908ELNS1_3gpuE7ELNS1_3repE0EEENS1_30default_config_static_selectorELNS0_4arch9wavefront6targetE1EEEvSW_
; %bb.0:
	.section	.rodata,"a",@progbits
	.p2align	6, 0x0
	.amdhsa_kernel _ZN7rocprim17ROCPRIM_400000_NS6detail17trampoline_kernelINS0_14default_configENS1_22reduce_config_selectorIlEEZNS1_11reduce_implILb1ES3_N6thrust23THRUST_200600_302600_NS11hip_rocprim26transform_input_iterator_tIlNS8_12zip_iteratorINS8_5tupleINS8_6detail15normal_iteratorINS8_10device_ptrIxEEEESH_NS8_9null_typeESI_SI_SI_SI_SI_SI_SI_EEEENS9_21zip_adj_not_predicateI22is_equal_div_10_uniqueIxEEEEEPllNS8_4plusIlEEEE10hipError_tPvRmT1_T2_T3_mT4_P12ihipStream_tbEUlT_E1_NS1_11comp_targetILNS1_3genE3ELNS1_11target_archE908ELNS1_3gpuE7ELNS1_3repE0EEENS1_30default_config_static_selectorELNS0_4arch9wavefront6targetE1EEEvSW_
		.amdhsa_group_segment_fixed_size 0
		.amdhsa_private_segment_fixed_size 0
		.amdhsa_kernarg_size 64
		.amdhsa_user_sgpr_count 6
		.amdhsa_user_sgpr_private_segment_buffer 1
		.amdhsa_user_sgpr_dispatch_ptr 0
		.amdhsa_user_sgpr_queue_ptr 0
		.amdhsa_user_sgpr_kernarg_segment_ptr 1
		.amdhsa_user_sgpr_dispatch_id 0
		.amdhsa_user_sgpr_flat_scratch_init 0
		.amdhsa_user_sgpr_private_segment_size 0
		.amdhsa_uses_dynamic_stack 0
		.amdhsa_system_sgpr_private_segment_wavefront_offset 0
		.amdhsa_system_sgpr_workgroup_id_x 1
		.amdhsa_system_sgpr_workgroup_id_y 0
		.amdhsa_system_sgpr_workgroup_id_z 0
		.amdhsa_system_sgpr_workgroup_info 0
		.amdhsa_system_vgpr_workitem_id 0
		.amdhsa_next_free_vgpr 1
		.amdhsa_next_free_sgpr 0
		.amdhsa_reserve_vcc 0
		.amdhsa_reserve_flat_scratch 0
		.amdhsa_float_round_mode_32 0
		.amdhsa_float_round_mode_16_64 0
		.amdhsa_float_denorm_mode_32 3
		.amdhsa_float_denorm_mode_16_64 3
		.amdhsa_dx10_clamp 1
		.amdhsa_ieee_mode 1
		.amdhsa_fp16_overflow 0
		.amdhsa_exception_fp_ieee_invalid_op 0
		.amdhsa_exception_fp_denorm_src 0
		.amdhsa_exception_fp_ieee_div_zero 0
		.amdhsa_exception_fp_ieee_overflow 0
		.amdhsa_exception_fp_ieee_underflow 0
		.amdhsa_exception_fp_ieee_inexact 0
		.amdhsa_exception_int_div_zero 0
	.end_amdhsa_kernel
	.section	.text._ZN7rocprim17ROCPRIM_400000_NS6detail17trampoline_kernelINS0_14default_configENS1_22reduce_config_selectorIlEEZNS1_11reduce_implILb1ES3_N6thrust23THRUST_200600_302600_NS11hip_rocprim26transform_input_iterator_tIlNS8_12zip_iteratorINS8_5tupleINS8_6detail15normal_iteratorINS8_10device_ptrIxEEEESH_NS8_9null_typeESI_SI_SI_SI_SI_SI_SI_EEEENS9_21zip_adj_not_predicateI22is_equal_div_10_uniqueIxEEEEEPllNS8_4plusIlEEEE10hipError_tPvRmT1_T2_T3_mT4_P12ihipStream_tbEUlT_E1_NS1_11comp_targetILNS1_3genE3ELNS1_11target_archE908ELNS1_3gpuE7ELNS1_3repE0EEENS1_30default_config_static_selectorELNS0_4arch9wavefront6targetE1EEEvSW_,"axG",@progbits,_ZN7rocprim17ROCPRIM_400000_NS6detail17trampoline_kernelINS0_14default_configENS1_22reduce_config_selectorIlEEZNS1_11reduce_implILb1ES3_N6thrust23THRUST_200600_302600_NS11hip_rocprim26transform_input_iterator_tIlNS8_12zip_iteratorINS8_5tupleINS8_6detail15normal_iteratorINS8_10device_ptrIxEEEESH_NS8_9null_typeESI_SI_SI_SI_SI_SI_SI_EEEENS9_21zip_adj_not_predicateI22is_equal_div_10_uniqueIxEEEEEPllNS8_4plusIlEEEE10hipError_tPvRmT1_T2_T3_mT4_P12ihipStream_tbEUlT_E1_NS1_11comp_targetILNS1_3genE3ELNS1_11target_archE908ELNS1_3gpuE7ELNS1_3repE0EEENS1_30default_config_static_selectorELNS0_4arch9wavefront6targetE1EEEvSW_,comdat
.Lfunc_end953:
	.size	_ZN7rocprim17ROCPRIM_400000_NS6detail17trampoline_kernelINS0_14default_configENS1_22reduce_config_selectorIlEEZNS1_11reduce_implILb1ES3_N6thrust23THRUST_200600_302600_NS11hip_rocprim26transform_input_iterator_tIlNS8_12zip_iteratorINS8_5tupleINS8_6detail15normal_iteratorINS8_10device_ptrIxEEEESH_NS8_9null_typeESI_SI_SI_SI_SI_SI_SI_EEEENS9_21zip_adj_not_predicateI22is_equal_div_10_uniqueIxEEEEEPllNS8_4plusIlEEEE10hipError_tPvRmT1_T2_T3_mT4_P12ihipStream_tbEUlT_E1_NS1_11comp_targetILNS1_3genE3ELNS1_11target_archE908ELNS1_3gpuE7ELNS1_3repE0EEENS1_30default_config_static_selectorELNS0_4arch9wavefront6targetE1EEEvSW_, .Lfunc_end953-_ZN7rocprim17ROCPRIM_400000_NS6detail17trampoline_kernelINS0_14default_configENS1_22reduce_config_selectorIlEEZNS1_11reduce_implILb1ES3_N6thrust23THRUST_200600_302600_NS11hip_rocprim26transform_input_iterator_tIlNS8_12zip_iteratorINS8_5tupleINS8_6detail15normal_iteratorINS8_10device_ptrIxEEEESH_NS8_9null_typeESI_SI_SI_SI_SI_SI_SI_EEEENS9_21zip_adj_not_predicateI22is_equal_div_10_uniqueIxEEEEEPllNS8_4plusIlEEEE10hipError_tPvRmT1_T2_T3_mT4_P12ihipStream_tbEUlT_E1_NS1_11comp_targetILNS1_3genE3ELNS1_11target_archE908ELNS1_3gpuE7ELNS1_3repE0EEENS1_30default_config_static_selectorELNS0_4arch9wavefront6targetE1EEEvSW_
                                        ; -- End function
	.set _ZN7rocprim17ROCPRIM_400000_NS6detail17trampoline_kernelINS0_14default_configENS1_22reduce_config_selectorIlEEZNS1_11reduce_implILb1ES3_N6thrust23THRUST_200600_302600_NS11hip_rocprim26transform_input_iterator_tIlNS8_12zip_iteratorINS8_5tupleINS8_6detail15normal_iteratorINS8_10device_ptrIxEEEESH_NS8_9null_typeESI_SI_SI_SI_SI_SI_SI_EEEENS9_21zip_adj_not_predicateI22is_equal_div_10_uniqueIxEEEEEPllNS8_4plusIlEEEE10hipError_tPvRmT1_T2_T3_mT4_P12ihipStream_tbEUlT_E1_NS1_11comp_targetILNS1_3genE3ELNS1_11target_archE908ELNS1_3gpuE7ELNS1_3repE0EEENS1_30default_config_static_selectorELNS0_4arch9wavefront6targetE1EEEvSW_.num_vgpr, 0
	.set _ZN7rocprim17ROCPRIM_400000_NS6detail17trampoline_kernelINS0_14default_configENS1_22reduce_config_selectorIlEEZNS1_11reduce_implILb1ES3_N6thrust23THRUST_200600_302600_NS11hip_rocprim26transform_input_iterator_tIlNS8_12zip_iteratorINS8_5tupleINS8_6detail15normal_iteratorINS8_10device_ptrIxEEEESH_NS8_9null_typeESI_SI_SI_SI_SI_SI_SI_EEEENS9_21zip_adj_not_predicateI22is_equal_div_10_uniqueIxEEEEEPllNS8_4plusIlEEEE10hipError_tPvRmT1_T2_T3_mT4_P12ihipStream_tbEUlT_E1_NS1_11comp_targetILNS1_3genE3ELNS1_11target_archE908ELNS1_3gpuE7ELNS1_3repE0EEENS1_30default_config_static_selectorELNS0_4arch9wavefront6targetE1EEEvSW_.num_agpr, 0
	.set _ZN7rocprim17ROCPRIM_400000_NS6detail17trampoline_kernelINS0_14default_configENS1_22reduce_config_selectorIlEEZNS1_11reduce_implILb1ES3_N6thrust23THRUST_200600_302600_NS11hip_rocprim26transform_input_iterator_tIlNS8_12zip_iteratorINS8_5tupleINS8_6detail15normal_iteratorINS8_10device_ptrIxEEEESH_NS8_9null_typeESI_SI_SI_SI_SI_SI_SI_EEEENS9_21zip_adj_not_predicateI22is_equal_div_10_uniqueIxEEEEEPllNS8_4plusIlEEEE10hipError_tPvRmT1_T2_T3_mT4_P12ihipStream_tbEUlT_E1_NS1_11comp_targetILNS1_3genE3ELNS1_11target_archE908ELNS1_3gpuE7ELNS1_3repE0EEENS1_30default_config_static_selectorELNS0_4arch9wavefront6targetE1EEEvSW_.numbered_sgpr, 0
	.set _ZN7rocprim17ROCPRIM_400000_NS6detail17trampoline_kernelINS0_14default_configENS1_22reduce_config_selectorIlEEZNS1_11reduce_implILb1ES3_N6thrust23THRUST_200600_302600_NS11hip_rocprim26transform_input_iterator_tIlNS8_12zip_iteratorINS8_5tupleINS8_6detail15normal_iteratorINS8_10device_ptrIxEEEESH_NS8_9null_typeESI_SI_SI_SI_SI_SI_SI_EEEENS9_21zip_adj_not_predicateI22is_equal_div_10_uniqueIxEEEEEPllNS8_4plusIlEEEE10hipError_tPvRmT1_T2_T3_mT4_P12ihipStream_tbEUlT_E1_NS1_11comp_targetILNS1_3genE3ELNS1_11target_archE908ELNS1_3gpuE7ELNS1_3repE0EEENS1_30default_config_static_selectorELNS0_4arch9wavefront6targetE1EEEvSW_.num_named_barrier, 0
	.set _ZN7rocprim17ROCPRIM_400000_NS6detail17trampoline_kernelINS0_14default_configENS1_22reduce_config_selectorIlEEZNS1_11reduce_implILb1ES3_N6thrust23THRUST_200600_302600_NS11hip_rocprim26transform_input_iterator_tIlNS8_12zip_iteratorINS8_5tupleINS8_6detail15normal_iteratorINS8_10device_ptrIxEEEESH_NS8_9null_typeESI_SI_SI_SI_SI_SI_SI_EEEENS9_21zip_adj_not_predicateI22is_equal_div_10_uniqueIxEEEEEPllNS8_4plusIlEEEE10hipError_tPvRmT1_T2_T3_mT4_P12ihipStream_tbEUlT_E1_NS1_11comp_targetILNS1_3genE3ELNS1_11target_archE908ELNS1_3gpuE7ELNS1_3repE0EEENS1_30default_config_static_selectorELNS0_4arch9wavefront6targetE1EEEvSW_.private_seg_size, 0
	.set _ZN7rocprim17ROCPRIM_400000_NS6detail17trampoline_kernelINS0_14default_configENS1_22reduce_config_selectorIlEEZNS1_11reduce_implILb1ES3_N6thrust23THRUST_200600_302600_NS11hip_rocprim26transform_input_iterator_tIlNS8_12zip_iteratorINS8_5tupleINS8_6detail15normal_iteratorINS8_10device_ptrIxEEEESH_NS8_9null_typeESI_SI_SI_SI_SI_SI_SI_EEEENS9_21zip_adj_not_predicateI22is_equal_div_10_uniqueIxEEEEEPllNS8_4plusIlEEEE10hipError_tPvRmT1_T2_T3_mT4_P12ihipStream_tbEUlT_E1_NS1_11comp_targetILNS1_3genE3ELNS1_11target_archE908ELNS1_3gpuE7ELNS1_3repE0EEENS1_30default_config_static_selectorELNS0_4arch9wavefront6targetE1EEEvSW_.uses_vcc, 0
	.set _ZN7rocprim17ROCPRIM_400000_NS6detail17trampoline_kernelINS0_14default_configENS1_22reduce_config_selectorIlEEZNS1_11reduce_implILb1ES3_N6thrust23THRUST_200600_302600_NS11hip_rocprim26transform_input_iterator_tIlNS8_12zip_iteratorINS8_5tupleINS8_6detail15normal_iteratorINS8_10device_ptrIxEEEESH_NS8_9null_typeESI_SI_SI_SI_SI_SI_SI_EEEENS9_21zip_adj_not_predicateI22is_equal_div_10_uniqueIxEEEEEPllNS8_4plusIlEEEE10hipError_tPvRmT1_T2_T3_mT4_P12ihipStream_tbEUlT_E1_NS1_11comp_targetILNS1_3genE3ELNS1_11target_archE908ELNS1_3gpuE7ELNS1_3repE0EEENS1_30default_config_static_selectorELNS0_4arch9wavefront6targetE1EEEvSW_.uses_flat_scratch, 0
	.set _ZN7rocprim17ROCPRIM_400000_NS6detail17trampoline_kernelINS0_14default_configENS1_22reduce_config_selectorIlEEZNS1_11reduce_implILb1ES3_N6thrust23THRUST_200600_302600_NS11hip_rocprim26transform_input_iterator_tIlNS8_12zip_iteratorINS8_5tupleINS8_6detail15normal_iteratorINS8_10device_ptrIxEEEESH_NS8_9null_typeESI_SI_SI_SI_SI_SI_SI_EEEENS9_21zip_adj_not_predicateI22is_equal_div_10_uniqueIxEEEEEPllNS8_4plusIlEEEE10hipError_tPvRmT1_T2_T3_mT4_P12ihipStream_tbEUlT_E1_NS1_11comp_targetILNS1_3genE3ELNS1_11target_archE908ELNS1_3gpuE7ELNS1_3repE0EEENS1_30default_config_static_selectorELNS0_4arch9wavefront6targetE1EEEvSW_.has_dyn_sized_stack, 0
	.set _ZN7rocprim17ROCPRIM_400000_NS6detail17trampoline_kernelINS0_14default_configENS1_22reduce_config_selectorIlEEZNS1_11reduce_implILb1ES3_N6thrust23THRUST_200600_302600_NS11hip_rocprim26transform_input_iterator_tIlNS8_12zip_iteratorINS8_5tupleINS8_6detail15normal_iteratorINS8_10device_ptrIxEEEESH_NS8_9null_typeESI_SI_SI_SI_SI_SI_SI_EEEENS9_21zip_adj_not_predicateI22is_equal_div_10_uniqueIxEEEEEPllNS8_4plusIlEEEE10hipError_tPvRmT1_T2_T3_mT4_P12ihipStream_tbEUlT_E1_NS1_11comp_targetILNS1_3genE3ELNS1_11target_archE908ELNS1_3gpuE7ELNS1_3repE0EEENS1_30default_config_static_selectorELNS0_4arch9wavefront6targetE1EEEvSW_.has_recursion, 0
	.set _ZN7rocprim17ROCPRIM_400000_NS6detail17trampoline_kernelINS0_14default_configENS1_22reduce_config_selectorIlEEZNS1_11reduce_implILb1ES3_N6thrust23THRUST_200600_302600_NS11hip_rocprim26transform_input_iterator_tIlNS8_12zip_iteratorINS8_5tupleINS8_6detail15normal_iteratorINS8_10device_ptrIxEEEESH_NS8_9null_typeESI_SI_SI_SI_SI_SI_SI_EEEENS9_21zip_adj_not_predicateI22is_equal_div_10_uniqueIxEEEEEPllNS8_4plusIlEEEE10hipError_tPvRmT1_T2_T3_mT4_P12ihipStream_tbEUlT_E1_NS1_11comp_targetILNS1_3genE3ELNS1_11target_archE908ELNS1_3gpuE7ELNS1_3repE0EEENS1_30default_config_static_selectorELNS0_4arch9wavefront6targetE1EEEvSW_.has_indirect_call, 0
	.section	.AMDGPU.csdata,"",@progbits
; Kernel info:
; codeLenInByte = 0
; TotalNumSgprs: 4
; NumVgprs: 0
; ScratchSize: 0
; MemoryBound: 0
; FloatMode: 240
; IeeeMode: 1
; LDSByteSize: 0 bytes/workgroup (compile time only)
; SGPRBlocks: 0
; VGPRBlocks: 0
; NumSGPRsForWavesPerEU: 4
; NumVGPRsForWavesPerEU: 1
; Occupancy: 10
; WaveLimiterHint : 0
; COMPUTE_PGM_RSRC2:SCRATCH_EN: 0
; COMPUTE_PGM_RSRC2:USER_SGPR: 6
; COMPUTE_PGM_RSRC2:TRAP_HANDLER: 0
; COMPUTE_PGM_RSRC2:TGID_X_EN: 1
; COMPUTE_PGM_RSRC2:TGID_Y_EN: 0
; COMPUTE_PGM_RSRC2:TGID_Z_EN: 0
; COMPUTE_PGM_RSRC2:TIDIG_COMP_CNT: 0
	.section	.text._ZN7rocprim17ROCPRIM_400000_NS6detail17trampoline_kernelINS0_14default_configENS1_22reduce_config_selectorIlEEZNS1_11reduce_implILb1ES3_N6thrust23THRUST_200600_302600_NS11hip_rocprim26transform_input_iterator_tIlNS8_12zip_iteratorINS8_5tupleINS8_6detail15normal_iteratorINS8_10device_ptrIxEEEESH_NS8_9null_typeESI_SI_SI_SI_SI_SI_SI_EEEENS9_21zip_adj_not_predicateI22is_equal_div_10_uniqueIxEEEEEPllNS8_4plusIlEEEE10hipError_tPvRmT1_T2_T3_mT4_P12ihipStream_tbEUlT_E1_NS1_11comp_targetILNS1_3genE2ELNS1_11target_archE906ELNS1_3gpuE6ELNS1_3repE0EEENS1_30default_config_static_selectorELNS0_4arch9wavefront6targetE1EEEvSW_,"axG",@progbits,_ZN7rocprim17ROCPRIM_400000_NS6detail17trampoline_kernelINS0_14default_configENS1_22reduce_config_selectorIlEEZNS1_11reduce_implILb1ES3_N6thrust23THRUST_200600_302600_NS11hip_rocprim26transform_input_iterator_tIlNS8_12zip_iteratorINS8_5tupleINS8_6detail15normal_iteratorINS8_10device_ptrIxEEEESH_NS8_9null_typeESI_SI_SI_SI_SI_SI_SI_EEEENS9_21zip_adj_not_predicateI22is_equal_div_10_uniqueIxEEEEEPllNS8_4plusIlEEEE10hipError_tPvRmT1_T2_T3_mT4_P12ihipStream_tbEUlT_E1_NS1_11comp_targetILNS1_3genE2ELNS1_11target_archE906ELNS1_3gpuE6ELNS1_3repE0EEENS1_30default_config_static_selectorELNS0_4arch9wavefront6targetE1EEEvSW_,comdat
	.protected	_ZN7rocprim17ROCPRIM_400000_NS6detail17trampoline_kernelINS0_14default_configENS1_22reduce_config_selectorIlEEZNS1_11reduce_implILb1ES3_N6thrust23THRUST_200600_302600_NS11hip_rocprim26transform_input_iterator_tIlNS8_12zip_iteratorINS8_5tupleINS8_6detail15normal_iteratorINS8_10device_ptrIxEEEESH_NS8_9null_typeESI_SI_SI_SI_SI_SI_SI_EEEENS9_21zip_adj_not_predicateI22is_equal_div_10_uniqueIxEEEEEPllNS8_4plusIlEEEE10hipError_tPvRmT1_T2_T3_mT4_P12ihipStream_tbEUlT_E1_NS1_11comp_targetILNS1_3genE2ELNS1_11target_archE906ELNS1_3gpuE6ELNS1_3repE0EEENS1_30default_config_static_selectorELNS0_4arch9wavefront6targetE1EEEvSW_ ; -- Begin function _ZN7rocprim17ROCPRIM_400000_NS6detail17trampoline_kernelINS0_14default_configENS1_22reduce_config_selectorIlEEZNS1_11reduce_implILb1ES3_N6thrust23THRUST_200600_302600_NS11hip_rocprim26transform_input_iterator_tIlNS8_12zip_iteratorINS8_5tupleINS8_6detail15normal_iteratorINS8_10device_ptrIxEEEESH_NS8_9null_typeESI_SI_SI_SI_SI_SI_SI_EEEENS9_21zip_adj_not_predicateI22is_equal_div_10_uniqueIxEEEEEPllNS8_4plusIlEEEE10hipError_tPvRmT1_T2_T3_mT4_P12ihipStream_tbEUlT_E1_NS1_11comp_targetILNS1_3genE2ELNS1_11target_archE906ELNS1_3gpuE6ELNS1_3repE0EEENS1_30default_config_static_selectorELNS0_4arch9wavefront6targetE1EEEvSW_
	.globl	_ZN7rocprim17ROCPRIM_400000_NS6detail17trampoline_kernelINS0_14default_configENS1_22reduce_config_selectorIlEEZNS1_11reduce_implILb1ES3_N6thrust23THRUST_200600_302600_NS11hip_rocprim26transform_input_iterator_tIlNS8_12zip_iteratorINS8_5tupleINS8_6detail15normal_iteratorINS8_10device_ptrIxEEEESH_NS8_9null_typeESI_SI_SI_SI_SI_SI_SI_EEEENS9_21zip_adj_not_predicateI22is_equal_div_10_uniqueIxEEEEEPllNS8_4plusIlEEEE10hipError_tPvRmT1_T2_T3_mT4_P12ihipStream_tbEUlT_E1_NS1_11comp_targetILNS1_3genE2ELNS1_11target_archE906ELNS1_3gpuE6ELNS1_3repE0EEENS1_30default_config_static_selectorELNS0_4arch9wavefront6targetE1EEEvSW_
	.p2align	8
	.type	_ZN7rocprim17ROCPRIM_400000_NS6detail17trampoline_kernelINS0_14default_configENS1_22reduce_config_selectorIlEEZNS1_11reduce_implILb1ES3_N6thrust23THRUST_200600_302600_NS11hip_rocprim26transform_input_iterator_tIlNS8_12zip_iteratorINS8_5tupleINS8_6detail15normal_iteratorINS8_10device_ptrIxEEEESH_NS8_9null_typeESI_SI_SI_SI_SI_SI_SI_EEEENS9_21zip_adj_not_predicateI22is_equal_div_10_uniqueIxEEEEEPllNS8_4plusIlEEEE10hipError_tPvRmT1_T2_T3_mT4_P12ihipStream_tbEUlT_E1_NS1_11comp_targetILNS1_3genE2ELNS1_11target_archE906ELNS1_3gpuE6ELNS1_3repE0EEENS1_30default_config_static_selectorELNS0_4arch9wavefront6targetE1EEEvSW_,@function
_ZN7rocprim17ROCPRIM_400000_NS6detail17trampoline_kernelINS0_14default_configENS1_22reduce_config_selectorIlEEZNS1_11reduce_implILb1ES3_N6thrust23THRUST_200600_302600_NS11hip_rocprim26transform_input_iterator_tIlNS8_12zip_iteratorINS8_5tupleINS8_6detail15normal_iteratorINS8_10device_ptrIxEEEESH_NS8_9null_typeESI_SI_SI_SI_SI_SI_SI_EEEENS9_21zip_adj_not_predicateI22is_equal_div_10_uniqueIxEEEEEPllNS8_4plusIlEEEE10hipError_tPvRmT1_T2_T3_mT4_P12ihipStream_tbEUlT_E1_NS1_11comp_targetILNS1_3genE2ELNS1_11target_archE906ELNS1_3gpuE6ELNS1_3repE0EEENS1_30default_config_static_selectorELNS0_4arch9wavefront6targetE1EEEvSW_: ; @_ZN7rocprim17ROCPRIM_400000_NS6detail17trampoline_kernelINS0_14default_configENS1_22reduce_config_selectorIlEEZNS1_11reduce_implILb1ES3_N6thrust23THRUST_200600_302600_NS11hip_rocprim26transform_input_iterator_tIlNS8_12zip_iteratorINS8_5tupleINS8_6detail15normal_iteratorINS8_10device_ptrIxEEEESH_NS8_9null_typeESI_SI_SI_SI_SI_SI_SI_EEEENS9_21zip_adj_not_predicateI22is_equal_div_10_uniqueIxEEEEEPllNS8_4plusIlEEEE10hipError_tPvRmT1_T2_T3_mT4_P12ihipStream_tbEUlT_E1_NS1_11comp_targetILNS1_3genE2ELNS1_11target_archE906ELNS1_3gpuE6ELNS1_3repE0EEENS1_30default_config_static_selectorELNS0_4arch9wavefront6targetE1EEEvSW_
; %bb.0:
	s_load_dword s30, s[4:5], 0x4
	s_load_dwordx4 s[24:27], s[4:5], 0x8
	s_load_dwordx4 s[20:23], s[4:5], 0x20
	s_waitcnt lgkmcnt(0)
	s_cmp_lt_i32 s30, 4
	s_cbranch_scc1 .LBB954_10
; %bb.1:
	s_cmp_gt_i32 s30, 7
	s_cbranch_scc0 .LBB954_11
; %bb.2:
	s_cmp_gt_i32 s30, 15
	s_cbranch_scc0 .LBB954_12
; %bb.3:
	s_mov_b64 s[8:9], 0
	s_cmp_eq_u32 s30, 16
	s_mov_b64 s[0:1], 0
                                        ; implicit-def: $vgpr1_vgpr2
                                        ; implicit-def: $vgpr3_vgpr4
	s_cbranch_scc0 .LBB954_13
; %bb.4:
	s_mov_b32 s7, 0
	s_lshl_b32 s14, s6, 12
	s_mov_b32 s15, s7
	s_lshr_b64 s[0:1], s[20:21], 12
	s_lshl_b64 s[2:3], s[14:15], 3
	s_add_u32 s10, s24, s2
	s_addc_u32 s11, s25, s3
	s_add_u32 s12, s26, s2
	s_addc_u32 s13, s27, s3
	s_cmp_lg_u64 s[0:1], s[6:7]
	s_cbranch_scc0 .LBB954_21
; %bb.5:
	v_lshlrev_b32_e32 v1, 3, v0
	v_mov_b32_e32 v2, s11
	v_add_co_u32_e32 v7, vcc, s10, v1
	v_addc_co_u32_e32 v8, vcc, 0, v2, vcc
	v_mov_b32_e32 v2, s13
	v_add_co_u32_e32 v9, vcc, s12, v1
	v_addc_co_u32_e32 v10, vcc, 0, v2, vcc
	s_movk_i32 s0, 0x1000
	global_load_dword v11, v1, s[10:11]
	global_load_dword v12, v1, s[12:13]
	global_load_dword v13, v1, s[12:13] offset:2048
	global_load_dword v14, v1, s[10:11] offset:2048
	v_add_co_u32_e32 v1, vcc, s0, v7
	v_addc_co_u32_e32 v2, vcc, 0, v8, vcc
	s_movk_i32 s1, 0x2000
	v_add_co_u32_e32 v3, vcc, s1, v7
	v_addc_co_u32_e32 v4, vcc, 0, v8, vcc
	global_load_dword v15, v[3:4], off offset:-4096
	v_add_co_u32_e32 v5, vcc, s1, v9
	v_addc_co_u32_e32 v6, vcc, 0, v10, vcc
	global_load_dword v16, v[5:6], off offset:-4096
	global_load_dword v17, v[1:2], off offset:2048
	global_load_dword v18, v[3:4], off
	v_add_co_u32_e32 v1, vcc, s0, v9
	v_addc_co_u32_e32 v2, vcc, 0, v10, vcc
	global_load_dword v19, v[1:2], off offset:2048
	global_load_dword v20, v[5:6], off
	global_load_dword v21, v[3:4], off offset:2048
	global_load_dword v22, v[5:6], off offset:2048
	s_movk_i32 s0, 0x3000
	v_add_co_u32_e32 v1, vcc, s0, v7
	s_movk_i32 s1, 0x4000
	v_addc_co_u32_e32 v2, vcc, 0, v8, vcc
	v_add_co_u32_e32 v3, vcc, s1, v7
	v_addc_co_u32_e32 v4, vcc, 0, v8, vcc
	v_add_co_u32_e32 v5, vcc, s1, v9
	v_addc_co_u32_e32 v6, vcc, 0, v10, vcc
	global_load_dword v23, v[3:4], off offset:-4096
	global_load_dword v24, v[5:6], off offset:-4096
	global_load_dword v25, v[1:2], off offset:2048
	s_mov_b32 s15, 0x66666667
	s_movk_i32 s3, 0x6000
	s_movk_i32 s2, 0x5000
	s_movk_i32 s16, 0x7000
	s_waitcnt vmcnt(14)
	v_mul_hi_i32 v1, v11, s15
	s_waitcnt vmcnt(13)
	v_mul_hi_i32 v2, v12, s15
	s_waitcnt vmcnt(12)
	v_mul_hi_i32 v12, v13, s15
	s_waitcnt vmcnt(11)
	v_mul_hi_i32 v11, v14, s15
	v_lshrrev_b32_e32 v27, 31, v12
	v_ashrrev_i32_e32 v12, 2, v12
	v_lshrrev_b32_e32 v26, 31, v11
	v_ashrrev_i32_e32 v11, 2, v11
	v_add_u32_e32 v12, v12, v27
	v_add_u32_e32 v11, v11, v26
	s_waitcnt vmcnt(10)
	v_mul_hi_i32 v13, v15, s15
	s_waitcnt vmcnt(9)
	v_mul_hi_i32 v14, v16, s15
	;; [unrolled: 2-line block ×4, first 2 shown]
	v_lshrrev_b32_e32 v17, 31, v1
	v_ashrrev_i32_e32 v1, 2, v1
	v_lshrrev_b32_e32 v18, 31, v2
	v_ashrrev_i32_e32 v2, 2, v2
	v_add_u32_e32 v17, v1, v17
	v_add_u32_e32 v18, v2, v18
	v_lshrrev_b32_e32 v1, 31, v13
	v_ashrrev_i32_e32 v2, 2, v13
	v_add_u32_e32 v27, v2, v1
	v_add_co_u32_e32 v1, vcc, s0, v9
	v_lshrrev_b32_e32 v13, 31, v14
	v_ashrrev_i32_e32 v14, 2, v14
	v_lshrrev_b32_e32 v26, 31, v15
	v_ashrrev_i32_e32 v15, 2, v15
	v_addc_co_u32_e32 v2, vcc, 0, v10, vcc
	v_add_u32_e32 v13, v14, v13
	v_add_u32_e32 v14, v15, v26
	global_load_dword v15, v[1:2], off offset:2048
	s_waitcnt vmcnt(6)
	v_mul_hi_i32 v1, v20, s15
	v_lshrrev_b32_e32 v2, 31, v16
	v_ashrrev_i32_e32 v16, 2, v16
	v_add_u32_e32 v2, v16, v2
	v_lshrrev_b32_e32 v16, 31, v1
	v_ashrrev_i32_e32 v1, 2, v1
	global_load_dword v20, v[3:4], off
	v_add_u32_e32 v1, v1, v16
	global_load_dword v16, v[5:6], off
	s_waitcnt vmcnt(7)
	v_mul_hi_i32 v21, v21, s15
	global_load_dword v26, v[3:4], off offset:2048
	global_load_dword v28, v[5:6], off offset:2048
	v_cmp_ne_u32_e32 vcc, v2, v1
	s_waitcnt vmcnt(8)
	v_mul_hi_i32 v22, v22, s15
	v_lshrrev_b32_e32 v1, 31, v21
	v_ashrrev_i32_e32 v2, 2, v21
	v_add_u32_e32 v21, v2, v1
	v_add_co_u32_e64 v1, s[0:1], s3, v7
	v_addc_co_u32_e64 v2, s[0:1], 0, v8, s[0:1]
	v_add_co_u32_e64 v3, s[0:1], s3, v9
	global_load_dword v29, v[1:2], off offset:-4096
	v_addc_co_u32_e64 v4, s[0:1], 0, v10, s[0:1]
	global_load_dword v30, v[3:4], off offset:-4096
	global_load_dword v33, v[3:4], off offset:2048
	v_add_co_u32_e64 v5, s[0:1], s2, v7
	v_addc_co_u32_e64 v6, s[0:1], 0, v8, s[0:1]
	global_load_dword v31, v[5:6], off offset:2048
	v_add_co_u32_e64 v5, s[0:1], s2, v9
	v_addc_co_u32_e64 v6, s[0:1], 0, v10, s[0:1]
	global_load_dword v5, v[5:6], off offset:2048
	v_mul_hi_i32 v19, v19, s15
	v_lshrrev_b32_e32 v6, 31, v22
	v_ashrrev_i32_e32 v22, 2, v22
	v_add_u32_e32 v6, v22, v6
	v_cmp_ne_u32_e64 s[0:1], v21, v6
	v_lshrrev_b32_e32 v6, 31, v19
	v_ashrrev_i32_e32 v19, 2, v19
	global_load_dword v21, v[1:2], off
	v_add_u32_e32 v6, v19, v6
	s_waitcnt vmcnt(13)
	v_mul_hi_i32 v19, v23, s15
	global_load_dword v23, v[3:4], off
	v_cmp_ne_u32_e64 s[2:3], v14, v6
	v_cndmask_b32_e64 v6, 0, 1, s[2:3]
	v_lshrrev_b32_e32 v14, 31, v19
	v_ashrrev_i32_e32 v19, 2, v19
	v_add_u32_e32 v14, v19, v14
	global_load_dword v19, v[1:2], off offset:2048
	v_add_co_u32_e64 v1, s[2:3], s16, v7
	v_addc_co_u32_e64 v2, s[2:3], 0, v8, s[2:3]
	v_add_co_u32_e64 v3, s[2:3], s16, v9
	global_load_dword v7, v[1:2], off
	v_addc_co_u32_e64 v4, s[2:3], 0, v10, s[2:3]
	global_load_dword v8, v[3:4], off
	s_waitcnt vmcnt(16)
	v_mul_hi_i32 v24, v24, s15
	global_load_dword v1, v[1:2], off offset:2048
	v_cndmask_b32_e64 v10, 0, 1, vcc
	global_load_dword v3, v[3:4], off offset:2048
	v_lshrrev_b32_e32 v32, 31, v24
	v_ashrrev_i32_e32 v9, 2, v24
	v_add_u32_e32 v9, v9, v32
	s_waitcnt vmcnt(17)
	v_mul_hi_i32 v24, v25, s15
	v_cmp_ne_u32_e32 vcc, v14, v9
	v_cndmask_b32_e64 v9, 0, 1, vcc
	v_cndmask_b32_e64 v2, 0, 1, s[0:1]
	v_lshrrev_b32_e32 v4, 31, v24
	v_mov_b32_e32 v22, 0
	s_waitcnt vmcnt(16)
	v_mul_hi_i32 v14, v15, s15
	v_ashrrev_i32_e32 v15, 2, v24
	v_add_u32_e32 v4, v15, v4
	v_lshrrev_b32_e32 v15, 31, v14
	v_ashrrev_i32_e32 v14, 2, v14
	v_add_u32_e32 v14, v14, v15
	s_waitcnt vmcnt(15)
	v_mul_hi_i32 v15, v20, s15
	v_cmp_ne_u32_e32 vcc, v4, v14
	s_waitcnt vmcnt(14)
	v_mul_hi_i32 v14, v16, s15
	v_cndmask_b32_e64 v4, 0, 1, vcc
	v_lshrrev_b32_e32 v16, 31, v15
	v_ashrrev_i32_e32 v15, 2, v15
	v_add_u32_e32 v15, v15, v16
	v_lshrrev_b32_e32 v16, 31, v14
	v_ashrrev_i32_e32 v14, 2, v14
	v_add_u32_e32 v14, v14, v16
	s_waitcnt vmcnt(13)
	v_mul_hi_i32 v16, v26, s15
	v_cmp_ne_u32_e32 vcc, v15, v14
	s_waitcnt vmcnt(12)
	v_mul_hi_i32 v15, v28, s15
	v_cndmask_b32_e64 v14, 0, 1, vcc
	v_lshrrev_b32_e32 v20, 31, v16
	v_ashrrev_i32_e32 v16, 2, v16
	v_add_u32_e32 v16, v16, v20
	v_lshrrev_b32_e32 v20, 31, v15
	v_ashrrev_i32_e32 v15, 2, v15
	v_add_u32_e32 v15, v15, v20
	s_waitcnt vmcnt(11)
	v_mul_hi_i32 v20, v29, s15
	v_cmp_ne_u32_e32 vcc, v16, v15
	s_waitcnt vmcnt(10)
	v_mul_hi_i32 v16, v30, s15
	v_cndmask_b32_e64 v15, 0, 1, vcc
	v_lshrrev_b32_e32 v24, 31, v20
	v_ashrrev_i32_e32 v20, 2, v20
	v_add_u32_e32 v20, v20, v24
	v_lshrrev_b32_e32 v24, 31, v16
	v_ashrrev_i32_e32 v16, 2, v16
	v_add_u32_e32 v16, v16, v24
	s_waitcnt vmcnt(8)
	v_mul_hi_i32 v24, v31, s15
	s_waitcnt vmcnt(7)
	v_mul_hi_i32 v5, v5, s15
	v_cmp_ne_u32_e32 vcc, v20, v16
	v_cndmask_b32_e64 v16, 0, 1, vcc
	v_lshrrev_b32_e32 v20, 31, v24
	v_ashrrev_i32_e32 v24, 2, v24
	v_add_u32_e32 v20, v24, v20
	v_lshrrev_b32_e32 v24, 31, v5
	v_ashrrev_i32_e32 v5, 2, v5
	v_add_u32_e32 v5, v5, v24
	s_waitcnt vmcnt(6)
	v_mul_hi_i32 v21, v21, s15
	v_cmp_ne_u32_e32 vcc, v20, v5
	s_waitcnt vmcnt(5)
	v_mul_hi_i32 v20, v23, s15
	v_cndmask_b32_e64 v5, 0, 1, vcc
	v_lshrrev_b32_e32 v23, 31, v21
	v_ashrrev_i32_e32 v21, 2, v21
	v_add_u32_e32 v21, v21, v23
	v_lshrrev_b32_e32 v23, 31, v20
	v_ashrrev_i32_e32 v20, 2, v20
	v_add_u32_e32 v20, v20, v23
	s_waitcnt vmcnt(4)
	v_mul_hi_i32 v19, v19, s15
	v_cmp_ne_u32_e32 vcc, v21, v20
	v_mul_hi_i32 v21, v33, s15
	v_cndmask_b32_e64 v20, 0, 1, vcc
	s_waitcnt vmcnt(3)
	v_mul_hi_i32 v7, v7, s15
	v_lshrrev_b32_e32 v23, 31, v19
	v_ashrrev_i32_e32 v19, 2, v19
	s_waitcnt vmcnt(2)
	v_mul_hi_i32 v8, v8, s15
	v_add_u32_e32 v19, v19, v23
	v_lshrrev_b32_e32 v23, 31, v21
	v_ashrrev_i32_e32 v21, 2, v21
	v_add_u32_e32 v21, v21, v23
	s_waitcnt vmcnt(1)
	v_mul_hi_i32 v1, v1, s15
	v_cmp_ne_u32_e32 vcc, v19, v21
	v_lshrrev_b32_e32 v21, 31, v7
	v_ashrrev_i32_e32 v7, 2, v7
	s_waitcnt vmcnt(0)
	v_mul_hi_i32 v3, v3, s15
	v_add_u32_e32 v7, v7, v21
	v_lshrrev_b32_e32 v21, 31, v8
	v_ashrrev_i32_e32 v8, 2, v8
	v_add_u32_e32 v8, v8, v21
	v_cndmask_b32_e64 v19, 0, 1, vcc
	v_cmp_ne_u32_e32 vcc, v7, v8
	v_lshrrev_b32_e32 v8, 31, v1
	v_ashrrev_i32_e32 v1, 2, v1
	v_add_u32_e32 v1, v1, v8
	v_lshrrev_b32_e32 v8, 31, v3
	v_ashrrev_i32_e32 v3, 2, v3
	v_add_u32_e32 v3, v3, v8
	v_cndmask_b32_e64 v7, 0, 1, vcc
	v_cmp_ne_u32_e32 vcc, v1, v3
	v_cndmask_b32_e64 v1, 0, 1, vcc
	v_cmp_ne_u32_e32 vcc, v11, v12
	;; [unrolled: 2-line block ×4, first 2 shown]
	v_addc_co_u32_e32 v3, vcc, v3, v8, vcc
	v_add_co_u32_e32 v3, vcc, v3, v6
	v_addc_co_u32_e64 v6, s[0:1], 0, 0, vcc
	v_add_co_u32_e32 v3, vcc, v3, v10
	v_addc_co_u32_e32 v6, vcc, 0, v6, vcc
	v_add_co_u32_e32 v2, vcc, v3, v2
	v_addc_co_u32_e32 v3, vcc, 0, v6, vcc
	;; [unrolled: 2-line block ×12, first 2 shown]
	s_nop 0
	v_mov_b32_dpp v4, v1 quad_perm:[1,0,3,2] row_mask:0xf bank_mask:0xf bound_ctrl:1
	v_add_co_u32_e32 v1, vcc, v1, v4
	v_addc_co_u32_e32 v2, vcc, 0, v2, vcc
	v_mov_b32_dpp v5, v22 quad_perm:[1,0,3,2] row_mask:0xf bank_mask:0xf bound_ctrl:1
	v_add_co_u32_e32 v4, vcc, 0, v1
	v_addc_co_u32_e32 v2, vcc, v5, v2, vcc
	v_mov_b32_dpp v1, v1 quad_perm:[2,3,0,1] row_mask:0xf bank_mask:0xf bound_ctrl:1
	v_add_co_u32_e32 v1, vcc, v4, v1
	v_mov_b32_dpp v5, v2 quad_perm:[2,3,0,1] row_mask:0xf bank_mask:0xf bound_ctrl:1
	v_addc_co_u32_e32 v2, vcc, 0, v2, vcc
	v_add_co_u32_e32 v4, vcc, 0, v1
	v_addc_co_u32_e32 v2, vcc, v2, v5, vcc
	v_mov_b32_dpp v1, v1 row_ror:4 row_mask:0xf bank_mask:0xf bound_ctrl:1
	v_add_co_u32_e32 v1, vcc, v4, v1
	v_mov_b32_dpp v5, v2 row_ror:4 row_mask:0xf bank_mask:0xf bound_ctrl:1
	v_addc_co_u32_e32 v2, vcc, 0, v2, vcc
	v_add_co_u32_e32 v4, vcc, 0, v1
	v_addc_co_u32_e32 v2, vcc, v2, v5, vcc
	v_mov_b32_dpp v1, v1 row_ror:8 row_mask:0xf bank_mask:0xf bound_ctrl:1
	v_add_co_u32_e32 v1, vcc, v4, v1
	v_mov_b32_dpp v5, v2 row_ror:8 row_mask:0xf bank_mask:0xf bound_ctrl:1
	v_addc_co_u32_e32 v2, vcc, 0, v2, vcc
	v_add_co_u32_e32 v4, vcc, 0, v1
	v_addc_co_u32_e32 v2, vcc, v2, v5, vcc
	v_mov_b32_dpp v1, v1 row_bcast:15 row_mask:0xf bank_mask:0xf bound_ctrl:1
	v_add_co_u32_e32 v1, vcc, v4, v1
	v_mov_b32_dpp v5, v2 row_bcast:15 row_mask:0xf bank_mask:0xf bound_ctrl:1
	v_addc_co_u32_e32 v2, vcc, 0, v2, vcc
	v_add_co_u32_e32 v4, vcc, 0, v1
	v_addc_co_u32_e32 v2, vcc, v2, v5, vcc
	v_mov_b32_dpp v1, v1 row_bcast:31 row_mask:0xf bank_mask:0xf bound_ctrl:1
	v_mbcnt_lo_u32_b32 v3, -1, 0
	v_add_co_u32_e32 v1, vcc, v4, v1
	v_mbcnt_hi_u32_b32 v3, -1, v3
	v_addc_co_u32_e32 v4, vcc, 0, v2, vcc
	v_cmp_eq_u32_e32 vcc, 0, v3
	s_nop 0
	v_add_u32_dpp v2, v2, v4 row_bcast:31 row_mask:0xf bank_mask:0xf bound_ctrl:1
	v_lshlrev_b32_e32 v4, 2, v3
	v_or_b32_e32 v5, 0xfc, v4
	ds_bpermute_b32 v1, v5, v1
	ds_bpermute_b32 v2, v5, v2
	s_and_saveexec_b64 s[0:1], vcc
	s_cbranch_execz .LBB954_7
; %bb.6:
	v_lshrrev_b32_e32 v5, 3, v0
	v_and_b32_e32 v5, 24, v5
	s_waitcnt lgkmcnt(0)
	ds_write_b64 v5, v[1:2]
.LBB954_7:
	s_or_b64 exec, exec, s[0:1]
	v_cmp_gt_u32_e32 vcc, 64, v0
	s_waitcnt lgkmcnt(0)
	s_barrier
	s_and_saveexec_b64 s[0:1], vcc
	s_cbranch_execz .LBB954_9
; %bb.8:
	v_and_b32_e32 v5, 3, v3
	v_lshlrev_b32_e32 v1, 3, v5
	ds_read_b64 v[1:2], v1
	v_cmp_ne_u32_e32 vcc, 3, v5
	v_addc_co_u32_e32 v3, vcc, 0, v3, vcc
	v_lshlrev_b32_e32 v3, 2, v3
	s_waitcnt lgkmcnt(0)
	ds_bpermute_b32 v5, v3, v1
	ds_bpermute_b32 v3, v3, v2
	v_or_b32_e32 v4, 8, v4
	s_waitcnt lgkmcnt(1)
	v_add_co_u32_e32 v1, vcc, v1, v5
	v_addc_co_u32_e32 v2, vcc, 0, v2, vcc
	ds_bpermute_b32 v5, v4, v1
	v_add_co_u32_e32 v1, vcc, 0, v1
	s_waitcnt lgkmcnt(1)
	v_addc_co_u32_e32 v2, vcc, v3, v2, vcc
	ds_bpermute_b32 v3, v4, v2
	s_waitcnt lgkmcnt(1)
	v_add_co_u32_e32 v1, vcc, v1, v5
	v_addc_co_u32_e32 v2, vcc, 0, v2, vcc
	v_add_co_u32_e32 v1, vcc, 0, v1
	s_waitcnt lgkmcnt(0)
	v_addc_co_u32_e32 v2, vcc, v2, v3, vcc
.LBB954_9:
	s_or_b64 exec, exec, s[0:1]
	s_mov_b64 s[0:1], 0
	s_branch .LBB954_22
.LBB954_10:
	s_mov_b64 s[0:1], 0
                                        ; implicit-def: $vgpr1_vgpr2
                                        ; implicit-def: $vgpr3_vgpr4
	s_cbranch_execnz .LBB954_145
	s_branch .LBB954_206
.LBB954_11:
	s_mov_b64 s[0:1], 0
                                        ; implicit-def: $vgpr1_vgpr2
                                        ; implicit-def: $vgpr3_vgpr4
	s_cbranch_execnz .LBB954_110
	s_branch .LBB954_144
.LBB954_12:
	s_mov_b64 s[8:9], -1
	s_mov_b64 s[0:1], 0
                                        ; implicit-def: $vgpr1_vgpr2
                                        ; implicit-def: $vgpr3_vgpr4
.LBB954_13:
	s_and_b64 vcc, exec, s[8:9]
	s_cbranch_vccz .LBB954_109
.LBB954_14:
	s_cmp_eq_u32 s30, 8
                                        ; implicit-def: $vgpr1_vgpr2
                                        ; implicit-def: $vgpr3_vgpr4
	s_cbranch_scc0 .LBB954_109
; %bb.15:
	s_mov_b32 s7, 0
	s_lshl_b32 s0, s6, 11
	s_mov_b32 s1, s7
	s_lshr_b64 s[2:3], s[20:21], 11
	s_lshl_b64 s[8:9], s[0:1], 3
	s_add_u32 s16, s24, s8
	s_addc_u32 s17, s25, s9
	s_add_u32 s18, s26, s8
	s_addc_u32 s19, s27, s9
	s_cmp_lg_u64 s[2:3], s[6:7]
	s_cbranch_scc0 .LBB954_73
; %bb.16:
	v_lshlrev_b32_e32 v1, 3, v0
	v_mov_b32_e32 v2, s17
	v_add_co_u32_e32 v9, vcc, s16, v1
	v_addc_co_u32_e32 v10, vcc, 0, v2, vcc
	v_mov_b32_e32 v2, s19
	v_add_co_u32_e32 v11, vcc, s18, v1
	v_addc_co_u32_e32 v12, vcc, 0, v2, vcc
	s_movk_i32 s1, 0x1000
	global_load_dword v13, v1, s[16:17]
	global_load_dword v14, v1, s[18:19]
	global_load_dword v15, v1, s[18:19] offset:2048
	global_load_dword v16, v1, s[16:17] offset:2048
	v_add_co_u32_e32 v1, vcc, s1, v9
	v_addc_co_u32_e32 v2, vcc, 0, v10, vcc
	s_movk_i32 s2, 0x2000
	v_add_co_u32_e32 v3, vcc, s2, v9
	v_addc_co_u32_e32 v4, vcc, 0, v10, vcc
	v_add_co_u32_e32 v5, vcc, s1, v11
	v_addc_co_u32_e32 v6, vcc, 0, v12, vcc
	;; [unrolled: 2-line block ×3, first 2 shown]
	global_load_dword v17, v[3:4], off offset:-4096
	global_load_dword v18, v[7:8], off offset:-4096
	global_load_dword v19, v[1:2], off offset:2048
	global_load_dword v20, v[5:6], off offset:2048
	global_load_dword v21, v[3:4], off
	global_load_dword v22, v[7:8], off
	global_load_dword v23, v[3:4], off offset:2048
	s_movk_i32 s1, 0x3000
	global_load_dword v5, v[7:8], off offset:2048
	v_add_co_u32_e32 v1, vcc, s1, v9
	v_addc_co_u32_e32 v2, vcc, 0, v10, vcc
	global_load_dword v6, v[1:2], off
	v_add_co_u32_e32 v3, vcc, s1, v11
	v_addc_co_u32_e32 v4, vcc, 0, v12, vcc
	global_load_dword v7, v[3:4], off
	global_load_dword v8, v[1:2], off offset:2048
	global_load_dword v9, v[3:4], off offset:2048
	s_mov_b32 s1, 0x66666667
	v_mov_b32_e32 v1, 0
	s_waitcnt vmcnt(15)
	v_mul_hi_i32 v2, v13, s1
	s_waitcnt vmcnt(14)
	v_mul_hi_i32 v3, v14, s1
	;; [unrolled: 2-line block ×4, first 2 shown]
	v_lshrrev_b32_e32 v16, 31, v2
	v_ashrrev_i32_e32 v2, 2, v2
	v_add_u32_e32 v2, v2, v16
	v_mov_b32_dpp v1, v1 quad_perm:[1,0,3,2] row_mask:0xf bank_mask:0xf bound_ctrl:1
	s_waitcnt vmcnt(10)
	v_mul_hi_i32 v12, v18, s1
	s_waitcnt vmcnt(9)
	v_mul_hi_i32 v13, v19, s1
	;; [unrolled: 2-line block ×3, first 2 shown]
	v_lshrrev_b32_e32 v18, 31, v4
	v_ashrrev_i32_e32 v4, 2, v4
	v_lshrrev_b32_e32 v19, 31, v10
	v_ashrrev_i32_e32 v10, 2, v10
	v_mul_hi_i32 v11, v17, s1
	v_add_u32_e32 v4, v4, v18
	v_add_u32_e32 v10, v10, v19
	v_lshrrev_b32_e32 v18, 31, v13
	v_ashrrev_i32_e32 v13, 2, v13
	v_lshrrev_b32_e32 v19, 31, v14
	v_ashrrev_i32_e32 v14, 2, v14
	s_waitcnt vmcnt(7)
	v_mul_hi_i32 v15, v21, s1
	v_add_u32_e32 v13, v13, v18
	v_add_u32_e32 v14, v14, v19
	v_cmp_ne_u32_e32 vcc, v13, v14
	s_waitcnt vmcnt(6)
	v_mul_hi_i32 v14, v22, s1
	v_lshrrev_b32_e32 v16, 31, v11
	v_ashrrev_i32_e32 v11, 2, v11
	v_add_u32_e32 v11, v11, v16
	v_lshrrev_b32_e32 v16, 31, v15
	v_ashrrev_i32_e32 v15, 2, v15
	v_add_u32_e32 v15, v15, v16
	;; [unrolled: 3-line block ×3, first 2 shown]
	s_waitcnt vmcnt(5)
	v_mul_hi_i32 v16, v23, s1
	s_waitcnt vmcnt(4)
	v_mul_hi_i32 v5, v5, s1
	;; [unrolled: 2-line block ×3, first 2 shown]
	v_cndmask_b32_e64 v13, 0, 1, vcc
	v_cmp_ne_u32_e32 vcc, v15, v14
	v_lshrrev_b32_e32 v15, 31, v16
	v_ashrrev_i32_e32 v16, 2, v16
	s_waitcnt vmcnt(2)
	v_mul_hi_i32 v7, v7, s1
	v_add_u32_e32 v15, v16, v15
	v_lshrrev_b32_e32 v16, 31, v5
	v_ashrrev_i32_e32 v5, 2, v5
	v_add_u32_e32 v5, v5, v16
	v_cndmask_b32_e64 v14, 0, 1, vcc
	v_cmp_ne_u32_e32 vcc, v15, v5
	v_lshrrev_b32_e32 v15, 31, v6
	v_ashrrev_i32_e32 v6, 2, v6
	v_add_u32_e32 v6, v6, v15
	v_lshrrev_b32_e32 v15, 31, v7
	v_ashrrev_i32_e32 v7, 2, v7
	v_add_u32_e32 v7, v7, v15
	s_waitcnt vmcnt(1)
	v_mul_hi_i32 v8, v8, s1
	v_cndmask_b32_e64 v5, 0, 1, vcc
	v_cmp_ne_u32_e32 vcc, v6, v7
	s_waitcnt vmcnt(0)
	v_mul_hi_i32 v7, v9, s1
	v_lshrrev_b32_e32 v9, 31, v8
	v_ashrrev_i32_e32 v8, 2, v8
	v_add_u32_e32 v8, v8, v9
	v_lshrrev_b32_e32 v9, 31, v7
	v_ashrrev_i32_e32 v7, 2, v7
	v_add_u32_e32 v7, v7, v9
	v_lshrrev_b32_e32 v17, 31, v3
	v_ashrrev_i32_e32 v3, 2, v3
	v_cndmask_b32_e64 v6, 0, 1, vcc
	v_cmp_ne_u32_e32 vcc, v8, v7
	v_add_u32_e32 v3, v3, v17
	v_lshrrev_b32_e32 v17, 31, v12
	v_ashrrev_i32_e32 v12, 2, v12
	v_cndmask_b32_e64 v7, 0, 1, vcc
	v_cmp_ne_u32_e32 vcc, v4, v10
	v_add_u32_e32 v12, v12, v17
	v_cndmask_b32_e64 v4, 0, 1, vcc
	v_cmp_ne_u32_e32 vcc, v2, v3
	v_cndmask_b32_e64 v2, 0, 1, vcc
	v_cmp_ne_u32_e32 vcc, v11, v12
	v_addc_co_u32_e32 v2, vcc, v4, v2, vcc
	v_add_co_u32_e32 v2, vcc, v2, v13
	v_addc_co_u32_e64 v3, s[2:3], 0, 0, vcc
	v_add_co_u32_e32 v2, vcc, v2, v14
	v_addc_co_u32_e32 v3, vcc, 0, v3, vcc
	v_add_co_u32_e32 v2, vcc, v2, v5
	v_addc_co_u32_e32 v3, vcc, 0, v3, vcc
	;; [unrolled: 2-line block ×4, first 2 shown]
	s_nop 0
	v_mov_b32_dpp v5, v2 quad_perm:[1,0,3,2] row_mask:0xf bank_mask:0xf bound_ctrl:1
	v_add_co_u32_e32 v2, vcc, v2, v5
	v_addc_co_u32_e32 v4, vcc, 0, v4, vcc
	v_add_co_u32_e32 v5, vcc, 0, v2
	v_addc_co_u32_e32 v1, vcc, v1, v4, vcc
	v_mov_b32_dpp v2, v2 quad_perm:[2,3,0,1] row_mask:0xf bank_mask:0xf bound_ctrl:1
	v_add_co_u32_e32 v2, vcc, v5, v2
	v_mov_b32_dpp v4, v1 quad_perm:[2,3,0,1] row_mask:0xf bank_mask:0xf bound_ctrl:1
	v_addc_co_u32_e32 v1, vcc, 0, v1, vcc
	v_add_co_u32_e32 v5, vcc, 0, v2
	v_addc_co_u32_e32 v1, vcc, v1, v4, vcc
	v_mov_b32_dpp v2, v2 row_ror:4 row_mask:0xf bank_mask:0xf bound_ctrl:1
	v_add_co_u32_e32 v2, vcc, v5, v2
	v_mov_b32_dpp v4, v1 row_ror:4 row_mask:0xf bank_mask:0xf bound_ctrl:1
	v_addc_co_u32_e32 v1, vcc, 0, v1, vcc
	v_add_co_u32_e32 v5, vcc, 0, v2
	v_addc_co_u32_e32 v1, vcc, v1, v4, vcc
	v_mov_b32_dpp v2, v2 row_ror:8 row_mask:0xf bank_mask:0xf bound_ctrl:1
	v_add_co_u32_e32 v2, vcc, v5, v2
	v_mov_b32_dpp v4, v1 row_ror:8 row_mask:0xf bank_mask:0xf bound_ctrl:1
	v_addc_co_u32_e32 v1, vcc, 0, v1, vcc
	v_add_co_u32_e32 v5, vcc, 0, v2
	v_addc_co_u32_e32 v1, vcc, v1, v4, vcc
	v_mov_b32_dpp v2, v2 row_bcast:15 row_mask:0xf bank_mask:0xf bound_ctrl:1
	v_add_co_u32_e32 v2, vcc, v5, v2
	v_mov_b32_dpp v4, v1 row_bcast:15 row_mask:0xf bank_mask:0xf bound_ctrl:1
	v_addc_co_u32_e32 v1, vcc, 0, v1, vcc
	v_add_co_u32_e32 v5, vcc, 0, v2
	v_addc_co_u32_e32 v1, vcc, v1, v4, vcc
	v_mov_b32_dpp v2, v2 row_bcast:31 row_mask:0xf bank_mask:0xf bound_ctrl:1
	v_mbcnt_lo_u32_b32 v3, -1, 0
	v_add_co_u32_e32 v2, vcc, v5, v2
	v_mbcnt_hi_u32_b32 v3, -1, v3
	v_addc_co_u32_e32 v4, vcc, 0, v1, vcc
	v_cmp_eq_u32_e32 vcc, 0, v3
	s_nop 0
	v_add_u32_dpp v5, v1, v4 row_bcast:31 row_mask:0xf bank_mask:0xf bound_ctrl:1
	v_lshlrev_b32_e32 v4, 2, v3
	v_or_b32_e32 v6, 0xfc, v4
	ds_bpermute_b32 v1, v6, v2
	ds_bpermute_b32 v2, v6, v5
	s_and_saveexec_b64 s[2:3], vcc
	s_cbranch_execz .LBB954_18
; %bb.17:
	v_lshrrev_b32_e32 v5, 3, v0
	v_and_b32_e32 v5, 24, v5
	s_waitcnt lgkmcnt(0)
	ds_write_b64 v5, v[1:2] offset:128
.LBB954_18:
	s_or_b64 exec, exec, s[2:3]
	v_cmp_gt_u32_e32 vcc, 64, v0
	s_waitcnt lgkmcnt(0)
	s_barrier
	s_and_saveexec_b64 s[2:3], vcc
	s_cbranch_execz .LBB954_20
; %bb.19:
	v_and_b32_e32 v5, 3, v3
	v_lshlrev_b32_e32 v1, 3, v5
	ds_read_b64 v[1:2], v1 offset:128
	v_cmp_ne_u32_e32 vcc, 3, v5
	v_addc_co_u32_e32 v3, vcc, 0, v3, vcc
	v_lshlrev_b32_e32 v3, 2, v3
	s_waitcnt lgkmcnt(0)
	ds_bpermute_b32 v5, v3, v1
	ds_bpermute_b32 v3, v3, v2
	v_or_b32_e32 v4, 8, v4
	s_waitcnt lgkmcnt(1)
	v_add_co_u32_e32 v1, vcc, v1, v5
	v_addc_co_u32_e32 v2, vcc, 0, v2, vcc
	ds_bpermute_b32 v5, v4, v1
	v_add_co_u32_e32 v1, vcc, 0, v1
	s_waitcnt lgkmcnt(1)
	v_addc_co_u32_e32 v2, vcc, v3, v2, vcc
	ds_bpermute_b32 v3, v4, v2
	s_waitcnt lgkmcnt(1)
	v_add_co_u32_e32 v1, vcc, v1, v5
	v_addc_co_u32_e32 v2, vcc, 0, v2, vcc
	v_add_co_u32_e32 v1, vcc, 0, v1
	s_waitcnt lgkmcnt(0)
	v_addc_co_u32_e32 v2, vcc, v2, v3, vcc
.LBB954_20:
	s_or_b64 exec, exec, s[2:3]
	s_mov_b64 s[2:3], 0
	s_branch .LBB954_74
.LBB954_21:
	s_mov_b64 s[0:1], -1
                                        ; implicit-def: $vgpr1_vgpr2
.LBB954_22:
	s_and_b64 vcc, exec, s[0:1]
	s_cbranch_vccz .LBB954_72
; %bb.23:
	s_sub_i32 s2, s20, s14
	v_cmp_gt_u32_e32 vcc, s2, v0
                                        ; implicit-def: $vgpr1_vgpr2
	s_and_saveexec_b64 s[0:1], vcc
	s_cbranch_execz .LBB954_25
; %bb.24:
	v_lshlrev_b32_e32 v1, 3, v0
	global_load_dword v2, v1, s[10:11]
	global_load_dword v3, v1, s[12:13]
	s_mov_b32 s3, 0x66666667
	s_waitcnt vmcnt(1)
	v_mul_hi_i32 v1, v2, s3
	s_waitcnt vmcnt(0)
	v_mul_hi_i32 v2, v3, s3
	s_mov_b32 s3, 0
	v_lshrrev_b32_e32 v3, 31, v1
	v_ashrrev_i32_e32 v1, 2, v1
	v_lshrrev_b32_e32 v4, 31, v2
	v_ashrrev_i32_e32 v2, 2, v2
	v_add_u32_e32 v1, v1, v3
	v_add_u32_e32 v2, v2, v4
	v_cmp_ne_u32_e32 vcc, v1, v2
	v_cndmask_b32_e64 v1, 0, 1, vcc
	v_mov_b32_e32 v2, s3
.LBB954_25:
	s_or_b64 exec, exec, s[0:1]
	v_or_b32_e32 v7, 0x100, v0
	v_mov_b32_e32 v3, 0
	v_mov_b32_e32 v5, 0
	;; [unrolled: 1-line block ×4, first 2 shown]
	v_cmp_gt_u32_e32 vcc, s2, v7
	s_and_saveexec_b64 s[0:1], vcc
	s_cbranch_execz .LBB954_27
; %bb.26:
	v_lshlrev_b32_e32 v5, 3, v0
	global_load_dword v6, v5, s[10:11] offset:2048
	global_load_dword v7, v5, s[12:13] offset:2048
	s_mov_b32 s3, 0x66666667
	s_waitcnt vmcnt(1)
	v_mul_hi_i32 v5, v6, s3
	s_waitcnt vmcnt(0)
	v_mul_hi_i32 v6, v7, s3
	s_mov_b32 s3, 0
	v_lshrrev_b32_e32 v7, 31, v5
	v_ashrrev_i32_e32 v5, 2, v5
	v_lshrrev_b32_e32 v8, 31, v6
	v_ashrrev_i32_e32 v6, 2, v6
	v_add_u32_e32 v5, v5, v7
	v_add_u32_e32 v6, v6, v8
	v_cmp_ne_u32_e32 vcc, v5, v6
	v_cndmask_b32_e64 v5, 0, 1, vcc
	v_mov_b32_e32 v6, s3
.LBB954_27:
	s_or_b64 exec, exec, s[0:1]
	v_or_b32_e32 v7, 0x200, v0
	v_cmp_gt_u32_e32 vcc, s2, v7
	s_and_saveexec_b64 s[0:1], vcc
	s_cbranch_execz .LBB954_29
; %bb.28:
	v_lshlrev_b32_e32 v3, 3, v7
	global_load_dword v4, v3, s[10:11]
	global_load_dword v7, v3, s[12:13]
	s_mov_b32 s3, 0x66666667
	s_waitcnt vmcnt(1)
	v_mul_hi_i32 v3, v4, s3
	s_waitcnt vmcnt(0)
	v_mul_hi_i32 v4, v7, s3
	s_mov_b32 s3, 0
	v_lshrrev_b32_e32 v7, 31, v3
	v_ashrrev_i32_e32 v3, 2, v3
	v_lshrrev_b32_e32 v8, 31, v4
	v_ashrrev_i32_e32 v4, 2, v4
	v_add_u32_e32 v3, v3, v7
	v_add_u32_e32 v4, v4, v8
	v_cmp_ne_u32_e32 vcc, v3, v4
	v_cndmask_b32_e64 v3, 0, 1, vcc
	v_mov_b32_e32 v4, s3
.LBB954_29:
	s_or_b64 exec, exec, s[0:1]
	v_or_b32_e32 v11, 0x300, v0
	v_mov_b32_e32 v7, 0
	v_mov_b32_e32 v9, 0
	v_mov_b32_e32 v8, 0
	v_mov_b32_e32 v10, 0
	v_cmp_gt_u32_e32 vcc, s2, v11
	s_and_saveexec_b64 s[0:1], vcc
	s_cbranch_execz .LBB954_31
; %bb.30:
	v_lshlrev_b32_e32 v9, 3, v11
	global_load_dword v10, v9, s[10:11]
	global_load_dword v11, v9, s[12:13]
	s_mov_b32 s3, 0x66666667
	s_waitcnt vmcnt(1)
	v_mul_hi_i32 v9, v10, s3
	s_waitcnt vmcnt(0)
	v_mul_hi_i32 v10, v11, s3
	s_mov_b32 s3, 0
	v_lshrrev_b32_e32 v11, 31, v9
	v_ashrrev_i32_e32 v9, 2, v9
	v_lshrrev_b32_e32 v12, 31, v10
	v_ashrrev_i32_e32 v10, 2, v10
	v_add_u32_e32 v9, v9, v11
	v_add_u32_e32 v10, v10, v12
	v_cmp_ne_u32_e32 vcc, v9, v10
	v_cndmask_b32_e64 v9, 0, 1, vcc
	v_mov_b32_e32 v10, s3
.LBB954_31:
	s_or_b64 exec, exec, s[0:1]
	v_or_b32_e32 v11, 0x400, v0
	v_cmp_gt_u32_e32 vcc, s2, v11
	s_and_saveexec_b64 s[0:1], vcc
	s_cbranch_execz .LBB954_33
; %bb.32:
	v_lshlrev_b32_e32 v7, 3, v11
	global_load_dword v8, v7, s[10:11]
	global_load_dword v11, v7, s[12:13]
	s_mov_b32 s3, 0x66666667
	s_waitcnt vmcnt(1)
	v_mul_hi_i32 v7, v8, s3
	s_waitcnt vmcnt(0)
	v_mul_hi_i32 v8, v11, s3
	s_mov_b32 s3, 0
	v_lshrrev_b32_e32 v11, 31, v7
	v_ashrrev_i32_e32 v7, 2, v7
	v_lshrrev_b32_e32 v12, 31, v8
	v_ashrrev_i32_e32 v8, 2, v8
	v_add_u32_e32 v7, v7, v11
	v_add_u32_e32 v8, v8, v12
	v_cmp_ne_u32_e32 vcc, v7, v8
	v_cndmask_b32_e64 v7, 0, 1, vcc
	v_mov_b32_e32 v8, s3
.LBB954_33:
	s_or_b64 exec, exec, s[0:1]
	v_or_b32_e32 v15, 0x500, v0
	v_mov_b32_e32 v11, 0
	v_mov_b32_e32 v13, 0
	v_mov_b32_e32 v12, 0
	v_mov_b32_e32 v14, 0
	v_cmp_gt_u32_e32 vcc, s2, v15
	s_and_saveexec_b64 s[0:1], vcc
	s_cbranch_execz .LBB954_35
; %bb.34:
	v_lshlrev_b32_e32 v13, 3, v15
	global_load_dword v14, v13, s[10:11]
	global_load_dword v15, v13, s[12:13]
	s_mov_b32 s3, 0x66666667
	s_waitcnt vmcnt(1)
	v_mul_hi_i32 v13, v14, s3
	s_waitcnt vmcnt(0)
	v_mul_hi_i32 v14, v15, s3
	s_mov_b32 s3, 0
	v_lshrrev_b32_e32 v15, 31, v13
	v_ashrrev_i32_e32 v13, 2, v13
	v_lshrrev_b32_e32 v16, 31, v14
	v_ashrrev_i32_e32 v14, 2, v14
	v_add_u32_e32 v13, v13, v15
	v_add_u32_e32 v14, v14, v16
	v_cmp_ne_u32_e32 vcc, v13, v14
	v_cndmask_b32_e64 v13, 0, 1, vcc
	v_mov_b32_e32 v14, s3
.LBB954_35:
	;; [unrolled: 54-line block ×6, first 2 shown]
	s_or_b64 exec, exec, s[0:1]
	v_or_b32_e32 v31, 0xe00, v0
	v_cmp_gt_u32_e32 vcc, s2, v31
	s_and_saveexec_b64 s[0:1], vcc
	s_cbranch_execz .LBB954_53
; %bb.52:
	v_lshlrev_b32_e32 v27, 3, v31
	global_load_dword v28, v27, s[10:11]
	global_load_dword v31, v27, s[12:13]
	s_mov_b32 s3, 0x66666667
	s_waitcnt vmcnt(1)
	v_mul_hi_i32 v27, v28, s3
	s_waitcnt vmcnt(0)
	v_mul_hi_i32 v28, v31, s3
	s_mov_b32 s3, 0
	v_lshrrev_b32_e32 v31, 31, v27
	v_ashrrev_i32_e32 v27, 2, v27
	v_lshrrev_b32_e32 v32, 31, v28
	v_ashrrev_i32_e32 v28, 2, v28
	v_add_u32_e32 v27, v27, v31
	v_add_u32_e32 v28, v28, v32
	v_cmp_ne_u32_e32 vcc, v27, v28
	v_cndmask_b32_e64 v27, 0, 1, vcc
	v_mov_b32_e32 v28, s3
.LBB954_53:
	s_or_b64 exec, exec, s[0:1]
	v_or_b32_e32 v33, 0xf00, v0
	v_mov_b32_e32 v31, 0
	v_mov_b32_e32 v32, 0
	v_cmp_gt_u32_e32 vcc, s2, v33
	s_and_saveexec_b64 s[0:1], vcc
	s_cbranch_execz .LBB954_55
; %bb.54:
	v_lshlrev_b32_e32 v31, 3, v33
	global_load_dword v32, v31, s[10:11]
	global_load_dword v33, v31, s[12:13]
	s_mov_b32 s3, 0x66666667
	s_waitcnt vmcnt(1)
	v_mul_hi_i32 v31, v32, s3
	s_waitcnt vmcnt(0)
	v_mul_hi_i32 v32, v33, s3
	s_mov_b32 s3, 0
	v_lshrrev_b32_e32 v33, 31, v31
	v_ashrrev_i32_e32 v31, 2, v31
	v_lshrrev_b32_e32 v34, 31, v32
	v_ashrrev_i32_e32 v32, 2, v32
	v_add_u32_e32 v31, v31, v33
	v_add_u32_e32 v32, v32, v34
	v_cmp_ne_u32_e32 vcc, v31, v32
	v_cndmask_b32_e64 v31, 0, 1, vcc
	v_mov_b32_e32 v32, s3
.LBB954_55:
	s_or_b64 exec, exec, s[0:1]
	v_add_co_u32_e32 v1, vcc, v5, v1
	v_addc_co_u32_e32 v2, vcc, v6, v2, vcc
	v_add_co_u32_e32 v1, vcc, v1, v3
	v_addc_co_u32_e32 v2, vcc, v2, v4, vcc
	;; [unrolled: 2-line block ×14, first 2 shown]
	v_mbcnt_lo_u32_b32 v3, -1, 0
	v_add_co_u32_e32 v1, vcc, v1, v31
	v_mbcnt_hi_u32_b32 v3, -1, v3
	v_addc_co_u32_e32 v2, vcc, v2, v32, vcc
	v_and_b32_e32 v4, 63, v3
	v_cmp_ne_u32_e32 vcc, 63, v4
	v_addc_co_u32_e32 v6, vcc, 0, v3, vcc
	v_lshlrev_b32_e32 v6, 2, v6
	ds_bpermute_b32 v8, v6, v1
	ds_bpermute_b32 v7, v6, v2
	s_min_u32 s2, s2, 0x100
	v_and_b32_e32 v5, 0xc0, v0
	v_sub_u32_e64 v5, s2, v5 clamp
	v_add_u32_e32 v6, 1, v4
	v_cmp_lt_u32_e32 vcc, v6, v5
	v_mov_b32_e32 v6, v1
	s_and_saveexec_b64 s[0:1], vcc
	s_cbranch_execz .LBB954_57
; %bb.56:
	s_waitcnt lgkmcnt(1)
	v_add_co_u32_e32 v6, vcc, v1, v8
	v_addc_co_u32_e32 v2, vcc, 0, v2, vcc
	v_add_co_u32_e32 v1, vcc, 0, v6
	s_waitcnt lgkmcnt(0)
	v_addc_co_u32_e32 v2, vcc, v7, v2, vcc
.LBB954_57:
	s_or_b64 exec, exec, s[0:1]
	v_cmp_gt_u32_e32 vcc, 62, v4
	s_waitcnt lgkmcnt(0)
	v_cndmask_b32_e64 v7, 0, 2, vcc
	v_add_lshl_u32 v7, v7, v3, 2
	ds_bpermute_b32 v8, v7, v6
	ds_bpermute_b32 v7, v7, v2
	v_add_u32_e32 v9, 2, v4
	v_cmp_lt_u32_e32 vcc, v9, v5
	s_and_saveexec_b64 s[0:1], vcc
	s_cbranch_execz .LBB954_59
; %bb.58:
	s_waitcnt lgkmcnt(1)
	v_add_co_u32_e32 v6, vcc, v1, v8
	v_addc_co_u32_e32 v2, vcc, 0, v2, vcc
	v_add_co_u32_e32 v1, vcc, 0, v6
	s_waitcnt lgkmcnt(0)
	v_addc_co_u32_e32 v2, vcc, v7, v2, vcc
.LBB954_59:
	s_or_b64 exec, exec, s[0:1]
	v_cmp_gt_u32_e32 vcc, 60, v4
	s_waitcnt lgkmcnt(0)
	v_cndmask_b32_e64 v7, 0, 4, vcc
	v_add_lshl_u32 v7, v7, v3, 2
	ds_bpermute_b32 v8, v7, v6
	ds_bpermute_b32 v7, v7, v2
	v_add_u32_e32 v9, 4, v4
	v_cmp_lt_u32_e32 vcc, v9, v5
	;; [unrolled: 19-line block ×4, first 2 shown]
	s_and_saveexec_b64 s[0:1], vcc
	s_cbranch_execz .LBB954_65
; %bb.64:
	s_waitcnt lgkmcnt(1)
	v_add_co_u32_e32 v6, vcc, v1, v8
	v_addc_co_u32_e32 v2, vcc, 0, v2, vcc
	v_add_co_u32_e32 v1, vcc, 0, v6
	s_waitcnt lgkmcnt(0)
	v_addc_co_u32_e32 v2, vcc, v7, v2, vcc
.LBB954_65:
	s_or_b64 exec, exec, s[0:1]
	s_waitcnt lgkmcnt(0)
	v_lshlrev_b32_e32 v7, 2, v3
	v_or_b32_e32 v8, 0x80, v7
	ds_bpermute_b32 v6, v8, v6
	ds_bpermute_b32 v8, v8, v2
	v_add_u32_e32 v4, 32, v4
	s_waitcnt lgkmcnt(1)
	v_add_co_u32_e32 v6, vcc, v1, v6
	v_addc_co_u32_e32 v9, vcc, 0, v2, vcc
	v_add_co_u32_e32 v6, vcc, 0, v6
	s_waitcnt lgkmcnt(0)
	v_addc_co_u32_e32 v8, vcc, v9, v8, vcc
	v_cmp_lt_u32_e32 vcc, v4, v5
	v_cndmask_b32_e32 v2, v2, v8, vcc
	v_cndmask_b32_e32 v1, v1, v6, vcc
	v_cmp_eq_u32_e32 vcc, 0, v3
	s_and_saveexec_b64 s[0:1], vcc
; %bb.66:
	v_lshrrev_b32_e32 v4, 3, v0
	v_and_b32_e32 v4, 24, v4
	ds_write_b64 v4, v[1:2] offset:160
; %bb.67:
	s_or_b64 exec, exec, s[0:1]
	v_cmp_gt_u32_e32 vcc, 4, v0
	s_waitcnt lgkmcnt(0)
	s_barrier
	s_and_saveexec_b64 s[0:1], vcc
	s_cbranch_execz .LBB954_71
; %bb.68:
	v_lshlrev_b32_e32 v1, 3, v3
	ds_read_b64 v[1:2], v1 offset:160
	v_and_b32_e32 v4, 3, v3
	v_cmp_ne_u32_e32 vcc, 3, v4
	v_addc_co_u32_e32 v3, vcc, 0, v3, vcc
	v_lshlrev_b32_e32 v3, 2, v3
	s_waitcnt lgkmcnt(0)
	ds_bpermute_b32 v6, v3, v1
	ds_bpermute_b32 v5, v3, v2
	s_add_i32 s2, s2, 63
	s_lshr_b32 s10, s2, 6
	v_add_u32_e32 v3, 1, v4
	v_cmp_gt_u32_e32 vcc, s10, v3
	v_mov_b32_e32 v3, v1
	s_and_saveexec_b64 s[2:3], vcc
	s_cbranch_execz .LBB954_70
; %bb.69:
	s_waitcnt lgkmcnt(1)
	v_add_co_u32_e32 v3, vcc, v1, v6
	v_addc_co_u32_e32 v2, vcc, 0, v2, vcc
	v_add_co_u32_e32 v1, vcc, 0, v3
	s_waitcnt lgkmcnt(0)
	v_addc_co_u32_e32 v2, vcc, v5, v2, vcc
.LBB954_70:
	s_or_b64 exec, exec, s[2:3]
	s_waitcnt lgkmcnt(0)
	v_or_b32_e32 v5, 8, v7
	ds_bpermute_b32 v3, v5, v3
	ds_bpermute_b32 v5, v5, v2
	v_add_u32_e32 v4, 2, v4
	s_waitcnt lgkmcnt(1)
	v_add_co_u32_e32 v3, vcc, v1, v3
	v_addc_co_u32_e32 v6, vcc, 0, v2, vcc
	v_add_co_u32_e32 v3, vcc, 0, v3
	s_waitcnt lgkmcnt(0)
	v_addc_co_u32_e32 v5, vcc, v6, v5, vcc
	v_cmp_gt_u32_e32 vcc, s10, v4
	v_cndmask_b32_e32 v2, v2, v5, vcc
	v_cndmask_b32_e32 v1, v1, v3, vcc
.LBB954_71:
	s_or_b64 exec, exec, s[0:1]
.LBB954_72:
	v_mov_b32_e32 v3, s6
	v_cmp_eq_u32_e64 s[0:1], 0, v0
	v_mov_b32_e32 v4, s7
	s_and_b64 vcc, exec, s[8:9]
	s_cbranch_vccnz .LBB954_14
	s_branch .LBB954_109
.LBB954_73:
	s_mov_b64 s[2:3], -1
                                        ; implicit-def: $vgpr1_vgpr2
.LBB954_74:
	s_and_b64 vcc, exec, s[2:3]
	s_cbranch_vccz .LBB954_108
; %bb.75:
	s_sub_i32 s31, s20, s0
	v_mov_b32_e32 v1, 0
	v_cmp_gt_u32_e32 vcc, s31, v0
	v_mov_b32_e32 v2, v1
	v_mov_b32_e32 v3, v1
	;; [unrolled: 1-line block ×15, first 2 shown]
	s_and_saveexec_b64 s[0:1], vcc
	s_cbranch_execz .LBB954_77
; %bb.76:
	v_mov_b32_e32 v2, v1
	v_mov_b32_e32 v3, v1
	;; [unrolled: 1-line block ×15, first 2 shown]
	v_lshlrev_b32_e32 v1, 3, v0
	global_load_dword v17, v1, s[16:17]
	global_load_dword v18, v1, s[18:19]
	s_mov_b32 s2, 0x66666667
	s_waitcnt vmcnt(1)
	v_mul_hi_i32 v1, v17, s2
	s_waitcnt vmcnt(0)
	v_mul_hi_i32 v17, v18, s2
	v_lshrrev_b32_e32 v18, 31, v1
	v_ashrrev_i32_e32 v1, 2, v1
	v_lshrrev_b32_e32 v19, 31, v17
	v_ashrrev_i32_e32 v17, 2, v17
	v_add_u32_e32 v1, v1, v18
	v_add_u32_e32 v17, v17, v19
	v_cmp_ne_u32_e32 vcc, v1, v17
	v_cndmask_b32_e64 v1, 0, 1, vcc
	v_and_b32_e32 v1, 0xffff, v1
.LBB954_77:
	s_or_b64 exec, exec, s[0:1]
	v_or_b32_e32 v17, 0x100, v0
	v_cmp_gt_u32_e32 vcc, s31, v17
	s_and_saveexec_b64 s[2:3], vcc
	s_cbranch_execz .LBB954_79
; %bb.78:
	v_lshlrev_b32_e32 v3, 3, v0
	global_load_dword v4, v3, s[16:17] offset:2048
	global_load_dword v17, v3, s[18:19] offset:2048
	s_mov_b32 s0, 0x66666667
	s_mov_b32 s8, 0
	s_waitcnt vmcnt(1)
	v_mul_hi_i32 v3, v4, s0
	s_waitcnt vmcnt(0)
	v_mul_hi_i32 v4, v17, s0
	v_lshrrev_b32_e32 v17, 31, v3
	v_ashrrev_i32_e32 v3, 2, v3
	v_lshrrev_b32_e32 v18, 31, v4
	v_ashrrev_i32_e32 v4, 2, v4
	v_add_u32_e32 v3, v3, v17
	v_add_u32_e32 v4, v4, v18
	v_cmp_ne_u32_e64 s[0:1], v3, v4
	v_cndmask_b32_e64 v3, 0, 1, s[0:1]
	v_mov_b32_e32 v4, s8
.LBB954_79:
	s_or_b64 exec, exec, s[2:3]
	v_or_b32_e32 v17, 0x200, v0
	v_cmp_gt_u32_e64 s[0:1], s31, v17
	s_and_saveexec_b64 s[8:9], s[0:1]
	s_cbranch_execz .LBB954_81
; %bb.80:
	v_lshlrev_b32_e32 v5, 3, v17
	global_load_dword v6, v5, s[16:17]
	global_load_dword v17, v5, s[18:19]
	s_mov_b32 s2, 0x66666667
	s_mov_b32 s10, 0
	s_waitcnt vmcnt(1)
	v_mul_hi_i32 v5, v6, s2
	s_waitcnt vmcnt(0)
	v_mul_hi_i32 v6, v17, s2
	v_lshrrev_b32_e32 v17, 31, v5
	v_ashrrev_i32_e32 v5, 2, v5
	v_lshrrev_b32_e32 v18, 31, v6
	v_ashrrev_i32_e32 v6, 2, v6
	v_add_u32_e32 v5, v5, v17
	v_add_u32_e32 v6, v6, v18
	v_cmp_ne_u32_e64 s[2:3], v5, v6
	v_cndmask_b32_e64 v5, 0, 1, s[2:3]
	v_mov_b32_e32 v6, s10
.LBB954_81:
	s_or_b64 exec, exec, s[8:9]
	v_or_b32_e32 v17, 0x300, v0
	v_cmp_gt_u32_e64 s[2:3], s31, v17
	s_and_saveexec_b64 s[10:11], s[2:3]
	s_cbranch_execz .LBB954_83
; %bb.82:
	v_lshlrev_b32_e32 v7, 3, v17
	global_load_dword v8, v7, s[16:17]
	global_load_dword v17, v7, s[18:19]
	s_mov_b32 s8, 0x66666667
	s_mov_b32 s12, 0
	s_waitcnt vmcnt(1)
	v_mul_hi_i32 v7, v8, s8
	s_waitcnt vmcnt(0)
	v_mul_hi_i32 v8, v17, s8
	v_lshrrev_b32_e32 v17, 31, v7
	v_ashrrev_i32_e32 v7, 2, v7
	v_lshrrev_b32_e32 v18, 31, v8
	v_ashrrev_i32_e32 v8, 2, v8
	v_add_u32_e32 v7, v7, v17
	v_add_u32_e32 v8, v8, v18
	v_cmp_ne_u32_e64 s[8:9], v7, v8
	v_cndmask_b32_e64 v7, 0, 1, s[8:9]
	v_mov_b32_e32 v8, s12
.LBB954_83:
	;; [unrolled: 25-line block ×6, first 2 shown]
	s_or_b64 exec, exec, s[28:29]
	v_cndmask_b32_e32 v3, 0, v3, vcc
	v_cndmask_b32_e32 v4, 0, v4, vcc
	v_add_co_u32_e32 v1, vcc, v3, v1
	v_addc_co_u32_e32 v2, vcc, v4, v2, vcc
	v_cndmask_b32_e64 v4, 0, v5, s[0:1]
	v_cndmask_b32_e64 v3, 0, v6, s[0:1]
	v_add_co_u32_e32 v1, vcc, v1, v4
	v_addc_co_u32_e32 v2, vcc, v2, v3, vcc
	v_cndmask_b32_e64 v4, 0, v7, s[2:3]
	v_cndmask_b32_e64 v3, 0, v8, s[2:3]
	;; [unrolled: 4-line block ×6, first 2 shown]
	v_add_co_u32_e32 v1, vcc, v1, v4
	v_addc_co_u32_e32 v2, vcc, v2, v3, vcc
	v_mbcnt_lo_u32_b32 v3, -1, 0
	v_mbcnt_hi_u32_b32 v3, -1, v3
	v_and_b32_e32 v4, 63, v3
	v_cmp_ne_u32_e32 vcc, 63, v4
	v_addc_co_u32_e32 v6, vcc, 0, v3, vcc
	v_lshlrev_b32_e32 v6, 2, v6
	ds_bpermute_b32 v8, v6, v1
	ds_bpermute_b32 v7, v6, v2
	s_min_u32 s2, s31, 0x100
	v_and_b32_e32 v5, 0xc0, v0
	v_sub_u32_e64 v5, s2, v5 clamp
	v_add_u32_e32 v6, 1, v4
	v_cmp_lt_u32_e32 vcc, v6, v5
	v_mov_b32_e32 v6, v1
	s_and_saveexec_b64 s[0:1], vcc
	s_cbranch_execz .LBB954_93
; %bb.92:
	s_waitcnt lgkmcnt(1)
	v_add_co_u32_e32 v6, vcc, v1, v8
	v_addc_co_u32_e32 v2, vcc, 0, v2, vcc
	v_add_co_u32_e32 v1, vcc, 0, v6
	s_waitcnt lgkmcnt(0)
	v_addc_co_u32_e32 v2, vcc, v2, v7, vcc
.LBB954_93:
	s_or_b64 exec, exec, s[0:1]
	v_cmp_gt_u32_e32 vcc, 62, v4
	s_waitcnt lgkmcnt(0)
	v_cndmask_b32_e64 v7, 0, 2, vcc
	v_add_lshl_u32 v7, v7, v3, 2
	ds_bpermute_b32 v8, v7, v6
	ds_bpermute_b32 v7, v7, v2
	v_add_u32_e32 v9, 2, v4
	v_cmp_lt_u32_e32 vcc, v9, v5
	s_and_saveexec_b64 s[0:1], vcc
	s_cbranch_execz .LBB954_95
; %bb.94:
	s_waitcnt lgkmcnt(1)
	v_add_co_u32_e32 v6, vcc, v1, v8
	v_addc_co_u32_e32 v2, vcc, 0, v2, vcc
	v_add_co_u32_e32 v1, vcc, 0, v6
	s_waitcnt lgkmcnt(0)
	v_addc_co_u32_e32 v2, vcc, v7, v2, vcc
.LBB954_95:
	s_or_b64 exec, exec, s[0:1]
	v_cmp_gt_u32_e32 vcc, 60, v4
	s_waitcnt lgkmcnt(0)
	v_cndmask_b32_e64 v7, 0, 4, vcc
	v_add_lshl_u32 v7, v7, v3, 2
	ds_bpermute_b32 v8, v7, v6
	ds_bpermute_b32 v7, v7, v2
	v_add_u32_e32 v9, 4, v4
	v_cmp_lt_u32_e32 vcc, v9, v5
	;; [unrolled: 19-line block ×4, first 2 shown]
	s_and_saveexec_b64 s[0:1], vcc
	s_cbranch_execz .LBB954_101
; %bb.100:
	s_waitcnt lgkmcnt(1)
	v_add_co_u32_e32 v6, vcc, v1, v8
	v_addc_co_u32_e32 v2, vcc, 0, v2, vcc
	v_add_co_u32_e32 v1, vcc, 0, v6
	s_waitcnt lgkmcnt(0)
	v_addc_co_u32_e32 v2, vcc, v7, v2, vcc
.LBB954_101:
	s_or_b64 exec, exec, s[0:1]
	s_waitcnt lgkmcnt(0)
	v_lshlrev_b32_e32 v7, 2, v3
	v_or_b32_e32 v8, 0x80, v7
	ds_bpermute_b32 v6, v8, v6
	ds_bpermute_b32 v8, v8, v2
	v_add_u32_e32 v4, 32, v4
	s_waitcnt lgkmcnt(1)
	v_add_co_u32_e32 v6, vcc, v1, v6
	v_addc_co_u32_e32 v9, vcc, 0, v2, vcc
	v_add_co_u32_e32 v6, vcc, 0, v6
	s_waitcnt lgkmcnt(0)
	v_addc_co_u32_e32 v8, vcc, v9, v8, vcc
	v_cmp_lt_u32_e32 vcc, v4, v5
	v_cndmask_b32_e32 v2, v2, v8, vcc
	v_cndmask_b32_e32 v1, v1, v6, vcc
	v_cmp_eq_u32_e32 vcc, 0, v3
	s_and_saveexec_b64 s[0:1], vcc
; %bb.102:
	v_lshrrev_b32_e32 v4, 3, v0
	v_and_b32_e32 v4, 24, v4
	ds_write_b64 v4, v[1:2] offset:160
; %bb.103:
	s_or_b64 exec, exec, s[0:1]
	v_cmp_gt_u32_e32 vcc, 4, v0
	s_waitcnt lgkmcnt(0)
	s_barrier
	s_and_saveexec_b64 s[0:1], vcc
	s_cbranch_execz .LBB954_107
; %bb.104:
	v_lshlrev_b32_e32 v1, 3, v3
	ds_read_b64 v[1:2], v1 offset:160
	v_and_b32_e32 v4, 3, v3
	v_cmp_ne_u32_e32 vcc, 3, v4
	v_addc_co_u32_e32 v3, vcc, 0, v3, vcc
	v_lshlrev_b32_e32 v3, 2, v3
	s_waitcnt lgkmcnt(0)
	ds_bpermute_b32 v6, v3, v1
	ds_bpermute_b32 v5, v3, v2
	s_add_i32 s2, s2, 63
	s_lshr_b32 s8, s2, 6
	v_add_u32_e32 v3, 1, v4
	v_cmp_gt_u32_e32 vcc, s8, v3
	v_mov_b32_e32 v3, v1
	s_and_saveexec_b64 s[2:3], vcc
	s_cbranch_execz .LBB954_106
; %bb.105:
	s_waitcnt lgkmcnt(1)
	v_add_co_u32_e32 v3, vcc, v1, v6
	v_addc_co_u32_e32 v2, vcc, 0, v2, vcc
	v_add_co_u32_e32 v1, vcc, 0, v3
	s_waitcnt lgkmcnt(0)
	v_addc_co_u32_e32 v2, vcc, v5, v2, vcc
.LBB954_106:
	s_or_b64 exec, exec, s[2:3]
	s_waitcnt lgkmcnt(0)
	v_or_b32_e32 v5, 8, v7
	ds_bpermute_b32 v3, v5, v3
	ds_bpermute_b32 v5, v5, v2
	v_add_u32_e32 v4, 2, v4
	s_waitcnt lgkmcnt(1)
	v_add_co_u32_e32 v3, vcc, v1, v3
	v_addc_co_u32_e32 v6, vcc, 0, v2, vcc
	v_add_co_u32_e32 v3, vcc, 0, v3
	s_waitcnt lgkmcnt(0)
	v_addc_co_u32_e32 v5, vcc, v6, v5, vcc
	v_cmp_gt_u32_e32 vcc, s8, v4
	v_cndmask_b32_e32 v2, v2, v5, vcc
	v_cndmask_b32_e32 v1, v1, v3, vcc
.LBB954_107:
	s_or_b64 exec, exec, s[0:1]
.LBB954_108:
	v_mov_b32_e32 v3, s6
	v_cmp_eq_u32_e64 s[0:1], 0, v0
	v_mov_b32_e32 v4, s7
.LBB954_109:
	s_branch .LBB954_144
.LBB954_110:
	s_cmp_eq_u32 s30, 4
                                        ; implicit-def: $vgpr1_vgpr2
                                        ; implicit-def: $vgpr3_vgpr4
	s_cbranch_scc0 .LBB954_144
; %bb.111:
	s_mov_b32 s7, 0
	s_lshl_b32 s0, s6, 10
	s_mov_b32 s1, s7
	s_lshr_b64 s[2:3], s[20:21], 10
	s_lshl_b64 s[10:11], s[0:1], 3
	s_add_u32 s8, s24, s10
	s_addc_u32 s9, s25, s11
	s_add_u32 s10, s26, s10
	s_addc_u32 s11, s27, s11
	s_cmp_lg_u64 s[2:3], s[6:7]
	s_cbranch_scc0 .LBB954_117
; %bb.112:
	v_lshlrev_b32_e32 v1, 3, v0
	v_mov_b32_e32 v2, s9
	v_add_co_u32_e32 v3, vcc, s8, v1
	v_addc_co_u32_e32 v2, vcc, 0, v2, vcc
	v_mov_b32_e32 v4, s11
	v_add_co_u32_e32 v5, vcc, s10, v1
	v_addc_co_u32_e32 v4, vcc, 0, v4, vcc
	s_movk_i32 s1, 0x1000
	global_load_dword v6, v1, s[8:9]
	global_load_dword v7, v1, s[10:11]
	global_load_dword v8, v1, s[10:11] offset:2048
	global_load_dword v9, v1, s[8:9] offset:2048
	v_add_co_u32_e32 v1, vcc, s1, v3
	v_addc_co_u32_e32 v2, vcc, 0, v2, vcc
	v_add_co_u32_e32 v3, vcc, s1, v5
	v_addc_co_u32_e32 v4, vcc, 0, v4, vcc
	global_load_dword v10, v[1:2], off
	global_load_dword v5, v[3:4], off
	global_load_dword v11, v[1:2], off offset:2048
	global_load_dword v12, v[3:4], off offset:2048
	s_mov_b32 s1, 0x66666667
	v_mbcnt_lo_u32_b32 v2, -1, 0
	v_mbcnt_hi_u32_b32 v3, -1, v2
	v_mov_b32_e32 v1, 0
	s_waitcnt vmcnt(7)
	v_mul_hi_i32 v2, v6, s1
	s_waitcnt vmcnt(6)
	v_mul_hi_i32 v4, v7, s1
	;; [unrolled: 2-line block ×4, first 2 shown]
	v_mov_b32_dpp v1, v1 quad_perm:[1,0,3,2] row_mask:0xf bank_mask:0xf bound_ctrl:1
	v_lshrrev_b32_e32 v14, 31, v7
	v_lshrrev_b32_e32 v13, 31, v6
	v_ashrrev_i32_e32 v6, 2, v6
	v_ashrrev_i32_e32 v7, 2, v7
	v_add_u32_e32 v6, v6, v13
	s_waitcnt vmcnt(2)
	v_mul_hi_i32 v5, v5, s1
	v_mul_hi_i32 v8, v10, s1
	s_waitcnt vmcnt(1)
	v_mul_hi_i32 v9, v11, s1
	s_waitcnt vmcnt(0)
	v_mul_hi_i32 v10, v12, s1
	v_lshrrev_b32_e32 v11, 31, v2
	v_ashrrev_i32_e32 v2, 2, v2
	v_lshrrev_b32_e32 v12, 31, v4
	v_ashrrev_i32_e32 v4, 2, v4
	v_add_u32_e32 v7, v7, v14
	v_add_u32_e32 v2, v2, v11
	;; [unrolled: 1-line block ×3, first 2 shown]
	v_lshrrev_b32_e32 v11, 31, v8
	v_ashrrev_i32_e32 v8, 2, v8
	v_lshrrev_b32_e32 v13, 31, v9
	v_ashrrev_i32_e32 v9, 2, v9
	;; [unrolled: 2-line block ×3, first 2 shown]
	v_cmp_ne_u32_e32 vcc, v6, v7
	v_lshrrev_b32_e32 v12, 31, v5
	v_ashrrev_i32_e32 v5, 2, v5
	v_cndmask_b32_e64 v6, 0, 1, vcc
	v_cmp_ne_u32_e32 vcc, v2, v4
	v_add_u32_e32 v4, v8, v11
	v_add_u32_e32 v7, v9, v13
	v_add_u32_e32 v8, v10, v14
	v_cndmask_b32_e64 v2, 0, 1, vcc
	v_add_u32_e32 v5, v5, v12
	v_cmp_ne_u32_e32 vcc, v7, v8
	v_cndmask_b32_e64 v7, 0, 1, vcc
	v_cmp_ne_u32_e32 vcc, v4, v5
	v_addc_co_u32_e32 v2, vcc, v6, v2, vcc
	v_add_co_u32_e32 v2, vcc, v2, v7
	v_addc_co_u32_e64 v4, s[2:3], 0, 0, vcc
	s_nop 0
	v_mov_b32_dpp v5, v2 quad_perm:[1,0,3,2] row_mask:0xf bank_mask:0xf bound_ctrl:1
	v_add_co_u32_e32 v2, vcc, v2, v5
	v_addc_co_u32_e32 v4, vcc, 0, v4, vcc
	v_add_co_u32_e32 v5, vcc, 0, v2
	v_addc_co_u32_e32 v1, vcc, v1, v4, vcc
	v_mov_b32_dpp v2, v2 quad_perm:[2,3,0,1] row_mask:0xf bank_mask:0xf bound_ctrl:1
	v_add_co_u32_e32 v2, vcc, v5, v2
	v_mov_b32_dpp v4, v1 quad_perm:[2,3,0,1] row_mask:0xf bank_mask:0xf bound_ctrl:1
	v_addc_co_u32_e32 v1, vcc, 0, v1, vcc
	v_add_co_u32_e32 v5, vcc, 0, v2
	v_addc_co_u32_e32 v1, vcc, v1, v4, vcc
	v_mov_b32_dpp v2, v2 row_ror:4 row_mask:0xf bank_mask:0xf bound_ctrl:1
	v_add_co_u32_e32 v2, vcc, v5, v2
	v_mov_b32_dpp v4, v1 row_ror:4 row_mask:0xf bank_mask:0xf bound_ctrl:1
	v_addc_co_u32_e32 v1, vcc, 0, v1, vcc
	v_add_co_u32_e32 v5, vcc, 0, v2
	v_addc_co_u32_e32 v1, vcc, v1, v4, vcc
	v_mov_b32_dpp v2, v2 row_ror:8 row_mask:0xf bank_mask:0xf bound_ctrl:1
	v_add_co_u32_e32 v2, vcc, v5, v2
	v_mov_b32_dpp v4, v1 row_ror:8 row_mask:0xf bank_mask:0xf bound_ctrl:1
	v_addc_co_u32_e32 v1, vcc, 0, v1, vcc
	v_add_co_u32_e32 v5, vcc, 0, v2
	v_addc_co_u32_e32 v1, vcc, v1, v4, vcc
	v_mov_b32_dpp v2, v2 row_bcast:15 row_mask:0xf bank_mask:0xf bound_ctrl:1
	v_add_co_u32_e32 v2, vcc, v5, v2
	v_mov_b32_dpp v4, v1 row_bcast:15 row_mask:0xf bank_mask:0xf bound_ctrl:1
	v_addc_co_u32_e32 v1, vcc, 0, v1, vcc
	v_add_co_u32_e32 v5, vcc, 0, v2
	v_addc_co_u32_e32 v1, vcc, v1, v4, vcc
	v_mov_b32_dpp v2, v2 row_bcast:31 row_mask:0xf bank_mask:0xf bound_ctrl:1
	v_add_co_u32_e32 v2, vcc, v5, v2
	v_addc_co_u32_e32 v4, vcc, 0, v1, vcc
	v_cmp_eq_u32_e32 vcc, 0, v3
	s_nop 0
	v_add_u32_dpp v5, v1, v4 row_bcast:31 row_mask:0xf bank_mask:0xf bound_ctrl:1
	v_lshlrev_b32_e32 v4, 2, v3
	v_or_b32_e32 v6, 0xfc, v4
	ds_bpermute_b32 v1, v6, v2
	ds_bpermute_b32 v2, v6, v5
	s_and_saveexec_b64 s[2:3], vcc
	s_cbranch_execz .LBB954_114
; %bb.113:
	v_lshrrev_b32_e32 v5, 3, v0
	v_and_b32_e32 v5, 24, v5
	s_waitcnt lgkmcnt(0)
	ds_write_b64 v5, v[1:2] offset:96
.LBB954_114:
	s_or_b64 exec, exec, s[2:3]
	v_cmp_gt_u32_e32 vcc, 64, v0
	s_waitcnt lgkmcnt(0)
	s_barrier
	s_and_saveexec_b64 s[2:3], vcc
	s_cbranch_execz .LBB954_116
; %bb.115:
	v_and_b32_e32 v5, 3, v3
	v_lshlrev_b32_e32 v1, 3, v5
	ds_read_b64 v[1:2], v1 offset:96
	v_cmp_ne_u32_e32 vcc, 3, v5
	v_addc_co_u32_e32 v3, vcc, 0, v3, vcc
	v_lshlrev_b32_e32 v3, 2, v3
	s_waitcnt lgkmcnt(0)
	ds_bpermute_b32 v5, v3, v1
	ds_bpermute_b32 v3, v3, v2
	v_or_b32_e32 v4, 8, v4
	s_waitcnt lgkmcnt(1)
	v_add_co_u32_e32 v1, vcc, v1, v5
	v_addc_co_u32_e32 v2, vcc, 0, v2, vcc
	ds_bpermute_b32 v5, v4, v1
	v_add_co_u32_e32 v1, vcc, 0, v1
	s_waitcnt lgkmcnt(1)
	v_addc_co_u32_e32 v2, vcc, v3, v2, vcc
	ds_bpermute_b32 v3, v4, v2
	s_waitcnt lgkmcnt(1)
	v_add_co_u32_e32 v1, vcc, v1, v5
	v_addc_co_u32_e32 v2, vcc, 0, v2, vcc
	v_add_co_u32_e32 v1, vcc, 0, v1
	s_waitcnt lgkmcnt(0)
	v_addc_co_u32_e32 v2, vcc, v2, v3, vcc
.LBB954_116:
	s_or_b64 exec, exec, s[2:3]
	s_branch .LBB954_143
.LBB954_117:
                                        ; implicit-def: $vgpr1_vgpr2
	s_cbranch_execz .LBB954_143
; %bb.118:
	s_sub_i32 s14, s20, s0
	v_mov_b32_e32 v1, 0
	v_cmp_gt_u32_e32 vcc, s14, v0
	v_mov_b32_e32 v2, v1
	v_mov_b32_e32 v3, v1
	;; [unrolled: 1-line block ×7, first 2 shown]
	s_and_saveexec_b64 s[0:1], vcc
	s_cbranch_execz .LBB954_120
; %bb.119:
	v_lshlrev_b32_e32 v2, 3, v0
	global_load_dword v7, v2, s[8:9]
	global_load_dword v8, v2, s[10:11]
	s_mov_b32 s2, 0x66666667
	v_mov_b32_e32 v3, v1
	v_mov_b32_e32 v4, v1
	;; [unrolled: 1-line block ×4, first 2 shown]
	s_waitcnt vmcnt(1)
	v_mul_hi_i32 v2, v7, s2
	s_waitcnt vmcnt(0)
	v_mul_hi_i32 v9, v8, s2
	v_mov_b32_e32 v7, v1
	v_mov_b32_e32 v8, v1
	v_lshrrev_b32_e32 v10, 31, v2
	v_ashrrev_i32_e32 v2, 2, v2
	v_lshrrev_b32_e32 v11, 31, v9
	v_ashrrev_i32_e32 v9, 2, v9
	v_add_u32_e32 v2, v2, v10
	v_add_u32_e32 v9, v9, v11
	v_cmp_ne_u32_e32 vcc, v2, v9
	v_cndmask_b32_e64 v2, 0, 1, vcc
	v_and_b32_e32 v2, 0xffff, v2
	v_mov_b32_e32 v9, v1
	v_mov_b32_e32 v1, v2
	;; [unrolled: 1-line block ×9, first 2 shown]
.LBB954_120:
	s_or_b64 exec, exec, s[0:1]
	v_or_b32_e32 v9, 0x100, v0
	v_cmp_gt_u32_e32 vcc, s14, v9
	s_and_saveexec_b64 s[2:3], vcc
	s_cbranch_execz .LBB954_122
; %bb.121:
	v_lshlrev_b32_e32 v3, 3, v0
	global_load_dword v4, v3, s[8:9] offset:2048
	global_load_dword v9, v3, s[10:11] offset:2048
	s_mov_b32 s0, 0x66666667
	s_mov_b32 s12, 0
	s_waitcnt vmcnt(1)
	v_mul_hi_i32 v3, v4, s0
	s_waitcnt vmcnt(0)
	v_mul_hi_i32 v4, v9, s0
	v_lshrrev_b32_e32 v9, 31, v3
	v_ashrrev_i32_e32 v3, 2, v3
	v_lshrrev_b32_e32 v10, 31, v4
	v_ashrrev_i32_e32 v4, 2, v4
	v_add_u32_e32 v3, v3, v9
	v_add_u32_e32 v4, v4, v10
	v_cmp_ne_u32_e64 s[0:1], v3, v4
	v_cndmask_b32_e64 v3, 0, 1, s[0:1]
	v_mov_b32_e32 v4, s12
.LBB954_122:
	s_or_b64 exec, exec, s[2:3]
	v_or_b32_e32 v9, 0x200, v0
	v_cmp_gt_u32_e64 s[0:1], s14, v9
	s_and_saveexec_b64 s[12:13], s[0:1]
	s_cbranch_execz .LBB954_124
; %bb.123:
	v_lshlrev_b32_e32 v5, 3, v9
	global_load_dword v6, v5, s[8:9]
	global_load_dword v9, v5, s[10:11]
	s_mov_b32 s2, 0x66666667
	s_mov_b32 s15, 0
	s_waitcnt vmcnt(1)
	v_mul_hi_i32 v5, v6, s2
	s_waitcnt vmcnt(0)
	v_mul_hi_i32 v6, v9, s2
	v_lshrrev_b32_e32 v9, 31, v5
	v_ashrrev_i32_e32 v5, 2, v5
	v_lshrrev_b32_e32 v10, 31, v6
	v_ashrrev_i32_e32 v6, 2, v6
	v_add_u32_e32 v5, v5, v9
	v_add_u32_e32 v6, v6, v10
	v_cmp_ne_u32_e64 s[2:3], v5, v6
	v_cndmask_b32_e64 v5, 0, 1, s[2:3]
	v_mov_b32_e32 v6, s15
.LBB954_124:
	s_or_b64 exec, exec, s[12:13]
	v_or_b32_e32 v9, 0x300, v0
	v_cmp_gt_u32_e64 s[2:3], s14, v9
	s_and_saveexec_b64 s[12:13], s[2:3]
	s_cbranch_execz .LBB954_126
; %bb.125:
	v_lshlrev_b32_e32 v7, 3, v9
	global_load_dword v8, v7, s[8:9]
	global_load_dword v9, v7, s[10:11]
	s_mov_b32 s8, 0x66666667
	s_mov_b32 s10, 0
	s_waitcnt vmcnt(1)
	v_mul_hi_i32 v7, v8, s8
	s_waitcnt vmcnt(0)
	v_mul_hi_i32 v8, v9, s8
	v_lshrrev_b32_e32 v9, 31, v7
	v_ashrrev_i32_e32 v7, 2, v7
	v_lshrrev_b32_e32 v10, 31, v8
	v_ashrrev_i32_e32 v8, 2, v8
	v_add_u32_e32 v7, v7, v9
	v_add_u32_e32 v8, v8, v10
	v_cmp_ne_u32_e64 s[8:9], v7, v8
	v_cndmask_b32_e64 v7, 0, 1, s[8:9]
	v_mov_b32_e32 v8, s10
.LBB954_126:
	s_or_b64 exec, exec, s[12:13]
	v_cndmask_b32_e32 v3, 0, v3, vcc
	v_cndmask_b32_e32 v4, 0, v4, vcc
	v_add_co_u32_e32 v1, vcc, v3, v1
	v_addc_co_u32_e32 v2, vcc, v4, v2, vcc
	v_cndmask_b32_e64 v4, 0, v5, s[0:1]
	v_cndmask_b32_e64 v3, 0, v6, s[0:1]
	v_add_co_u32_e32 v1, vcc, v1, v4
	v_addc_co_u32_e32 v2, vcc, v2, v3, vcc
	v_cndmask_b32_e64 v4, 0, v7, s[2:3]
	v_cndmask_b32_e64 v3, 0, v8, s[2:3]
	v_add_co_u32_e32 v1, vcc, v1, v4
	v_addc_co_u32_e32 v2, vcc, v2, v3, vcc
	v_mbcnt_lo_u32_b32 v3, -1, 0
	v_mbcnt_hi_u32_b32 v3, -1, v3
	v_and_b32_e32 v4, 63, v3
	v_cmp_ne_u32_e32 vcc, 63, v4
	v_addc_co_u32_e32 v6, vcc, 0, v3, vcc
	v_lshlrev_b32_e32 v6, 2, v6
	ds_bpermute_b32 v8, v6, v1
	ds_bpermute_b32 v7, v6, v2
	s_min_u32 s2, s14, 0x100
	v_and_b32_e32 v5, 0xc0, v0
	v_sub_u32_e64 v5, s2, v5 clamp
	v_add_u32_e32 v6, 1, v4
	v_cmp_lt_u32_e32 vcc, v6, v5
	v_mov_b32_e32 v6, v1
	s_and_saveexec_b64 s[0:1], vcc
	s_cbranch_execz .LBB954_128
; %bb.127:
	s_waitcnt lgkmcnt(1)
	v_add_co_u32_e32 v6, vcc, v1, v8
	v_addc_co_u32_e32 v2, vcc, 0, v2, vcc
	v_add_co_u32_e32 v1, vcc, 0, v6
	s_waitcnt lgkmcnt(0)
	v_addc_co_u32_e32 v2, vcc, v7, v2, vcc
.LBB954_128:
	s_or_b64 exec, exec, s[0:1]
	v_cmp_gt_u32_e32 vcc, 62, v4
	s_waitcnt lgkmcnt(0)
	v_cndmask_b32_e64 v7, 0, 2, vcc
	v_add_lshl_u32 v7, v7, v3, 2
	ds_bpermute_b32 v8, v7, v6
	ds_bpermute_b32 v7, v7, v2
	v_add_u32_e32 v9, 2, v4
	v_cmp_lt_u32_e32 vcc, v9, v5
	s_and_saveexec_b64 s[0:1], vcc
	s_cbranch_execz .LBB954_130
; %bb.129:
	s_waitcnt lgkmcnt(1)
	v_add_co_u32_e32 v6, vcc, v1, v8
	v_addc_co_u32_e32 v2, vcc, 0, v2, vcc
	v_add_co_u32_e32 v1, vcc, 0, v6
	s_waitcnt lgkmcnt(0)
	v_addc_co_u32_e32 v2, vcc, v7, v2, vcc
.LBB954_130:
	s_or_b64 exec, exec, s[0:1]
	v_cmp_gt_u32_e32 vcc, 60, v4
	s_waitcnt lgkmcnt(0)
	v_cndmask_b32_e64 v7, 0, 4, vcc
	v_add_lshl_u32 v7, v7, v3, 2
	ds_bpermute_b32 v8, v7, v6
	ds_bpermute_b32 v7, v7, v2
	v_add_u32_e32 v9, 4, v4
	v_cmp_lt_u32_e32 vcc, v9, v5
	;; [unrolled: 19-line block ×4, first 2 shown]
	s_and_saveexec_b64 s[0:1], vcc
	s_cbranch_execz .LBB954_136
; %bb.135:
	s_waitcnt lgkmcnt(1)
	v_add_co_u32_e32 v6, vcc, v1, v8
	v_addc_co_u32_e32 v2, vcc, 0, v2, vcc
	v_add_co_u32_e32 v1, vcc, 0, v6
	s_waitcnt lgkmcnt(0)
	v_addc_co_u32_e32 v2, vcc, v7, v2, vcc
.LBB954_136:
	s_or_b64 exec, exec, s[0:1]
	s_waitcnt lgkmcnt(0)
	v_lshlrev_b32_e32 v7, 2, v3
	v_or_b32_e32 v8, 0x80, v7
	ds_bpermute_b32 v6, v8, v6
	ds_bpermute_b32 v8, v8, v2
	v_add_u32_e32 v4, 32, v4
	s_waitcnt lgkmcnt(1)
	v_add_co_u32_e32 v6, vcc, v1, v6
	v_addc_co_u32_e32 v9, vcc, 0, v2, vcc
	v_add_co_u32_e32 v6, vcc, 0, v6
	s_waitcnt lgkmcnt(0)
	v_addc_co_u32_e32 v8, vcc, v9, v8, vcc
	v_cmp_lt_u32_e32 vcc, v4, v5
	v_cndmask_b32_e32 v2, v2, v8, vcc
	v_cndmask_b32_e32 v1, v1, v6, vcc
	v_cmp_eq_u32_e32 vcc, 0, v3
	s_and_saveexec_b64 s[0:1], vcc
; %bb.137:
	v_lshrrev_b32_e32 v4, 3, v0
	v_and_b32_e32 v4, 24, v4
	ds_write_b64 v4, v[1:2] offset:160
; %bb.138:
	s_or_b64 exec, exec, s[0:1]
	v_cmp_gt_u32_e32 vcc, 4, v0
	s_waitcnt lgkmcnt(0)
	s_barrier
	s_and_saveexec_b64 s[0:1], vcc
	s_cbranch_execz .LBB954_142
; %bb.139:
	v_lshlrev_b32_e32 v1, 3, v3
	ds_read_b64 v[1:2], v1 offset:160
	v_and_b32_e32 v4, 3, v3
	v_cmp_ne_u32_e32 vcc, 3, v4
	v_addc_co_u32_e32 v3, vcc, 0, v3, vcc
	v_lshlrev_b32_e32 v3, 2, v3
	s_waitcnt lgkmcnt(0)
	ds_bpermute_b32 v6, v3, v1
	ds_bpermute_b32 v5, v3, v2
	s_add_i32 s2, s2, 63
	s_lshr_b32 s8, s2, 6
	v_add_u32_e32 v3, 1, v4
	v_cmp_gt_u32_e32 vcc, s8, v3
	v_mov_b32_e32 v3, v1
	s_and_saveexec_b64 s[2:3], vcc
	s_cbranch_execz .LBB954_141
; %bb.140:
	s_waitcnt lgkmcnt(1)
	v_add_co_u32_e32 v3, vcc, v1, v6
	v_addc_co_u32_e32 v2, vcc, 0, v2, vcc
	v_add_co_u32_e32 v1, vcc, 0, v3
	s_waitcnt lgkmcnt(0)
	v_addc_co_u32_e32 v2, vcc, v5, v2, vcc
.LBB954_141:
	s_or_b64 exec, exec, s[2:3]
	s_waitcnt lgkmcnt(0)
	v_or_b32_e32 v5, 8, v7
	ds_bpermute_b32 v3, v5, v3
	ds_bpermute_b32 v5, v5, v2
	v_add_u32_e32 v4, 2, v4
	s_waitcnt lgkmcnt(1)
	v_add_co_u32_e32 v3, vcc, v1, v3
	v_addc_co_u32_e32 v6, vcc, 0, v2, vcc
	v_add_co_u32_e32 v3, vcc, 0, v3
	s_waitcnt lgkmcnt(0)
	v_addc_co_u32_e32 v5, vcc, v6, v5, vcc
	v_cmp_gt_u32_e32 vcc, s8, v4
	v_cndmask_b32_e32 v2, v2, v5, vcc
	v_cndmask_b32_e32 v1, v1, v3, vcc
.LBB954_142:
	s_or_b64 exec, exec, s[0:1]
.LBB954_143:
	v_mov_b32_e32 v3, s6
	v_cmp_eq_u32_e64 s[0:1], 0, v0
	v_mov_b32_e32 v4, s7
.LBB954_144:
	s_branch .LBB954_206
.LBB954_145:
	s_cmp_gt_i32 s30, 1
	s_cbranch_scc0 .LBB954_153
; %bb.146:
	s_cmp_eq_u32 s30, 2
                                        ; implicit-def: $vgpr1_vgpr2
                                        ; implicit-def: $vgpr3_vgpr4
	s_cbranch_scc0 .LBB954_154
; %bb.147:
	s_mov_b32 s7, 0
	s_lshl_b32 s8, s6, 9
	s_mov_b32 s9, s7
	s_lshr_b64 s[10:11], s[20:21], 9
	s_lshl_b64 s[2:3], s[8:9], 3
	s_add_u32 s0, s24, s2
	s_addc_u32 s1, s25, s3
	s_add_u32 s2, s26, s2
	s_addc_u32 s3, s27, s3
	s_cmp_lg_u64 s[10:11], s[6:7]
	s_cbranch_scc0 .LBB954_155
; %bb.148:
	v_lshlrev_b32_e32 v1, 3, v0
	global_load_dword v2, v1, s[0:1]
	global_load_dword v5, v1, s[2:3]
	global_load_dword v6, v1, s[2:3] offset:2048
	global_load_dword v7, v1, s[0:1] offset:2048
	s_mov_b32 s9, 0x66666667
	v_mov_b32_e32 v1, 0
	v_mbcnt_lo_u32_b32 v3, -1, 0
	v_mbcnt_hi_u32_b32 v3, -1, v3
	v_mov_b32_dpp v1, v1 quad_perm:[1,0,3,2] row_mask:0xf bank_mask:0xf bound_ctrl:1
	v_lshlrev_b32_e32 v4, 2, v3
	v_or_b32_e32 v8, 0xfc, v4
	s_waitcnt vmcnt(3)
	v_mul_hi_i32 v2, v2, s9
	s_waitcnt vmcnt(2)
	v_mul_hi_i32 v5, v5, s9
	;; [unrolled: 2-line block ×4, first 2 shown]
	v_lshrrev_b32_e32 v9, 31, v2
	v_ashrrev_i32_e32 v2, 2, v2
	v_lshrrev_b32_e32 v10, 31, v5
	v_ashrrev_i32_e32 v5, 2, v5
	;; [unrolled: 2-line block ×4, first 2 shown]
	v_add_u32_e32 v2, v2, v9
	v_add_u32_e32 v5, v5, v10
	v_add_u32_e32 v7, v7, v11
	v_add_u32_e32 v6, v6, v12
	v_cmp_ne_u32_e32 vcc, v2, v5
	v_cndmask_b32_e64 v2, 0, 1, vcc
	v_cmp_ne_u32_e32 vcc, v7, v6
	v_addc_co_u32_e32 v2, vcc, 0, v2, vcc
	s_nop 1
	v_mov_b32_dpp v5, v2 quad_perm:[1,0,3,2] row_mask:0xf bank_mask:0xf bound_ctrl:1
	v_add_co_u32_e32 v2, vcc, v2, v5
	v_addc_co_u32_e64 v5, s[10:11], 0, 0, vcc
	v_add_co_u32_e32 v6, vcc, 0, v2
	v_addc_co_u32_e32 v1, vcc, v1, v5, vcc
	v_mov_b32_dpp v2, v2 quad_perm:[2,3,0,1] row_mask:0xf bank_mask:0xf bound_ctrl:1
	v_add_co_u32_e32 v2, vcc, v6, v2
	v_mov_b32_dpp v5, v1 quad_perm:[2,3,0,1] row_mask:0xf bank_mask:0xf bound_ctrl:1
	v_addc_co_u32_e32 v1, vcc, 0, v1, vcc
	v_add_co_u32_e32 v6, vcc, 0, v2
	v_addc_co_u32_e32 v1, vcc, v1, v5, vcc
	v_mov_b32_dpp v2, v2 row_ror:4 row_mask:0xf bank_mask:0xf bound_ctrl:1
	v_add_co_u32_e32 v2, vcc, v6, v2
	v_mov_b32_dpp v5, v1 row_ror:4 row_mask:0xf bank_mask:0xf bound_ctrl:1
	v_addc_co_u32_e32 v1, vcc, 0, v1, vcc
	v_add_co_u32_e32 v6, vcc, 0, v2
	v_addc_co_u32_e32 v1, vcc, v1, v5, vcc
	v_mov_b32_dpp v2, v2 row_ror:8 row_mask:0xf bank_mask:0xf bound_ctrl:1
	v_add_co_u32_e32 v2, vcc, v6, v2
	v_mov_b32_dpp v5, v1 row_ror:8 row_mask:0xf bank_mask:0xf bound_ctrl:1
	v_addc_co_u32_e32 v1, vcc, 0, v1, vcc
	v_add_co_u32_e32 v6, vcc, 0, v2
	v_addc_co_u32_e32 v1, vcc, v1, v5, vcc
	v_mov_b32_dpp v2, v2 row_bcast:15 row_mask:0xf bank_mask:0xf bound_ctrl:1
	v_add_co_u32_e32 v2, vcc, v6, v2
	v_mov_b32_dpp v5, v1 row_bcast:15 row_mask:0xf bank_mask:0xf bound_ctrl:1
	v_addc_co_u32_e32 v1, vcc, 0, v1, vcc
	v_add_co_u32_e32 v6, vcc, 0, v2
	v_addc_co_u32_e32 v1, vcc, v1, v5, vcc
	v_mov_b32_dpp v2, v2 row_bcast:31 row_mask:0xf bank_mask:0xf bound_ctrl:1
	v_add_co_u32_e32 v2, vcc, v6, v2
	v_addc_co_u32_e32 v5, vcc, 0, v1, vcc
	v_cmp_eq_u32_e32 vcc, 0, v3
	s_nop 0
	v_add_u32_dpp v5, v1, v5 row_bcast:31 row_mask:0xf bank_mask:0xf bound_ctrl:1
	ds_bpermute_b32 v1, v8, v2
	ds_bpermute_b32 v2, v8, v5
	s_and_saveexec_b64 s[10:11], vcc
	s_cbranch_execz .LBB954_150
; %bb.149:
	v_lshrrev_b32_e32 v5, 3, v0
	v_and_b32_e32 v5, 24, v5
	s_waitcnt lgkmcnt(0)
	ds_write_b64 v5, v[1:2] offset:64
.LBB954_150:
	s_or_b64 exec, exec, s[10:11]
	v_cmp_gt_u32_e32 vcc, 64, v0
	s_waitcnt lgkmcnt(0)
	s_barrier
	s_and_saveexec_b64 s[10:11], vcc
	s_cbranch_execz .LBB954_152
; %bb.151:
	v_and_b32_e32 v5, 3, v3
	v_lshlrev_b32_e32 v1, 3, v5
	ds_read_b64 v[1:2], v1 offset:64
	v_cmp_ne_u32_e32 vcc, 3, v5
	v_addc_co_u32_e32 v3, vcc, 0, v3, vcc
	v_lshlrev_b32_e32 v3, 2, v3
	s_waitcnt lgkmcnt(0)
	ds_bpermute_b32 v5, v3, v1
	ds_bpermute_b32 v3, v3, v2
	v_or_b32_e32 v4, 8, v4
	s_waitcnt lgkmcnt(1)
	v_add_co_u32_e32 v1, vcc, v1, v5
	v_addc_co_u32_e32 v2, vcc, 0, v2, vcc
	ds_bpermute_b32 v5, v4, v1
	v_add_co_u32_e32 v1, vcc, 0, v1
	s_waitcnt lgkmcnt(1)
	v_addc_co_u32_e32 v2, vcc, v3, v2, vcc
	ds_bpermute_b32 v3, v4, v2
	s_waitcnt lgkmcnt(1)
	v_add_co_u32_e32 v1, vcc, v1, v5
	v_addc_co_u32_e32 v2, vcc, 0, v2, vcc
	v_add_co_u32_e32 v1, vcc, 0, v1
	s_waitcnt lgkmcnt(0)
	v_addc_co_u32_e32 v2, vcc, v2, v3, vcc
.LBB954_152:
	s_or_b64 exec, exec, s[10:11]
	s_branch .LBB954_177
.LBB954_153:
                                        ; implicit-def: $vgpr1_vgpr2
                                        ; implicit-def: $vgpr3_vgpr4
	s_cbranch_execnz .LBB954_178
	s_branch .LBB954_206
.LBB954_154:
	s_branch .LBB954_206
.LBB954_155:
                                        ; implicit-def: $vgpr1_vgpr2
	s_cbranch_execz .LBB954_177
; %bb.156:
	s_sub_i32 s10, s20, s8
	v_mov_b32_e32 v1, 0
	v_cmp_gt_u32_e32 vcc, s10, v0
	v_mov_b32_e32 v2, v1
	v_mov_b32_e32 v3, v1
	;; [unrolled: 1-line block ×3, first 2 shown]
	s_and_saveexec_b64 s[8:9], vcc
	s_cbranch_execz .LBB954_158
; %bb.157:
	v_lshlrev_b32_e32 v2, 3, v0
	global_load_dword v3, v2, s[0:1]
	global_load_dword v4, v2, s[2:3]
	s_mov_b32 s11, 0x66666667
	s_waitcnt vmcnt(1)
	v_mul_hi_i32 v2, v3, s11
	s_waitcnt vmcnt(0)
	v_mul_hi_i32 v5, v4, s11
	v_mov_b32_e32 v3, v1
	v_mov_b32_e32 v4, v1
	v_lshrrev_b32_e32 v6, 31, v2
	v_ashrrev_i32_e32 v2, 2, v2
	v_lshrrev_b32_e32 v7, 31, v5
	v_ashrrev_i32_e32 v5, 2, v5
	v_add_u32_e32 v2, v2, v6
	v_add_u32_e32 v5, v5, v7
	v_cmp_ne_u32_e32 vcc, v2, v5
	v_cndmask_b32_e64 v2, 0, 1, vcc
	v_and_b32_e32 v2, 0xffff, v2
	v_mov_b32_e32 v5, v1
	v_mov_b32_e32 v1, v2
	;; [unrolled: 1-line block ×5, first 2 shown]
.LBB954_158:
	s_or_b64 exec, exec, s[8:9]
	v_or_b32_e32 v5, 0x100, v0
	v_cmp_gt_u32_e32 vcc, s10, v5
	s_and_saveexec_b64 s[8:9], vcc
	s_cbranch_execz .LBB954_160
; %bb.159:
	v_lshlrev_b32_e32 v3, 3, v0
	global_load_dword v4, v3, s[0:1] offset:2048
	global_load_dword v5, v3, s[2:3] offset:2048
	s_mov_b32 s0, 0x66666667
	s_mov_b32 s2, 0
	s_waitcnt vmcnt(1)
	v_mul_hi_i32 v3, v4, s0
	s_waitcnt vmcnt(0)
	v_mul_hi_i32 v4, v5, s0
	v_lshrrev_b32_e32 v5, 31, v3
	v_ashrrev_i32_e32 v3, 2, v3
	v_lshrrev_b32_e32 v6, 31, v4
	v_ashrrev_i32_e32 v4, 2, v4
	v_add_u32_e32 v3, v3, v5
	v_add_u32_e32 v4, v4, v6
	v_cmp_ne_u32_e64 s[0:1], v3, v4
	v_cndmask_b32_e64 v3, 0, 1, s[0:1]
	v_mov_b32_e32 v4, s2
.LBB954_160:
	s_or_b64 exec, exec, s[8:9]
	v_cndmask_b32_e32 v3, 0, v3, vcc
	v_cndmask_b32_e32 v4, 0, v4, vcc
	v_add_co_u32_e32 v1, vcc, v3, v1
	v_mbcnt_lo_u32_b32 v3, -1, 0
	v_mbcnt_hi_u32_b32 v3, -1, v3
	v_addc_co_u32_e32 v2, vcc, v4, v2, vcc
	v_and_b32_e32 v4, 63, v3
	v_cmp_ne_u32_e32 vcc, 63, v4
	v_addc_co_u32_e32 v6, vcc, 0, v3, vcc
	v_lshlrev_b32_e32 v6, 2, v6
	ds_bpermute_b32 v8, v6, v1
	ds_bpermute_b32 v7, v6, v2
	s_min_u32 s2, s10, 0x100
	v_and_b32_e32 v5, 0xc0, v0
	v_sub_u32_e64 v5, s2, v5 clamp
	v_add_u32_e32 v6, 1, v4
	v_cmp_lt_u32_e32 vcc, v6, v5
	v_mov_b32_e32 v6, v1
	s_and_saveexec_b64 s[0:1], vcc
	s_cbranch_execz .LBB954_162
; %bb.161:
	s_waitcnt lgkmcnt(1)
	v_add_co_u32_e32 v6, vcc, v1, v8
	v_addc_co_u32_e32 v2, vcc, 0, v2, vcc
	v_add_co_u32_e32 v1, vcc, 0, v6
	s_waitcnt lgkmcnt(0)
	v_addc_co_u32_e32 v2, vcc, v7, v2, vcc
.LBB954_162:
	s_or_b64 exec, exec, s[0:1]
	v_cmp_gt_u32_e32 vcc, 62, v4
	s_waitcnt lgkmcnt(0)
	v_cndmask_b32_e64 v7, 0, 2, vcc
	v_add_lshl_u32 v7, v7, v3, 2
	ds_bpermute_b32 v8, v7, v6
	ds_bpermute_b32 v7, v7, v2
	v_add_u32_e32 v9, 2, v4
	v_cmp_lt_u32_e32 vcc, v9, v5
	s_and_saveexec_b64 s[0:1], vcc
	s_cbranch_execz .LBB954_164
; %bb.163:
	s_waitcnt lgkmcnt(1)
	v_add_co_u32_e32 v6, vcc, v1, v8
	v_addc_co_u32_e32 v2, vcc, 0, v2, vcc
	v_add_co_u32_e32 v1, vcc, 0, v6
	s_waitcnt lgkmcnt(0)
	v_addc_co_u32_e32 v2, vcc, v7, v2, vcc
.LBB954_164:
	s_or_b64 exec, exec, s[0:1]
	v_cmp_gt_u32_e32 vcc, 60, v4
	s_waitcnt lgkmcnt(0)
	v_cndmask_b32_e64 v7, 0, 4, vcc
	v_add_lshl_u32 v7, v7, v3, 2
	ds_bpermute_b32 v8, v7, v6
	ds_bpermute_b32 v7, v7, v2
	v_add_u32_e32 v9, 4, v4
	v_cmp_lt_u32_e32 vcc, v9, v5
	;; [unrolled: 19-line block ×4, first 2 shown]
	s_and_saveexec_b64 s[0:1], vcc
	s_cbranch_execz .LBB954_170
; %bb.169:
	s_waitcnt lgkmcnt(1)
	v_add_co_u32_e32 v6, vcc, v1, v8
	v_addc_co_u32_e32 v2, vcc, 0, v2, vcc
	v_add_co_u32_e32 v1, vcc, 0, v6
	s_waitcnt lgkmcnt(0)
	v_addc_co_u32_e32 v2, vcc, v7, v2, vcc
.LBB954_170:
	s_or_b64 exec, exec, s[0:1]
	s_waitcnt lgkmcnt(0)
	v_lshlrev_b32_e32 v7, 2, v3
	v_or_b32_e32 v8, 0x80, v7
	ds_bpermute_b32 v6, v8, v6
	ds_bpermute_b32 v8, v8, v2
	v_add_u32_e32 v4, 32, v4
	s_waitcnt lgkmcnt(1)
	v_add_co_u32_e32 v6, vcc, v1, v6
	v_addc_co_u32_e32 v9, vcc, 0, v2, vcc
	v_add_co_u32_e32 v6, vcc, 0, v6
	s_waitcnt lgkmcnt(0)
	v_addc_co_u32_e32 v8, vcc, v9, v8, vcc
	v_cmp_lt_u32_e32 vcc, v4, v5
	v_cndmask_b32_e32 v2, v2, v8, vcc
	v_cndmask_b32_e32 v1, v1, v6, vcc
	v_cmp_eq_u32_e32 vcc, 0, v3
	s_and_saveexec_b64 s[0:1], vcc
; %bb.171:
	v_lshrrev_b32_e32 v4, 3, v0
	v_and_b32_e32 v4, 24, v4
	ds_write_b64 v4, v[1:2] offset:160
; %bb.172:
	s_or_b64 exec, exec, s[0:1]
	v_cmp_gt_u32_e32 vcc, 4, v0
	s_waitcnt lgkmcnt(0)
	s_barrier
	s_and_saveexec_b64 s[0:1], vcc
	s_cbranch_execz .LBB954_176
; %bb.173:
	v_lshlrev_b32_e32 v1, 3, v3
	ds_read_b64 v[1:2], v1 offset:160
	v_and_b32_e32 v4, 3, v3
	v_cmp_ne_u32_e32 vcc, 3, v4
	v_addc_co_u32_e32 v3, vcc, 0, v3, vcc
	v_lshlrev_b32_e32 v3, 2, v3
	s_waitcnt lgkmcnt(0)
	ds_bpermute_b32 v6, v3, v1
	ds_bpermute_b32 v5, v3, v2
	s_add_i32 s2, s2, 63
	s_lshr_b32 s8, s2, 6
	v_add_u32_e32 v3, 1, v4
	v_cmp_gt_u32_e32 vcc, s8, v3
	v_mov_b32_e32 v3, v1
	s_and_saveexec_b64 s[2:3], vcc
	s_cbranch_execz .LBB954_175
; %bb.174:
	s_waitcnt lgkmcnt(1)
	v_add_co_u32_e32 v3, vcc, v1, v6
	v_addc_co_u32_e32 v2, vcc, 0, v2, vcc
	v_add_co_u32_e32 v1, vcc, 0, v3
	s_waitcnt lgkmcnt(0)
	v_addc_co_u32_e32 v2, vcc, v5, v2, vcc
.LBB954_175:
	s_or_b64 exec, exec, s[2:3]
	s_waitcnt lgkmcnt(0)
	v_or_b32_e32 v5, 8, v7
	ds_bpermute_b32 v3, v5, v3
	ds_bpermute_b32 v5, v5, v2
	v_add_u32_e32 v4, 2, v4
	s_waitcnt lgkmcnt(1)
	v_add_co_u32_e32 v3, vcc, v1, v3
	v_addc_co_u32_e32 v6, vcc, 0, v2, vcc
	v_add_co_u32_e32 v3, vcc, 0, v3
	s_waitcnt lgkmcnt(0)
	v_addc_co_u32_e32 v5, vcc, v6, v5, vcc
	v_cmp_gt_u32_e32 vcc, s8, v4
	v_cndmask_b32_e32 v2, v2, v5, vcc
	v_cndmask_b32_e32 v1, v1, v3, vcc
.LBB954_176:
	s_or_b64 exec, exec, s[0:1]
.LBB954_177:
	v_mov_b32_e32 v3, s6
	v_cmp_eq_u32_e64 s[0:1], 0, v0
	v_mov_b32_e32 v4, s7
	s_branch .LBB954_206
.LBB954_178:
	s_cmp_eq_u32 s30, 1
                                        ; implicit-def: $vgpr1_vgpr2
                                        ; implicit-def: $vgpr3_vgpr4
	s_cbranch_scc0 .LBB954_206
; %bb.179:
	s_mov_b32 s1, 0
	s_lshl_b32 s0, s6, 8
	s_mov_b32 s7, s1
	s_lshr_b64 s[2:3], s[20:21], 8
	s_cmp_lg_u64 s[2:3], s[6:7]
	v_mbcnt_lo_u32_b32 v3, -1, 0
	s_cbranch_scc0 .LBB954_185
; %bb.180:
	s_lshl_b64 s[2:3], s[0:1], 3
	s_add_u32 s8, s24, s2
	s_addc_u32 s9, s25, s3
	v_lshlrev_b32_e32 v1, 3, v0
	s_add_u32 s2, s26, s2
	global_load_dword v2, v1, s[8:9]
	s_addc_u32 s3, s27, s3
	global_load_dword v1, v1, s[2:3]
	s_mov_b32 s2, 0x66666667
	v_mov_b32_e32 v5, 0
	v_mbcnt_hi_u32_b32 v4, -1, v3
	s_waitcnt vmcnt(1)
	v_mul_hi_i32 v2, v2, s2
	v_mov_b32_dpp v6, v5 quad_perm:[1,0,3,2] row_mask:0xf bank_mask:0xf bound_ctrl:1
	s_waitcnt vmcnt(0)
	v_mul_hi_i32 v1, v1, s2
	v_lshlrev_b32_e32 v5, 2, v4
	v_lshrrev_b32_e32 v8, 31, v2
	v_ashrrev_i32_e32 v2, 2, v2
	v_add_u32_e32 v2, v2, v8
	v_lshrrev_b32_e32 v8, 31, v1
	v_ashrrev_i32_e32 v1, 2, v1
	v_add_u32_e32 v1, v1, v8
	v_cmp_ne_u32_e32 vcc, v2, v1
	v_cndmask_b32_e64 v1, 0, 1, vcc
	v_or_b32_e32 v7, 0xfc, v5
	s_nop 0
	v_mov_b32_dpp v2, v1 quad_perm:[1,0,3,2] row_mask:0xf bank_mask:0xf bound_ctrl:1
	v_add_co_u32_e32 v1, vcc, v1, v2
	v_addc_co_u32_e64 v2, s[2:3], 0, 0, vcc
	v_add_co_u32_e32 v8, vcc, 0, v1
	v_addc_co_u32_e32 v2, vcc, v6, v2, vcc
	v_mov_b32_dpp v1, v1 quad_perm:[2,3,0,1] row_mask:0xf bank_mask:0xf bound_ctrl:1
	v_add_co_u32_e32 v1, vcc, v8, v1
	v_mov_b32_dpp v6, v2 quad_perm:[2,3,0,1] row_mask:0xf bank_mask:0xf bound_ctrl:1
	v_addc_co_u32_e32 v2, vcc, 0, v2, vcc
	v_add_co_u32_e32 v8, vcc, 0, v1
	v_addc_co_u32_e32 v2, vcc, v2, v6, vcc
	v_mov_b32_dpp v1, v1 row_ror:4 row_mask:0xf bank_mask:0xf bound_ctrl:1
	v_add_co_u32_e32 v1, vcc, v8, v1
	v_mov_b32_dpp v6, v2 row_ror:4 row_mask:0xf bank_mask:0xf bound_ctrl:1
	v_addc_co_u32_e32 v2, vcc, 0, v2, vcc
	v_add_co_u32_e32 v8, vcc, 0, v1
	v_addc_co_u32_e32 v2, vcc, v2, v6, vcc
	v_mov_b32_dpp v1, v1 row_ror:8 row_mask:0xf bank_mask:0xf bound_ctrl:1
	v_add_co_u32_e32 v1, vcc, v8, v1
	v_mov_b32_dpp v6, v2 row_ror:8 row_mask:0xf bank_mask:0xf bound_ctrl:1
	v_addc_co_u32_e32 v2, vcc, 0, v2, vcc
	v_add_co_u32_e32 v8, vcc, 0, v1
	v_addc_co_u32_e32 v2, vcc, v2, v6, vcc
	v_mov_b32_dpp v1, v1 row_bcast:15 row_mask:0xf bank_mask:0xf bound_ctrl:1
	v_add_co_u32_e32 v1, vcc, v8, v1
	v_mov_b32_dpp v6, v2 row_bcast:15 row_mask:0xf bank_mask:0xf bound_ctrl:1
	v_addc_co_u32_e32 v2, vcc, 0, v2, vcc
	v_add_co_u32_e32 v8, vcc, 0, v1
	v_addc_co_u32_e32 v2, vcc, v2, v6, vcc
	v_mov_b32_dpp v1, v1 row_bcast:31 row_mask:0xf bank_mask:0xf bound_ctrl:1
	v_add_co_u32_e32 v1, vcc, v8, v1
	v_addc_co_u32_e32 v6, vcc, 0, v2, vcc
	ds_bpermute_b32 v1, v7, v1
	s_nop 0
	v_add_u32_dpp v2, v2, v6 row_bcast:31 row_mask:0xf bank_mask:0xf bound_ctrl:1
	ds_bpermute_b32 v2, v7, v2
	v_cmp_eq_u32_e32 vcc, 0, v4
	s_and_saveexec_b64 s[2:3], vcc
	s_cbranch_execz .LBB954_182
; %bb.181:
	v_lshrrev_b32_e32 v6, 3, v0
	v_and_b32_e32 v6, 24, v6
	s_waitcnt lgkmcnt(0)
	ds_write_b64 v6, v[1:2] offset:32
.LBB954_182:
	s_or_b64 exec, exec, s[2:3]
	v_cmp_gt_u32_e32 vcc, 64, v0
	s_waitcnt lgkmcnt(0)
	s_barrier
	s_and_saveexec_b64 s[2:3], vcc
	s_cbranch_execz .LBB954_184
; %bb.183:
	v_and_b32_e32 v6, 3, v4
	v_lshlrev_b32_e32 v1, 3, v6
	ds_read_b64 v[1:2], v1 offset:32
	v_cmp_ne_u32_e32 vcc, 3, v6
	v_addc_co_u32_e32 v4, vcc, 0, v4, vcc
	v_lshlrev_b32_e32 v4, 2, v4
	s_waitcnt lgkmcnt(0)
	ds_bpermute_b32 v6, v4, v1
	ds_bpermute_b32 v4, v4, v2
	v_or_b32_e32 v5, 8, v5
	s_waitcnt lgkmcnt(1)
	v_add_co_u32_e32 v1, vcc, v1, v6
	v_addc_co_u32_e32 v2, vcc, 0, v2, vcc
	ds_bpermute_b32 v6, v5, v1
	v_add_co_u32_e32 v1, vcc, 0, v1
	s_waitcnt lgkmcnt(1)
	v_addc_co_u32_e32 v2, vcc, v4, v2, vcc
	ds_bpermute_b32 v4, v5, v2
	s_waitcnt lgkmcnt(1)
	v_add_co_u32_e32 v1, vcc, v1, v6
	v_addc_co_u32_e32 v2, vcc, 0, v2, vcc
	v_add_co_u32_e32 v1, vcc, 0, v1
	s_waitcnt lgkmcnt(0)
	v_addc_co_u32_e32 v2, vcc, v2, v4, vcc
.LBB954_184:
	s_or_b64 exec, exec, s[2:3]
	s_branch .LBB954_205
.LBB954_185:
                                        ; implicit-def: $vgpr1_vgpr2
	s_cbranch_execz .LBB954_205
; %bb.186:
	s_sub_i32 s8, s20, s0
	v_cmp_gt_u32_e32 vcc, s8, v0
                                        ; implicit-def: $vgpr1_vgpr2
	s_and_saveexec_b64 s[2:3], vcc
	s_cbranch_execz .LBB954_188
; %bb.187:
	s_lshl_b64 s[0:1], s[0:1], 3
	s_add_u32 s10, s26, s0
	s_addc_u32 s11, s27, s1
	s_add_u32 s0, s24, s0
	s_addc_u32 s1, s25, s1
	v_lshlrev_b32_e32 v1, 3, v0
	global_load_dword v2, v1, s[0:1]
	global_load_dword v4, v1, s[10:11]
	s_mov_b32 s0, 0x66666667
	s_waitcnt vmcnt(1)
	v_mul_hi_i32 v1, v2, s0
	s_waitcnt vmcnt(0)
	v_mul_hi_i32 v2, v4, s0
	s_mov_b32 s0, 0
	v_lshrrev_b32_e32 v4, 31, v1
	v_ashrrev_i32_e32 v1, 2, v1
	v_lshrrev_b32_e32 v5, 31, v2
	v_ashrrev_i32_e32 v2, 2, v2
	v_add_u32_e32 v1, v1, v4
	v_add_u32_e32 v2, v2, v5
	v_cmp_ne_u32_e32 vcc, v1, v2
	v_cndmask_b32_e64 v1, 0, 1, vcc
	v_mov_b32_e32 v2, s0
.LBB954_188:
	s_or_b64 exec, exec, s[2:3]
	v_mbcnt_hi_u32_b32 v3, -1, v3
	v_and_b32_e32 v4, 63, v3
	v_cmp_ne_u32_e32 vcc, 63, v4
	v_addc_co_u32_e32 v6, vcc, 0, v3, vcc
	v_lshlrev_b32_e32 v6, 2, v6
	ds_bpermute_b32 v8, v6, v1
	ds_bpermute_b32 v7, v6, v2
	s_min_u32 s2, s8, 0x100
	v_and_b32_e32 v5, 0xc0, v0
	v_sub_u32_e64 v5, s2, v5 clamp
	v_add_u32_e32 v6, 1, v4
	v_cmp_lt_u32_e32 vcc, v6, v5
	v_mov_b32_e32 v6, v1
	s_and_saveexec_b64 s[0:1], vcc
	s_cbranch_execz .LBB954_190
; %bb.189:
	s_waitcnt lgkmcnt(1)
	v_add_co_u32_e32 v6, vcc, v1, v8
	v_addc_co_u32_e32 v2, vcc, 0, v2, vcc
	v_add_co_u32_e32 v1, vcc, 0, v6
	s_waitcnt lgkmcnt(0)
	v_addc_co_u32_e32 v2, vcc, v7, v2, vcc
.LBB954_190:
	s_or_b64 exec, exec, s[0:1]
	v_cmp_gt_u32_e32 vcc, 62, v4
	s_waitcnt lgkmcnt(0)
	v_cndmask_b32_e64 v7, 0, 2, vcc
	v_add_lshl_u32 v7, v7, v3, 2
	ds_bpermute_b32 v8, v7, v6
	ds_bpermute_b32 v7, v7, v2
	v_add_u32_e32 v9, 2, v4
	v_cmp_lt_u32_e32 vcc, v9, v5
	s_and_saveexec_b64 s[0:1], vcc
	s_cbranch_execz .LBB954_192
; %bb.191:
	s_waitcnt lgkmcnt(1)
	v_add_co_u32_e32 v6, vcc, v1, v8
	v_addc_co_u32_e32 v2, vcc, 0, v2, vcc
	v_add_co_u32_e32 v1, vcc, 0, v6
	s_waitcnt lgkmcnt(0)
	v_addc_co_u32_e32 v2, vcc, v7, v2, vcc
.LBB954_192:
	s_or_b64 exec, exec, s[0:1]
	v_cmp_gt_u32_e32 vcc, 60, v4
	s_waitcnt lgkmcnt(0)
	v_cndmask_b32_e64 v7, 0, 4, vcc
	v_add_lshl_u32 v7, v7, v3, 2
	ds_bpermute_b32 v8, v7, v6
	ds_bpermute_b32 v7, v7, v2
	v_add_u32_e32 v9, 4, v4
	v_cmp_lt_u32_e32 vcc, v9, v5
	;; [unrolled: 19-line block ×4, first 2 shown]
	s_and_saveexec_b64 s[0:1], vcc
	s_cbranch_execz .LBB954_198
; %bb.197:
	s_waitcnt lgkmcnt(1)
	v_add_co_u32_e32 v6, vcc, v1, v8
	v_addc_co_u32_e32 v2, vcc, 0, v2, vcc
	v_add_co_u32_e32 v1, vcc, 0, v6
	s_waitcnt lgkmcnt(0)
	v_addc_co_u32_e32 v2, vcc, v7, v2, vcc
.LBB954_198:
	s_or_b64 exec, exec, s[0:1]
	s_waitcnt lgkmcnt(0)
	v_lshlrev_b32_e32 v7, 2, v3
	v_or_b32_e32 v8, 0x80, v7
	ds_bpermute_b32 v6, v8, v6
	ds_bpermute_b32 v8, v8, v2
	v_add_u32_e32 v4, 32, v4
	s_waitcnt lgkmcnt(1)
	v_add_co_u32_e32 v6, vcc, v1, v6
	v_addc_co_u32_e32 v9, vcc, 0, v2, vcc
	v_add_co_u32_e32 v6, vcc, 0, v6
	s_waitcnt lgkmcnt(0)
	v_addc_co_u32_e32 v8, vcc, v9, v8, vcc
	v_cmp_lt_u32_e32 vcc, v4, v5
	v_cndmask_b32_e32 v2, v2, v8, vcc
	v_cndmask_b32_e32 v1, v1, v6, vcc
	v_cmp_eq_u32_e32 vcc, 0, v3
	s_and_saveexec_b64 s[0:1], vcc
; %bb.199:
	v_lshrrev_b32_e32 v4, 3, v0
	v_and_b32_e32 v4, 24, v4
	ds_write_b64 v4, v[1:2] offset:160
; %bb.200:
	s_or_b64 exec, exec, s[0:1]
	v_cmp_gt_u32_e32 vcc, 4, v0
	s_waitcnt lgkmcnt(0)
	s_barrier
	s_and_saveexec_b64 s[0:1], vcc
	s_cbranch_execz .LBB954_204
; %bb.201:
	v_lshlrev_b32_e32 v1, 3, v3
	ds_read_b64 v[1:2], v1 offset:160
	v_and_b32_e32 v4, 3, v3
	v_cmp_ne_u32_e32 vcc, 3, v4
	v_addc_co_u32_e32 v3, vcc, 0, v3, vcc
	v_lshlrev_b32_e32 v3, 2, v3
	s_waitcnt lgkmcnt(0)
	ds_bpermute_b32 v6, v3, v1
	ds_bpermute_b32 v5, v3, v2
	s_add_i32 s2, s2, 63
	s_lshr_b32 s8, s2, 6
	v_add_u32_e32 v3, 1, v4
	v_cmp_gt_u32_e32 vcc, s8, v3
	v_mov_b32_e32 v3, v1
	s_and_saveexec_b64 s[2:3], vcc
	s_cbranch_execz .LBB954_203
; %bb.202:
	s_waitcnt lgkmcnt(1)
	v_add_co_u32_e32 v3, vcc, v1, v6
	v_addc_co_u32_e32 v2, vcc, 0, v2, vcc
	v_add_co_u32_e32 v1, vcc, 0, v3
	s_waitcnt lgkmcnt(0)
	v_addc_co_u32_e32 v2, vcc, v5, v2, vcc
.LBB954_203:
	s_or_b64 exec, exec, s[2:3]
	s_waitcnt lgkmcnt(0)
	v_or_b32_e32 v5, 8, v7
	ds_bpermute_b32 v3, v5, v3
	ds_bpermute_b32 v5, v5, v2
	v_add_u32_e32 v4, 2, v4
	s_waitcnt lgkmcnt(1)
	v_add_co_u32_e32 v3, vcc, v1, v3
	v_addc_co_u32_e32 v6, vcc, 0, v2, vcc
	v_add_co_u32_e32 v3, vcc, 0, v3
	s_waitcnt lgkmcnt(0)
	v_addc_co_u32_e32 v5, vcc, v6, v5, vcc
	v_cmp_gt_u32_e32 vcc, s8, v4
	v_cndmask_b32_e32 v2, v2, v5, vcc
	v_cndmask_b32_e32 v1, v1, v3, vcc
.LBB954_204:
	s_or_b64 exec, exec, s[0:1]
.LBB954_205:
	v_mov_b32_e32 v3, s6
	v_cmp_eq_u32_e64 s[0:1], 0, v0
	v_mov_b32_e32 v4, s7
.LBB954_206:
	s_and_saveexec_b64 s[2:3], s[0:1]
	s_cbranch_execz .LBB954_208
; %bb.207:
	v_lshlrev_b64 v[3:4], 3, v[3:4]
	s_load_dwordx2 s[0:1], s[4:5], 0x30
	v_mov_b32_e32 v0, s23
	v_add_co_u32_e32 v3, vcc, s22, v3
	v_addc_co_u32_e32 v4, vcc, v0, v4, vcc
	s_cmp_lg_u64 s[20:21], 0
	s_cselect_b64 vcc, -1, 0
	v_cndmask_b32_e32 v0, 0, v1, vcc
	v_cndmask_b32_e32 v2, 0, v2, vcc
	s_waitcnt lgkmcnt(0)
	v_mov_b32_e32 v1, s1
	v_add_co_u32_e32 v0, vcc, s0, v0
	v_addc_co_u32_e32 v1, vcc, v2, v1, vcc
	global_store_dwordx2 v[3:4], v[0:1], off
.LBB954_208:
	s_endpgm
	.section	.rodata,"a",@progbits
	.p2align	6, 0x0
	.amdhsa_kernel _ZN7rocprim17ROCPRIM_400000_NS6detail17trampoline_kernelINS0_14default_configENS1_22reduce_config_selectorIlEEZNS1_11reduce_implILb1ES3_N6thrust23THRUST_200600_302600_NS11hip_rocprim26transform_input_iterator_tIlNS8_12zip_iteratorINS8_5tupleINS8_6detail15normal_iteratorINS8_10device_ptrIxEEEESH_NS8_9null_typeESI_SI_SI_SI_SI_SI_SI_EEEENS9_21zip_adj_not_predicateI22is_equal_div_10_uniqueIxEEEEEPllNS8_4plusIlEEEE10hipError_tPvRmT1_T2_T3_mT4_P12ihipStream_tbEUlT_E1_NS1_11comp_targetILNS1_3genE2ELNS1_11target_archE906ELNS1_3gpuE6ELNS1_3repE0EEENS1_30default_config_static_selectorELNS0_4arch9wavefront6targetE1EEEvSW_
		.amdhsa_group_segment_fixed_size 192
		.amdhsa_private_segment_fixed_size 0
		.amdhsa_kernarg_size 64
		.amdhsa_user_sgpr_count 6
		.amdhsa_user_sgpr_private_segment_buffer 1
		.amdhsa_user_sgpr_dispatch_ptr 0
		.amdhsa_user_sgpr_queue_ptr 0
		.amdhsa_user_sgpr_kernarg_segment_ptr 1
		.amdhsa_user_sgpr_dispatch_id 0
		.amdhsa_user_sgpr_flat_scratch_init 0
		.amdhsa_user_sgpr_private_segment_size 0
		.amdhsa_uses_dynamic_stack 0
		.amdhsa_system_sgpr_private_segment_wavefront_offset 0
		.amdhsa_system_sgpr_workgroup_id_x 1
		.amdhsa_system_sgpr_workgroup_id_y 0
		.amdhsa_system_sgpr_workgroup_id_z 0
		.amdhsa_system_sgpr_workgroup_info 0
		.amdhsa_system_vgpr_workitem_id 0
		.amdhsa_next_free_vgpr 35
		.amdhsa_next_free_sgpr 34
		.amdhsa_reserve_vcc 1
		.amdhsa_reserve_flat_scratch 0
		.amdhsa_float_round_mode_32 0
		.amdhsa_float_round_mode_16_64 0
		.amdhsa_float_denorm_mode_32 3
		.amdhsa_float_denorm_mode_16_64 3
		.amdhsa_dx10_clamp 1
		.amdhsa_ieee_mode 1
		.amdhsa_fp16_overflow 0
		.amdhsa_exception_fp_ieee_invalid_op 0
		.amdhsa_exception_fp_denorm_src 0
		.amdhsa_exception_fp_ieee_div_zero 0
		.amdhsa_exception_fp_ieee_overflow 0
		.amdhsa_exception_fp_ieee_underflow 0
		.amdhsa_exception_fp_ieee_inexact 0
		.amdhsa_exception_int_div_zero 0
	.end_amdhsa_kernel
	.section	.text._ZN7rocprim17ROCPRIM_400000_NS6detail17trampoline_kernelINS0_14default_configENS1_22reduce_config_selectorIlEEZNS1_11reduce_implILb1ES3_N6thrust23THRUST_200600_302600_NS11hip_rocprim26transform_input_iterator_tIlNS8_12zip_iteratorINS8_5tupleINS8_6detail15normal_iteratorINS8_10device_ptrIxEEEESH_NS8_9null_typeESI_SI_SI_SI_SI_SI_SI_EEEENS9_21zip_adj_not_predicateI22is_equal_div_10_uniqueIxEEEEEPllNS8_4plusIlEEEE10hipError_tPvRmT1_T2_T3_mT4_P12ihipStream_tbEUlT_E1_NS1_11comp_targetILNS1_3genE2ELNS1_11target_archE906ELNS1_3gpuE6ELNS1_3repE0EEENS1_30default_config_static_selectorELNS0_4arch9wavefront6targetE1EEEvSW_,"axG",@progbits,_ZN7rocprim17ROCPRIM_400000_NS6detail17trampoline_kernelINS0_14default_configENS1_22reduce_config_selectorIlEEZNS1_11reduce_implILb1ES3_N6thrust23THRUST_200600_302600_NS11hip_rocprim26transform_input_iterator_tIlNS8_12zip_iteratorINS8_5tupleINS8_6detail15normal_iteratorINS8_10device_ptrIxEEEESH_NS8_9null_typeESI_SI_SI_SI_SI_SI_SI_EEEENS9_21zip_adj_not_predicateI22is_equal_div_10_uniqueIxEEEEEPllNS8_4plusIlEEEE10hipError_tPvRmT1_T2_T3_mT4_P12ihipStream_tbEUlT_E1_NS1_11comp_targetILNS1_3genE2ELNS1_11target_archE906ELNS1_3gpuE6ELNS1_3repE0EEENS1_30default_config_static_selectorELNS0_4arch9wavefront6targetE1EEEvSW_,comdat
.Lfunc_end954:
	.size	_ZN7rocprim17ROCPRIM_400000_NS6detail17trampoline_kernelINS0_14default_configENS1_22reduce_config_selectorIlEEZNS1_11reduce_implILb1ES3_N6thrust23THRUST_200600_302600_NS11hip_rocprim26transform_input_iterator_tIlNS8_12zip_iteratorINS8_5tupleINS8_6detail15normal_iteratorINS8_10device_ptrIxEEEESH_NS8_9null_typeESI_SI_SI_SI_SI_SI_SI_EEEENS9_21zip_adj_not_predicateI22is_equal_div_10_uniqueIxEEEEEPllNS8_4plusIlEEEE10hipError_tPvRmT1_T2_T3_mT4_P12ihipStream_tbEUlT_E1_NS1_11comp_targetILNS1_3genE2ELNS1_11target_archE906ELNS1_3gpuE6ELNS1_3repE0EEENS1_30default_config_static_selectorELNS0_4arch9wavefront6targetE1EEEvSW_, .Lfunc_end954-_ZN7rocprim17ROCPRIM_400000_NS6detail17trampoline_kernelINS0_14default_configENS1_22reduce_config_selectorIlEEZNS1_11reduce_implILb1ES3_N6thrust23THRUST_200600_302600_NS11hip_rocprim26transform_input_iterator_tIlNS8_12zip_iteratorINS8_5tupleINS8_6detail15normal_iteratorINS8_10device_ptrIxEEEESH_NS8_9null_typeESI_SI_SI_SI_SI_SI_SI_EEEENS9_21zip_adj_not_predicateI22is_equal_div_10_uniqueIxEEEEEPllNS8_4plusIlEEEE10hipError_tPvRmT1_T2_T3_mT4_P12ihipStream_tbEUlT_E1_NS1_11comp_targetILNS1_3genE2ELNS1_11target_archE906ELNS1_3gpuE6ELNS1_3repE0EEENS1_30default_config_static_selectorELNS0_4arch9wavefront6targetE1EEEvSW_
                                        ; -- End function
	.set _ZN7rocprim17ROCPRIM_400000_NS6detail17trampoline_kernelINS0_14default_configENS1_22reduce_config_selectorIlEEZNS1_11reduce_implILb1ES3_N6thrust23THRUST_200600_302600_NS11hip_rocprim26transform_input_iterator_tIlNS8_12zip_iteratorINS8_5tupleINS8_6detail15normal_iteratorINS8_10device_ptrIxEEEESH_NS8_9null_typeESI_SI_SI_SI_SI_SI_SI_EEEENS9_21zip_adj_not_predicateI22is_equal_div_10_uniqueIxEEEEEPllNS8_4plusIlEEEE10hipError_tPvRmT1_T2_T3_mT4_P12ihipStream_tbEUlT_E1_NS1_11comp_targetILNS1_3genE2ELNS1_11target_archE906ELNS1_3gpuE6ELNS1_3repE0EEENS1_30default_config_static_selectorELNS0_4arch9wavefront6targetE1EEEvSW_.num_vgpr, 35
	.set _ZN7rocprim17ROCPRIM_400000_NS6detail17trampoline_kernelINS0_14default_configENS1_22reduce_config_selectorIlEEZNS1_11reduce_implILb1ES3_N6thrust23THRUST_200600_302600_NS11hip_rocprim26transform_input_iterator_tIlNS8_12zip_iteratorINS8_5tupleINS8_6detail15normal_iteratorINS8_10device_ptrIxEEEESH_NS8_9null_typeESI_SI_SI_SI_SI_SI_SI_EEEENS9_21zip_adj_not_predicateI22is_equal_div_10_uniqueIxEEEEEPllNS8_4plusIlEEEE10hipError_tPvRmT1_T2_T3_mT4_P12ihipStream_tbEUlT_E1_NS1_11comp_targetILNS1_3genE2ELNS1_11target_archE906ELNS1_3gpuE6ELNS1_3repE0EEENS1_30default_config_static_selectorELNS0_4arch9wavefront6targetE1EEEvSW_.num_agpr, 0
	.set _ZN7rocprim17ROCPRIM_400000_NS6detail17trampoline_kernelINS0_14default_configENS1_22reduce_config_selectorIlEEZNS1_11reduce_implILb1ES3_N6thrust23THRUST_200600_302600_NS11hip_rocprim26transform_input_iterator_tIlNS8_12zip_iteratorINS8_5tupleINS8_6detail15normal_iteratorINS8_10device_ptrIxEEEESH_NS8_9null_typeESI_SI_SI_SI_SI_SI_SI_EEEENS9_21zip_adj_not_predicateI22is_equal_div_10_uniqueIxEEEEEPllNS8_4plusIlEEEE10hipError_tPvRmT1_T2_T3_mT4_P12ihipStream_tbEUlT_E1_NS1_11comp_targetILNS1_3genE2ELNS1_11target_archE906ELNS1_3gpuE6ELNS1_3repE0EEENS1_30default_config_static_selectorELNS0_4arch9wavefront6targetE1EEEvSW_.numbered_sgpr, 34
	.set _ZN7rocprim17ROCPRIM_400000_NS6detail17trampoline_kernelINS0_14default_configENS1_22reduce_config_selectorIlEEZNS1_11reduce_implILb1ES3_N6thrust23THRUST_200600_302600_NS11hip_rocprim26transform_input_iterator_tIlNS8_12zip_iteratorINS8_5tupleINS8_6detail15normal_iteratorINS8_10device_ptrIxEEEESH_NS8_9null_typeESI_SI_SI_SI_SI_SI_SI_EEEENS9_21zip_adj_not_predicateI22is_equal_div_10_uniqueIxEEEEEPllNS8_4plusIlEEEE10hipError_tPvRmT1_T2_T3_mT4_P12ihipStream_tbEUlT_E1_NS1_11comp_targetILNS1_3genE2ELNS1_11target_archE906ELNS1_3gpuE6ELNS1_3repE0EEENS1_30default_config_static_selectorELNS0_4arch9wavefront6targetE1EEEvSW_.num_named_barrier, 0
	.set _ZN7rocprim17ROCPRIM_400000_NS6detail17trampoline_kernelINS0_14default_configENS1_22reduce_config_selectorIlEEZNS1_11reduce_implILb1ES3_N6thrust23THRUST_200600_302600_NS11hip_rocprim26transform_input_iterator_tIlNS8_12zip_iteratorINS8_5tupleINS8_6detail15normal_iteratorINS8_10device_ptrIxEEEESH_NS8_9null_typeESI_SI_SI_SI_SI_SI_SI_EEEENS9_21zip_adj_not_predicateI22is_equal_div_10_uniqueIxEEEEEPllNS8_4plusIlEEEE10hipError_tPvRmT1_T2_T3_mT4_P12ihipStream_tbEUlT_E1_NS1_11comp_targetILNS1_3genE2ELNS1_11target_archE906ELNS1_3gpuE6ELNS1_3repE0EEENS1_30default_config_static_selectorELNS0_4arch9wavefront6targetE1EEEvSW_.private_seg_size, 0
	.set _ZN7rocprim17ROCPRIM_400000_NS6detail17trampoline_kernelINS0_14default_configENS1_22reduce_config_selectorIlEEZNS1_11reduce_implILb1ES3_N6thrust23THRUST_200600_302600_NS11hip_rocprim26transform_input_iterator_tIlNS8_12zip_iteratorINS8_5tupleINS8_6detail15normal_iteratorINS8_10device_ptrIxEEEESH_NS8_9null_typeESI_SI_SI_SI_SI_SI_SI_EEEENS9_21zip_adj_not_predicateI22is_equal_div_10_uniqueIxEEEEEPllNS8_4plusIlEEEE10hipError_tPvRmT1_T2_T3_mT4_P12ihipStream_tbEUlT_E1_NS1_11comp_targetILNS1_3genE2ELNS1_11target_archE906ELNS1_3gpuE6ELNS1_3repE0EEENS1_30default_config_static_selectorELNS0_4arch9wavefront6targetE1EEEvSW_.uses_vcc, 1
	.set _ZN7rocprim17ROCPRIM_400000_NS6detail17trampoline_kernelINS0_14default_configENS1_22reduce_config_selectorIlEEZNS1_11reduce_implILb1ES3_N6thrust23THRUST_200600_302600_NS11hip_rocprim26transform_input_iterator_tIlNS8_12zip_iteratorINS8_5tupleINS8_6detail15normal_iteratorINS8_10device_ptrIxEEEESH_NS8_9null_typeESI_SI_SI_SI_SI_SI_SI_EEEENS9_21zip_adj_not_predicateI22is_equal_div_10_uniqueIxEEEEEPllNS8_4plusIlEEEE10hipError_tPvRmT1_T2_T3_mT4_P12ihipStream_tbEUlT_E1_NS1_11comp_targetILNS1_3genE2ELNS1_11target_archE906ELNS1_3gpuE6ELNS1_3repE0EEENS1_30default_config_static_selectorELNS0_4arch9wavefront6targetE1EEEvSW_.uses_flat_scratch, 0
	.set _ZN7rocprim17ROCPRIM_400000_NS6detail17trampoline_kernelINS0_14default_configENS1_22reduce_config_selectorIlEEZNS1_11reduce_implILb1ES3_N6thrust23THRUST_200600_302600_NS11hip_rocprim26transform_input_iterator_tIlNS8_12zip_iteratorINS8_5tupleINS8_6detail15normal_iteratorINS8_10device_ptrIxEEEESH_NS8_9null_typeESI_SI_SI_SI_SI_SI_SI_EEEENS9_21zip_adj_not_predicateI22is_equal_div_10_uniqueIxEEEEEPllNS8_4plusIlEEEE10hipError_tPvRmT1_T2_T3_mT4_P12ihipStream_tbEUlT_E1_NS1_11comp_targetILNS1_3genE2ELNS1_11target_archE906ELNS1_3gpuE6ELNS1_3repE0EEENS1_30default_config_static_selectorELNS0_4arch9wavefront6targetE1EEEvSW_.has_dyn_sized_stack, 0
	.set _ZN7rocprim17ROCPRIM_400000_NS6detail17trampoline_kernelINS0_14default_configENS1_22reduce_config_selectorIlEEZNS1_11reduce_implILb1ES3_N6thrust23THRUST_200600_302600_NS11hip_rocprim26transform_input_iterator_tIlNS8_12zip_iteratorINS8_5tupleINS8_6detail15normal_iteratorINS8_10device_ptrIxEEEESH_NS8_9null_typeESI_SI_SI_SI_SI_SI_SI_EEEENS9_21zip_adj_not_predicateI22is_equal_div_10_uniqueIxEEEEEPllNS8_4plusIlEEEE10hipError_tPvRmT1_T2_T3_mT4_P12ihipStream_tbEUlT_E1_NS1_11comp_targetILNS1_3genE2ELNS1_11target_archE906ELNS1_3gpuE6ELNS1_3repE0EEENS1_30default_config_static_selectorELNS0_4arch9wavefront6targetE1EEEvSW_.has_recursion, 0
	.set _ZN7rocprim17ROCPRIM_400000_NS6detail17trampoline_kernelINS0_14default_configENS1_22reduce_config_selectorIlEEZNS1_11reduce_implILb1ES3_N6thrust23THRUST_200600_302600_NS11hip_rocprim26transform_input_iterator_tIlNS8_12zip_iteratorINS8_5tupleINS8_6detail15normal_iteratorINS8_10device_ptrIxEEEESH_NS8_9null_typeESI_SI_SI_SI_SI_SI_SI_EEEENS9_21zip_adj_not_predicateI22is_equal_div_10_uniqueIxEEEEEPllNS8_4plusIlEEEE10hipError_tPvRmT1_T2_T3_mT4_P12ihipStream_tbEUlT_E1_NS1_11comp_targetILNS1_3genE2ELNS1_11target_archE906ELNS1_3gpuE6ELNS1_3repE0EEENS1_30default_config_static_selectorELNS0_4arch9wavefront6targetE1EEEvSW_.has_indirect_call, 0
	.section	.AMDGPU.csdata,"",@progbits
; Kernel info:
; codeLenInByte = 13880
; TotalNumSgprs: 38
; NumVgprs: 35
; ScratchSize: 0
; MemoryBound: 0
; FloatMode: 240
; IeeeMode: 1
; LDSByteSize: 192 bytes/workgroup (compile time only)
; SGPRBlocks: 4
; VGPRBlocks: 8
; NumSGPRsForWavesPerEU: 38
; NumVGPRsForWavesPerEU: 35
; Occupancy: 7
; WaveLimiterHint : 0
; COMPUTE_PGM_RSRC2:SCRATCH_EN: 0
; COMPUTE_PGM_RSRC2:USER_SGPR: 6
; COMPUTE_PGM_RSRC2:TRAP_HANDLER: 0
; COMPUTE_PGM_RSRC2:TGID_X_EN: 1
; COMPUTE_PGM_RSRC2:TGID_Y_EN: 0
; COMPUTE_PGM_RSRC2:TGID_Z_EN: 0
; COMPUTE_PGM_RSRC2:TIDIG_COMP_CNT: 0
	.section	.text._ZN7rocprim17ROCPRIM_400000_NS6detail17trampoline_kernelINS0_14default_configENS1_22reduce_config_selectorIlEEZNS1_11reduce_implILb1ES3_N6thrust23THRUST_200600_302600_NS11hip_rocprim26transform_input_iterator_tIlNS8_12zip_iteratorINS8_5tupleINS8_6detail15normal_iteratorINS8_10device_ptrIxEEEESH_NS8_9null_typeESI_SI_SI_SI_SI_SI_SI_EEEENS9_21zip_adj_not_predicateI22is_equal_div_10_uniqueIxEEEEEPllNS8_4plusIlEEEE10hipError_tPvRmT1_T2_T3_mT4_P12ihipStream_tbEUlT_E1_NS1_11comp_targetILNS1_3genE10ELNS1_11target_archE1201ELNS1_3gpuE5ELNS1_3repE0EEENS1_30default_config_static_selectorELNS0_4arch9wavefront6targetE1EEEvSW_,"axG",@progbits,_ZN7rocprim17ROCPRIM_400000_NS6detail17trampoline_kernelINS0_14default_configENS1_22reduce_config_selectorIlEEZNS1_11reduce_implILb1ES3_N6thrust23THRUST_200600_302600_NS11hip_rocprim26transform_input_iterator_tIlNS8_12zip_iteratorINS8_5tupleINS8_6detail15normal_iteratorINS8_10device_ptrIxEEEESH_NS8_9null_typeESI_SI_SI_SI_SI_SI_SI_EEEENS9_21zip_adj_not_predicateI22is_equal_div_10_uniqueIxEEEEEPllNS8_4plusIlEEEE10hipError_tPvRmT1_T2_T3_mT4_P12ihipStream_tbEUlT_E1_NS1_11comp_targetILNS1_3genE10ELNS1_11target_archE1201ELNS1_3gpuE5ELNS1_3repE0EEENS1_30default_config_static_selectorELNS0_4arch9wavefront6targetE1EEEvSW_,comdat
	.protected	_ZN7rocprim17ROCPRIM_400000_NS6detail17trampoline_kernelINS0_14default_configENS1_22reduce_config_selectorIlEEZNS1_11reduce_implILb1ES3_N6thrust23THRUST_200600_302600_NS11hip_rocprim26transform_input_iterator_tIlNS8_12zip_iteratorINS8_5tupleINS8_6detail15normal_iteratorINS8_10device_ptrIxEEEESH_NS8_9null_typeESI_SI_SI_SI_SI_SI_SI_EEEENS9_21zip_adj_not_predicateI22is_equal_div_10_uniqueIxEEEEEPllNS8_4plusIlEEEE10hipError_tPvRmT1_T2_T3_mT4_P12ihipStream_tbEUlT_E1_NS1_11comp_targetILNS1_3genE10ELNS1_11target_archE1201ELNS1_3gpuE5ELNS1_3repE0EEENS1_30default_config_static_selectorELNS0_4arch9wavefront6targetE1EEEvSW_ ; -- Begin function _ZN7rocprim17ROCPRIM_400000_NS6detail17trampoline_kernelINS0_14default_configENS1_22reduce_config_selectorIlEEZNS1_11reduce_implILb1ES3_N6thrust23THRUST_200600_302600_NS11hip_rocprim26transform_input_iterator_tIlNS8_12zip_iteratorINS8_5tupleINS8_6detail15normal_iteratorINS8_10device_ptrIxEEEESH_NS8_9null_typeESI_SI_SI_SI_SI_SI_SI_EEEENS9_21zip_adj_not_predicateI22is_equal_div_10_uniqueIxEEEEEPllNS8_4plusIlEEEE10hipError_tPvRmT1_T2_T3_mT4_P12ihipStream_tbEUlT_E1_NS1_11comp_targetILNS1_3genE10ELNS1_11target_archE1201ELNS1_3gpuE5ELNS1_3repE0EEENS1_30default_config_static_selectorELNS0_4arch9wavefront6targetE1EEEvSW_
	.globl	_ZN7rocprim17ROCPRIM_400000_NS6detail17trampoline_kernelINS0_14default_configENS1_22reduce_config_selectorIlEEZNS1_11reduce_implILb1ES3_N6thrust23THRUST_200600_302600_NS11hip_rocprim26transform_input_iterator_tIlNS8_12zip_iteratorINS8_5tupleINS8_6detail15normal_iteratorINS8_10device_ptrIxEEEESH_NS8_9null_typeESI_SI_SI_SI_SI_SI_SI_EEEENS9_21zip_adj_not_predicateI22is_equal_div_10_uniqueIxEEEEEPllNS8_4plusIlEEEE10hipError_tPvRmT1_T2_T3_mT4_P12ihipStream_tbEUlT_E1_NS1_11comp_targetILNS1_3genE10ELNS1_11target_archE1201ELNS1_3gpuE5ELNS1_3repE0EEENS1_30default_config_static_selectorELNS0_4arch9wavefront6targetE1EEEvSW_
	.p2align	8
	.type	_ZN7rocprim17ROCPRIM_400000_NS6detail17trampoline_kernelINS0_14default_configENS1_22reduce_config_selectorIlEEZNS1_11reduce_implILb1ES3_N6thrust23THRUST_200600_302600_NS11hip_rocprim26transform_input_iterator_tIlNS8_12zip_iteratorINS8_5tupleINS8_6detail15normal_iteratorINS8_10device_ptrIxEEEESH_NS8_9null_typeESI_SI_SI_SI_SI_SI_SI_EEEENS9_21zip_adj_not_predicateI22is_equal_div_10_uniqueIxEEEEEPllNS8_4plusIlEEEE10hipError_tPvRmT1_T2_T3_mT4_P12ihipStream_tbEUlT_E1_NS1_11comp_targetILNS1_3genE10ELNS1_11target_archE1201ELNS1_3gpuE5ELNS1_3repE0EEENS1_30default_config_static_selectorELNS0_4arch9wavefront6targetE1EEEvSW_,@function
_ZN7rocprim17ROCPRIM_400000_NS6detail17trampoline_kernelINS0_14default_configENS1_22reduce_config_selectorIlEEZNS1_11reduce_implILb1ES3_N6thrust23THRUST_200600_302600_NS11hip_rocprim26transform_input_iterator_tIlNS8_12zip_iteratorINS8_5tupleINS8_6detail15normal_iteratorINS8_10device_ptrIxEEEESH_NS8_9null_typeESI_SI_SI_SI_SI_SI_SI_EEEENS9_21zip_adj_not_predicateI22is_equal_div_10_uniqueIxEEEEEPllNS8_4plusIlEEEE10hipError_tPvRmT1_T2_T3_mT4_P12ihipStream_tbEUlT_E1_NS1_11comp_targetILNS1_3genE10ELNS1_11target_archE1201ELNS1_3gpuE5ELNS1_3repE0EEENS1_30default_config_static_selectorELNS0_4arch9wavefront6targetE1EEEvSW_: ; @_ZN7rocprim17ROCPRIM_400000_NS6detail17trampoline_kernelINS0_14default_configENS1_22reduce_config_selectorIlEEZNS1_11reduce_implILb1ES3_N6thrust23THRUST_200600_302600_NS11hip_rocprim26transform_input_iterator_tIlNS8_12zip_iteratorINS8_5tupleINS8_6detail15normal_iteratorINS8_10device_ptrIxEEEESH_NS8_9null_typeESI_SI_SI_SI_SI_SI_SI_EEEENS9_21zip_adj_not_predicateI22is_equal_div_10_uniqueIxEEEEEPllNS8_4plusIlEEEE10hipError_tPvRmT1_T2_T3_mT4_P12ihipStream_tbEUlT_E1_NS1_11comp_targetILNS1_3genE10ELNS1_11target_archE1201ELNS1_3gpuE5ELNS1_3repE0EEENS1_30default_config_static_selectorELNS0_4arch9wavefront6targetE1EEEvSW_
; %bb.0:
	.section	.rodata,"a",@progbits
	.p2align	6, 0x0
	.amdhsa_kernel _ZN7rocprim17ROCPRIM_400000_NS6detail17trampoline_kernelINS0_14default_configENS1_22reduce_config_selectorIlEEZNS1_11reduce_implILb1ES3_N6thrust23THRUST_200600_302600_NS11hip_rocprim26transform_input_iterator_tIlNS8_12zip_iteratorINS8_5tupleINS8_6detail15normal_iteratorINS8_10device_ptrIxEEEESH_NS8_9null_typeESI_SI_SI_SI_SI_SI_SI_EEEENS9_21zip_adj_not_predicateI22is_equal_div_10_uniqueIxEEEEEPllNS8_4plusIlEEEE10hipError_tPvRmT1_T2_T3_mT4_P12ihipStream_tbEUlT_E1_NS1_11comp_targetILNS1_3genE10ELNS1_11target_archE1201ELNS1_3gpuE5ELNS1_3repE0EEENS1_30default_config_static_selectorELNS0_4arch9wavefront6targetE1EEEvSW_
		.amdhsa_group_segment_fixed_size 0
		.amdhsa_private_segment_fixed_size 0
		.amdhsa_kernarg_size 64
		.amdhsa_user_sgpr_count 6
		.amdhsa_user_sgpr_private_segment_buffer 1
		.amdhsa_user_sgpr_dispatch_ptr 0
		.amdhsa_user_sgpr_queue_ptr 0
		.amdhsa_user_sgpr_kernarg_segment_ptr 1
		.amdhsa_user_sgpr_dispatch_id 0
		.amdhsa_user_sgpr_flat_scratch_init 0
		.amdhsa_user_sgpr_private_segment_size 0
		.amdhsa_uses_dynamic_stack 0
		.amdhsa_system_sgpr_private_segment_wavefront_offset 0
		.amdhsa_system_sgpr_workgroup_id_x 1
		.amdhsa_system_sgpr_workgroup_id_y 0
		.amdhsa_system_sgpr_workgroup_id_z 0
		.amdhsa_system_sgpr_workgroup_info 0
		.amdhsa_system_vgpr_workitem_id 0
		.amdhsa_next_free_vgpr 1
		.amdhsa_next_free_sgpr 0
		.amdhsa_reserve_vcc 0
		.amdhsa_reserve_flat_scratch 0
		.amdhsa_float_round_mode_32 0
		.amdhsa_float_round_mode_16_64 0
		.amdhsa_float_denorm_mode_32 3
		.amdhsa_float_denorm_mode_16_64 3
		.amdhsa_dx10_clamp 1
		.amdhsa_ieee_mode 1
		.amdhsa_fp16_overflow 0
		.amdhsa_exception_fp_ieee_invalid_op 0
		.amdhsa_exception_fp_denorm_src 0
		.amdhsa_exception_fp_ieee_div_zero 0
		.amdhsa_exception_fp_ieee_overflow 0
		.amdhsa_exception_fp_ieee_underflow 0
		.amdhsa_exception_fp_ieee_inexact 0
		.amdhsa_exception_int_div_zero 0
	.end_amdhsa_kernel
	.section	.text._ZN7rocprim17ROCPRIM_400000_NS6detail17trampoline_kernelINS0_14default_configENS1_22reduce_config_selectorIlEEZNS1_11reduce_implILb1ES3_N6thrust23THRUST_200600_302600_NS11hip_rocprim26transform_input_iterator_tIlNS8_12zip_iteratorINS8_5tupleINS8_6detail15normal_iteratorINS8_10device_ptrIxEEEESH_NS8_9null_typeESI_SI_SI_SI_SI_SI_SI_EEEENS9_21zip_adj_not_predicateI22is_equal_div_10_uniqueIxEEEEEPllNS8_4plusIlEEEE10hipError_tPvRmT1_T2_T3_mT4_P12ihipStream_tbEUlT_E1_NS1_11comp_targetILNS1_3genE10ELNS1_11target_archE1201ELNS1_3gpuE5ELNS1_3repE0EEENS1_30default_config_static_selectorELNS0_4arch9wavefront6targetE1EEEvSW_,"axG",@progbits,_ZN7rocprim17ROCPRIM_400000_NS6detail17trampoline_kernelINS0_14default_configENS1_22reduce_config_selectorIlEEZNS1_11reduce_implILb1ES3_N6thrust23THRUST_200600_302600_NS11hip_rocprim26transform_input_iterator_tIlNS8_12zip_iteratorINS8_5tupleINS8_6detail15normal_iteratorINS8_10device_ptrIxEEEESH_NS8_9null_typeESI_SI_SI_SI_SI_SI_SI_EEEENS9_21zip_adj_not_predicateI22is_equal_div_10_uniqueIxEEEEEPllNS8_4plusIlEEEE10hipError_tPvRmT1_T2_T3_mT4_P12ihipStream_tbEUlT_E1_NS1_11comp_targetILNS1_3genE10ELNS1_11target_archE1201ELNS1_3gpuE5ELNS1_3repE0EEENS1_30default_config_static_selectorELNS0_4arch9wavefront6targetE1EEEvSW_,comdat
.Lfunc_end955:
	.size	_ZN7rocprim17ROCPRIM_400000_NS6detail17trampoline_kernelINS0_14default_configENS1_22reduce_config_selectorIlEEZNS1_11reduce_implILb1ES3_N6thrust23THRUST_200600_302600_NS11hip_rocprim26transform_input_iterator_tIlNS8_12zip_iteratorINS8_5tupleINS8_6detail15normal_iteratorINS8_10device_ptrIxEEEESH_NS8_9null_typeESI_SI_SI_SI_SI_SI_SI_EEEENS9_21zip_adj_not_predicateI22is_equal_div_10_uniqueIxEEEEEPllNS8_4plusIlEEEE10hipError_tPvRmT1_T2_T3_mT4_P12ihipStream_tbEUlT_E1_NS1_11comp_targetILNS1_3genE10ELNS1_11target_archE1201ELNS1_3gpuE5ELNS1_3repE0EEENS1_30default_config_static_selectorELNS0_4arch9wavefront6targetE1EEEvSW_, .Lfunc_end955-_ZN7rocprim17ROCPRIM_400000_NS6detail17trampoline_kernelINS0_14default_configENS1_22reduce_config_selectorIlEEZNS1_11reduce_implILb1ES3_N6thrust23THRUST_200600_302600_NS11hip_rocprim26transform_input_iterator_tIlNS8_12zip_iteratorINS8_5tupleINS8_6detail15normal_iteratorINS8_10device_ptrIxEEEESH_NS8_9null_typeESI_SI_SI_SI_SI_SI_SI_EEEENS9_21zip_adj_not_predicateI22is_equal_div_10_uniqueIxEEEEEPllNS8_4plusIlEEEE10hipError_tPvRmT1_T2_T3_mT4_P12ihipStream_tbEUlT_E1_NS1_11comp_targetILNS1_3genE10ELNS1_11target_archE1201ELNS1_3gpuE5ELNS1_3repE0EEENS1_30default_config_static_selectorELNS0_4arch9wavefront6targetE1EEEvSW_
                                        ; -- End function
	.set _ZN7rocprim17ROCPRIM_400000_NS6detail17trampoline_kernelINS0_14default_configENS1_22reduce_config_selectorIlEEZNS1_11reduce_implILb1ES3_N6thrust23THRUST_200600_302600_NS11hip_rocprim26transform_input_iterator_tIlNS8_12zip_iteratorINS8_5tupleINS8_6detail15normal_iteratorINS8_10device_ptrIxEEEESH_NS8_9null_typeESI_SI_SI_SI_SI_SI_SI_EEEENS9_21zip_adj_not_predicateI22is_equal_div_10_uniqueIxEEEEEPllNS8_4plusIlEEEE10hipError_tPvRmT1_T2_T3_mT4_P12ihipStream_tbEUlT_E1_NS1_11comp_targetILNS1_3genE10ELNS1_11target_archE1201ELNS1_3gpuE5ELNS1_3repE0EEENS1_30default_config_static_selectorELNS0_4arch9wavefront6targetE1EEEvSW_.num_vgpr, 0
	.set _ZN7rocprim17ROCPRIM_400000_NS6detail17trampoline_kernelINS0_14default_configENS1_22reduce_config_selectorIlEEZNS1_11reduce_implILb1ES3_N6thrust23THRUST_200600_302600_NS11hip_rocprim26transform_input_iterator_tIlNS8_12zip_iteratorINS8_5tupleINS8_6detail15normal_iteratorINS8_10device_ptrIxEEEESH_NS8_9null_typeESI_SI_SI_SI_SI_SI_SI_EEEENS9_21zip_adj_not_predicateI22is_equal_div_10_uniqueIxEEEEEPllNS8_4plusIlEEEE10hipError_tPvRmT1_T2_T3_mT4_P12ihipStream_tbEUlT_E1_NS1_11comp_targetILNS1_3genE10ELNS1_11target_archE1201ELNS1_3gpuE5ELNS1_3repE0EEENS1_30default_config_static_selectorELNS0_4arch9wavefront6targetE1EEEvSW_.num_agpr, 0
	.set _ZN7rocprim17ROCPRIM_400000_NS6detail17trampoline_kernelINS0_14default_configENS1_22reduce_config_selectorIlEEZNS1_11reduce_implILb1ES3_N6thrust23THRUST_200600_302600_NS11hip_rocprim26transform_input_iterator_tIlNS8_12zip_iteratorINS8_5tupleINS8_6detail15normal_iteratorINS8_10device_ptrIxEEEESH_NS8_9null_typeESI_SI_SI_SI_SI_SI_SI_EEEENS9_21zip_adj_not_predicateI22is_equal_div_10_uniqueIxEEEEEPllNS8_4plusIlEEEE10hipError_tPvRmT1_T2_T3_mT4_P12ihipStream_tbEUlT_E1_NS1_11comp_targetILNS1_3genE10ELNS1_11target_archE1201ELNS1_3gpuE5ELNS1_3repE0EEENS1_30default_config_static_selectorELNS0_4arch9wavefront6targetE1EEEvSW_.numbered_sgpr, 0
	.set _ZN7rocprim17ROCPRIM_400000_NS6detail17trampoline_kernelINS0_14default_configENS1_22reduce_config_selectorIlEEZNS1_11reduce_implILb1ES3_N6thrust23THRUST_200600_302600_NS11hip_rocprim26transform_input_iterator_tIlNS8_12zip_iteratorINS8_5tupleINS8_6detail15normal_iteratorINS8_10device_ptrIxEEEESH_NS8_9null_typeESI_SI_SI_SI_SI_SI_SI_EEEENS9_21zip_adj_not_predicateI22is_equal_div_10_uniqueIxEEEEEPllNS8_4plusIlEEEE10hipError_tPvRmT1_T2_T3_mT4_P12ihipStream_tbEUlT_E1_NS1_11comp_targetILNS1_3genE10ELNS1_11target_archE1201ELNS1_3gpuE5ELNS1_3repE0EEENS1_30default_config_static_selectorELNS0_4arch9wavefront6targetE1EEEvSW_.num_named_barrier, 0
	.set _ZN7rocprim17ROCPRIM_400000_NS6detail17trampoline_kernelINS0_14default_configENS1_22reduce_config_selectorIlEEZNS1_11reduce_implILb1ES3_N6thrust23THRUST_200600_302600_NS11hip_rocprim26transform_input_iterator_tIlNS8_12zip_iteratorINS8_5tupleINS8_6detail15normal_iteratorINS8_10device_ptrIxEEEESH_NS8_9null_typeESI_SI_SI_SI_SI_SI_SI_EEEENS9_21zip_adj_not_predicateI22is_equal_div_10_uniqueIxEEEEEPllNS8_4plusIlEEEE10hipError_tPvRmT1_T2_T3_mT4_P12ihipStream_tbEUlT_E1_NS1_11comp_targetILNS1_3genE10ELNS1_11target_archE1201ELNS1_3gpuE5ELNS1_3repE0EEENS1_30default_config_static_selectorELNS0_4arch9wavefront6targetE1EEEvSW_.private_seg_size, 0
	.set _ZN7rocprim17ROCPRIM_400000_NS6detail17trampoline_kernelINS0_14default_configENS1_22reduce_config_selectorIlEEZNS1_11reduce_implILb1ES3_N6thrust23THRUST_200600_302600_NS11hip_rocprim26transform_input_iterator_tIlNS8_12zip_iteratorINS8_5tupleINS8_6detail15normal_iteratorINS8_10device_ptrIxEEEESH_NS8_9null_typeESI_SI_SI_SI_SI_SI_SI_EEEENS9_21zip_adj_not_predicateI22is_equal_div_10_uniqueIxEEEEEPllNS8_4plusIlEEEE10hipError_tPvRmT1_T2_T3_mT4_P12ihipStream_tbEUlT_E1_NS1_11comp_targetILNS1_3genE10ELNS1_11target_archE1201ELNS1_3gpuE5ELNS1_3repE0EEENS1_30default_config_static_selectorELNS0_4arch9wavefront6targetE1EEEvSW_.uses_vcc, 0
	.set _ZN7rocprim17ROCPRIM_400000_NS6detail17trampoline_kernelINS0_14default_configENS1_22reduce_config_selectorIlEEZNS1_11reduce_implILb1ES3_N6thrust23THRUST_200600_302600_NS11hip_rocprim26transform_input_iterator_tIlNS8_12zip_iteratorINS8_5tupleINS8_6detail15normal_iteratorINS8_10device_ptrIxEEEESH_NS8_9null_typeESI_SI_SI_SI_SI_SI_SI_EEEENS9_21zip_adj_not_predicateI22is_equal_div_10_uniqueIxEEEEEPllNS8_4plusIlEEEE10hipError_tPvRmT1_T2_T3_mT4_P12ihipStream_tbEUlT_E1_NS1_11comp_targetILNS1_3genE10ELNS1_11target_archE1201ELNS1_3gpuE5ELNS1_3repE0EEENS1_30default_config_static_selectorELNS0_4arch9wavefront6targetE1EEEvSW_.uses_flat_scratch, 0
	.set _ZN7rocprim17ROCPRIM_400000_NS6detail17trampoline_kernelINS0_14default_configENS1_22reduce_config_selectorIlEEZNS1_11reduce_implILb1ES3_N6thrust23THRUST_200600_302600_NS11hip_rocprim26transform_input_iterator_tIlNS8_12zip_iteratorINS8_5tupleINS8_6detail15normal_iteratorINS8_10device_ptrIxEEEESH_NS8_9null_typeESI_SI_SI_SI_SI_SI_SI_EEEENS9_21zip_adj_not_predicateI22is_equal_div_10_uniqueIxEEEEEPllNS8_4plusIlEEEE10hipError_tPvRmT1_T2_T3_mT4_P12ihipStream_tbEUlT_E1_NS1_11comp_targetILNS1_3genE10ELNS1_11target_archE1201ELNS1_3gpuE5ELNS1_3repE0EEENS1_30default_config_static_selectorELNS0_4arch9wavefront6targetE1EEEvSW_.has_dyn_sized_stack, 0
	.set _ZN7rocprim17ROCPRIM_400000_NS6detail17trampoline_kernelINS0_14default_configENS1_22reduce_config_selectorIlEEZNS1_11reduce_implILb1ES3_N6thrust23THRUST_200600_302600_NS11hip_rocprim26transform_input_iterator_tIlNS8_12zip_iteratorINS8_5tupleINS8_6detail15normal_iteratorINS8_10device_ptrIxEEEESH_NS8_9null_typeESI_SI_SI_SI_SI_SI_SI_EEEENS9_21zip_adj_not_predicateI22is_equal_div_10_uniqueIxEEEEEPllNS8_4plusIlEEEE10hipError_tPvRmT1_T2_T3_mT4_P12ihipStream_tbEUlT_E1_NS1_11comp_targetILNS1_3genE10ELNS1_11target_archE1201ELNS1_3gpuE5ELNS1_3repE0EEENS1_30default_config_static_selectorELNS0_4arch9wavefront6targetE1EEEvSW_.has_recursion, 0
	.set _ZN7rocprim17ROCPRIM_400000_NS6detail17trampoline_kernelINS0_14default_configENS1_22reduce_config_selectorIlEEZNS1_11reduce_implILb1ES3_N6thrust23THRUST_200600_302600_NS11hip_rocprim26transform_input_iterator_tIlNS8_12zip_iteratorINS8_5tupleINS8_6detail15normal_iteratorINS8_10device_ptrIxEEEESH_NS8_9null_typeESI_SI_SI_SI_SI_SI_SI_EEEENS9_21zip_adj_not_predicateI22is_equal_div_10_uniqueIxEEEEEPllNS8_4plusIlEEEE10hipError_tPvRmT1_T2_T3_mT4_P12ihipStream_tbEUlT_E1_NS1_11comp_targetILNS1_3genE10ELNS1_11target_archE1201ELNS1_3gpuE5ELNS1_3repE0EEENS1_30default_config_static_selectorELNS0_4arch9wavefront6targetE1EEEvSW_.has_indirect_call, 0
	.section	.AMDGPU.csdata,"",@progbits
; Kernel info:
; codeLenInByte = 0
; TotalNumSgprs: 4
; NumVgprs: 0
; ScratchSize: 0
; MemoryBound: 0
; FloatMode: 240
; IeeeMode: 1
; LDSByteSize: 0 bytes/workgroup (compile time only)
; SGPRBlocks: 0
; VGPRBlocks: 0
; NumSGPRsForWavesPerEU: 4
; NumVGPRsForWavesPerEU: 1
; Occupancy: 10
; WaveLimiterHint : 0
; COMPUTE_PGM_RSRC2:SCRATCH_EN: 0
; COMPUTE_PGM_RSRC2:USER_SGPR: 6
; COMPUTE_PGM_RSRC2:TRAP_HANDLER: 0
; COMPUTE_PGM_RSRC2:TGID_X_EN: 1
; COMPUTE_PGM_RSRC2:TGID_Y_EN: 0
; COMPUTE_PGM_RSRC2:TGID_Z_EN: 0
; COMPUTE_PGM_RSRC2:TIDIG_COMP_CNT: 0
	.section	.text._ZN7rocprim17ROCPRIM_400000_NS6detail17trampoline_kernelINS0_14default_configENS1_22reduce_config_selectorIlEEZNS1_11reduce_implILb1ES3_N6thrust23THRUST_200600_302600_NS11hip_rocprim26transform_input_iterator_tIlNS8_12zip_iteratorINS8_5tupleINS8_6detail15normal_iteratorINS8_10device_ptrIxEEEESH_NS8_9null_typeESI_SI_SI_SI_SI_SI_SI_EEEENS9_21zip_adj_not_predicateI22is_equal_div_10_uniqueIxEEEEEPllNS8_4plusIlEEEE10hipError_tPvRmT1_T2_T3_mT4_P12ihipStream_tbEUlT_E1_NS1_11comp_targetILNS1_3genE10ELNS1_11target_archE1200ELNS1_3gpuE4ELNS1_3repE0EEENS1_30default_config_static_selectorELNS0_4arch9wavefront6targetE1EEEvSW_,"axG",@progbits,_ZN7rocprim17ROCPRIM_400000_NS6detail17trampoline_kernelINS0_14default_configENS1_22reduce_config_selectorIlEEZNS1_11reduce_implILb1ES3_N6thrust23THRUST_200600_302600_NS11hip_rocprim26transform_input_iterator_tIlNS8_12zip_iteratorINS8_5tupleINS8_6detail15normal_iteratorINS8_10device_ptrIxEEEESH_NS8_9null_typeESI_SI_SI_SI_SI_SI_SI_EEEENS9_21zip_adj_not_predicateI22is_equal_div_10_uniqueIxEEEEEPllNS8_4plusIlEEEE10hipError_tPvRmT1_T2_T3_mT4_P12ihipStream_tbEUlT_E1_NS1_11comp_targetILNS1_3genE10ELNS1_11target_archE1200ELNS1_3gpuE4ELNS1_3repE0EEENS1_30default_config_static_selectorELNS0_4arch9wavefront6targetE1EEEvSW_,comdat
	.protected	_ZN7rocprim17ROCPRIM_400000_NS6detail17trampoline_kernelINS0_14default_configENS1_22reduce_config_selectorIlEEZNS1_11reduce_implILb1ES3_N6thrust23THRUST_200600_302600_NS11hip_rocprim26transform_input_iterator_tIlNS8_12zip_iteratorINS8_5tupleINS8_6detail15normal_iteratorINS8_10device_ptrIxEEEESH_NS8_9null_typeESI_SI_SI_SI_SI_SI_SI_EEEENS9_21zip_adj_not_predicateI22is_equal_div_10_uniqueIxEEEEEPllNS8_4plusIlEEEE10hipError_tPvRmT1_T2_T3_mT4_P12ihipStream_tbEUlT_E1_NS1_11comp_targetILNS1_3genE10ELNS1_11target_archE1200ELNS1_3gpuE4ELNS1_3repE0EEENS1_30default_config_static_selectorELNS0_4arch9wavefront6targetE1EEEvSW_ ; -- Begin function _ZN7rocprim17ROCPRIM_400000_NS6detail17trampoline_kernelINS0_14default_configENS1_22reduce_config_selectorIlEEZNS1_11reduce_implILb1ES3_N6thrust23THRUST_200600_302600_NS11hip_rocprim26transform_input_iterator_tIlNS8_12zip_iteratorINS8_5tupleINS8_6detail15normal_iteratorINS8_10device_ptrIxEEEESH_NS8_9null_typeESI_SI_SI_SI_SI_SI_SI_EEEENS9_21zip_adj_not_predicateI22is_equal_div_10_uniqueIxEEEEEPllNS8_4plusIlEEEE10hipError_tPvRmT1_T2_T3_mT4_P12ihipStream_tbEUlT_E1_NS1_11comp_targetILNS1_3genE10ELNS1_11target_archE1200ELNS1_3gpuE4ELNS1_3repE0EEENS1_30default_config_static_selectorELNS0_4arch9wavefront6targetE1EEEvSW_
	.globl	_ZN7rocprim17ROCPRIM_400000_NS6detail17trampoline_kernelINS0_14default_configENS1_22reduce_config_selectorIlEEZNS1_11reduce_implILb1ES3_N6thrust23THRUST_200600_302600_NS11hip_rocprim26transform_input_iterator_tIlNS8_12zip_iteratorINS8_5tupleINS8_6detail15normal_iteratorINS8_10device_ptrIxEEEESH_NS8_9null_typeESI_SI_SI_SI_SI_SI_SI_EEEENS9_21zip_adj_not_predicateI22is_equal_div_10_uniqueIxEEEEEPllNS8_4plusIlEEEE10hipError_tPvRmT1_T2_T3_mT4_P12ihipStream_tbEUlT_E1_NS1_11comp_targetILNS1_3genE10ELNS1_11target_archE1200ELNS1_3gpuE4ELNS1_3repE0EEENS1_30default_config_static_selectorELNS0_4arch9wavefront6targetE1EEEvSW_
	.p2align	8
	.type	_ZN7rocprim17ROCPRIM_400000_NS6detail17trampoline_kernelINS0_14default_configENS1_22reduce_config_selectorIlEEZNS1_11reduce_implILb1ES3_N6thrust23THRUST_200600_302600_NS11hip_rocprim26transform_input_iterator_tIlNS8_12zip_iteratorINS8_5tupleINS8_6detail15normal_iteratorINS8_10device_ptrIxEEEESH_NS8_9null_typeESI_SI_SI_SI_SI_SI_SI_EEEENS9_21zip_adj_not_predicateI22is_equal_div_10_uniqueIxEEEEEPllNS8_4plusIlEEEE10hipError_tPvRmT1_T2_T3_mT4_P12ihipStream_tbEUlT_E1_NS1_11comp_targetILNS1_3genE10ELNS1_11target_archE1200ELNS1_3gpuE4ELNS1_3repE0EEENS1_30default_config_static_selectorELNS0_4arch9wavefront6targetE1EEEvSW_,@function
_ZN7rocprim17ROCPRIM_400000_NS6detail17trampoline_kernelINS0_14default_configENS1_22reduce_config_selectorIlEEZNS1_11reduce_implILb1ES3_N6thrust23THRUST_200600_302600_NS11hip_rocprim26transform_input_iterator_tIlNS8_12zip_iteratorINS8_5tupleINS8_6detail15normal_iteratorINS8_10device_ptrIxEEEESH_NS8_9null_typeESI_SI_SI_SI_SI_SI_SI_EEEENS9_21zip_adj_not_predicateI22is_equal_div_10_uniqueIxEEEEEPllNS8_4plusIlEEEE10hipError_tPvRmT1_T2_T3_mT4_P12ihipStream_tbEUlT_E1_NS1_11comp_targetILNS1_3genE10ELNS1_11target_archE1200ELNS1_3gpuE4ELNS1_3repE0EEENS1_30default_config_static_selectorELNS0_4arch9wavefront6targetE1EEEvSW_: ; @_ZN7rocprim17ROCPRIM_400000_NS6detail17trampoline_kernelINS0_14default_configENS1_22reduce_config_selectorIlEEZNS1_11reduce_implILb1ES3_N6thrust23THRUST_200600_302600_NS11hip_rocprim26transform_input_iterator_tIlNS8_12zip_iteratorINS8_5tupleINS8_6detail15normal_iteratorINS8_10device_ptrIxEEEESH_NS8_9null_typeESI_SI_SI_SI_SI_SI_SI_EEEENS9_21zip_adj_not_predicateI22is_equal_div_10_uniqueIxEEEEEPllNS8_4plusIlEEEE10hipError_tPvRmT1_T2_T3_mT4_P12ihipStream_tbEUlT_E1_NS1_11comp_targetILNS1_3genE10ELNS1_11target_archE1200ELNS1_3gpuE4ELNS1_3repE0EEENS1_30default_config_static_selectorELNS0_4arch9wavefront6targetE1EEEvSW_
; %bb.0:
	.section	.rodata,"a",@progbits
	.p2align	6, 0x0
	.amdhsa_kernel _ZN7rocprim17ROCPRIM_400000_NS6detail17trampoline_kernelINS0_14default_configENS1_22reduce_config_selectorIlEEZNS1_11reduce_implILb1ES3_N6thrust23THRUST_200600_302600_NS11hip_rocprim26transform_input_iterator_tIlNS8_12zip_iteratorINS8_5tupleINS8_6detail15normal_iteratorINS8_10device_ptrIxEEEESH_NS8_9null_typeESI_SI_SI_SI_SI_SI_SI_EEEENS9_21zip_adj_not_predicateI22is_equal_div_10_uniqueIxEEEEEPllNS8_4plusIlEEEE10hipError_tPvRmT1_T2_T3_mT4_P12ihipStream_tbEUlT_E1_NS1_11comp_targetILNS1_3genE10ELNS1_11target_archE1200ELNS1_3gpuE4ELNS1_3repE0EEENS1_30default_config_static_selectorELNS0_4arch9wavefront6targetE1EEEvSW_
		.amdhsa_group_segment_fixed_size 0
		.amdhsa_private_segment_fixed_size 0
		.amdhsa_kernarg_size 64
		.amdhsa_user_sgpr_count 6
		.amdhsa_user_sgpr_private_segment_buffer 1
		.amdhsa_user_sgpr_dispatch_ptr 0
		.amdhsa_user_sgpr_queue_ptr 0
		.amdhsa_user_sgpr_kernarg_segment_ptr 1
		.amdhsa_user_sgpr_dispatch_id 0
		.amdhsa_user_sgpr_flat_scratch_init 0
		.amdhsa_user_sgpr_private_segment_size 0
		.amdhsa_uses_dynamic_stack 0
		.amdhsa_system_sgpr_private_segment_wavefront_offset 0
		.amdhsa_system_sgpr_workgroup_id_x 1
		.amdhsa_system_sgpr_workgroup_id_y 0
		.amdhsa_system_sgpr_workgroup_id_z 0
		.amdhsa_system_sgpr_workgroup_info 0
		.amdhsa_system_vgpr_workitem_id 0
		.amdhsa_next_free_vgpr 1
		.amdhsa_next_free_sgpr 0
		.amdhsa_reserve_vcc 0
		.amdhsa_reserve_flat_scratch 0
		.amdhsa_float_round_mode_32 0
		.amdhsa_float_round_mode_16_64 0
		.amdhsa_float_denorm_mode_32 3
		.amdhsa_float_denorm_mode_16_64 3
		.amdhsa_dx10_clamp 1
		.amdhsa_ieee_mode 1
		.amdhsa_fp16_overflow 0
		.amdhsa_exception_fp_ieee_invalid_op 0
		.amdhsa_exception_fp_denorm_src 0
		.amdhsa_exception_fp_ieee_div_zero 0
		.amdhsa_exception_fp_ieee_overflow 0
		.amdhsa_exception_fp_ieee_underflow 0
		.amdhsa_exception_fp_ieee_inexact 0
		.amdhsa_exception_int_div_zero 0
	.end_amdhsa_kernel
	.section	.text._ZN7rocprim17ROCPRIM_400000_NS6detail17trampoline_kernelINS0_14default_configENS1_22reduce_config_selectorIlEEZNS1_11reduce_implILb1ES3_N6thrust23THRUST_200600_302600_NS11hip_rocprim26transform_input_iterator_tIlNS8_12zip_iteratorINS8_5tupleINS8_6detail15normal_iteratorINS8_10device_ptrIxEEEESH_NS8_9null_typeESI_SI_SI_SI_SI_SI_SI_EEEENS9_21zip_adj_not_predicateI22is_equal_div_10_uniqueIxEEEEEPllNS8_4plusIlEEEE10hipError_tPvRmT1_T2_T3_mT4_P12ihipStream_tbEUlT_E1_NS1_11comp_targetILNS1_3genE10ELNS1_11target_archE1200ELNS1_3gpuE4ELNS1_3repE0EEENS1_30default_config_static_selectorELNS0_4arch9wavefront6targetE1EEEvSW_,"axG",@progbits,_ZN7rocprim17ROCPRIM_400000_NS6detail17trampoline_kernelINS0_14default_configENS1_22reduce_config_selectorIlEEZNS1_11reduce_implILb1ES3_N6thrust23THRUST_200600_302600_NS11hip_rocprim26transform_input_iterator_tIlNS8_12zip_iteratorINS8_5tupleINS8_6detail15normal_iteratorINS8_10device_ptrIxEEEESH_NS8_9null_typeESI_SI_SI_SI_SI_SI_SI_EEEENS9_21zip_adj_not_predicateI22is_equal_div_10_uniqueIxEEEEEPllNS8_4plusIlEEEE10hipError_tPvRmT1_T2_T3_mT4_P12ihipStream_tbEUlT_E1_NS1_11comp_targetILNS1_3genE10ELNS1_11target_archE1200ELNS1_3gpuE4ELNS1_3repE0EEENS1_30default_config_static_selectorELNS0_4arch9wavefront6targetE1EEEvSW_,comdat
.Lfunc_end956:
	.size	_ZN7rocprim17ROCPRIM_400000_NS6detail17trampoline_kernelINS0_14default_configENS1_22reduce_config_selectorIlEEZNS1_11reduce_implILb1ES3_N6thrust23THRUST_200600_302600_NS11hip_rocprim26transform_input_iterator_tIlNS8_12zip_iteratorINS8_5tupleINS8_6detail15normal_iteratorINS8_10device_ptrIxEEEESH_NS8_9null_typeESI_SI_SI_SI_SI_SI_SI_EEEENS9_21zip_adj_not_predicateI22is_equal_div_10_uniqueIxEEEEEPllNS8_4plusIlEEEE10hipError_tPvRmT1_T2_T3_mT4_P12ihipStream_tbEUlT_E1_NS1_11comp_targetILNS1_3genE10ELNS1_11target_archE1200ELNS1_3gpuE4ELNS1_3repE0EEENS1_30default_config_static_selectorELNS0_4arch9wavefront6targetE1EEEvSW_, .Lfunc_end956-_ZN7rocprim17ROCPRIM_400000_NS6detail17trampoline_kernelINS0_14default_configENS1_22reduce_config_selectorIlEEZNS1_11reduce_implILb1ES3_N6thrust23THRUST_200600_302600_NS11hip_rocprim26transform_input_iterator_tIlNS8_12zip_iteratorINS8_5tupleINS8_6detail15normal_iteratorINS8_10device_ptrIxEEEESH_NS8_9null_typeESI_SI_SI_SI_SI_SI_SI_EEEENS9_21zip_adj_not_predicateI22is_equal_div_10_uniqueIxEEEEEPllNS8_4plusIlEEEE10hipError_tPvRmT1_T2_T3_mT4_P12ihipStream_tbEUlT_E1_NS1_11comp_targetILNS1_3genE10ELNS1_11target_archE1200ELNS1_3gpuE4ELNS1_3repE0EEENS1_30default_config_static_selectorELNS0_4arch9wavefront6targetE1EEEvSW_
                                        ; -- End function
	.set _ZN7rocprim17ROCPRIM_400000_NS6detail17trampoline_kernelINS0_14default_configENS1_22reduce_config_selectorIlEEZNS1_11reduce_implILb1ES3_N6thrust23THRUST_200600_302600_NS11hip_rocprim26transform_input_iterator_tIlNS8_12zip_iteratorINS8_5tupleINS8_6detail15normal_iteratorINS8_10device_ptrIxEEEESH_NS8_9null_typeESI_SI_SI_SI_SI_SI_SI_EEEENS9_21zip_adj_not_predicateI22is_equal_div_10_uniqueIxEEEEEPllNS8_4plusIlEEEE10hipError_tPvRmT1_T2_T3_mT4_P12ihipStream_tbEUlT_E1_NS1_11comp_targetILNS1_3genE10ELNS1_11target_archE1200ELNS1_3gpuE4ELNS1_3repE0EEENS1_30default_config_static_selectorELNS0_4arch9wavefront6targetE1EEEvSW_.num_vgpr, 0
	.set _ZN7rocprim17ROCPRIM_400000_NS6detail17trampoline_kernelINS0_14default_configENS1_22reduce_config_selectorIlEEZNS1_11reduce_implILb1ES3_N6thrust23THRUST_200600_302600_NS11hip_rocprim26transform_input_iterator_tIlNS8_12zip_iteratorINS8_5tupleINS8_6detail15normal_iteratorINS8_10device_ptrIxEEEESH_NS8_9null_typeESI_SI_SI_SI_SI_SI_SI_EEEENS9_21zip_adj_not_predicateI22is_equal_div_10_uniqueIxEEEEEPllNS8_4plusIlEEEE10hipError_tPvRmT1_T2_T3_mT4_P12ihipStream_tbEUlT_E1_NS1_11comp_targetILNS1_3genE10ELNS1_11target_archE1200ELNS1_3gpuE4ELNS1_3repE0EEENS1_30default_config_static_selectorELNS0_4arch9wavefront6targetE1EEEvSW_.num_agpr, 0
	.set _ZN7rocprim17ROCPRIM_400000_NS6detail17trampoline_kernelINS0_14default_configENS1_22reduce_config_selectorIlEEZNS1_11reduce_implILb1ES3_N6thrust23THRUST_200600_302600_NS11hip_rocprim26transform_input_iterator_tIlNS8_12zip_iteratorINS8_5tupleINS8_6detail15normal_iteratorINS8_10device_ptrIxEEEESH_NS8_9null_typeESI_SI_SI_SI_SI_SI_SI_EEEENS9_21zip_adj_not_predicateI22is_equal_div_10_uniqueIxEEEEEPllNS8_4plusIlEEEE10hipError_tPvRmT1_T2_T3_mT4_P12ihipStream_tbEUlT_E1_NS1_11comp_targetILNS1_3genE10ELNS1_11target_archE1200ELNS1_3gpuE4ELNS1_3repE0EEENS1_30default_config_static_selectorELNS0_4arch9wavefront6targetE1EEEvSW_.numbered_sgpr, 0
	.set _ZN7rocprim17ROCPRIM_400000_NS6detail17trampoline_kernelINS0_14default_configENS1_22reduce_config_selectorIlEEZNS1_11reduce_implILb1ES3_N6thrust23THRUST_200600_302600_NS11hip_rocprim26transform_input_iterator_tIlNS8_12zip_iteratorINS8_5tupleINS8_6detail15normal_iteratorINS8_10device_ptrIxEEEESH_NS8_9null_typeESI_SI_SI_SI_SI_SI_SI_EEEENS9_21zip_adj_not_predicateI22is_equal_div_10_uniqueIxEEEEEPllNS8_4plusIlEEEE10hipError_tPvRmT1_T2_T3_mT4_P12ihipStream_tbEUlT_E1_NS1_11comp_targetILNS1_3genE10ELNS1_11target_archE1200ELNS1_3gpuE4ELNS1_3repE0EEENS1_30default_config_static_selectorELNS0_4arch9wavefront6targetE1EEEvSW_.num_named_barrier, 0
	.set _ZN7rocprim17ROCPRIM_400000_NS6detail17trampoline_kernelINS0_14default_configENS1_22reduce_config_selectorIlEEZNS1_11reduce_implILb1ES3_N6thrust23THRUST_200600_302600_NS11hip_rocprim26transform_input_iterator_tIlNS8_12zip_iteratorINS8_5tupleINS8_6detail15normal_iteratorINS8_10device_ptrIxEEEESH_NS8_9null_typeESI_SI_SI_SI_SI_SI_SI_EEEENS9_21zip_adj_not_predicateI22is_equal_div_10_uniqueIxEEEEEPllNS8_4plusIlEEEE10hipError_tPvRmT1_T2_T3_mT4_P12ihipStream_tbEUlT_E1_NS1_11comp_targetILNS1_3genE10ELNS1_11target_archE1200ELNS1_3gpuE4ELNS1_3repE0EEENS1_30default_config_static_selectorELNS0_4arch9wavefront6targetE1EEEvSW_.private_seg_size, 0
	.set _ZN7rocprim17ROCPRIM_400000_NS6detail17trampoline_kernelINS0_14default_configENS1_22reduce_config_selectorIlEEZNS1_11reduce_implILb1ES3_N6thrust23THRUST_200600_302600_NS11hip_rocprim26transform_input_iterator_tIlNS8_12zip_iteratorINS8_5tupleINS8_6detail15normal_iteratorINS8_10device_ptrIxEEEESH_NS8_9null_typeESI_SI_SI_SI_SI_SI_SI_EEEENS9_21zip_adj_not_predicateI22is_equal_div_10_uniqueIxEEEEEPllNS8_4plusIlEEEE10hipError_tPvRmT1_T2_T3_mT4_P12ihipStream_tbEUlT_E1_NS1_11comp_targetILNS1_3genE10ELNS1_11target_archE1200ELNS1_3gpuE4ELNS1_3repE0EEENS1_30default_config_static_selectorELNS0_4arch9wavefront6targetE1EEEvSW_.uses_vcc, 0
	.set _ZN7rocprim17ROCPRIM_400000_NS6detail17trampoline_kernelINS0_14default_configENS1_22reduce_config_selectorIlEEZNS1_11reduce_implILb1ES3_N6thrust23THRUST_200600_302600_NS11hip_rocprim26transform_input_iterator_tIlNS8_12zip_iteratorINS8_5tupleINS8_6detail15normal_iteratorINS8_10device_ptrIxEEEESH_NS8_9null_typeESI_SI_SI_SI_SI_SI_SI_EEEENS9_21zip_adj_not_predicateI22is_equal_div_10_uniqueIxEEEEEPllNS8_4plusIlEEEE10hipError_tPvRmT1_T2_T3_mT4_P12ihipStream_tbEUlT_E1_NS1_11comp_targetILNS1_3genE10ELNS1_11target_archE1200ELNS1_3gpuE4ELNS1_3repE0EEENS1_30default_config_static_selectorELNS0_4arch9wavefront6targetE1EEEvSW_.uses_flat_scratch, 0
	.set _ZN7rocprim17ROCPRIM_400000_NS6detail17trampoline_kernelINS0_14default_configENS1_22reduce_config_selectorIlEEZNS1_11reduce_implILb1ES3_N6thrust23THRUST_200600_302600_NS11hip_rocprim26transform_input_iterator_tIlNS8_12zip_iteratorINS8_5tupleINS8_6detail15normal_iteratorINS8_10device_ptrIxEEEESH_NS8_9null_typeESI_SI_SI_SI_SI_SI_SI_EEEENS9_21zip_adj_not_predicateI22is_equal_div_10_uniqueIxEEEEEPllNS8_4plusIlEEEE10hipError_tPvRmT1_T2_T3_mT4_P12ihipStream_tbEUlT_E1_NS1_11comp_targetILNS1_3genE10ELNS1_11target_archE1200ELNS1_3gpuE4ELNS1_3repE0EEENS1_30default_config_static_selectorELNS0_4arch9wavefront6targetE1EEEvSW_.has_dyn_sized_stack, 0
	.set _ZN7rocprim17ROCPRIM_400000_NS6detail17trampoline_kernelINS0_14default_configENS1_22reduce_config_selectorIlEEZNS1_11reduce_implILb1ES3_N6thrust23THRUST_200600_302600_NS11hip_rocprim26transform_input_iterator_tIlNS8_12zip_iteratorINS8_5tupleINS8_6detail15normal_iteratorINS8_10device_ptrIxEEEESH_NS8_9null_typeESI_SI_SI_SI_SI_SI_SI_EEEENS9_21zip_adj_not_predicateI22is_equal_div_10_uniqueIxEEEEEPllNS8_4plusIlEEEE10hipError_tPvRmT1_T2_T3_mT4_P12ihipStream_tbEUlT_E1_NS1_11comp_targetILNS1_3genE10ELNS1_11target_archE1200ELNS1_3gpuE4ELNS1_3repE0EEENS1_30default_config_static_selectorELNS0_4arch9wavefront6targetE1EEEvSW_.has_recursion, 0
	.set _ZN7rocprim17ROCPRIM_400000_NS6detail17trampoline_kernelINS0_14default_configENS1_22reduce_config_selectorIlEEZNS1_11reduce_implILb1ES3_N6thrust23THRUST_200600_302600_NS11hip_rocprim26transform_input_iterator_tIlNS8_12zip_iteratorINS8_5tupleINS8_6detail15normal_iteratorINS8_10device_ptrIxEEEESH_NS8_9null_typeESI_SI_SI_SI_SI_SI_SI_EEEENS9_21zip_adj_not_predicateI22is_equal_div_10_uniqueIxEEEEEPllNS8_4plusIlEEEE10hipError_tPvRmT1_T2_T3_mT4_P12ihipStream_tbEUlT_E1_NS1_11comp_targetILNS1_3genE10ELNS1_11target_archE1200ELNS1_3gpuE4ELNS1_3repE0EEENS1_30default_config_static_selectorELNS0_4arch9wavefront6targetE1EEEvSW_.has_indirect_call, 0
	.section	.AMDGPU.csdata,"",@progbits
; Kernel info:
; codeLenInByte = 0
; TotalNumSgprs: 4
; NumVgprs: 0
; ScratchSize: 0
; MemoryBound: 0
; FloatMode: 240
; IeeeMode: 1
; LDSByteSize: 0 bytes/workgroup (compile time only)
; SGPRBlocks: 0
; VGPRBlocks: 0
; NumSGPRsForWavesPerEU: 4
; NumVGPRsForWavesPerEU: 1
; Occupancy: 10
; WaveLimiterHint : 0
; COMPUTE_PGM_RSRC2:SCRATCH_EN: 0
; COMPUTE_PGM_RSRC2:USER_SGPR: 6
; COMPUTE_PGM_RSRC2:TRAP_HANDLER: 0
; COMPUTE_PGM_RSRC2:TGID_X_EN: 1
; COMPUTE_PGM_RSRC2:TGID_Y_EN: 0
; COMPUTE_PGM_RSRC2:TGID_Z_EN: 0
; COMPUTE_PGM_RSRC2:TIDIG_COMP_CNT: 0
	.section	.text._ZN7rocprim17ROCPRIM_400000_NS6detail17trampoline_kernelINS0_14default_configENS1_22reduce_config_selectorIlEEZNS1_11reduce_implILb1ES3_N6thrust23THRUST_200600_302600_NS11hip_rocprim26transform_input_iterator_tIlNS8_12zip_iteratorINS8_5tupleINS8_6detail15normal_iteratorINS8_10device_ptrIxEEEESH_NS8_9null_typeESI_SI_SI_SI_SI_SI_SI_EEEENS9_21zip_adj_not_predicateI22is_equal_div_10_uniqueIxEEEEEPllNS8_4plusIlEEEE10hipError_tPvRmT1_T2_T3_mT4_P12ihipStream_tbEUlT_E1_NS1_11comp_targetILNS1_3genE9ELNS1_11target_archE1100ELNS1_3gpuE3ELNS1_3repE0EEENS1_30default_config_static_selectorELNS0_4arch9wavefront6targetE1EEEvSW_,"axG",@progbits,_ZN7rocprim17ROCPRIM_400000_NS6detail17trampoline_kernelINS0_14default_configENS1_22reduce_config_selectorIlEEZNS1_11reduce_implILb1ES3_N6thrust23THRUST_200600_302600_NS11hip_rocprim26transform_input_iterator_tIlNS8_12zip_iteratorINS8_5tupleINS8_6detail15normal_iteratorINS8_10device_ptrIxEEEESH_NS8_9null_typeESI_SI_SI_SI_SI_SI_SI_EEEENS9_21zip_adj_not_predicateI22is_equal_div_10_uniqueIxEEEEEPllNS8_4plusIlEEEE10hipError_tPvRmT1_T2_T3_mT4_P12ihipStream_tbEUlT_E1_NS1_11comp_targetILNS1_3genE9ELNS1_11target_archE1100ELNS1_3gpuE3ELNS1_3repE0EEENS1_30default_config_static_selectorELNS0_4arch9wavefront6targetE1EEEvSW_,comdat
	.protected	_ZN7rocprim17ROCPRIM_400000_NS6detail17trampoline_kernelINS0_14default_configENS1_22reduce_config_selectorIlEEZNS1_11reduce_implILb1ES3_N6thrust23THRUST_200600_302600_NS11hip_rocprim26transform_input_iterator_tIlNS8_12zip_iteratorINS8_5tupleINS8_6detail15normal_iteratorINS8_10device_ptrIxEEEESH_NS8_9null_typeESI_SI_SI_SI_SI_SI_SI_EEEENS9_21zip_adj_not_predicateI22is_equal_div_10_uniqueIxEEEEEPllNS8_4plusIlEEEE10hipError_tPvRmT1_T2_T3_mT4_P12ihipStream_tbEUlT_E1_NS1_11comp_targetILNS1_3genE9ELNS1_11target_archE1100ELNS1_3gpuE3ELNS1_3repE0EEENS1_30default_config_static_selectorELNS0_4arch9wavefront6targetE1EEEvSW_ ; -- Begin function _ZN7rocprim17ROCPRIM_400000_NS6detail17trampoline_kernelINS0_14default_configENS1_22reduce_config_selectorIlEEZNS1_11reduce_implILb1ES3_N6thrust23THRUST_200600_302600_NS11hip_rocprim26transform_input_iterator_tIlNS8_12zip_iteratorINS8_5tupleINS8_6detail15normal_iteratorINS8_10device_ptrIxEEEESH_NS8_9null_typeESI_SI_SI_SI_SI_SI_SI_EEEENS9_21zip_adj_not_predicateI22is_equal_div_10_uniqueIxEEEEEPllNS8_4plusIlEEEE10hipError_tPvRmT1_T2_T3_mT4_P12ihipStream_tbEUlT_E1_NS1_11comp_targetILNS1_3genE9ELNS1_11target_archE1100ELNS1_3gpuE3ELNS1_3repE0EEENS1_30default_config_static_selectorELNS0_4arch9wavefront6targetE1EEEvSW_
	.globl	_ZN7rocprim17ROCPRIM_400000_NS6detail17trampoline_kernelINS0_14default_configENS1_22reduce_config_selectorIlEEZNS1_11reduce_implILb1ES3_N6thrust23THRUST_200600_302600_NS11hip_rocprim26transform_input_iterator_tIlNS8_12zip_iteratorINS8_5tupleINS8_6detail15normal_iteratorINS8_10device_ptrIxEEEESH_NS8_9null_typeESI_SI_SI_SI_SI_SI_SI_EEEENS9_21zip_adj_not_predicateI22is_equal_div_10_uniqueIxEEEEEPllNS8_4plusIlEEEE10hipError_tPvRmT1_T2_T3_mT4_P12ihipStream_tbEUlT_E1_NS1_11comp_targetILNS1_3genE9ELNS1_11target_archE1100ELNS1_3gpuE3ELNS1_3repE0EEENS1_30default_config_static_selectorELNS0_4arch9wavefront6targetE1EEEvSW_
	.p2align	8
	.type	_ZN7rocprim17ROCPRIM_400000_NS6detail17trampoline_kernelINS0_14default_configENS1_22reduce_config_selectorIlEEZNS1_11reduce_implILb1ES3_N6thrust23THRUST_200600_302600_NS11hip_rocprim26transform_input_iterator_tIlNS8_12zip_iteratorINS8_5tupleINS8_6detail15normal_iteratorINS8_10device_ptrIxEEEESH_NS8_9null_typeESI_SI_SI_SI_SI_SI_SI_EEEENS9_21zip_adj_not_predicateI22is_equal_div_10_uniqueIxEEEEEPllNS8_4plusIlEEEE10hipError_tPvRmT1_T2_T3_mT4_P12ihipStream_tbEUlT_E1_NS1_11comp_targetILNS1_3genE9ELNS1_11target_archE1100ELNS1_3gpuE3ELNS1_3repE0EEENS1_30default_config_static_selectorELNS0_4arch9wavefront6targetE1EEEvSW_,@function
_ZN7rocprim17ROCPRIM_400000_NS6detail17trampoline_kernelINS0_14default_configENS1_22reduce_config_selectorIlEEZNS1_11reduce_implILb1ES3_N6thrust23THRUST_200600_302600_NS11hip_rocprim26transform_input_iterator_tIlNS8_12zip_iteratorINS8_5tupleINS8_6detail15normal_iteratorINS8_10device_ptrIxEEEESH_NS8_9null_typeESI_SI_SI_SI_SI_SI_SI_EEEENS9_21zip_adj_not_predicateI22is_equal_div_10_uniqueIxEEEEEPllNS8_4plusIlEEEE10hipError_tPvRmT1_T2_T3_mT4_P12ihipStream_tbEUlT_E1_NS1_11comp_targetILNS1_3genE9ELNS1_11target_archE1100ELNS1_3gpuE3ELNS1_3repE0EEENS1_30default_config_static_selectorELNS0_4arch9wavefront6targetE1EEEvSW_: ; @_ZN7rocprim17ROCPRIM_400000_NS6detail17trampoline_kernelINS0_14default_configENS1_22reduce_config_selectorIlEEZNS1_11reduce_implILb1ES3_N6thrust23THRUST_200600_302600_NS11hip_rocprim26transform_input_iterator_tIlNS8_12zip_iteratorINS8_5tupleINS8_6detail15normal_iteratorINS8_10device_ptrIxEEEESH_NS8_9null_typeESI_SI_SI_SI_SI_SI_SI_EEEENS9_21zip_adj_not_predicateI22is_equal_div_10_uniqueIxEEEEEPllNS8_4plusIlEEEE10hipError_tPvRmT1_T2_T3_mT4_P12ihipStream_tbEUlT_E1_NS1_11comp_targetILNS1_3genE9ELNS1_11target_archE1100ELNS1_3gpuE3ELNS1_3repE0EEENS1_30default_config_static_selectorELNS0_4arch9wavefront6targetE1EEEvSW_
; %bb.0:
	.section	.rodata,"a",@progbits
	.p2align	6, 0x0
	.amdhsa_kernel _ZN7rocprim17ROCPRIM_400000_NS6detail17trampoline_kernelINS0_14default_configENS1_22reduce_config_selectorIlEEZNS1_11reduce_implILb1ES3_N6thrust23THRUST_200600_302600_NS11hip_rocprim26transform_input_iterator_tIlNS8_12zip_iteratorINS8_5tupleINS8_6detail15normal_iteratorINS8_10device_ptrIxEEEESH_NS8_9null_typeESI_SI_SI_SI_SI_SI_SI_EEEENS9_21zip_adj_not_predicateI22is_equal_div_10_uniqueIxEEEEEPllNS8_4plusIlEEEE10hipError_tPvRmT1_T2_T3_mT4_P12ihipStream_tbEUlT_E1_NS1_11comp_targetILNS1_3genE9ELNS1_11target_archE1100ELNS1_3gpuE3ELNS1_3repE0EEENS1_30default_config_static_selectorELNS0_4arch9wavefront6targetE1EEEvSW_
		.amdhsa_group_segment_fixed_size 0
		.amdhsa_private_segment_fixed_size 0
		.amdhsa_kernarg_size 64
		.amdhsa_user_sgpr_count 6
		.amdhsa_user_sgpr_private_segment_buffer 1
		.amdhsa_user_sgpr_dispatch_ptr 0
		.amdhsa_user_sgpr_queue_ptr 0
		.amdhsa_user_sgpr_kernarg_segment_ptr 1
		.amdhsa_user_sgpr_dispatch_id 0
		.amdhsa_user_sgpr_flat_scratch_init 0
		.amdhsa_user_sgpr_private_segment_size 0
		.amdhsa_uses_dynamic_stack 0
		.amdhsa_system_sgpr_private_segment_wavefront_offset 0
		.amdhsa_system_sgpr_workgroup_id_x 1
		.amdhsa_system_sgpr_workgroup_id_y 0
		.amdhsa_system_sgpr_workgroup_id_z 0
		.amdhsa_system_sgpr_workgroup_info 0
		.amdhsa_system_vgpr_workitem_id 0
		.amdhsa_next_free_vgpr 1
		.amdhsa_next_free_sgpr 0
		.amdhsa_reserve_vcc 0
		.amdhsa_reserve_flat_scratch 0
		.amdhsa_float_round_mode_32 0
		.amdhsa_float_round_mode_16_64 0
		.amdhsa_float_denorm_mode_32 3
		.amdhsa_float_denorm_mode_16_64 3
		.amdhsa_dx10_clamp 1
		.amdhsa_ieee_mode 1
		.amdhsa_fp16_overflow 0
		.amdhsa_exception_fp_ieee_invalid_op 0
		.amdhsa_exception_fp_denorm_src 0
		.amdhsa_exception_fp_ieee_div_zero 0
		.amdhsa_exception_fp_ieee_overflow 0
		.amdhsa_exception_fp_ieee_underflow 0
		.amdhsa_exception_fp_ieee_inexact 0
		.amdhsa_exception_int_div_zero 0
	.end_amdhsa_kernel
	.section	.text._ZN7rocprim17ROCPRIM_400000_NS6detail17trampoline_kernelINS0_14default_configENS1_22reduce_config_selectorIlEEZNS1_11reduce_implILb1ES3_N6thrust23THRUST_200600_302600_NS11hip_rocprim26transform_input_iterator_tIlNS8_12zip_iteratorINS8_5tupleINS8_6detail15normal_iteratorINS8_10device_ptrIxEEEESH_NS8_9null_typeESI_SI_SI_SI_SI_SI_SI_EEEENS9_21zip_adj_not_predicateI22is_equal_div_10_uniqueIxEEEEEPllNS8_4plusIlEEEE10hipError_tPvRmT1_T2_T3_mT4_P12ihipStream_tbEUlT_E1_NS1_11comp_targetILNS1_3genE9ELNS1_11target_archE1100ELNS1_3gpuE3ELNS1_3repE0EEENS1_30default_config_static_selectorELNS0_4arch9wavefront6targetE1EEEvSW_,"axG",@progbits,_ZN7rocprim17ROCPRIM_400000_NS6detail17trampoline_kernelINS0_14default_configENS1_22reduce_config_selectorIlEEZNS1_11reduce_implILb1ES3_N6thrust23THRUST_200600_302600_NS11hip_rocprim26transform_input_iterator_tIlNS8_12zip_iteratorINS8_5tupleINS8_6detail15normal_iteratorINS8_10device_ptrIxEEEESH_NS8_9null_typeESI_SI_SI_SI_SI_SI_SI_EEEENS9_21zip_adj_not_predicateI22is_equal_div_10_uniqueIxEEEEEPllNS8_4plusIlEEEE10hipError_tPvRmT1_T2_T3_mT4_P12ihipStream_tbEUlT_E1_NS1_11comp_targetILNS1_3genE9ELNS1_11target_archE1100ELNS1_3gpuE3ELNS1_3repE0EEENS1_30default_config_static_selectorELNS0_4arch9wavefront6targetE1EEEvSW_,comdat
.Lfunc_end957:
	.size	_ZN7rocprim17ROCPRIM_400000_NS6detail17trampoline_kernelINS0_14default_configENS1_22reduce_config_selectorIlEEZNS1_11reduce_implILb1ES3_N6thrust23THRUST_200600_302600_NS11hip_rocprim26transform_input_iterator_tIlNS8_12zip_iteratorINS8_5tupleINS8_6detail15normal_iteratorINS8_10device_ptrIxEEEESH_NS8_9null_typeESI_SI_SI_SI_SI_SI_SI_EEEENS9_21zip_adj_not_predicateI22is_equal_div_10_uniqueIxEEEEEPllNS8_4plusIlEEEE10hipError_tPvRmT1_T2_T3_mT4_P12ihipStream_tbEUlT_E1_NS1_11comp_targetILNS1_3genE9ELNS1_11target_archE1100ELNS1_3gpuE3ELNS1_3repE0EEENS1_30default_config_static_selectorELNS0_4arch9wavefront6targetE1EEEvSW_, .Lfunc_end957-_ZN7rocprim17ROCPRIM_400000_NS6detail17trampoline_kernelINS0_14default_configENS1_22reduce_config_selectorIlEEZNS1_11reduce_implILb1ES3_N6thrust23THRUST_200600_302600_NS11hip_rocprim26transform_input_iterator_tIlNS8_12zip_iteratorINS8_5tupleINS8_6detail15normal_iteratorINS8_10device_ptrIxEEEESH_NS8_9null_typeESI_SI_SI_SI_SI_SI_SI_EEEENS9_21zip_adj_not_predicateI22is_equal_div_10_uniqueIxEEEEEPllNS8_4plusIlEEEE10hipError_tPvRmT1_T2_T3_mT4_P12ihipStream_tbEUlT_E1_NS1_11comp_targetILNS1_3genE9ELNS1_11target_archE1100ELNS1_3gpuE3ELNS1_3repE0EEENS1_30default_config_static_selectorELNS0_4arch9wavefront6targetE1EEEvSW_
                                        ; -- End function
	.set _ZN7rocprim17ROCPRIM_400000_NS6detail17trampoline_kernelINS0_14default_configENS1_22reduce_config_selectorIlEEZNS1_11reduce_implILb1ES3_N6thrust23THRUST_200600_302600_NS11hip_rocprim26transform_input_iterator_tIlNS8_12zip_iteratorINS8_5tupleINS8_6detail15normal_iteratorINS8_10device_ptrIxEEEESH_NS8_9null_typeESI_SI_SI_SI_SI_SI_SI_EEEENS9_21zip_adj_not_predicateI22is_equal_div_10_uniqueIxEEEEEPllNS8_4plusIlEEEE10hipError_tPvRmT1_T2_T3_mT4_P12ihipStream_tbEUlT_E1_NS1_11comp_targetILNS1_3genE9ELNS1_11target_archE1100ELNS1_3gpuE3ELNS1_3repE0EEENS1_30default_config_static_selectorELNS0_4arch9wavefront6targetE1EEEvSW_.num_vgpr, 0
	.set _ZN7rocprim17ROCPRIM_400000_NS6detail17trampoline_kernelINS0_14default_configENS1_22reduce_config_selectorIlEEZNS1_11reduce_implILb1ES3_N6thrust23THRUST_200600_302600_NS11hip_rocprim26transform_input_iterator_tIlNS8_12zip_iteratorINS8_5tupleINS8_6detail15normal_iteratorINS8_10device_ptrIxEEEESH_NS8_9null_typeESI_SI_SI_SI_SI_SI_SI_EEEENS9_21zip_adj_not_predicateI22is_equal_div_10_uniqueIxEEEEEPllNS8_4plusIlEEEE10hipError_tPvRmT1_T2_T3_mT4_P12ihipStream_tbEUlT_E1_NS1_11comp_targetILNS1_3genE9ELNS1_11target_archE1100ELNS1_3gpuE3ELNS1_3repE0EEENS1_30default_config_static_selectorELNS0_4arch9wavefront6targetE1EEEvSW_.num_agpr, 0
	.set _ZN7rocprim17ROCPRIM_400000_NS6detail17trampoline_kernelINS0_14default_configENS1_22reduce_config_selectorIlEEZNS1_11reduce_implILb1ES3_N6thrust23THRUST_200600_302600_NS11hip_rocprim26transform_input_iterator_tIlNS8_12zip_iteratorINS8_5tupleINS8_6detail15normal_iteratorINS8_10device_ptrIxEEEESH_NS8_9null_typeESI_SI_SI_SI_SI_SI_SI_EEEENS9_21zip_adj_not_predicateI22is_equal_div_10_uniqueIxEEEEEPllNS8_4plusIlEEEE10hipError_tPvRmT1_T2_T3_mT4_P12ihipStream_tbEUlT_E1_NS1_11comp_targetILNS1_3genE9ELNS1_11target_archE1100ELNS1_3gpuE3ELNS1_3repE0EEENS1_30default_config_static_selectorELNS0_4arch9wavefront6targetE1EEEvSW_.numbered_sgpr, 0
	.set _ZN7rocprim17ROCPRIM_400000_NS6detail17trampoline_kernelINS0_14default_configENS1_22reduce_config_selectorIlEEZNS1_11reduce_implILb1ES3_N6thrust23THRUST_200600_302600_NS11hip_rocprim26transform_input_iterator_tIlNS8_12zip_iteratorINS8_5tupleINS8_6detail15normal_iteratorINS8_10device_ptrIxEEEESH_NS8_9null_typeESI_SI_SI_SI_SI_SI_SI_EEEENS9_21zip_adj_not_predicateI22is_equal_div_10_uniqueIxEEEEEPllNS8_4plusIlEEEE10hipError_tPvRmT1_T2_T3_mT4_P12ihipStream_tbEUlT_E1_NS1_11comp_targetILNS1_3genE9ELNS1_11target_archE1100ELNS1_3gpuE3ELNS1_3repE0EEENS1_30default_config_static_selectorELNS0_4arch9wavefront6targetE1EEEvSW_.num_named_barrier, 0
	.set _ZN7rocprim17ROCPRIM_400000_NS6detail17trampoline_kernelINS0_14default_configENS1_22reduce_config_selectorIlEEZNS1_11reduce_implILb1ES3_N6thrust23THRUST_200600_302600_NS11hip_rocprim26transform_input_iterator_tIlNS8_12zip_iteratorINS8_5tupleINS8_6detail15normal_iteratorINS8_10device_ptrIxEEEESH_NS8_9null_typeESI_SI_SI_SI_SI_SI_SI_EEEENS9_21zip_adj_not_predicateI22is_equal_div_10_uniqueIxEEEEEPllNS8_4plusIlEEEE10hipError_tPvRmT1_T2_T3_mT4_P12ihipStream_tbEUlT_E1_NS1_11comp_targetILNS1_3genE9ELNS1_11target_archE1100ELNS1_3gpuE3ELNS1_3repE0EEENS1_30default_config_static_selectorELNS0_4arch9wavefront6targetE1EEEvSW_.private_seg_size, 0
	.set _ZN7rocprim17ROCPRIM_400000_NS6detail17trampoline_kernelINS0_14default_configENS1_22reduce_config_selectorIlEEZNS1_11reduce_implILb1ES3_N6thrust23THRUST_200600_302600_NS11hip_rocprim26transform_input_iterator_tIlNS8_12zip_iteratorINS8_5tupleINS8_6detail15normal_iteratorINS8_10device_ptrIxEEEESH_NS8_9null_typeESI_SI_SI_SI_SI_SI_SI_EEEENS9_21zip_adj_not_predicateI22is_equal_div_10_uniqueIxEEEEEPllNS8_4plusIlEEEE10hipError_tPvRmT1_T2_T3_mT4_P12ihipStream_tbEUlT_E1_NS1_11comp_targetILNS1_3genE9ELNS1_11target_archE1100ELNS1_3gpuE3ELNS1_3repE0EEENS1_30default_config_static_selectorELNS0_4arch9wavefront6targetE1EEEvSW_.uses_vcc, 0
	.set _ZN7rocprim17ROCPRIM_400000_NS6detail17trampoline_kernelINS0_14default_configENS1_22reduce_config_selectorIlEEZNS1_11reduce_implILb1ES3_N6thrust23THRUST_200600_302600_NS11hip_rocprim26transform_input_iterator_tIlNS8_12zip_iteratorINS8_5tupleINS8_6detail15normal_iteratorINS8_10device_ptrIxEEEESH_NS8_9null_typeESI_SI_SI_SI_SI_SI_SI_EEEENS9_21zip_adj_not_predicateI22is_equal_div_10_uniqueIxEEEEEPllNS8_4plusIlEEEE10hipError_tPvRmT1_T2_T3_mT4_P12ihipStream_tbEUlT_E1_NS1_11comp_targetILNS1_3genE9ELNS1_11target_archE1100ELNS1_3gpuE3ELNS1_3repE0EEENS1_30default_config_static_selectorELNS0_4arch9wavefront6targetE1EEEvSW_.uses_flat_scratch, 0
	.set _ZN7rocprim17ROCPRIM_400000_NS6detail17trampoline_kernelINS0_14default_configENS1_22reduce_config_selectorIlEEZNS1_11reduce_implILb1ES3_N6thrust23THRUST_200600_302600_NS11hip_rocprim26transform_input_iterator_tIlNS8_12zip_iteratorINS8_5tupleINS8_6detail15normal_iteratorINS8_10device_ptrIxEEEESH_NS8_9null_typeESI_SI_SI_SI_SI_SI_SI_EEEENS9_21zip_adj_not_predicateI22is_equal_div_10_uniqueIxEEEEEPllNS8_4plusIlEEEE10hipError_tPvRmT1_T2_T3_mT4_P12ihipStream_tbEUlT_E1_NS1_11comp_targetILNS1_3genE9ELNS1_11target_archE1100ELNS1_3gpuE3ELNS1_3repE0EEENS1_30default_config_static_selectorELNS0_4arch9wavefront6targetE1EEEvSW_.has_dyn_sized_stack, 0
	.set _ZN7rocprim17ROCPRIM_400000_NS6detail17trampoline_kernelINS0_14default_configENS1_22reduce_config_selectorIlEEZNS1_11reduce_implILb1ES3_N6thrust23THRUST_200600_302600_NS11hip_rocprim26transform_input_iterator_tIlNS8_12zip_iteratorINS8_5tupleINS8_6detail15normal_iteratorINS8_10device_ptrIxEEEESH_NS8_9null_typeESI_SI_SI_SI_SI_SI_SI_EEEENS9_21zip_adj_not_predicateI22is_equal_div_10_uniqueIxEEEEEPllNS8_4plusIlEEEE10hipError_tPvRmT1_T2_T3_mT4_P12ihipStream_tbEUlT_E1_NS1_11comp_targetILNS1_3genE9ELNS1_11target_archE1100ELNS1_3gpuE3ELNS1_3repE0EEENS1_30default_config_static_selectorELNS0_4arch9wavefront6targetE1EEEvSW_.has_recursion, 0
	.set _ZN7rocprim17ROCPRIM_400000_NS6detail17trampoline_kernelINS0_14default_configENS1_22reduce_config_selectorIlEEZNS1_11reduce_implILb1ES3_N6thrust23THRUST_200600_302600_NS11hip_rocprim26transform_input_iterator_tIlNS8_12zip_iteratorINS8_5tupleINS8_6detail15normal_iteratorINS8_10device_ptrIxEEEESH_NS8_9null_typeESI_SI_SI_SI_SI_SI_SI_EEEENS9_21zip_adj_not_predicateI22is_equal_div_10_uniqueIxEEEEEPllNS8_4plusIlEEEE10hipError_tPvRmT1_T2_T3_mT4_P12ihipStream_tbEUlT_E1_NS1_11comp_targetILNS1_3genE9ELNS1_11target_archE1100ELNS1_3gpuE3ELNS1_3repE0EEENS1_30default_config_static_selectorELNS0_4arch9wavefront6targetE1EEEvSW_.has_indirect_call, 0
	.section	.AMDGPU.csdata,"",@progbits
; Kernel info:
; codeLenInByte = 0
; TotalNumSgprs: 4
; NumVgprs: 0
; ScratchSize: 0
; MemoryBound: 0
; FloatMode: 240
; IeeeMode: 1
; LDSByteSize: 0 bytes/workgroup (compile time only)
; SGPRBlocks: 0
; VGPRBlocks: 0
; NumSGPRsForWavesPerEU: 4
; NumVGPRsForWavesPerEU: 1
; Occupancy: 10
; WaveLimiterHint : 0
; COMPUTE_PGM_RSRC2:SCRATCH_EN: 0
; COMPUTE_PGM_RSRC2:USER_SGPR: 6
; COMPUTE_PGM_RSRC2:TRAP_HANDLER: 0
; COMPUTE_PGM_RSRC2:TGID_X_EN: 1
; COMPUTE_PGM_RSRC2:TGID_Y_EN: 0
; COMPUTE_PGM_RSRC2:TGID_Z_EN: 0
; COMPUTE_PGM_RSRC2:TIDIG_COMP_CNT: 0
	.section	.text._ZN7rocprim17ROCPRIM_400000_NS6detail17trampoline_kernelINS0_14default_configENS1_22reduce_config_selectorIlEEZNS1_11reduce_implILb1ES3_N6thrust23THRUST_200600_302600_NS11hip_rocprim26transform_input_iterator_tIlNS8_12zip_iteratorINS8_5tupleINS8_6detail15normal_iteratorINS8_10device_ptrIxEEEESH_NS8_9null_typeESI_SI_SI_SI_SI_SI_SI_EEEENS9_21zip_adj_not_predicateI22is_equal_div_10_uniqueIxEEEEEPllNS8_4plusIlEEEE10hipError_tPvRmT1_T2_T3_mT4_P12ihipStream_tbEUlT_E1_NS1_11comp_targetILNS1_3genE8ELNS1_11target_archE1030ELNS1_3gpuE2ELNS1_3repE0EEENS1_30default_config_static_selectorELNS0_4arch9wavefront6targetE1EEEvSW_,"axG",@progbits,_ZN7rocprim17ROCPRIM_400000_NS6detail17trampoline_kernelINS0_14default_configENS1_22reduce_config_selectorIlEEZNS1_11reduce_implILb1ES3_N6thrust23THRUST_200600_302600_NS11hip_rocprim26transform_input_iterator_tIlNS8_12zip_iteratorINS8_5tupleINS8_6detail15normal_iteratorINS8_10device_ptrIxEEEESH_NS8_9null_typeESI_SI_SI_SI_SI_SI_SI_EEEENS9_21zip_adj_not_predicateI22is_equal_div_10_uniqueIxEEEEEPllNS8_4plusIlEEEE10hipError_tPvRmT1_T2_T3_mT4_P12ihipStream_tbEUlT_E1_NS1_11comp_targetILNS1_3genE8ELNS1_11target_archE1030ELNS1_3gpuE2ELNS1_3repE0EEENS1_30default_config_static_selectorELNS0_4arch9wavefront6targetE1EEEvSW_,comdat
	.protected	_ZN7rocprim17ROCPRIM_400000_NS6detail17trampoline_kernelINS0_14default_configENS1_22reduce_config_selectorIlEEZNS1_11reduce_implILb1ES3_N6thrust23THRUST_200600_302600_NS11hip_rocprim26transform_input_iterator_tIlNS8_12zip_iteratorINS8_5tupleINS8_6detail15normal_iteratorINS8_10device_ptrIxEEEESH_NS8_9null_typeESI_SI_SI_SI_SI_SI_SI_EEEENS9_21zip_adj_not_predicateI22is_equal_div_10_uniqueIxEEEEEPllNS8_4plusIlEEEE10hipError_tPvRmT1_T2_T3_mT4_P12ihipStream_tbEUlT_E1_NS1_11comp_targetILNS1_3genE8ELNS1_11target_archE1030ELNS1_3gpuE2ELNS1_3repE0EEENS1_30default_config_static_selectorELNS0_4arch9wavefront6targetE1EEEvSW_ ; -- Begin function _ZN7rocprim17ROCPRIM_400000_NS6detail17trampoline_kernelINS0_14default_configENS1_22reduce_config_selectorIlEEZNS1_11reduce_implILb1ES3_N6thrust23THRUST_200600_302600_NS11hip_rocprim26transform_input_iterator_tIlNS8_12zip_iteratorINS8_5tupleINS8_6detail15normal_iteratorINS8_10device_ptrIxEEEESH_NS8_9null_typeESI_SI_SI_SI_SI_SI_SI_EEEENS9_21zip_adj_not_predicateI22is_equal_div_10_uniqueIxEEEEEPllNS8_4plusIlEEEE10hipError_tPvRmT1_T2_T3_mT4_P12ihipStream_tbEUlT_E1_NS1_11comp_targetILNS1_3genE8ELNS1_11target_archE1030ELNS1_3gpuE2ELNS1_3repE0EEENS1_30default_config_static_selectorELNS0_4arch9wavefront6targetE1EEEvSW_
	.globl	_ZN7rocprim17ROCPRIM_400000_NS6detail17trampoline_kernelINS0_14default_configENS1_22reduce_config_selectorIlEEZNS1_11reduce_implILb1ES3_N6thrust23THRUST_200600_302600_NS11hip_rocprim26transform_input_iterator_tIlNS8_12zip_iteratorINS8_5tupleINS8_6detail15normal_iteratorINS8_10device_ptrIxEEEESH_NS8_9null_typeESI_SI_SI_SI_SI_SI_SI_EEEENS9_21zip_adj_not_predicateI22is_equal_div_10_uniqueIxEEEEEPllNS8_4plusIlEEEE10hipError_tPvRmT1_T2_T3_mT4_P12ihipStream_tbEUlT_E1_NS1_11comp_targetILNS1_3genE8ELNS1_11target_archE1030ELNS1_3gpuE2ELNS1_3repE0EEENS1_30default_config_static_selectorELNS0_4arch9wavefront6targetE1EEEvSW_
	.p2align	8
	.type	_ZN7rocprim17ROCPRIM_400000_NS6detail17trampoline_kernelINS0_14default_configENS1_22reduce_config_selectorIlEEZNS1_11reduce_implILb1ES3_N6thrust23THRUST_200600_302600_NS11hip_rocprim26transform_input_iterator_tIlNS8_12zip_iteratorINS8_5tupleINS8_6detail15normal_iteratorINS8_10device_ptrIxEEEESH_NS8_9null_typeESI_SI_SI_SI_SI_SI_SI_EEEENS9_21zip_adj_not_predicateI22is_equal_div_10_uniqueIxEEEEEPllNS8_4plusIlEEEE10hipError_tPvRmT1_T2_T3_mT4_P12ihipStream_tbEUlT_E1_NS1_11comp_targetILNS1_3genE8ELNS1_11target_archE1030ELNS1_3gpuE2ELNS1_3repE0EEENS1_30default_config_static_selectorELNS0_4arch9wavefront6targetE1EEEvSW_,@function
_ZN7rocprim17ROCPRIM_400000_NS6detail17trampoline_kernelINS0_14default_configENS1_22reduce_config_selectorIlEEZNS1_11reduce_implILb1ES3_N6thrust23THRUST_200600_302600_NS11hip_rocprim26transform_input_iterator_tIlNS8_12zip_iteratorINS8_5tupleINS8_6detail15normal_iteratorINS8_10device_ptrIxEEEESH_NS8_9null_typeESI_SI_SI_SI_SI_SI_SI_EEEENS9_21zip_adj_not_predicateI22is_equal_div_10_uniqueIxEEEEEPllNS8_4plusIlEEEE10hipError_tPvRmT1_T2_T3_mT4_P12ihipStream_tbEUlT_E1_NS1_11comp_targetILNS1_3genE8ELNS1_11target_archE1030ELNS1_3gpuE2ELNS1_3repE0EEENS1_30default_config_static_selectorELNS0_4arch9wavefront6targetE1EEEvSW_: ; @_ZN7rocprim17ROCPRIM_400000_NS6detail17trampoline_kernelINS0_14default_configENS1_22reduce_config_selectorIlEEZNS1_11reduce_implILb1ES3_N6thrust23THRUST_200600_302600_NS11hip_rocprim26transform_input_iterator_tIlNS8_12zip_iteratorINS8_5tupleINS8_6detail15normal_iteratorINS8_10device_ptrIxEEEESH_NS8_9null_typeESI_SI_SI_SI_SI_SI_SI_EEEENS9_21zip_adj_not_predicateI22is_equal_div_10_uniqueIxEEEEEPllNS8_4plusIlEEEE10hipError_tPvRmT1_T2_T3_mT4_P12ihipStream_tbEUlT_E1_NS1_11comp_targetILNS1_3genE8ELNS1_11target_archE1030ELNS1_3gpuE2ELNS1_3repE0EEENS1_30default_config_static_selectorELNS0_4arch9wavefront6targetE1EEEvSW_
; %bb.0:
	.section	.rodata,"a",@progbits
	.p2align	6, 0x0
	.amdhsa_kernel _ZN7rocprim17ROCPRIM_400000_NS6detail17trampoline_kernelINS0_14default_configENS1_22reduce_config_selectorIlEEZNS1_11reduce_implILb1ES3_N6thrust23THRUST_200600_302600_NS11hip_rocprim26transform_input_iterator_tIlNS8_12zip_iteratorINS8_5tupleINS8_6detail15normal_iteratorINS8_10device_ptrIxEEEESH_NS8_9null_typeESI_SI_SI_SI_SI_SI_SI_EEEENS9_21zip_adj_not_predicateI22is_equal_div_10_uniqueIxEEEEEPllNS8_4plusIlEEEE10hipError_tPvRmT1_T2_T3_mT4_P12ihipStream_tbEUlT_E1_NS1_11comp_targetILNS1_3genE8ELNS1_11target_archE1030ELNS1_3gpuE2ELNS1_3repE0EEENS1_30default_config_static_selectorELNS0_4arch9wavefront6targetE1EEEvSW_
		.amdhsa_group_segment_fixed_size 0
		.amdhsa_private_segment_fixed_size 0
		.amdhsa_kernarg_size 64
		.amdhsa_user_sgpr_count 6
		.amdhsa_user_sgpr_private_segment_buffer 1
		.amdhsa_user_sgpr_dispatch_ptr 0
		.amdhsa_user_sgpr_queue_ptr 0
		.amdhsa_user_sgpr_kernarg_segment_ptr 1
		.amdhsa_user_sgpr_dispatch_id 0
		.amdhsa_user_sgpr_flat_scratch_init 0
		.amdhsa_user_sgpr_private_segment_size 0
		.amdhsa_uses_dynamic_stack 0
		.amdhsa_system_sgpr_private_segment_wavefront_offset 0
		.amdhsa_system_sgpr_workgroup_id_x 1
		.amdhsa_system_sgpr_workgroup_id_y 0
		.amdhsa_system_sgpr_workgroup_id_z 0
		.amdhsa_system_sgpr_workgroup_info 0
		.amdhsa_system_vgpr_workitem_id 0
		.amdhsa_next_free_vgpr 1
		.amdhsa_next_free_sgpr 0
		.amdhsa_reserve_vcc 0
		.amdhsa_reserve_flat_scratch 0
		.amdhsa_float_round_mode_32 0
		.amdhsa_float_round_mode_16_64 0
		.amdhsa_float_denorm_mode_32 3
		.amdhsa_float_denorm_mode_16_64 3
		.amdhsa_dx10_clamp 1
		.amdhsa_ieee_mode 1
		.amdhsa_fp16_overflow 0
		.amdhsa_exception_fp_ieee_invalid_op 0
		.amdhsa_exception_fp_denorm_src 0
		.amdhsa_exception_fp_ieee_div_zero 0
		.amdhsa_exception_fp_ieee_overflow 0
		.amdhsa_exception_fp_ieee_underflow 0
		.amdhsa_exception_fp_ieee_inexact 0
		.amdhsa_exception_int_div_zero 0
	.end_amdhsa_kernel
	.section	.text._ZN7rocprim17ROCPRIM_400000_NS6detail17trampoline_kernelINS0_14default_configENS1_22reduce_config_selectorIlEEZNS1_11reduce_implILb1ES3_N6thrust23THRUST_200600_302600_NS11hip_rocprim26transform_input_iterator_tIlNS8_12zip_iteratorINS8_5tupleINS8_6detail15normal_iteratorINS8_10device_ptrIxEEEESH_NS8_9null_typeESI_SI_SI_SI_SI_SI_SI_EEEENS9_21zip_adj_not_predicateI22is_equal_div_10_uniqueIxEEEEEPllNS8_4plusIlEEEE10hipError_tPvRmT1_T2_T3_mT4_P12ihipStream_tbEUlT_E1_NS1_11comp_targetILNS1_3genE8ELNS1_11target_archE1030ELNS1_3gpuE2ELNS1_3repE0EEENS1_30default_config_static_selectorELNS0_4arch9wavefront6targetE1EEEvSW_,"axG",@progbits,_ZN7rocprim17ROCPRIM_400000_NS6detail17trampoline_kernelINS0_14default_configENS1_22reduce_config_selectorIlEEZNS1_11reduce_implILb1ES3_N6thrust23THRUST_200600_302600_NS11hip_rocprim26transform_input_iterator_tIlNS8_12zip_iteratorINS8_5tupleINS8_6detail15normal_iteratorINS8_10device_ptrIxEEEESH_NS8_9null_typeESI_SI_SI_SI_SI_SI_SI_EEEENS9_21zip_adj_not_predicateI22is_equal_div_10_uniqueIxEEEEEPllNS8_4plusIlEEEE10hipError_tPvRmT1_T2_T3_mT4_P12ihipStream_tbEUlT_E1_NS1_11comp_targetILNS1_3genE8ELNS1_11target_archE1030ELNS1_3gpuE2ELNS1_3repE0EEENS1_30default_config_static_selectorELNS0_4arch9wavefront6targetE1EEEvSW_,comdat
.Lfunc_end958:
	.size	_ZN7rocprim17ROCPRIM_400000_NS6detail17trampoline_kernelINS0_14default_configENS1_22reduce_config_selectorIlEEZNS1_11reduce_implILb1ES3_N6thrust23THRUST_200600_302600_NS11hip_rocprim26transform_input_iterator_tIlNS8_12zip_iteratorINS8_5tupleINS8_6detail15normal_iteratorINS8_10device_ptrIxEEEESH_NS8_9null_typeESI_SI_SI_SI_SI_SI_SI_EEEENS9_21zip_adj_not_predicateI22is_equal_div_10_uniqueIxEEEEEPllNS8_4plusIlEEEE10hipError_tPvRmT1_T2_T3_mT4_P12ihipStream_tbEUlT_E1_NS1_11comp_targetILNS1_3genE8ELNS1_11target_archE1030ELNS1_3gpuE2ELNS1_3repE0EEENS1_30default_config_static_selectorELNS0_4arch9wavefront6targetE1EEEvSW_, .Lfunc_end958-_ZN7rocprim17ROCPRIM_400000_NS6detail17trampoline_kernelINS0_14default_configENS1_22reduce_config_selectorIlEEZNS1_11reduce_implILb1ES3_N6thrust23THRUST_200600_302600_NS11hip_rocprim26transform_input_iterator_tIlNS8_12zip_iteratorINS8_5tupleINS8_6detail15normal_iteratorINS8_10device_ptrIxEEEESH_NS8_9null_typeESI_SI_SI_SI_SI_SI_SI_EEEENS9_21zip_adj_not_predicateI22is_equal_div_10_uniqueIxEEEEEPllNS8_4plusIlEEEE10hipError_tPvRmT1_T2_T3_mT4_P12ihipStream_tbEUlT_E1_NS1_11comp_targetILNS1_3genE8ELNS1_11target_archE1030ELNS1_3gpuE2ELNS1_3repE0EEENS1_30default_config_static_selectorELNS0_4arch9wavefront6targetE1EEEvSW_
                                        ; -- End function
	.set _ZN7rocprim17ROCPRIM_400000_NS6detail17trampoline_kernelINS0_14default_configENS1_22reduce_config_selectorIlEEZNS1_11reduce_implILb1ES3_N6thrust23THRUST_200600_302600_NS11hip_rocprim26transform_input_iterator_tIlNS8_12zip_iteratorINS8_5tupleINS8_6detail15normal_iteratorINS8_10device_ptrIxEEEESH_NS8_9null_typeESI_SI_SI_SI_SI_SI_SI_EEEENS9_21zip_adj_not_predicateI22is_equal_div_10_uniqueIxEEEEEPllNS8_4plusIlEEEE10hipError_tPvRmT1_T2_T3_mT4_P12ihipStream_tbEUlT_E1_NS1_11comp_targetILNS1_3genE8ELNS1_11target_archE1030ELNS1_3gpuE2ELNS1_3repE0EEENS1_30default_config_static_selectorELNS0_4arch9wavefront6targetE1EEEvSW_.num_vgpr, 0
	.set _ZN7rocprim17ROCPRIM_400000_NS6detail17trampoline_kernelINS0_14default_configENS1_22reduce_config_selectorIlEEZNS1_11reduce_implILb1ES3_N6thrust23THRUST_200600_302600_NS11hip_rocprim26transform_input_iterator_tIlNS8_12zip_iteratorINS8_5tupleINS8_6detail15normal_iteratorINS8_10device_ptrIxEEEESH_NS8_9null_typeESI_SI_SI_SI_SI_SI_SI_EEEENS9_21zip_adj_not_predicateI22is_equal_div_10_uniqueIxEEEEEPllNS8_4plusIlEEEE10hipError_tPvRmT1_T2_T3_mT4_P12ihipStream_tbEUlT_E1_NS1_11comp_targetILNS1_3genE8ELNS1_11target_archE1030ELNS1_3gpuE2ELNS1_3repE0EEENS1_30default_config_static_selectorELNS0_4arch9wavefront6targetE1EEEvSW_.num_agpr, 0
	.set _ZN7rocprim17ROCPRIM_400000_NS6detail17trampoline_kernelINS0_14default_configENS1_22reduce_config_selectorIlEEZNS1_11reduce_implILb1ES3_N6thrust23THRUST_200600_302600_NS11hip_rocprim26transform_input_iterator_tIlNS8_12zip_iteratorINS8_5tupleINS8_6detail15normal_iteratorINS8_10device_ptrIxEEEESH_NS8_9null_typeESI_SI_SI_SI_SI_SI_SI_EEEENS9_21zip_adj_not_predicateI22is_equal_div_10_uniqueIxEEEEEPllNS8_4plusIlEEEE10hipError_tPvRmT1_T2_T3_mT4_P12ihipStream_tbEUlT_E1_NS1_11comp_targetILNS1_3genE8ELNS1_11target_archE1030ELNS1_3gpuE2ELNS1_3repE0EEENS1_30default_config_static_selectorELNS0_4arch9wavefront6targetE1EEEvSW_.numbered_sgpr, 0
	.set _ZN7rocprim17ROCPRIM_400000_NS6detail17trampoline_kernelINS0_14default_configENS1_22reduce_config_selectorIlEEZNS1_11reduce_implILb1ES3_N6thrust23THRUST_200600_302600_NS11hip_rocprim26transform_input_iterator_tIlNS8_12zip_iteratorINS8_5tupleINS8_6detail15normal_iteratorINS8_10device_ptrIxEEEESH_NS8_9null_typeESI_SI_SI_SI_SI_SI_SI_EEEENS9_21zip_adj_not_predicateI22is_equal_div_10_uniqueIxEEEEEPllNS8_4plusIlEEEE10hipError_tPvRmT1_T2_T3_mT4_P12ihipStream_tbEUlT_E1_NS1_11comp_targetILNS1_3genE8ELNS1_11target_archE1030ELNS1_3gpuE2ELNS1_3repE0EEENS1_30default_config_static_selectorELNS0_4arch9wavefront6targetE1EEEvSW_.num_named_barrier, 0
	.set _ZN7rocprim17ROCPRIM_400000_NS6detail17trampoline_kernelINS0_14default_configENS1_22reduce_config_selectorIlEEZNS1_11reduce_implILb1ES3_N6thrust23THRUST_200600_302600_NS11hip_rocprim26transform_input_iterator_tIlNS8_12zip_iteratorINS8_5tupleINS8_6detail15normal_iteratorINS8_10device_ptrIxEEEESH_NS8_9null_typeESI_SI_SI_SI_SI_SI_SI_EEEENS9_21zip_adj_not_predicateI22is_equal_div_10_uniqueIxEEEEEPllNS8_4plusIlEEEE10hipError_tPvRmT1_T2_T3_mT4_P12ihipStream_tbEUlT_E1_NS1_11comp_targetILNS1_3genE8ELNS1_11target_archE1030ELNS1_3gpuE2ELNS1_3repE0EEENS1_30default_config_static_selectorELNS0_4arch9wavefront6targetE1EEEvSW_.private_seg_size, 0
	.set _ZN7rocprim17ROCPRIM_400000_NS6detail17trampoline_kernelINS0_14default_configENS1_22reduce_config_selectorIlEEZNS1_11reduce_implILb1ES3_N6thrust23THRUST_200600_302600_NS11hip_rocprim26transform_input_iterator_tIlNS8_12zip_iteratorINS8_5tupleINS8_6detail15normal_iteratorINS8_10device_ptrIxEEEESH_NS8_9null_typeESI_SI_SI_SI_SI_SI_SI_EEEENS9_21zip_adj_not_predicateI22is_equal_div_10_uniqueIxEEEEEPllNS8_4plusIlEEEE10hipError_tPvRmT1_T2_T3_mT4_P12ihipStream_tbEUlT_E1_NS1_11comp_targetILNS1_3genE8ELNS1_11target_archE1030ELNS1_3gpuE2ELNS1_3repE0EEENS1_30default_config_static_selectorELNS0_4arch9wavefront6targetE1EEEvSW_.uses_vcc, 0
	.set _ZN7rocprim17ROCPRIM_400000_NS6detail17trampoline_kernelINS0_14default_configENS1_22reduce_config_selectorIlEEZNS1_11reduce_implILb1ES3_N6thrust23THRUST_200600_302600_NS11hip_rocprim26transform_input_iterator_tIlNS8_12zip_iteratorINS8_5tupleINS8_6detail15normal_iteratorINS8_10device_ptrIxEEEESH_NS8_9null_typeESI_SI_SI_SI_SI_SI_SI_EEEENS9_21zip_adj_not_predicateI22is_equal_div_10_uniqueIxEEEEEPllNS8_4plusIlEEEE10hipError_tPvRmT1_T2_T3_mT4_P12ihipStream_tbEUlT_E1_NS1_11comp_targetILNS1_3genE8ELNS1_11target_archE1030ELNS1_3gpuE2ELNS1_3repE0EEENS1_30default_config_static_selectorELNS0_4arch9wavefront6targetE1EEEvSW_.uses_flat_scratch, 0
	.set _ZN7rocprim17ROCPRIM_400000_NS6detail17trampoline_kernelINS0_14default_configENS1_22reduce_config_selectorIlEEZNS1_11reduce_implILb1ES3_N6thrust23THRUST_200600_302600_NS11hip_rocprim26transform_input_iterator_tIlNS8_12zip_iteratorINS8_5tupleINS8_6detail15normal_iteratorINS8_10device_ptrIxEEEESH_NS8_9null_typeESI_SI_SI_SI_SI_SI_SI_EEEENS9_21zip_adj_not_predicateI22is_equal_div_10_uniqueIxEEEEEPllNS8_4plusIlEEEE10hipError_tPvRmT1_T2_T3_mT4_P12ihipStream_tbEUlT_E1_NS1_11comp_targetILNS1_3genE8ELNS1_11target_archE1030ELNS1_3gpuE2ELNS1_3repE0EEENS1_30default_config_static_selectorELNS0_4arch9wavefront6targetE1EEEvSW_.has_dyn_sized_stack, 0
	.set _ZN7rocprim17ROCPRIM_400000_NS6detail17trampoline_kernelINS0_14default_configENS1_22reduce_config_selectorIlEEZNS1_11reduce_implILb1ES3_N6thrust23THRUST_200600_302600_NS11hip_rocprim26transform_input_iterator_tIlNS8_12zip_iteratorINS8_5tupleINS8_6detail15normal_iteratorINS8_10device_ptrIxEEEESH_NS8_9null_typeESI_SI_SI_SI_SI_SI_SI_EEEENS9_21zip_adj_not_predicateI22is_equal_div_10_uniqueIxEEEEEPllNS8_4plusIlEEEE10hipError_tPvRmT1_T2_T3_mT4_P12ihipStream_tbEUlT_E1_NS1_11comp_targetILNS1_3genE8ELNS1_11target_archE1030ELNS1_3gpuE2ELNS1_3repE0EEENS1_30default_config_static_selectorELNS0_4arch9wavefront6targetE1EEEvSW_.has_recursion, 0
	.set _ZN7rocprim17ROCPRIM_400000_NS6detail17trampoline_kernelINS0_14default_configENS1_22reduce_config_selectorIlEEZNS1_11reduce_implILb1ES3_N6thrust23THRUST_200600_302600_NS11hip_rocprim26transform_input_iterator_tIlNS8_12zip_iteratorINS8_5tupleINS8_6detail15normal_iteratorINS8_10device_ptrIxEEEESH_NS8_9null_typeESI_SI_SI_SI_SI_SI_SI_EEEENS9_21zip_adj_not_predicateI22is_equal_div_10_uniqueIxEEEEEPllNS8_4plusIlEEEE10hipError_tPvRmT1_T2_T3_mT4_P12ihipStream_tbEUlT_E1_NS1_11comp_targetILNS1_3genE8ELNS1_11target_archE1030ELNS1_3gpuE2ELNS1_3repE0EEENS1_30default_config_static_selectorELNS0_4arch9wavefront6targetE1EEEvSW_.has_indirect_call, 0
	.section	.AMDGPU.csdata,"",@progbits
; Kernel info:
; codeLenInByte = 0
; TotalNumSgprs: 4
; NumVgprs: 0
; ScratchSize: 0
; MemoryBound: 0
; FloatMode: 240
; IeeeMode: 1
; LDSByteSize: 0 bytes/workgroup (compile time only)
; SGPRBlocks: 0
; VGPRBlocks: 0
; NumSGPRsForWavesPerEU: 4
; NumVGPRsForWavesPerEU: 1
; Occupancy: 10
; WaveLimiterHint : 0
; COMPUTE_PGM_RSRC2:SCRATCH_EN: 0
; COMPUTE_PGM_RSRC2:USER_SGPR: 6
; COMPUTE_PGM_RSRC2:TRAP_HANDLER: 0
; COMPUTE_PGM_RSRC2:TGID_X_EN: 1
; COMPUTE_PGM_RSRC2:TGID_Y_EN: 0
; COMPUTE_PGM_RSRC2:TGID_Z_EN: 0
; COMPUTE_PGM_RSRC2:TIDIG_COMP_CNT: 0
	.section	.text._ZN7rocprim17ROCPRIM_400000_NS6detail17trampoline_kernelINS0_14default_configENS1_22reduce_config_selectorIlEEZNS1_11reduce_implILb1ES3_N6thrust23THRUST_200600_302600_NS11hip_rocprim26transform_input_iterator_tIlNS8_12zip_iteratorINS8_5tupleINS8_6detail15normal_iteratorINS8_10device_ptrIiEEEESH_NS8_9null_typeESI_SI_SI_SI_SI_SI_SI_EEEENS9_21zip_adj_not_predicateINS8_8equal_toIiEEEEEEPllNS8_4plusIlEEEE10hipError_tPvRmT1_T2_T3_mT4_P12ihipStream_tbEUlT_E0_NS1_11comp_targetILNS1_3genE0ELNS1_11target_archE4294967295ELNS1_3gpuE0ELNS1_3repE0EEENS1_30default_config_static_selectorELNS0_4arch9wavefront6targetE1EEEvSW_,"axG",@progbits,_ZN7rocprim17ROCPRIM_400000_NS6detail17trampoline_kernelINS0_14default_configENS1_22reduce_config_selectorIlEEZNS1_11reduce_implILb1ES3_N6thrust23THRUST_200600_302600_NS11hip_rocprim26transform_input_iterator_tIlNS8_12zip_iteratorINS8_5tupleINS8_6detail15normal_iteratorINS8_10device_ptrIiEEEESH_NS8_9null_typeESI_SI_SI_SI_SI_SI_SI_EEEENS9_21zip_adj_not_predicateINS8_8equal_toIiEEEEEEPllNS8_4plusIlEEEE10hipError_tPvRmT1_T2_T3_mT4_P12ihipStream_tbEUlT_E0_NS1_11comp_targetILNS1_3genE0ELNS1_11target_archE4294967295ELNS1_3gpuE0ELNS1_3repE0EEENS1_30default_config_static_selectorELNS0_4arch9wavefront6targetE1EEEvSW_,comdat
	.protected	_ZN7rocprim17ROCPRIM_400000_NS6detail17trampoline_kernelINS0_14default_configENS1_22reduce_config_selectorIlEEZNS1_11reduce_implILb1ES3_N6thrust23THRUST_200600_302600_NS11hip_rocprim26transform_input_iterator_tIlNS8_12zip_iteratorINS8_5tupleINS8_6detail15normal_iteratorINS8_10device_ptrIiEEEESH_NS8_9null_typeESI_SI_SI_SI_SI_SI_SI_EEEENS9_21zip_adj_not_predicateINS8_8equal_toIiEEEEEEPllNS8_4plusIlEEEE10hipError_tPvRmT1_T2_T3_mT4_P12ihipStream_tbEUlT_E0_NS1_11comp_targetILNS1_3genE0ELNS1_11target_archE4294967295ELNS1_3gpuE0ELNS1_3repE0EEENS1_30default_config_static_selectorELNS0_4arch9wavefront6targetE1EEEvSW_ ; -- Begin function _ZN7rocprim17ROCPRIM_400000_NS6detail17trampoline_kernelINS0_14default_configENS1_22reduce_config_selectorIlEEZNS1_11reduce_implILb1ES3_N6thrust23THRUST_200600_302600_NS11hip_rocprim26transform_input_iterator_tIlNS8_12zip_iteratorINS8_5tupleINS8_6detail15normal_iteratorINS8_10device_ptrIiEEEESH_NS8_9null_typeESI_SI_SI_SI_SI_SI_SI_EEEENS9_21zip_adj_not_predicateINS8_8equal_toIiEEEEEEPllNS8_4plusIlEEEE10hipError_tPvRmT1_T2_T3_mT4_P12ihipStream_tbEUlT_E0_NS1_11comp_targetILNS1_3genE0ELNS1_11target_archE4294967295ELNS1_3gpuE0ELNS1_3repE0EEENS1_30default_config_static_selectorELNS0_4arch9wavefront6targetE1EEEvSW_
	.globl	_ZN7rocprim17ROCPRIM_400000_NS6detail17trampoline_kernelINS0_14default_configENS1_22reduce_config_selectorIlEEZNS1_11reduce_implILb1ES3_N6thrust23THRUST_200600_302600_NS11hip_rocprim26transform_input_iterator_tIlNS8_12zip_iteratorINS8_5tupleINS8_6detail15normal_iteratorINS8_10device_ptrIiEEEESH_NS8_9null_typeESI_SI_SI_SI_SI_SI_SI_EEEENS9_21zip_adj_not_predicateINS8_8equal_toIiEEEEEEPllNS8_4plusIlEEEE10hipError_tPvRmT1_T2_T3_mT4_P12ihipStream_tbEUlT_E0_NS1_11comp_targetILNS1_3genE0ELNS1_11target_archE4294967295ELNS1_3gpuE0ELNS1_3repE0EEENS1_30default_config_static_selectorELNS0_4arch9wavefront6targetE1EEEvSW_
	.p2align	8
	.type	_ZN7rocprim17ROCPRIM_400000_NS6detail17trampoline_kernelINS0_14default_configENS1_22reduce_config_selectorIlEEZNS1_11reduce_implILb1ES3_N6thrust23THRUST_200600_302600_NS11hip_rocprim26transform_input_iterator_tIlNS8_12zip_iteratorINS8_5tupleINS8_6detail15normal_iteratorINS8_10device_ptrIiEEEESH_NS8_9null_typeESI_SI_SI_SI_SI_SI_SI_EEEENS9_21zip_adj_not_predicateINS8_8equal_toIiEEEEEEPllNS8_4plusIlEEEE10hipError_tPvRmT1_T2_T3_mT4_P12ihipStream_tbEUlT_E0_NS1_11comp_targetILNS1_3genE0ELNS1_11target_archE4294967295ELNS1_3gpuE0ELNS1_3repE0EEENS1_30default_config_static_selectorELNS0_4arch9wavefront6targetE1EEEvSW_,@function
_ZN7rocprim17ROCPRIM_400000_NS6detail17trampoline_kernelINS0_14default_configENS1_22reduce_config_selectorIlEEZNS1_11reduce_implILb1ES3_N6thrust23THRUST_200600_302600_NS11hip_rocprim26transform_input_iterator_tIlNS8_12zip_iteratorINS8_5tupleINS8_6detail15normal_iteratorINS8_10device_ptrIiEEEESH_NS8_9null_typeESI_SI_SI_SI_SI_SI_SI_EEEENS9_21zip_adj_not_predicateINS8_8equal_toIiEEEEEEPllNS8_4plusIlEEEE10hipError_tPvRmT1_T2_T3_mT4_P12ihipStream_tbEUlT_E0_NS1_11comp_targetILNS1_3genE0ELNS1_11target_archE4294967295ELNS1_3gpuE0ELNS1_3repE0EEENS1_30default_config_static_selectorELNS0_4arch9wavefront6targetE1EEEvSW_: ; @_ZN7rocprim17ROCPRIM_400000_NS6detail17trampoline_kernelINS0_14default_configENS1_22reduce_config_selectorIlEEZNS1_11reduce_implILb1ES3_N6thrust23THRUST_200600_302600_NS11hip_rocprim26transform_input_iterator_tIlNS8_12zip_iteratorINS8_5tupleINS8_6detail15normal_iteratorINS8_10device_ptrIiEEEESH_NS8_9null_typeESI_SI_SI_SI_SI_SI_SI_EEEENS9_21zip_adj_not_predicateINS8_8equal_toIiEEEEEEPllNS8_4plusIlEEEE10hipError_tPvRmT1_T2_T3_mT4_P12ihipStream_tbEUlT_E0_NS1_11comp_targetILNS1_3genE0ELNS1_11target_archE4294967295ELNS1_3gpuE0ELNS1_3repE0EEENS1_30default_config_static_selectorELNS0_4arch9wavefront6targetE1EEEvSW_
; %bb.0:
	.section	.rodata,"a",@progbits
	.p2align	6, 0x0
	.amdhsa_kernel _ZN7rocprim17ROCPRIM_400000_NS6detail17trampoline_kernelINS0_14default_configENS1_22reduce_config_selectorIlEEZNS1_11reduce_implILb1ES3_N6thrust23THRUST_200600_302600_NS11hip_rocprim26transform_input_iterator_tIlNS8_12zip_iteratorINS8_5tupleINS8_6detail15normal_iteratorINS8_10device_ptrIiEEEESH_NS8_9null_typeESI_SI_SI_SI_SI_SI_SI_EEEENS9_21zip_adj_not_predicateINS8_8equal_toIiEEEEEEPllNS8_4plusIlEEEE10hipError_tPvRmT1_T2_T3_mT4_P12ihipStream_tbEUlT_E0_NS1_11comp_targetILNS1_3genE0ELNS1_11target_archE4294967295ELNS1_3gpuE0ELNS1_3repE0EEENS1_30default_config_static_selectorELNS0_4arch9wavefront6targetE1EEEvSW_
		.amdhsa_group_segment_fixed_size 0
		.amdhsa_private_segment_fixed_size 0
		.amdhsa_kernarg_size 80
		.amdhsa_user_sgpr_count 6
		.amdhsa_user_sgpr_private_segment_buffer 1
		.amdhsa_user_sgpr_dispatch_ptr 0
		.amdhsa_user_sgpr_queue_ptr 0
		.amdhsa_user_sgpr_kernarg_segment_ptr 1
		.amdhsa_user_sgpr_dispatch_id 0
		.amdhsa_user_sgpr_flat_scratch_init 0
		.amdhsa_user_sgpr_private_segment_size 0
		.amdhsa_uses_dynamic_stack 0
		.amdhsa_system_sgpr_private_segment_wavefront_offset 0
		.amdhsa_system_sgpr_workgroup_id_x 1
		.amdhsa_system_sgpr_workgroup_id_y 0
		.amdhsa_system_sgpr_workgroup_id_z 0
		.amdhsa_system_sgpr_workgroup_info 0
		.amdhsa_system_vgpr_workitem_id 0
		.amdhsa_next_free_vgpr 1
		.amdhsa_next_free_sgpr 0
		.amdhsa_reserve_vcc 0
		.amdhsa_reserve_flat_scratch 0
		.amdhsa_float_round_mode_32 0
		.amdhsa_float_round_mode_16_64 0
		.amdhsa_float_denorm_mode_32 3
		.amdhsa_float_denorm_mode_16_64 3
		.amdhsa_dx10_clamp 1
		.amdhsa_ieee_mode 1
		.amdhsa_fp16_overflow 0
		.amdhsa_exception_fp_ieee_invalid_op 0
		.amdhsa_exception_fp_denorm_src 0
		.amdhsa_exception_fp_ieee_div_zero 0
		.amdhsa_exception_fp_ieee_overflow 0
		.amdhsa_exception_fp_ieee_underflow 0
		.amdhsa_exception_fp_ieee_inexact 0
		.amdhsa_exception_int_div_zero 0
	.end_amdhsa_kernel
	.section	.text._ZN7rocprim17ROCPRIM_400000_NS6detail17trampoline_kernelINS0_14default_configENS1_22reduce_config_selectorIlEEZNS1_11reduce_implILb1ES3_N6thrust23THRUST_200600_302600_NS11hip_rocprim26transform_input_iterator_tIlNS8_12zip_iteratorINS8_5tupleINS8_6detail15normal_iteratorINS8_10device_ptrIiEEEESH_NS8_9null_typeESI_SI_SI_SI_SI_SI_SI_EEEENS9_21zip_adj_not_predicateINS8_8equal_toIiEEEEEEPllNS8_4plusIlEEEE10hipError_tPvRmT1_T2_T3_mT4_P12ihipStream_tbEUlT_E0_NS1_11comp_targetILNS1_3genE0ELNS1_11target_archE4294967295ELNS1_3gpuE0ELNS1_3repE0EEENS1_30default_config_static_selectorELNS0_4arch9wavefront6targetE1EEEvSW_,"axG",@progbits,_ZN7rocprim17ROCPRIM_400000_NS6detail17trampoline_kernelINS0_14default_configENS1_22reduce_config_selectorIlEEZNS1_11reduce_implILb1ES3_N6thrust23THRUST_200600_302600_NS11hip_rocprim26transform_input_iterator_tIlNS8_12zip_iteratorINS8_5tupleINS8_6detail15normal_iteratorINS8_10device_ptrIiEEEESH_NS8_9null_typeESI_SI_SI_SI_SI_SI_SI_EEEENS9_21zip_adj_not_predicateINS8_8equal_toIiEEEEEEPllNS8_4plusIlEEEE10hipError_tPvRmT1_T2_T3_mT4_P12ihipStream_tbEUlT_E0_NS1_11comp_targetILNS1_3genE0ELNS1_11target_archE4294967295ELNS1_3gpuE0ELNS1_3repE0EEENS1_30default_config_static_selectorELNS0_4arch9wavefront6targetE1EEEvSW_,comdat
.Lfunc_end959:
	.size	_ZN7rocprim17ROCPRIM_400000_NS6detail17trampoline_kernelINS0_14default_configENS1_22reduce_config_selectorIlEEZNS1_11reduce_implILb1ES3_N6thrust23THRUST_200600_302600_NS11hip_rocprim26transform_input_iterator_tIlNS8_12zip_iteratorINS8_5tupleINS8_6detail15normal_iteratorINS8_10device_ptrIiEEEESH_NS8_9null_typeESI_SI_SI_SI_SI_SI_SI_EEEENS9_21zip_adj_not_predicateINS8_8equal_toIiEEEEEEPllNS8_4plusIlEEEE10hipError_tPvRmT1_T2_T3_mT4_P12ihipStream_tbEUlT_E0_NS1_11comp_targetILNS1_3genE0ELNS1_11target_archE4294967295ELNS1_3gpuE0ELNS1_3repE0EEENS1_30default_config_static_selectorELNS0_4arch9wavefront6targetE1EEEvSW_, .Lfunc_end959-_ZN7rocprim17ROCPRIM_400000_NS6detail17trampoline_kernelINS0_14default_configENS1_22reduce_config_selectorIlEEZNS1_11reduce_implILb1ES3_N6thrust23THRUST_200600_302600_NS11hip_rocprim26transform_input_iterator_tIlNS8_12zip_iteratorINS8_5tupleINS8_6detail15normal_iteratorINS8_10device_ptrIiEEEESH_NS8_9null_typeESI_SI_SI_SI_SI_SI_SI_EEEENS9_21zip_adj_not_predicateINS8_8equal_toIiEEEEEEPllNS8_4plusIlEEEE10hipError_tPvRmT1_T2_T3_mT4_P12ihipStream_tbEUlT_E0_NS1_11comp_targetILNS1_3genE0ELNS1_11target_archE4294967295ELNS1_3gpuE0ELNS1_3repE0EEENS1_30default_config_static_selectorELNS0_4arch9wavefront6targetE1EEEvSW_
                                        ; -- End function
	.set _ZN7rocprim17ROCPRIM_400000_NS6detail17trampoline_kernelINS0_14default_configENS1_22reduce_config_selectorIlEEZNS1_11reduce_implILb1ES3_N6thrust23THRUST_200600_302600_NS11hip_rocprim26transform_input_iterator_tIlNS8_12zip_iteratorINS8_5tupleINS8_6detail15normal_iteratorINS8_10device_ptrIiEEEESH_NS8_9null_typeESI_SI_SI_SI_SI_SI_SI_EEEENS9_21zip_adj_not_predicateINS8_8equal_toIiEEEEEEPllNS8_4plusIlEEEE10hipError_tPvRmT1_T2_T3_mT4_P12ihipStream_tbEUlT_E0_NS1_11comp_targetILNS1_3genE0ELNS1_11target_archE4294967295ELNS1_3gpuE0ELNS1_3repE0EEENS1_30default_config_static_selectorELNS0_4arch9wavefront6targetE1EEEvSW_.num_vgpr, 0
	.set _ZN7rocprim17ROCPRIM_400000_NS6detail17trampoline_kernelINS0_14default_configENS1_22reduce_config_selectorIlEEZNS1_11reduce_implILb1ES3_N6thrust23THRUST_200600_302600_NS11hip_rocprim26transform_input_iterator_tIlNS8_12zip_iteratorINS8_5tupleINS8_6detail15normal_iteratorINS8_10device_ptrIiEEEESH_NS8_9null_typeESI_SI_SI_SI_SI_SI_SI_EEEENS9_21zip_adj_not_predicateINS8_8equal_toIiEEEEEEPllNS8_4plusIlEEEE10hipError_tPvRmT1_T2_T3_mT4_P12ihipStream_tbEUlT_E0_NS1_11comp_targetILNS1_3genE0ELNS1_11target_archE4294967295ELNS1_3gpuE0ELNS1_3repE0EEENS1_30default_config_static_selectorELNS0_4arch9wavefront6targetE1EEEvSW_.num_agpr, 0
	.set _ZN7rocprim17ROCPRIM_400000_NS6detail17trampoline_kernelINS0_14default_configENS1_22reduce_config_selectorIlEEZNS1_11reduce_implILb1ES3_N6thrust23THRUST_200600_302600_NS11hip_rocprim26transform_input_iterator_tIlNS8_12zip_iteratorINS8_5tupleINS8_6detail15normal_iteratorINS8_10device_ptrIiEEEESH_NS8_9null_typeESI_SI_SI_SI_SI_SI_SI_EEEENS9_21zip_adj_not_predicateINS8_8equal_toIiEEEEEEPllNS8_4plusIlEEEE10hipError_tPvRmT1_T2_T3_mT4_P12ihipStream_tbEUlT_E0_NS1_11comp_targetILNS1_3genE0ELNS1_11target_archE4294967295ELNS1_3gpuE0ELNS1_3repE0EEENS1_30default_config_static_selectorELNS0_4arch9wavefront6targetE1EEEvSW_.numbered_sgpr, 0
	.set _ZN7rocprim17ROCPRIM_400000_NS6detail17trampoline_kernelINS0_14default_configENS1_22reduce_config_selectorIlEEZNS1_11reduce_implILb1ES3_N6thrust23THRUST_200600_302600_NS11hip_rocprim26transform_input_iterator_tIlNS8_12zip_iteratorINS8_5tupleINS8_6detail15normal_iteratorINS8_10device_ptrIiEEEESH_NS8_9null_typeESI_SI_SI_SI_SI_SI_SI_EEEENS9_21zip_adj_not_predicateINS8_8equal_toIiEEEEEEPllNS8_4plusIlEEEE10hipError_tPvRmT1_T2_T3_mT4_P12ihipStream_tbEUlT_E0_NS1_11comp_targetILNS1_3genE0ELNS1_11target_archE4294967295ELNS1_3gpuE0ELNS1_3repE0EEENS1_30default_config_static_selectorELNS0_4arch9wavefront6targetE1EEEvSW_.num_named_barrier, 0
	.set _ZN7rocprim17ROCPRIM_400000_NS6detail17trampoline_kernelINS0_14default_configENS1_22reduce_config_selectorIlEEZNS1_11reduce_implILb1ES3_N6thrust23THRUST_200600_302600_NS11hip_rocprim26transform_input_iterator_tIlNS8_12zip_iteratorINS8_5tupleINS8_6detail15normal_iteratorINS8_10device_ptrIiEEEESH_NS8_9null_typeESI_SI_SI_SI_SI_SI_SI_EEEENS9_21zip_adj_not_predicateINS8_8equal_toIiEEEEEEPllNS8_4plusIlEEEE10hipError_tPvRmT1_T2_T3_mT4_P12ihipStream_tbEUlT_E0_NS1_11comp_targetILNS1_3genE0ELNS1_11target_archE4294967295ELNS1_3gpuE0ELNS1_3repE0EEENS1_30default_config_static_selectorELNS0_4arch9wavefront6targetE1EEEvSW_.private_seg_size, 0
	.set _ZN7rocprim17ROCPRIM_400000_NS6detail17trampoline_kernelINS0_14default_configENS1_22reduce_config_selectorIlEEZNS1_11reduce_implILb1ES3_N6thrust23THRUST_200600_302600_NS11hip_rocprim26transform_input_iterator_tIlNS8_12zip_iteratorINS8_5tupleINS8_6detail15normal_iteratorINS8_10device_ptrIiEEEESH_NS8_9null_typeESI_SI_SI_SI_SI_SI_SI_EEEENS9_21zip_adj_not_predicateINS8_8equal_toIiEEEEEEPllNS8_4plusIlEEEE10hipError_tPvRmT1_T2_T3_mT4_P12ihipStream_tbEUlT_E0_NS1_11comp_targetILNS1_3genE0ELNS1_11target_archE4294967295ELNS1_3gpuE0ELNS1_3repE0EEENS1_30default_config_static_selectorELNS0_4arch9wavefront6targetE1EEEvSW_.uses_vcc, 0
	.set _ZN7rocprim17ROCPRIM_400000_NS6detail17trampoline_kernelINS0_14default_configENS1_22reduce_config_selectorIlEEZNS1_11reduce_implILb1ES3_N6thrust23THRUST_200600_302600_NS11hip_rocprim26transform_input_iterator_tIlNS8_12zip_iteratorINS8_5tupleINS8_6detail15normal_iteratorINS8_10device_ptrIiEEEESH_NS8_9null_typeESI_SI_SI_SI_SI_SI_SI_EEEENS9_21zip_adj_not_predicateINS8_8equal_toIiEEEEEEPllNS8_4plusIlEEEE10hipError_tPvRmT1_T2_T3_mT4_P12ihipStream_tbEUlT_E0_NS1_11comp_targetILNS1_3genE0ELNS1_11target_archE4294967295ELNS1_3gpuE0ELNS1_3repE0EEENS1_30default_config_static_selectorELNS0_4arch9wavefront6targetE1EEEvSW_.uses_flat_scratch, 0
	.set _ZN7rocprim17ROCPRIM_400000_NS6detail17trampoline_kernelINS0_14default_configENS1_22reduce_config_selectorIlEEZNS1_11reduce_implILb1ES3_N6thrust23THRUST_200600_302600_NS11hip_rocprim26transform_input_iterator_tIlNS8_12zip_iteratorINS8_5tupleINS8_6detail15normal_iteratorINS8_10device_ptrIiEEEESH_NS8_9null_typeESI_SI_SI_SI_SI_SI_SI_EEEENS9_21zip_adj_not_predicateINS8_8equal_toIiEEEEEEPllNS8_4plusIlEEEE10hipError_tPvRmT1_T2_T3_mT4_P12ihipStream_tbEUlT_E0_NS1_11comp_targetILNS1_3genE0ELNS1_11target_archE4294967295ELNS1_3gpuE0ELNS1_3repE0EEENS1_30default_config_static_selectorELNS0_4arch9wavefront6targetE1EEEvSW_.has_dyn_sized_stack, 0
	.set _ZN7rocprim17ROCPRIM_400000_NS6detail17trampoline_kernelINS0_14default_configENS1_22reduce_config_selectorIlEEZNS1_11reduce_implILb1ES3_N6thrust23THRUST_200600_302600_NS11hip_rocprim26transform_input_iterator_tIlNS8_12zip_iteratorINS8_5tupleINS8_6detail15normal_iteratorINS8_10device_ptrIiEEEESH_NS8_9null_typeESI_SI_SI_SI_SI_SI_SI_EEEENS9_21zip_adj_not_predicateINS8_8equal_toIiEEEEEEPllNS8_4plusIlEEEE10hipError_tPvRmT1_T2_T3_mT4_P12ihipStream_tbEUlT_E0_NS1_11comp_targetILNS1_3genE0ELNS1_11target_archE4294967295ELNS1_3gpuE0ELNS1_3repE0EEENS1_30default_config_static_selectorELNS0_4arch9wavefront6targetE1EEEvSW_.has_recursion, 0
	.set _ZN7rocprim17ROCPRIM_400000_NS6detail17trampoline_kernelINS0_14default_configENS1_22reduce_config_selectorIlEEZNS1_11reduce_implILb1ES3_N6thrust23THRUST_200600_302600_NS11hip_rocprim26transform_input_iterator_tIlNS8_12zip_iteratorINS8_5tupleINS8_6detail15normal_iteratorINS8_10device_ptrIiEEEESH_NS8_9null_typeESI_SI_SI_SI_SI_SI_SI_EEEENS9_21zip_adj_not_predicateINS8_8equal_toIiEEEEEEPllNS8_4plusIlEEEE10hipError_tPvRmT1_T2_T3_mT4_P12ihipStream_tbEUlT_E0_NS1_11comp_targetILNS1_3genE0ELNS1_11target_archE4294967295ELNS1_3gpuE0ELNS1_3repE0EEENS1_30default_config_static_selectorELNS0_4arch9wavefront6targetE1EEEvSW_.has_indirect_call, 0
	.section	.AMDGPU.csdata,"",@progbits
; Kernel info:
; codeLenInByte = 0
; TotalNumSgprs: 4
; NumVgprs: 0
; ScratchSize: 0
; MemoryBound: 0
; FloatMode: 240
; IeeeMode: 1
; LDSByteSize: 0 bytes/workgroup (compile time only)
; SGPRBlocks: 0
; VGPRBlocks: 0
; NumSGPRsForWavesPerEU: 4
; NumVGPRsForWavesPerEU: 1
; Occupancy: 10
; WaveLimiterHint : 0
; COMPUTE_PGM_RSRC2:SCRATCH_EN: 0
; COMPUTE_PGM_RSRC2:USER_SGPR: 6
; COMPUTE_PGM_RSRC2:TRAP_HANDLER: 0
; COMPUTE_PGM_RSRC2:TGID_X_EN: 1
; COMPUTE_PGM_RSRC2:TGID_Y_EN: 0
; COMPUTE_PGM_RSRC2:TGID_Z_EN: 0
; COMPUTE_PGM_RSRC2:TIDIG_COMP_CNT: 0
	.section	.text._ZN7rocprim17ROCPRIM_400000_NS6detail17trampoline_kernelINS0_14default_configENS1_22reduce_config_selectorIlEEZNS1_11reduce_implILb1ES3_N6thrust23THRUST_200600_302600_NS11hip_rocprim26transform_input_iterator_tIlNS8_12zip_iteratorINS8_5tupleINS8_6detail15normal_iteratorINS8_10device_ptrIiEEEESH_NS8_9null_typeESI_SI_SI_SI_SI_SI_SI_EEEENS9_21zip_adj_not_predicateINS8_8equal_toIiEEEEEEPllNS8_4plusIlEEEE10hipError_tPvRmT1_T2_T3_mT4_P12ihipStream_tbEUlT_E0_NS1_11comp_targetILNS1_3genE5ELNS1_11target_archE942ELNS1_3gpuE9ELNS1_3repE0EEENS1_30default_config_static_selectorELNS0_4arch9wavefront6targetE1EEEvSW_,"axG",@progbits,_ZN7rocprim17ROCPRIM_400000_NS6detail17trampoline_kernelINS0_14default_configENS1_22reduce_config_selectorIlEEZNS1_11reduce_implILb1ES3_N6thrust23THRUST_200600_302600_NS11hip_rocprim26transform_input_iterator_tIlNS8_12zip_iteratorINS8_5tupleINS8_6detail15normal_iteratorINS8_10device_ptrIiEEEESH_NS8_9null_typeESI_SI_SI_SI_SI_SI_SI_EEEENS9_21zip_adj_not_predicateINS8_8equal_toIiEEEEEEPllNS8_4plusIlEEEE10hipError_tPvRmT1_T2_T3_mT4_P12ihipStream_tbEUlT_E0_NS1_11comp_targetILNS1_3genE5ELNS1_11target_archE942ELNS1_3gpuE9ELNS1_3repE0EEENS1_30default_config_static_selectorELNS0_4arch9wavefront6targetE1EEEvSW_,comdat
	.protected	_ZN7rocprim17ROCPRIM_400000_NS6detail17trampoline_kernelINS0_14default_configENS1_22reduce_config_selectorIlEEZNS1_11reduce_implILb1ES3_N6thrust23THRUST_200600_302600_NS11hip_rocprim26transform_input_iterator_tIlNS8_12zip_iteratorINS8_5tupleINS8_6detail15normal_iteratorINS8_10device_ptrIiEEEESH_NS8_9null_typeESI_SI_SI_SI_SI_SI_SI_EEEENS9_21zip_adj_not_predicateINS8_8equal_toIiEEEEEEPllNS8_4plusIlEEEE10hipError_tPvRmT1_T2_T3_mT4_P12ihipStream_tbEUlT_E0_NS1_11comp_targetILNS1_3genE5ELNS1_11target_archE942ELNS1_3gpuE9ELNS1_3repE0EEENS1_30default_config_static_selectorELNS0_4arch9wavefront6targetE1EEEvSW_ ; -- Begin function _ZN7rocprim17ROCPRIM_400000_NS6detail17trampoline_kernelINS0_14default_configENS1_22reduce_config_selectorIlEEZNS1_11reduce_implILb1ES3_N6thrust23THRUST_200600_302600_NS11hip_rocprim26transform_input_iterator_tIlNS8_12zip_iteratorINS8_5tupleINS8_6detail15normal_iteratorINS8_10device_ptrIiEEEESH_NS8_9null_typeESI_SI_SI_SI_SI_SI_SI_EEEENS9_21zip_adj_not_predicateINS8_8equal_toIiEEEEEEPllNS8_4plusIlEEEE10hipError_tPvRmT1_T2_T3_mT4_P12ihipStream_tbEUlT_E0_NS1_11comp_targetILNS1_3genE5ELNS1_11target_archE942ELNS1_3gpuE9ELNS1_3repE0EEENS1_30default_config_static_selectorELNS0_4arch9wavefront6targetE1EEEvSW_
	.globl	_ZN7rocprim17ROCPRIM_400000_NS6detail17trampoline_kernelINS0_14default_configENS1_22reduce_config_selectorIlEEZNS1_11reduce_implILb1ES3_N6thrust23THRUST_200600_302600_NS11hip_rocprim26transform_input_iterator_tIlNS8_12zip_iteratorINS8_5tupleINS8_6detail15normal_iteratorINS8_10device_ptrIiEEEESH_NS8_9null_typeESI_SI_SI_SI_SI_SI_SI_EEEENS9_21zip_adj_not_predicateINS8_8equal_toIiEEEEEEPllNS8_4plusIlEEEE10hipError_tPvRmT1_T2_T3_mT4_P12ihipStream_tbEUlT_E0_NS1_11comp_targetILNS1_3genE5ELNS1_11target_archE942ELNS1_3gpuE9ELNS1_3repE0EEENS1_30default_config_static_selectorELNS0_4arch9wavefront6targetE1EEEvSW_
	.p2align	8
	.type	_ZN7rocprim17ROCPRIM_400000_NS6detail17trampoline_kernelINS0_14default_configENS1_22reduce_config_selectorIlEEZNS1_11reduce_implILb1ES3_N6thrust23THRUST_200600_302600_NS11hip_rocprim26transform_input_iterator_tIlNS8_12zip_iteratorINS8_5tupleINS8_6detail15normal_iteratorINS8_10device_ptrIiEEEESH_NS8_9null_typeESI_SI_SI_SI_SI_SI_SI_EEEENS9_21zip_adj_not_predicateINS8_8equal_toIiEEEEEEPllNS8_4plusIlEEEE10hipError_tPvRmT1_T2_T3_mT4_P12ihipStream_tbEUlT_E0_NS1_11comp_targetILNS1_3genE5ELNS1_11target_archE942ELNS1_3gpuE9ELNS1_3repE0EEENS1_30default_config_static_selectorELNS0_4arch9wavefront6targetE1EEEvSW_,@function
_ZN7rocprim17ROCPRIM_400000_NS6detail17trampoline_kernelINS0_14default_configENS1_22reduce_config_selectorIlEEZNS1_11reduce_implILb1ES3_N6thrust23THRUST_200600_302600_NS11hip_rocprim26transform_input_iterator_tIlNS8_12zip_iteratorINS8_5tupleINS8_6detail15normal_iteratorINS8_10device_ptrIiEEEESH_NS8_9null_typeESI_SI_SI_SI_SI_SI_SI_EEEENS9_21zip_adj_not_predicateINS8_8equal_toIiEEEEEEPllNS8_4plusIlEEEE10hipError_tPvRmT1_T2_T3_mT4_P12ihipStream_tbEUlT_E0_NS1_11comp_targetILNS1_3genE5ELNS1_11target_archE942ELNS1_3gpuE9ELNS1_3repE0EEENS1_30default_config_static_selectorELNS0_4arch9wavefront6targetE1EEEvSW_: ; @_ZN7rocprim17ROCPRIM_400000_NS6detail17trampoline_kernelINS0_14default_configENS1_22reduce_config_selectorIlEEZNS1_11reduce_implILb1ES3_N6thrust23THRUST_200600_302600_NS11hip_rocprim26transform_input_iterator_tIlNS8_12zip_iteratorINS8_5tupleINS8_6detail15normal_iteratorINS8_10device_ptrIiEEEESH_NS8_9null_typeESI_SI_SI_SI_SI_SI_SI_EEEENS9_21zip_adj_not_predicateINS8_8equal_toIiEEEEEEPllNS8_4plusIlEEEE10hipError_tPvRmT1_T2_T3_mT4_P12ihipStream_tbEUlT_E0_NS1_11comp_targetILNS1_3genE5ELNS1_11target_archE942ELNS1_3gpuE9ELNS1_3repE0EEENS1_30default_config_static_selectorELNS0_4arch9wavefront6targetE1EEEvSW_
; %bb.0:
	.section	.rodata,"a",@progbits
	.p2align	6, 0x0
	.amdhsa_kernel _ZN7rocprim17ROCPRIM_400000_NS6detail17trampoline_kernelINS0_14default_configENS1_22reduce_config_selectorIlEEZNS1_11reduce_implILb1ES3_N6thrust23THRUST_200600_302600_NS11hip_rocprim26transform_input_iterator_tIlNS8_12zip_iteratorINS8_5tupleINS8_6detail15normal_iteratorINS8_10device_ptrIiEEEESH_NS8_9null_typeESI_SI_SI_SI_SI_SI_SI_EEEENS9_21zip_adj_not_predicateINS8_8equal_toIiEEEEEEPllNS8_4plusIlEEEE10hipError_tPvRmT1_T2_T3_mT4_P12ihipStream_tbEUlT_E0_NS1_11comp_targetILNS1_3genE5ELNS1_11target_archE942ELNS1_3gpuE9ELNS1_3repE0EEENS1_30default_config_static_selectorELNS0_4arch9wavefront6targetE1EEEvSW_
		.amdhsa_group_segment_fixed_size 0
		.amdhsa_private_segment_fixed_size 0
		.amdhsa_kernarg_size 80
		.amdhsa_user_sgpr_count 6
		.amdhsa_user_sgpr_private_segment_buffer 1
		.amdhsa_user_sgpr_dispatch_ptr 0
		.amdhsa_user_sgpr_queue_ptr 0
		.amdhsa_user_sgpr_kernarg_segment_ptr 1
		.amdhsa_user_sgpr_dispatch_id 0
		.amdhsa_user_sgpr_flat_scratch_init 0
		.amdhsa_user_sgpr_private_segment_size 0
		.amdhsa_uses_dynamic_stack 0
		.amdhsa_system_sgpr_private_segment_wavefront_offset 0
		.amdhsa_system_sgpr_workgroup_id_x 1
		.amdhsa_system_sgpr_workgroup_id_y 0
		.amdhsa_system_sgpr_workgroup_id_z 0
		.amdhsa_system_sgpr_workgroup_info 0
		.amdhsa_system_vgpr_workitem_id 0
		.amdhsa_next_free_vgpr 1
		.amdhsa_next_free_sgpr 0
		.amdhsa_reserve_vcc 0
		.amdhsa_reserve_flat_scratch 0
		.amdhsa_float_round_mode_32 0
		.amdhsa_float_round_mode_16_64 0
		.amdhsa_float_denorm_mode_32 3
		.amdhsa_float_denorm_mode_16_64 3
		.amdhsa_dx10_clamp 1
		.amdhsa_ieee_mode 1
		.amdhsa_fp16_overflow 0
		.amdhsa_exception_fp_ieee_invalid_op 0
		.amdhsa_exception_fp_denorm_src 0
		.amdhsa_exception_fp_ieee_div_zero 0
		.amdhsa_exception_fp_ieee_overflow 0
		.amdhsa_exception_fp_ieee_underflow 0
		.amdhsa_exception_fp_ieee_inexact 0
		.amdhsa_exception_int_div_zero 0
	.end_amdhsa_kernel
	.section	.text._ZN7rocprim17ROCPRIM_400000_NS6detail17trampoline_kernelINS0_14default_configENS1_22reduce_config_selectorIlEEZNS1_11reduce_implILb1ES3_N6thrust23THRUST_200600_302600_NS11hip_rocprim26transform_input_iterator_tIlNS8_12zip_iteratorINS8_5tupleINS8_6detail15normal_iteratorINS8_10device_ptrIiEEEESH_NS8_9null_typeESI_SI_SI_SI_SI_SI_SI_EEEENS9_21zip_adj_not_predicateINS8_8equal_toIiEEEEEEPllNS8_4plusIlEEEE10hipError_tPvRmT1_T2_T3_mT4_P12ihipStream_tbEUlT_E0_NS1_11comp_targetILNS1_3genE5ELNS1_11target_archE942ELNS1_3gpuE9ELNS1_3repE0EEENS1_30default_config_static_selectorELNS0_4arch9wavefront6targetE1EEEvSW_,"axG",@progbits,_ZN7rocprim17ROCPRIM_400000_NS6detail17trampoline_kernelINS0_14default_configENS1_22reduce_config_selectorIlEEZNS1_11reduce_implILb1ES3_N6thrust23THRUST_200600_302600_NS11hip_rocprim26transform_input_iterator_tIlNS8_12zip_iteratorINS8_5tupleINS8_6detail15normal_iteratorINS8_10device_ptrIiEEEESH_NS8_9null_typeESI_SI_SI_SI_SI_SI_SI_EEEENS9_21zip_adj_not_predicateINS8_8equal_toIiEEEEEEPllNS8_4plusIlEEEE10hipError_tPvRmT1_T2_T3_mT4_P12ihipStream_tbEUlT_E0_NS1_11comp_targetILNS1_3genE5ELNS1_11target_archE942ELNS1_3gpuE9ELNS1_3repE0EEENS1_30default_config_static_selectorELNS0_4arch9wavefront6targetE1EEEvSW_,comdat
.Lfunc_end960:
	.size	_ZN7rocprim17ROCPRIM_400000_NS6detail17trampoline_kernelINS0_14default_configENS1_22reduce_config_selectorIlEEZNS1_11reduce_implILb1ES3_N6thrust23THRUST_200600_302600_NS11hip_rocprim26transform_input_iterator_tIlNS8_12zip_iteratorINS8_5tupleINS8_6detail15normal_iteratorINS8_10device_ptrIiEEEESH_NS8_9null_typeESI_SI_SI_SI_SI_SI_SI_EEEENS9_21zip_adj_not_predicateINS8_8equal_toIiEEEEEEPllNS8_4plusIlEEEE10hipError_tPvRmT1_T2_T3_mT4_P12ihipStream_tbEUlT_E0_NS1_11comp_targetILNS1_3genE5ELNS1_11target_archE942ELNS1_3gpuE9ELNS1_3repE0EEENS1_30default_config_static_selectorELNS0_4arch9wavefront6targetE1EEEvSW_, .Lfunc_end960-_ZN7rocprim17ROCPRIM_400000_NS6detail17trampoline_kernelINS0_14default_configENS1_22reduce_config_selectorIlEEZNS1_11reduce_implILb1ES3_N6thrust23THRUST_200600_302600_NS11hip_rocprim26transform_input_iterator_tIlNS8_12zip_iteratorINS8_5tupleINS8_6detail15normal_iteratorINS8_10device_ptrIiEEEESH_NS8_9null_typeESI_SI_SI_SI_SI_SI_SI_EEEENS9_21zip_adj_not_predicateINS8_8equal_toIiEEEEEEPllNS8_4plusIlEEEE10hipError_tPvRmT1_T2_T3_mT4_P12ihipStream_tbEUlT_E0_NS1_11comp_targetILNS1_3genE5ELNS1_11target_archE942ELNS1_3gpuE9ELNS1_3repE0EEENS1_30default_config_static_selectorELNS0_4arch9wavefront6targetE1EEEvSW_
                                        ; -- End function
	.set _ZN7rocprim17ROCPRIM_400000_NS6detail17trampoline_kernelINS0_14default_configENS1_22reduce_config_selectorIlEEZNS1_11reduce_implILb1ES3_N6thrust23THRUST_200600_302600_NS11hip_rocprim26transform_input_iterator_tIlNS8_12zip_iteratorINS8_5tupleINS8_6detail15normal_iteratorINS8_10device_ptrIiEEEESH_NS8_9null_typeESI_SI_SI_SI_SI_SI_SI_EEEENS9_21zip_adj_not_predicateINS8_8equal_toIiEEEEEEPllNS8_4plusIlEEEE10hipError_tPvRmT1_T2_T3_mT4_P12ihipStream_tbEUlT_E0_NS1_11comp_targetILNS1_3genE5ELNS1_11target_archE942ELNS1_3gpuE9ELNS1_3repE0EEENS1_30default_config_static_selectorELNS0_4arch9wavefront6targetE1EEEvSW_.num_vgpr, 0
	.set _ZN7rocprim17ROCPRIM_400000_NS6detail17trampoline_kernelINS0_14default_configENS1_22reduce_config_selectorIlEEZNS1_11reduce_implILb1ES3_N6thrust23THRUST_200600_302600_NS11hip_rocprim26transform_input_iterator_tIlNS8_12zip_iteratorINS8_5tupleINS8_6detail15normal_iteratorINS8_10device_ptrIiEEEESH_NS8_9null_typeESI_SI_SI_SI_SI_SI_SI_EEEENS9_21zip_adj_not_predicateINS8_8equal_toIiEEEEEEPllNS8_4plusIlEEEE10hipError_tPvRmT1_T2_T3_mT4_P12ihipStream_tbEUlT_E0_NS1_11comp_targetILNS1_3genE5ELNS1_11target_archE942ELNS1_3gpuE9ELNS1_3repE0EEENS1_30default_config_static_selectorELNS0_4arch9wavefront6targetE1EEEvSW_.num_agpr, 0
	.set _ZN7rocprim17ROCPRIM_400000_NS6detail17trampoline_kernelINS0_14default_configENS1_22reduce_config_selectorIlEEZNS1_11reduce_implILb1ES3_N6thrust23THRUST_200600_302600_NS11hip_rocprim26transform_input_iterator_tIlNS8_12zip_iteratorINS8_5tupleINS8_6detail15normal_iteratorINS8_10device_ptrIiEEEESH_NS8_9null_typeESI_SI_SI_SI_SI_SI_SI_EEEENS9_21zip_adj_not_predicateINS8_8equal_toIiEEEEEEPllNS8_4plusIlEEEE10hipError_tPvRmT1_T2_T3_mT4_P12ihipStream_tbEUlT_E0_NS1_11comp_targetILNS1_3genE5ELNS1_11target_archE942ELNS1_3gpuE9ELNS1_3repE0EEENS1_30default_config_static_selectorELNS0_4arch9wavefront6targetE1EEEvSW_.numbered_sgpr, 0
	.set _ZN7rocprim17ROCPRIM_400000_NS6detail17trampoline_kernelINS0_14default_configENS1_22reduce_config_selectorIlEEZNS1_11reduce_implILb1ES3_N6thrust23THRUST_200600_302600_NS11hip_rocprim26transform_input_iterator_tIlNS8_12zip_iteratorINS8_5tupleINS8_6detail15normal_iteratorINS8_10device_ptrIiEEEESH_NS8_9null_typeESI_SI_SI_SI_SI_SI_SI_EEEENS9_21zip_adj_not_predicateINS8_8equal_toIiEEEEEEPllNS8_4plusIlEEEE10hipError_tPvRmT1_T2_T3_mT4_P12ihipStream_tbEUlT_E0_NS1_11comp_targetILNS1_3genE5ELNS1_11target_archE942ELNS1_3gpuE9ELNS1_3repE0EEENS1_30default_config_static_selectorELNS0_4arch9wavefront6targetE1EEEvSW_.num_named_barrier, 0
	.set _ZN7rocprim17ROCPRIM_400000_NS6detail17trampoline_kernelINS0_14default_configENS1_22reduce_config_selectorIlEEZNS1_11reduce_implILb1ES3_N6thrust23THRUST_200600_302600_NS11hip_rocprim26transform_input_iterator_tIlNS8_12zip_iteratorINS8_5tupleINS8_6detail15normal_iteratorINS8_10device_ptrIiEEEESH_NS8_9null_typeESI_SI_SI_SI_SI_SI_SI_EEEENS9_21zip_adj_not_predicateINS8_8equal_toIiEEEEEEPllNS8_4plusIlEEEE10hipError_tPvRmT1_T2_T3_mT4_P12ihipStream_tbEUlT_E0_NS1_11comp_targetILNS1_3genE5ELNS1_11target_archE942ELNS1_3gpuE9ELNS1_3repE0EEENS1_30default_config_static_selectorELNS0_4arch9wavefront6targetE1EEEvSW_.private_seg_size, 0
	.set _ZN7rocprim17ROCPRIM_400000_NS6detail17trampoline_kernelINS0_14default_configENS1_22reduce_config_selectorIlEEZNS1_11reduce_implILb1ES3_N6thrust23THRUST_200600_302600_NS11hip_rocprim26transform_input_iterator_tIlNS8_12zip_iteratorINS8_5tupleINS8_6detail15normal_iteratorINS8_10device_ptrIiEEEESH_NS8_9null_typeESI_SI_SI_SI_SI_SI_SI_EEEENS9_21zip_adj_not_predicateINS8_8equal_toIiEEEEEEPllNS8_4plusIlEEEE10hipError_tPvRmT1_T2_T3_mT4_P12ihipStream_tbEUlT_E0_NS1_11comp_targetILNS1_3genE5ELNS1_11target_archE942ELNS1_3gpuE9ELNS1_3repE0EEENS1_30default_config_static_selectorELNS0_4arch9wavefront6targetE1EEEvSW_.uses_vcc, 0
	.set _ZN7rocprim17ROCPRIM_400000_NS6detail17trampoline_kernelINS0_14default_configENS1_22reduce_config_selectorIlEEZNS1_11reduce_implILb1ES3_N6thrust23THRUST_200600_302600_NS11hip_rocprim26transform_input_iterator_tIlNS8_12zip_iteratorINS8_5tupleINS8_6detail15normal_iteratorINS8_10device_ptrIiEEEESH_NS8_9null_typeESI_SI_SI_SI_SI_SI_SI_EEEENS9_21zip_adj_not_predicateINS8_8equal_toIiEEEEEEPllNS8_4plusIlEEEE10hipError_tPvRmT1_T2_T3_mT4_P12ihipStream_tbEUlT_E0_NS1_11comp_targetILNS1_3genE5ELNS1_11target_archE942ELNS1_3gpuE9ELNS1_3repE0EEENS1_30default_config_static_selectorELNS0_4arch9wavefront6targetE1EEEvSW_.uses_flat_scratch, 0
	.set _ZN7rocprim17ROCPRIM_400000_NS6detail17trampoline_kernelINS0_14default_configENS1_22reduce_config_selectorIlEEZNS1_11reduce_implILb1ES3_N6thrust23THRUST_200600_302600_NS11hip_rocprim26transform_input_iterator_tIlNS8_12zip_iteratorINS8_5tupleINS8_6detail15normal_iteratorINS8_10device_ptrIiEEEESH_NS8_9null_typeESI_SI_SI_SI_SI_SI_SI_EEEENS9_21zip_adj_not_predicateINS8_8equal_toIiEEEEEEPllNS8_4plusIlEEEE10hipError_tPvRmT1_T2_T3_mT4_P12ihipStream_tbEUlT_E0_NS1_11comp_targetILNS1_3genE5ELNS1_11target_archE942ELNS1_3gpuE9ELNS1_3repE0EEENS1_30default_config_static_selectorELNS0_4arch9wavefront6targetE1EEEvSW_.has_dyn_sized_stack, 0
	.set _ZN7rocprim17ROCPRIM_400000_NS6detail17trampoline_kernelINS0_14default_configENS1_22reduce_config_selectorIlEEZNS1_11reduce_implILb1ES3_N6thrust23THRUST_200600_302600_NS11hip_rocprim26transform_input_iterator_tIlNS8_12zip_iteratorINS8_5tupleINS8_6detail15normal_iteratorINS8_10device_ptrIiEEEESH_NS8_9null_typeESI_SI_SI_SI_SI_SI_SI_EEEENS9_21zip_adj_not_predicateINS8_8equal_toIiEEEEEEPllNS8_4plusIlEEEE10hipError_tPvRmT1_T2_T3_mT4_P12ihipStream_tbEUlT_E0_NS1_11comp_targetILNS1_3genE5ELNS1_11target_archE942ELNS1_3gpuE9ELNS1_3repE0EEENS1_30default_config_static_selectorELNS0_4arch9wavefront6targetE1EEEvSW_.has_recursion, 0
	.set _ZN7rocprim17ROCPRIM_400000_NS6detail17trampoline_kernelINS0_14default_configENS1_22reduce_config_selectorIlEEZNS1_11reduce_implILb1ES3_N6thrust23THRUST_200600_302600_NS11hip_rocprim26transform_input_iterator_tIlNS8_12zip_iteratorINS8_5tupleINS8_6detail15normal_iteratorINS8_10device_ptrIiEEEESH_NS8_9null_typeESI_SI_SI_SI_SI_SI_SI_EEEENS9_21zip_adj_not_predicateINS8_8equal_toIiEEEEEEPllNS8_4plusIlEEEE10hipError_tPvRmT1_T2_T3_mT4_P12ihipStream_tbEUlT_E0_NS1_11comp_targetILNS1_3genE5ELNS1_11target_archE942ELNS1_3gpuE9ELNS1_3repE0EEENS1_30default_config_static_selectorELNS0_4arch9wavefront6targetE1EEEvSW_.has_indirect_call, 0
	.section	.AMDGPU.csdata,"",@progbits
; Kernel info:
; codeLenInByte = 0
; TotalNumSgprs: 4
; NumVgprs: 0
; ScratchSize: 0
; MemoryBound: 0
; FloatMode: 240
; IeeeMode: 1
; LDSByteSize: 0 bytes/workgroup (compile time only)
; SGPRBlocks: 0
; VGPRBlocks: 0
; NumSGPRsForWavesPerEU: 4
; NumVGPRsForWavesPerEU: 1
; Occupancy: 10
; WaveLimiterHint : 0
; COMPUTE_PGM_RSRC2:SCRATCH_EN: 0
; COMPUTE_PGM_RSRC2:USER_SGPR: 6
; COMPUTE_PGM_RSRC2:TRAP_HANDLER: 0
; COMPUTE_PGM_RSRC2:TGID_X_EN: 1
; COMPUTE_PGM_RSRC2:TGID_Y_EN: 0
; COMPUTE_PGM_RSRC2:TGID_Z_EN: 0
; COMPUTE_PGM_RSRC2:TIDIG_COMP_CNT: 0
	.section	.text._ZN7rocprim17ROCPRIM_400000_NS6detail17trampoline_kernelINS0_14default_configENS1_22reduce_config_selectorIlEEZNS1_11reduce_implILb1ES3_N6thrust23THRUST_200600_302600_NS11hip_rocprim26transform_input_iterator_tIlNS8_12zip_iteratorINS8_5tupleINS8_6detail15normal_iteratorINS8_10device_ptrIiEEEESH_NS8_9null_typeESI_SI_SI_SI_SI_SI_SI_EEEENS9_21zip_adj_not_predicateINS8_8equal_toIiEEEEEEPllNS8_4plusIlEEEE10hipError_tPvRmT1_T2_T3_mT4_P12ihipStream_tbEUlT_E0_NS1_11comp_targetILNS1_3genE4ELNS1_11target_archE910ELNS1_3gpuE8ELNS1_3repE0EEENS1_30default_config_static_selectorELNS0_4arch9wavefront6targetE1EEEvSW_,"axG",@progbits,_ZN7rocprim17ROCPRIM_400000_NS6detail17trampoline_kernelINS0_14default_configENS1_22reduce_config_selectorIlEEZNS1_11reduce_implILb1ES3_N6thrust23THRUST_200600_302600_NS11hip_rocprim26transform_input_iterator_tIlNS8_12zip_iteratorINS8_5tupleINS8_6detail15normal_iteratorINS8_10device_ptrIiEEEESH_NS8_9null_typeESI_SI_SI_SI_SI_SI_SI_EEEENS9_21zip_adj_not_predicateINS8_8equal_toIiEEEEEEPllNS8_4plusIlEEEE10hipError_tPvRmT1_T2_T3_mT4_P12ihipStream_tbEUlT_E0_NS1_11comp_targetILNS1_3genE4ELNS1_11target_archE910ELNS1_3gpuE8ELNS1_3repE0EEENS1_30default_config_static_selectorELNS0_4arch9wavefront6targetE1EEEvSW_,comdat
	.protected	_ZN7rocprim17ROCPRIM_400000_NS6detail17trampoline_kernelINS0_14default_configENS1_22reduce_config_selectorIlEEZNS1_11reduce_implILb1ES3_N6thrust23THRUST_200600_302600_NS11hip_rocprim26transform_input_iterator_tIlNS8_12zip_iteratorINS8_5tupleINS8_6detail15normal_iteratorINS8_10device_ptrIiEEEESH_NS8_9null_typeESI_SI_SI_SI_SI_SI_SI_EEEENS9_21zip_adj_not_predicateINS8_8equal_toIiEEEEEEPllNS8_4plusIlEEEE10hipError_tPvRmT1_T2_T3_mT4_P12ihipStream_tbEUlT_E0_NS1_11comp_targetILNS1_3genE4ELNS1_11target_archE910ELNS1_3gpuE8ELNS1_3repE0EEENS1_30default_config_static_selectorELNS0_4arch9wavefront6targetE1EEEvSW_ ; -- Begin function _ZN7rocprim17ROCPRIM_400000_NS6detail17trampoline_kernelINS0_14default_configENS1_22reduce_config_selectorIlEEZNS1_11reduce_implILb1ES3_N6thrust23THRUST_200600_302600_NS11hip_rocprim26transform_input_iterator_tIlNS8_12zip_iteratorINS8_5tupleINS8_6detail15normal_iteratorINS8_10device_ptrIiEEEESH_NS8_9null_typeESI_SI_SI_SI_SI_SI_SI_EEEENS9_21zip_adj_not_predicateINS8_8equal_toIiEEEEEEPllNS8_4plusIlEEEE10hipError_tPvRmT1_T2_T3_mT4_P12ihipStream_tbEUlT_E0_NS1_11comp_targetILNS1_3genE4ELNS1_11target_archE910ELNS1_3gpuE8ELNS1_3repE0EEENS1_30default_config_static_selectorELNS0_4arch9wavefront6targetE1EEEvSW_
	.globl	_ZN7rocprim17ROCPRIM_400000_NS6detail17trampoline_kernelINS0_14default_configENS1_22reduce_config_selectorIlEEZNS1_11reduce_implILb1ES3_N6thrust23THRUST_200600_302600_NS11hip_rocprim26transform_input_iterator_tIlNS8_12zip_iteratorINS8_5tupleINS8_6detail15normal_iteratorINS8_10device_ptrIiEEEESH_NS8_9null_typeESI_SI_SI_SI_SI_SI_SI_EEEENS9_21zip_adj_not_predicateINS8_8equal_toIiEEEEEEPllNS8_4plusIlEEEE10hipError_tPvRmT1_T2_T3_mT4_P12ihipStream_tbEUlT_E0_NS1_11comp_targetILNS1_3genE4ELNS1_11target_archE910ELNS1_3gpuE8ELNS1_3repE0EEENS1_30default_config_static_selectorELNS0_4arch9wavefront6targetE1EEEvSW_
	.p2align	8
	.type	_ZN7rocprim17ROCPRIM_400000_NS6detail17trampoline_kernelINS0_14default_configENS1_22reduce_config_selectorIlEEZNS1_11reduce_implILb1ES3_N6thrust23THRUST_200600_302600_NS11hip_rocprim26transform_input_iterator_tIlNS8_12zip_iteratorINS8_5tupleINS8_6detail15normal_iteratorINS8_10device_ptrIiEEEESH_NS8_9null_typeESI_SI_SI_SI_SI_SI_SI_EEEENS9_21zip_adj_not_predicateINS8_8equal_toIiEEEEEEPllNS8_4plusIlEEEE10hipError_tPvRmT1_T2_T3_mT4_P12ihipStream_tbEUlT_E0_NS1_11comp_targetILNS1_3genE4ELNS1_11target_archE910ELNS1_3gpuE8ELNS1_3repE0EEENS1_30default_config_static_selectorELNS0_4arch9wavefront6targetE1EEEvSW_,@function
_ZN7rocprim17ROCPRIM_400000_NS6detail17trampoline_kernelINS0_14default_configENS1_22reduce_config_selectorIlEEZNS1_11reduce_implILb1ES3_N6thrust23THRUST_200600_302600_NS11hip_rocprim26transform_input_iterator_tIlNS8_12zip_iteratorINS8_5tupleINS8_6detail15normal_iteratorINS8_10device_ptrIiEEEESH_NS8_9null_typeESI_SI_SI_SI_SI_SI_SI_EEEENS9_21zip_adj_not_predicateINS8_8equal_toIiEEEEEEPllNS8_4plusIlEEEE10hipError_tPvRmT1_T2_T3_mT4_P12ihipStream_tbEUlT_E0_NS1_11comp_targetILNS1_3genE4ELNS1_11target_archE910ELNS1_3gpuE8ELNS1_3repE0EEENS1_30default_config_static_selectorELNS0_4arch9wavefront6targetE1EEEvSW_: ; @_ZN7rocprim17ROCPRIM_400000_NS6detail17trampoline_kernelINS0_14default_configENS1_22reduce_config_selectorIlEEZNS1_11reduce_implILb1ES3_N6thrust23THRUST_200600_302600_NS11hip_rocprim26transform_input_iterator_tIlNS8_12zip_iteratorINS8_5tupleINS8_6detail15normal_iteratorINS8_10device_ptrIiEEEESH_NS8_9null_typeESI_SI_SI_SI_SI_SI_SI_EEEENS9_21zip_adj_not_predicateINS8_8equal_toIiEEEEEEPllNS8_4plusIlEEEE10hipError_tPvRmT1_T2_T3_mT4_P12ihipStream_tbEUlT_E0_NS1_11comp_targetILNS1_3genE4ELNS1_11target_archE910ELNS1_3gpuE8ELNS1_3repE0EEENS1_30default_config_static_selectorELNS0_4arch9wavefront6targetE1EEEvSW_
; %bb.0:
	.section	.rodata,"a",@progbits
	.p2align	6, 0x0
	.amdhsa_kernel _ZN7rocprim17ROCPRIM_400000_NS6detail17trampoline_kernelINS0_14default_configENS1_22reduce_config_selectorIlEEZNS1_11reduce_implILb1ES3_N6thrust23THRUST_200600_302600_NS11hip_rocprim26transform_input_iterator_tIlNS8_12zip_iteratorINS8_5tupleINS8_6detail15normal_iteratorINS8_10device_ptrIiEEEESH_NS8_9null_typeESI_SI_SI_SI_SI_SI_SI_EEEENS9_21zip_adj_not_predicateINS8_8equal_toIiEEEEEEPllNS8_4plusIlEEEE10hipError_tPvRmT1_T2_T3_mT4_P12ihipStream_tbEUlT_E0_NS1_11comp_targetILNS1_3genE4ELNS1_11target_archE910ELNS1_3gpuE8ELNS1_3repE0EEENS1_30default_config_static_selectorELNS0_4arch9wavefront6targetE1EEEvSW_
		.amdhsa_group_segment_fixed_size 0
		.amdhsa_private_segment_fixed_size 0
		.amdhsa_kernarg_size 80
		.amdhsa_user_sgpr_count 6
		.amdhsa_user_sgpr_private_segment_buffer 1
		.amdhsa_user_sgpr_dispatch_ptr 0
		.amdhsa_user_sgpr_queue_ptr 0
		.amdhsa_user_sgpr_kernarg_segment_ptr 1
		.amdhsa_user_sgpr_dispatch_id 0
		.amdhsa_user_sgpr_flat_scratch_init 0
		.amdhsa_user_sgpr_private_segment_size 0
		.amdhsa_uses_dynamic_stack 0
		.amdhsa_system_sgpr_private_segment_wavefront_offset 0
		.amdhsa_system_sgpr_workgroup_id_x 1
		.amdhsa_system_sgpr_workgroup_id_y 0
		.amdhsa_system_sgpr_workgroup_id_z 0
		.amdhsa_system_sgpr_workgroup_info 0
		.amdhsa_system_vgpr_workitem_id 0
		.amdhsa_next_free_vgpr 1
		.amdhsa_next_free_sgpr 0
		.amdhsa_reserve_vcc 0
		.amdhsa_reserve_flat_scratch 0
		.amdhsa_float_round_mode_32 0
		.amdhsa_float_round_mode_16_64 0
		.amdhsa_float_denorm_mode_32 3
		.amdhsa_float_denorm_mode_16_64 3
		.amdhsa_dx10_clamp 1
		.amdhsa_ieee_mode 1
		.amdhsa_fp16_overflow 0
		.amdhsa_exception_fp_ieee_invalid_op 0
		.amdhsa_exception_fp_denorm_src 0
		.amdhsa_exception_fp_ieee_div_zero 0
		.amdhsa_exception_fp_ieee_overflow 0
		.amdhsa_exception_fp_ieee_underflow 0
		.amdhsa_exception_fp_ieee_inexact 0
		.amdhsa_exception_int_div_zero 0
	.end_amdhsa_kernel
	.section	.text._ZN7rocprim17ROCPRIM_400000_NS6detail17trampoline_kernelINS0_14default_configENS1_22reduce_config_selectorIlEEZNS1_11reduce_implILb1ES3_N6thrust23THRUST_200600_302600_NS11hip_rocprim26transform_input_iterator_tIlNS8_12zip_iteratorINS8_5tupleINS8_6detail15normal_iteratorINS8_10device_ptrIiEEEESH_NS8_9null_typeESI_SI_SI_SI_SI_SI_SI_EEEENS9_21zip_adj_not_predicateINS8_8equal_toIiEEEEEEPllNS8_4plusIlEEEE10hipError_tPvRmT1_T2_T3_mT4_P12ihipStream_tbEUlT_E0_NS1_11comp_targetILNS1_3genE4ELNS1_11target_archE910ELNS1_3gpuE8ELNS1_3repE0EEENS1_30default_config_static_selectorELNS0_4arch9wavefront6targetE1EEEvSW_,"axG",@progbits,_ZN7rocprim17ROCPRIM_400000_NS6detail17trampoline_kernelINS0_14default_configENS1_22reduce_config_selectorIlEEZNS1_11reduce_implILb1ES3_N6thrust23THRUST_200600_302600_NS11hip_rocprim26transform_input_iterator_tIlNS8_12zip_iteratorINS8_5tupleINS8_6detail15normal_iteratorINS8_10device_ptrIiEEEESH_NS8_9null_typeESI_SI_SI_SI_SI_SI_SI_EEEENS9_21zip_adj_not_predicateINS8_8equal_toIiEEEEEEPllNS8_4plusIlEEEE10hipError_tPvRmT1_T2_T3_mT4_P12ihipStream_tbEUlT_E0_NS1_11comp_targetILNS1_3genE4ELNS1_11target_archE910ELNS1_3gpuE8ELNS1_3repE0EEENS1_30default_config_static_selectorELNS0_4arch9wavefront6targetE1EEEvSW_,comdat
.Lfunc_end961:
	.size	_ZN7rocprim17ROCPRIM_400000_NS6detail17trampoline_kernelINS0_14default_configENS1_22reduce_config_selectorIlEEZNS1_11reduce_implILb1ES3_N6thrust23THRUST_200600_302600_NS11hip_rocprim26transform_input_iterator_tIlNS8_12zip_iteratorINS8_5tupleINS8_6detail15normal_iteratorINS8_10device_ptrIiEEEESH_NS8_9null_typeESI_SI_SI_SI_SI_SI_SI_EEEENS9_21zip_adj_not_predicateINS8_8equal_toIiEEEEEEPllNS8_4plusIlEEEE10hipError_tPvRmT1_T2_T3_mT4_P12ihipStream_tbEUlT_E0_NS1_11comp_targetILNS1_3genE4ELNS1_11target_archE910ELNS1_3gpuE8ELNS1_3repE0EEENS1_30default_config_static_selectorELNS0_4arch9wavefront6targetE1EEEvSW_, .Lfunc_end961-_ZN7rocprim17ROCPRIM_400000_NS6detail17trampoline_kernelINS0_14default_configENS1_22reduce_config_selectorIlEEZNS1_11reduce_implILb1ES3_N6thrust23THRUST_200600_302600_NS11hip_rocprim26transform_input_iterator_tIlNS8_12zip_iteratorINS8_5tupleINS8_6detail15normal_iteratorINS8_10device_ptrIiEEEESH_NS8_9null_typeESI_SI_SI_SI_SI_SI_SI_EEEENS9_21zip_adj_not_predicateINS8_8equal_toIiEEEEEEPllNS8_4plusIlEEEE10hipError_tPvRmT1_T2_T3_mT4_P12ihipStream_tbEUlT_E0_NS1_11comp_targetILNS1_3genE4ELNS1_11target_archE910ELNS1_3gpuE8ELNS1_3repE0EEENS1_30default_config_static_selectorELNS0_4arch9wavefront6targetE1EEEvSW_
                                        ; -- End function
	.set _ZN7rocprim17ROCPRIM_400000_NS6detail17trampoline_kernelINS0_14default_configENS1_22reduce_config_selectorIlEEZNS1_11reduce_implILb1ES3_N6thrust23THRUST_200600_302600_NS11hip_rocprim26transform_input_iterator_tIlNS8_12zip_iteratorINS8_5tupleINS8_6detail15normal_iteratorINS8_10device_ptrIiEEEESH_NS8_9null_typeESI_SI_SI_SI_SI_SI_SI_EEEENS9_21zip_adj_not_predicateINS8_8equal_toIiEEEEEEPllNS8_4plusIlEEEE10hipError_tPvRmT1_T2_T3_mT4_P12ihipStream_tbEUlT_E0_NS1_11comp_targetILNS1_3genE4ELNS1_11target_archE910ELNS1_3gpuE8ELNS1_3repE0EEENS1_30default_config_static_selectorELNS0_4arch9wavefront6targetE1EEEvSW_.num_vgpr, 0
	.set _ZN7rocprim17ROCPRIM_400000_NS6detail17trampoline_kernelINS0_14default_configENS1_22reduce_config_selectorIlEEZNS1_11reduce_implILb1ES3_N6thrust23THRUST_200600_302600_NS11hip_rocprim26transform_input_iterator_tIlNS8_12zip_iteratorINS8_5tupleINS8_6detail15normal_iteratorINS8_10device_ptrIiEEEESH_NS8_9null_typeESI_SI_SI_SI_SI_SI_SI_EEEENS9_21zip_adj_not_predicateINS8_8equal_toIiEEEEEEPllNS8_4plusIlEEEE10hipError_tPvRmT1_T2_T3_mT4_P12ihipStream_tbEUlT_E0_NS1_11comp_targetILNS1_3genE4ELNS1_11target_archE910ELNS1_3gpuE8ELNS1_3repE0EEENS1_30default_config_static_selectorELNS0_4arch9wavefront6targetE1EEEvSW_.num_agpr, 0
	.set _ZN7rocprim17ROCPRIM_400000_NS6detail17trampoline_kernelINS0_14default_configENS1_22reduce_config_selectorIlEEZNS1_11reduce_implILb1ES3_N6thrust23THRUST_200600_302600_NS11hip_rocprim26transform_input_iterator_tIlNS8_12zip_iteratorINS8_5tupleINS8_6detail15normal_iteratorINS8_10device_ptrIiEEEESH_NS8_9null_typeESI_SI_SI_SI_SI_SI_SI_EEEENS9_21zip_adj_not_predicateINS8_8equal_toIiEEEEEEPllNS8_4plusIlEEEE10hipError_tPvRmT1_T2_T3_mT4_P12ihipStream_tbEUlT_E0_NS1_11comp_targetILNS1_3genE4ELNS1_11target_archE910ELNS1_3gpuE8ELNS1_3repE0EEENS1_30default_config_static_selectorELNS0_4arch9wavefront6targetE1EEEvSW_.numbered_sgpr, 0
	.set _ZN7rocprim17ROCPRIM_400000_NS6detail17trampoline_kernelINS0_14default_configENS1_22reduce_config_selectorIlEEZNS1_11reduce_implILb1ES3_N6thrust23THRUST_200600_302600_NS11hip_rocprim26transform_input_iterator_tIlNS8_12zip_iteratorINS8_5tupleINS8_6detail15normal_iteratorINS8_10device_ptrIiEEEESH_NS8_9null_typeESI_SI_SI_SI_SI_SI_SI_EEEENS9_21zip_adj_not_predicateINS8_8equal_toIiEEEEEEPllNS8_4plusIlEEEE10hipError_tPvRmT1_T2_T3_mT4_P12ihipStream_tbEUlT_E0_NS1_11comp_targetILNS1_3genE4ELNS1_11target_archE910ELNS1_3gpuE8ELNS1_3repE0EEENS1_30default_config_static_selectorELNS0_4arch9wavefront6targetE1EEEvSW_.num_named_barrier, 0
	.set _ZN7rocprim17ROCPRIM_400000_NS6detail17trampoline_kernelINS0_14default_configENS1_22reduce_config_selectorIlEEZNS1_11reduce_implILb1ES3_N6thrust23THRUST_200600_302600_NS11hip_rocprim26transform_input_iterator_tIlNS8_12zip_iteratorINS8_5tupleINS8_6detail15normal_iteratorINS8_10device_ptrIiEEEESH_NS8_9null_typeESI_SI_SI_SI_SI_SI_SI_EEEENS9_21zip_adj_not_predicateINS8_8equal_toIiEEEEEEPllNS8_4plusIlEEEE10hipError_tPvRmT1_T2_T3_mT4_P12ihipStream_tbEUlT_E0_NS1_11comp_targetILNS1_3genE4ELNS1_11target_archE910ELNS1_3gpuE8ELNS1_3repE0EEENS1_30default_config_static_selectorELNS0_4arch9wavefront6targetE1EEEvSW_.private_seg_size, 0
	.set _ZN7rocprim17ROCPRIM_400000_NS6detail17trampoline_kernelINS0_14default_configENS1_22reduce_config_selectorIlEEZNS1_11reduce_implILb1ES3_N6thrust23THRUST_200600_302600_NS11hip_rocprim26transform_input_iterator_tIlNS8_12zip_iteratorINS8_5tupleINS8_6detail15normal_iteratorINS8_10device_ptrIiEEEESH_NS8_9null_typeESI_SI_SI_SI_SI_SI_SI_EEEENS9_21zip_adj_not_predicateINS8_8equal_toIiEEEEEEPllNS8_4plusIlEEEE10hipError_tPvRmT1_T2_T3_mT4_P12ihipStream_tbEUlT_E0_NS1_11comp_targetILNS1_3genE4ELNS1_11target_archE910ELNS1_3gpuE8ELNS1_3repE0EEENS1_30default_config_static_selectorELNS0_4arch9wavefront6targetE1EEEvSW_.uses_vcc, 0
	.set _ZN7rocprim17ROCPRIM_400000_NS6detail17trampoline_kernelINS0_14default_configENS1_22reduce_config_selectorIlEEZNS1_11reduce_implILb1ES3_N6thrust23THRUST_200600_302600_NS11hip_rocprim26transform_input_iterator_tIlNS8_12zip_iteratorINS8_5tupleINS8_6detail15normal_iteratorINS8_10device_ptrIiEEEESH_NS8_9null_typeESI_SI_SI_SI_SI_SI_SI_EEEENS9_21zip_adj_not_predicateINS8_8equal_toIiEEEEEEPllNS8_4plusIlEEEE10hipError_tPvRmT1_T2_T3_mT4_P12ihipStream_tbEUlT_E0_NS1_11comp_targetILNS1_3genE4ELNS1_11target_archE910ELNS1_3gpuE8ELNS1_3repE0EEENS1_30default_config_static_selectorELNS0_4arch9wavefront6targetE1EEEvSW_.uses_flat_scratch, 0
	.set _ZN7rocprim17ROCPRIM_400000_NS6detail17trampoline_kernelINS0_14default_configENS1_22reduce_config_selectorIlEEZNS1_11reduce_implILb1ES3_N6thrust23THRUST_200600_302600_NS11hip_rocprim26transform_input_iterator_tIlNS8_12zip_iteratorINS8_5tupleINS8_6detail15normal_iteratorINS8_10device_ptrIiEEEESH_NS8_9null_typeESI_SI_SI_SI_SI_SI_SI_EEEENS9_21zip_adj_not_predicateINS8_8equal_toIiEEEEEEPllNS8_4plusIlEEEE10hipError_tPvRmT1_T2_T3_mT4_P12ihipStream_tbEUlT_E0_NS1_11comp_targetILNS1_3genE4ELNS1_11target_archE910ELNS1_3gpuE8ELNS1_3repE0EEENS1_30default_config_static_selectorELNS0_4arch9wavefront6targetE1EEEvSW_.has_dyn_sized_stack, 0
	.set _ZN7rocprim17ROCPRIM_400000_NS6detail17trampoline_kernelINS0_14default_configENS1_22reduce_config_selectorIlEEZNS1_11reduce_implILb1ES3_N6thrust23THRUST_200600_302600_NS11hip_rocprim26transform_input_iterator_tIlNS8_12zip_iteratorINS8_5tupleINS8_6detail15normal_iteratorINS8_10device_ptrIiEEEESH_NS8_9null_typeESI_SI_SI_SI_SI_SI_SI_EEEENS9_21zip_adj_not_predicateINS8_8equal_toIiEEEEEEPllNS8_4plusIlEEEE10hipError_tPvRmT1_T2_T3_mT4_P12ihipStream_tbEUlT_E0_NS1_11comp_targetILNS1_3genE4ELNS1_11target_archE910ELNS1_3gpuE8ELNS1_3repE0EEENS1_30default_config_static_selectorELNS0_4arch9wavefront6targetE1EEEvSW_.has_recursion, 0
	.set _ZN7rocprim17ROCPRIM_400000_NS6detail17trampoline_kernelINS0_14default_configENS1_22reduce_config_selectorIlEEZNS1_11reduce_implILb1ES3_N6thrust23THRUST_200600_302600_NS11hip_rocprim26transform_input_iterator_tIlNS8_12zip_iteratorINS8_5tupleINS8_6detail15normal_iteratorINS8_10device_ptrIiEEEESH_NS8_9null_typeESI_SI_SI_SI_SI_SI_SI_EEEENS9_21zip_adj_not_predicateINS8_8equal_toIiEEEEEEPllNS8_4plusIlEEEE10hipError_tPvRmT1_T2_T3_mT4_P12ihipStream_tbEUlT_E0_NS1_11comp_targetILNS1_3genE4ELNS1_11target_archE910ELNS1_3gpuE8ELNS1_3repE0EEENS1_30default_config_static_selectorELNS0_4arch9wavefront6targetE1EEEvSW_.has_indirect_call, 0
	.section	.AMDGPU.csdata,"",@progbits
; Kernel info:
; codeLenInByte = 0
; TotalNumSgprs: 4
; NumVgprs: 0
; ScratchSize: 0
; MemoryBound: 0
; FloatMode: 240
; IeeeMode: 1
; LDSByteSize: 0 bytes/workgroup (compile time only)
; SGPRBlocks: 0
; VGPRBlocks: 0
; NumSGPRsForWavesPerEU: 4
; NumVGPRsForWavesPerEU: 1
; Occupancy: 10
; WaveLimiterHint : 0
; COMPUTE_PGM_RSRC2:SCRATCH_EN: 0
; COMPUTE_PGM_RSRC2:USER_SGPR: 6
; COMPUTE_PGM_RSRC2:TRAP_HANDLER: 0
; COMPUTE_PGM_RSRC2:TGID_X_EN: 1
; COMPUTE_PGM_RSRC2:TGID_Y_EN: 0
; COMPUTE_PGM_RSRC2:TGID_Z_EN: 0
; COMPUTE_PGM_RSRC2:TIDIG_COMP_CNT: 0
	.section	.text._ZN7rocprim17ROCPRIM_400000_NS6detail17trampoline_kernelINS0_14default_configENS1_22reduce_config_selectorIlEEZNS1_11reduce_implILb1ES3_N6thrust23THRUST_200600_302600_NS11hip_rocprim26transform_input_iterator_tIlNS8_12zip_iteratorINS8_5tupleINS8_6detail15normal_iteratorINS8_10device_ptrIiEEEESH_NS8_9null_typeESI_SI_SI_SI_SI_SI_SI_EEEENS9_21zip_adj_not_predicateINS8_8equal_toIiEEEEEEPllNS8_4plusIlEEEE10hipError_tPvRmT1_T2_T3_mT4_P12ihipStream_tbEUlT_E0_NS1_11comp_targetILNS1_3genE3ELNS1_11target_archE908ELNS1_3gpuE7ELNS1_3repE0EEENS1_30default_config_static_selectorELNS0_4arch9wavefront6targetE1EEEvSW_,"axG",@progbits,_ZN7rocprim17ROCPRIM_400000_NS6detail17trampoline_kernelINS0_14default_configENS1_22reduce_config_selectorIlEEZNS1_11reduce_implILb1ES3_N6thrust23THRUST_200600_302600_NS11hip_rocprim26transform_input_iterator_tIlNS8_12zip_iteratorINS8_5tupleINS8_6detail15normal_iteratorINS8_10device_ptrIiEEEESH_NS8_9null_typeESI_SI_SI_SI_SI_SI_SI_EEEENS9_21zip_adj_not_predicateINS8_8equal_toIiEEEEEEPllNS8_4plusIlEEEE10hipError_tPvRmT1_T2_T3_mT4_P12ihipStream_tbEUlT_E0_NS1_11comp_targetILNS1_3genE3ELNS1_11target_archE908ELNS1_3gpuE7ELNS1_3repE0EEENS1_30default_config_static_selectorELNS0_4arch9wavefront6targetE1EEEvSW_,comdat
	.protected	_ZN7rocprim17ROCPRIM_400000_NS6detail17trampoline_kernelINS0_14default_configENS1_22reduce_config_selectorIlEEZNS1_11reduce_implILb1ES3_N6thrust23THRUST_200600_302600_NS11hip_rocprim26transform_input_iterator_tIlNS8_12zip_iteratorINS8_5tupleINS8_6detail15normal_iteratorINS8_10device_ptrIiEEEESH_NS8_9null_typeESI_SI_SI_SI_SI_SI_SI_EEEENS9_21zip_adj_not_predicateINS8_8equal_toIiEEEEEEPllNS8_4plusIlEEEE10hipError_tPvRmT1_T2_T3_mT4_P12ihipStream_tbEUlT_E0_NS1_11comp_targetILNS1_3genE3ELNS1_11target_archE908ELNS1_3gpuE7ELNS1_3repE0EEENS1_30default_config_static_selectorELNS0_4arch9wavefront6targetE1EEEvSW_ ; -- Begin function _ZN7rocprim17ROCPRIM_400000_NS6detail17trampoline_kernelINS0_14default_configENS1_22reduce_config_selectorIlEEZNS1_11reduce_implILb1ES3_N6thrust23THRUST_200600_302600_NS11hip_rocprim26transform_input_iterator_tIlNS8_12zip_iteratorINS8_5tupleINS8_6detail15normal_iteratorINS8_10device_ptrIiEEEESH_NS8_9null_typeESI_SI_SI_SI_SI_SI_SI_EEEENS9_21zip_adj_not_predicateINS8_8equal_toIiEEEEEEPllNS8_4plusIlEEEE10hipError_tPvRmT1_T2_T3_mT4_P12ihipStream_tbEUlT_E0_NS1_11comp_targetILNS1_3genE3ELNS1_11target_archE908ELNS1_3gpuE7ELNS1_3repE0EEENS1_30default_config_static_selectorELNS0_4arch9wavefront6targetE1EEEvSW_
	.globl	_ZN7rocprim17ROCPRIM_400000_NS6detail17trampoline_kernelINS0_14default_configENS1_22reduce_config_selectorIlEEZNS1_11reduce_implILb1ES3_N6thrust23THRUST_200600_302600_NS11hip_rocprim26transform_input_iterator_tIlNS8_12zip_iteratorINS8_5tupleINS8_6detail15normal_iteratorINS8_10device_ptrIiEEEESH_NS8_9null_typeESI_SI_SI_SI_SI_SI_SI_EEEENS9_21zip_adj_not_predicateINS8_8equal_toIiEEEEEEPllNS8_4plusIlEEEE10hipError_tPvRmT1_T2_T3_mT4_P12ihipStream_tbEUlT_E0_NS1_11comp_targetILNS1_3genE3ELNS1_11target_archE908ELNS1_3gpuE7ELNS1_3repE0EEENS1_30default_config_static_selectorELNS0_4arch9wavefront6targetE1EEEvSW_
	.p2align	8
	.type	_ZN7rocprim17ROCPRIM_400000_NS6detail17trampoline_kernelINS0_14default_configENS1_22reduce_config_selectorIlEEZNS1_11reduce_implILb1ES3_N6thrust23THRUST_200600_302600_NS11hip_rocprim26transform_input_iterator_tIlNS8_12zip_iteratorINS8_5tupleINS8_6detail15normal_iteratorINS8_10device_ptrIiEEEESH_NS8_9null_typeESI_SI_SI_SI_SI_SI_SI_EEEENS9_21zip_adj_not_predicateINS8_8equal_toIiEEEEEEPllNS8_4plusIlEEEE10hipError_tPvRmT1_T2_T3_mT4_P12ihipStream_tbEUlT_E0_NS1_11comp_targetILNS1_3genE3ELNS1_11target_archE908ELNS1_3gpuE7ELNS1_3repE0EEENS1_30default_config_static_selectorELNS0_4arch9wavefront6targetE1EEEvSW_,@function
_ZN7rocprim17ROCPRIM_400000_NS6detail17trampoline_kernelINS0_14default_configENS1_22reduce_config_selectorIlEEZNS1_11reduce_implILb1ES3_N6thrust23THRUST_200600_302600_NS11hip_rocprim26transform_input_iterator_tIlNS8_12zip_iteratorINS8_5tupleINS8_6detail15normal_iteratorINS8_10device_ptrIiEEEESH_NS8_9null_typeESI_SI_SI_SI_SI_SI_SI_EEEENS9_21zip_adj_not_predicateINS8_8equal_toIiEEEEEEPllNS8_4plusIlEEEE10hipError_tPvRmT1_T2_T3_mT4_P12ihipStream_tbEUlT_E0_NS1_11comp_targetILNS1_3genE3ELNS1_11target_archE908ELNS1_3gpuE7ELNS1_3repE0EEENS1_30default_config_static_selectorELNS0_4arch9wavefront6targetE1EEEvSW_: ; @_ZN7rocprim17ROCPRIM_400000_NS6detail17trampoline_kernelINS0_14default_configENS1_22reduce_config_selectorIlEEZNS1_11reduce_implILb1ES3_N6thrust23THRUST_200600_302600_NS11hip_rocprim26transform_input_iterator_tIlNS8_12zip_iteratorINS8_5tupleINS8_6detail15normal_iteratorINS8_10device_ptrIiEEEESH_NS8_9null_typeESI_SI_SI_SI_SI_SI_SI_EEEENS9_21zip_adj_not_predicateINS8_8equal_toIiEEEEEEPllNS8_4plusIlEEEE10hipError_tPvRmT1_T2_T3_mT4_P12ihipStream_tbEUlT_E0_NS1_11comp_targetILNS1_3genE3ELNS1_11target_archE908ELNS1_3gpuE7ELNS1_3repE0EEENS1_30default_config_static_selectorELNS0_4arch9wavefront6targetE1EEEvSW_
; %bb.0:
	.section	.rodata,"a",@progbits
	.p2align	6, 0x0
	.amdhsa_kernel _ZN7rocprim17ROCPRIM_400000_NS6detail17trampoline_kernelINS0_14default_configENS1_22reduce_config_selectorIlEEZNS1_11reduce_implILb1ES3_N6thrust23THRUST_200600_302600_NS11hip_rocprim26transform_input_iterator_tIlNS8_12zip_iteratorINS8_5tupleINS8_6detail15normal_iteratorINS8_10device_ptrIiEEEESH_NS8_9null_typeESI_SI_SI_SI_SI_SI_SI_EEEENS9_21zip_adj_not_predicateINS8_8equal_toIiEEEEEEPllNS8_4plusIlEEEE10hipError_tPvRmT1_T2_T3_mT4_P12ihipStream_tbEUlT_E0_NS1_11comp_targetILNS1_3genE3ELNS1_11target_archE908ELNS1_3gpuE7ELNS1_3repE0EEENS1_30default_config_static_selectorELNS0_4arch9wavefront6targetE1EEEvSW_
		.amdhsa_group_segment_fixed_size 0
		.amdhsa_private_segment_fixed_size 0
		.amdhsa_kernarg_size 80
		.amdhsa_user_sgpr_count 6
		.amdhsa_user_sgpr_private_segment_buffer 1
		.amdhsa_user_sgpr_dispatch_ptr 0
		.amdhsa_user_sgpr_queue_ptr 0
		.amdhsa_user_sgpr_kernarg_segment_ptr 1
		.amdhsa_user_sgpr_dispatch_id 0
		.amdhsa_user_sgpr_flat_scratch_init 0
		.amdhsa_user_sgpr_private_segment_size 0
		.amdhsa_uses_dynamic_stack 0
		.amdhsa_system_sgpr_private_segment_wavefront_offset 0
		.amdhsa_system_sgpr_workgroup_id_x 1
		.amdhsa_system_sgpr_workgroup_id_y 0
		.amdhsa_system_sgpr_workgroup_id_z 0
		.amdhsa_system_sgpr_workgroup_info 0
		.amdhsa_system_vgpr_workitem_id 0
		.amdhsa_next_free_vgpr 1
		.amdhsa_next_free_sgpr 0
		.amdhsa_reserve_vcc 0
		.amdhsa_reserve_flat_scratch 0
		.amdhsa_float_round_mode_32 0
		.amdhsa_float_round_mode_16_64 0
		.amdhsa_float_denorm_mode_32 3
		.amdhsa_float_denorm_mode_16_64 3
		.amdhsa_dx10_clamp 1
		.amdhsa_ieee_mode 1
		.amdhsa_fp16_overflow 0
		.amdhsa_exception_fp_ieee_invalid_op 0
		.amdhsa_exception_fp_denorm_src 0
		.amdhsa_exception_fp_ieee_div_zero 0
		.amdhsa_exception_fp_ieee_overflow 0
		.amdhsa_exception_fp_ieee_underflow 0
		.amdhsa_exception_fp_ieee_inexact 0
		.amdhsa_exception_int_div_zero 0
	.end_amdhsa_kernel
	.section	.text._ZN7rocprim17ROCPRIM_400000_NS6detail17trampoline_kernelINS0_14default_configENS1_22reduce_config_selectorIlEEZNS1_11reduce_implILb1ES3_N6thrust23THRUST_200600_302600_NS11hip_rocprim26transform_input_iterator_tIlNS8_12zip_iteratorINS8_5tupleINS8_6detail15normal_iteratorINS8_10device_ptrIiEEEESH_NS8_9null_typeESI_SI_SI_SI_SI_SI_SI_EEEENS9_21zip_adj_not_predicateINS8_8equal_toIiEEEEEEPllNS8_4plusIlEEEE10hipError_tPvRmT1_T2_T3_mT4_P12ihipStream_tbEUlT_E0_NS1_11comp_targetILNS1_3genE3ELNS1_11target_archE908ELNS1_3gpuE7ELNS1_3repE0EEENS1_30default_config_static_selectorELNS0_4arch9wavefront6targetE1EEEvSW_,"axG",@progbits,_ZN7rocprim17ROCPRIM_400000_NS6detail17trampoline_kernelINS0_14default_configENS1_22reduce_config_selectorIlEEZNS1_11reduce_implILb1ES3_N6thrust23THRUST_200600_302600_NS11hip_rocprim26transform_input_iterator_tIlNS8_12zip_iteratorINS8_5tupleINS8_6detail15normal_iteratorINS8_10device_ptrIiEEEESH_NS8_9null_typeESI_SI_SI_SI_SI_SI_SI_EEEENS9_21zip_adj_not_predicateINS8_8equal_toIiEEEEEEPllNS8_4plusIlEEEE10hipError_tPvRmT1_T2_T3_mT4_P12ihipStream_tbEUlT_E0_NS1_11comp_targetILNS1_3genE3ELNS1_11target_archE908ELNS1_3gpuE7ELNS1_3repE0EEENS1_30default_config_static_selectorELNS0_4arch9wavefront6targetE1EEEvSW_,comdat
.Lfunc_end962:
	.size	_ZN7rocprim17ROCPRIM_400000_NS6detail17trampoline_kernelINS0_14default_configENS1_22reduce_config_selectorIlEEZNS1_11reduce_implILb1ES3_N6thrust23THRUST_200600_302600_NS11hip_rocprim26transform_input_iterator_tIlNS8_12zip_iteratorINS8_5tupleINS8_6detail15normal_iteratorINS8_10device_ptrIiEEEESH_NS8_9null_typeESI_SI_SI_SI_SI_SI_SI_EEEENS9_21zip_adj_not_predicateINS8_8equal_toIiEEEEEEPllNS8_4plusIlEEEE10hipError_tPvRmT1_T2_T3_mT4_P12ihipStream_tbEUlT_E0_NS1_11comp_targetILNS1_3genE3ELNS1_11target_archE908ELNS1_3gpuE7ELNS1_3repE0EEENS1_30default_config_static_selectorELNS0_4arch9wavefront6targetE1EEEvSW_, .Lfunc_end962-_ZN7rocprim17ROCPRIM_400000_NS6detail17trampoline_kernelINS0_14default_configENS1_22reduce_config_selectorIlEEZNS1_11reduce_implILb1ES3_N6thrust23THRUST_200600_302600_NS11hip_rocprim26transform_input_iterator_tIlNS8_12zip_iteratorINS8_5tupleINS8_6detail15normal_iteratorINS8_10device_ptrIiEEEESH_NS8_9null_typeESI_SI_SI_SI_SI_SI_SI_EEEENS9_21zip_adj_not_predicateINS8_8equal_toIiEEEEEEPllNS8_4plusIlEEEE10hipError_tPvRmT1_T2_T3_mT4_P12ihipStream_tbEUlT_E0_NS1_11comp_targetILNS1_3genE3ELNS1_11target_archE908ELNS1_3gpuE7ELNS1_3repE0EEENS1_30default_config_static_selectorELNS0_4arch9wavefront6targetE1EEEvSW_
                                        ; -- End function
	.set _ZN7rocprim17ROCPRIM_400000_NS6detail17trampoline_kernelINS0_14default_configENS1_22reduce_config_selectorIlEEZNS1_11reduce_implILb1ES3_N6thrust23THRUST_200600_302600_NS11hip_rocprim26transform_input_iterator_tIlNS8_12zip_iteratorINS8_5tupleINS8_6detail15normal_iteratorINS8_10device_ptrIiEEEESH_NS8_9null_typeESI_SI_SI_SI_SI_SI_SI_EEEENS9_21zip_adj_not_predicateINS8_8equal_toIiEEEEEEPllNS8_4plusIlEEEE10hipError_tPvRmT1_T2_T3_mT4_P12ihipStream_tbEUlT_E0_NS1_11comp_targetILNS1_3genE3ELNS1_11target_archE908ELNS1_3gpuE7ELNS1_3repE0EEENS1_30default_config_static_selectorELNS0_4arch9wavefront6targetE1EEEvSW_.num_vgpr, 0
	.set _ZN7rocprim17ROCPRIM_400000_NS6detail17trampoline_kernelINS0_14default_configENS1_22reduce_config_selectorIlEEZNS1_11reduce_implILb1ES3_N6thrust23THRUST_200600_302600_NS11hip_rocprim26transform_input_iterator_tIlNS8_12zip_iteratorINS8_5tupleINS8_6detail15normal_iteratorINS8_10device_ptrIiEEEESH_NS8_9null_typeESI_SI_SI_SI_SI_SI_SI_EEEENS9_21zip_adj_not_predicateINS8_8equal_toIiEEEEEEPllNS8_4plusIlEEEE10hipError_tPvRmT1_T2_T3_mT4_P12ihipStream_tbEUlT_E0_NS1_11comp_targetILNS1_3genE3ELNS1_11target_archE908ELNS1_3gpuE7ELNS1_3repE0EEENS1_30default_config_static_selectorELNS0_4arch9wavefront6targetE1EEEvSW_.num_agpr, 0
	.set _ZN7rocprim17ROCPRIM_400000_NS6detail17trampoline_kernelINS0_14default_configENS1_22reduce_config_selectorIlEEZNS1_11reduce_implILb1ES3_N6thrust23THRUST_200600_302600_NS11hip_rocprim26transform_input_iterator_tIlNS8_12zip_iteratorINS8_5tupleINS8_6detail15normal_iteratorINS8_10device_ptrIiEEEESH_NS8_9null_typeESI_SI_SI_SI_SI_SI_SI_EEEENS9_21zip_adj_not_predicateINS8_8equal_toIiEEEEEEPllNS8_4plusIlEEEE10hipError_tPvRmT1_T2_T3_mT4_P12ihipStream_tbEUlT_E0_NS1_11comp_targetILNS1_3genE3ELNS1_11target_archE908ELNS1_3gpuE7ELNS1_3repE0EEENS1_30default_config_static_selectorELNS0_4arch9wavefront6targetE1EEEvSW_.numbered_sgpr, 0
	.set _ZN7rocprim17ROCPRIM_400000_NS6detail17trampoline_kernelINS0_14default_configENS1_22reduce_config_selectorIlEEZNS1_11reduce_implILb1ES3_N6thrust23THRUST_200600_302600_NS11hip_rocprim26transform_input_iterator_tIlNS8_12zip_iteratorINS8_5tupleINS8_6detail15normal_iteratorINS8_10device_ptrIiEEEESH_NS8_9null_typeESI_SI_SI_SI_SI_SI_SI_EEEENS9_21zip_adj_not_predicateINS8_8equal_toIiEEEEEEPllNS8_4plusIlEEEE10hipError_tPvRmT1_T2_T3_mT4_P12ihipStream_tbEUlT_E0_NS1_11comp_targetILNS1_3genE3ELNS1_11target_archE908ELNS1_3gpuE7ELNS1_3repE0EEENS1_30default_config_static_selectorELNS0_4arch9wavefront6targetE1EEEvSW_.num_named_barrier, 0
	.set _ZN7rocprim17ROCPRIM_400000_NS6detail17trampoline_kernelINS0_14default_configENS1_22reduce_config_selectorIlEEZNS1_11reduce_implILb1ES3_N6thrust23THRUST_200600_302600_NS11hip_rocprim26transform_input_iterator_tIlNS8_12zip_iteratorINS8_5tupleINS8_6detail15normal_iteratorINS8_10device_ptrIiEEEESH_NS8_9null_typeESI_SI_SI_SI_SI_SI_SI_EEEENS9_21zip_adj_not_predicateINS8_8equal_toIiEEEEEEPllNS8_4plusIlEEEE10hipError_tPvRmT1_T2_T3_mT4_P12ihipStream_tbEUlT_E0_NS1_11comp_targetILNS1_3genE3ELNS1_11target_archE908ELNS1_3gpuE7ELNS1_3repE0EEENS1_30default_config_static_selectorELNS0_4arch9wavefront6targetE1EEEvSW_.private_seg_size, 0
	.set _ZN7rocprim17ROCPRIM_400000_NS6detail17trampoline_kernelINS0_14default_configENS1_22reduce_config_selectorIlEEZNS1_11reduce_implILb1ES3_N6thrust23THRUST_200600_302600_NS11hip_rocprim26transform_input_iterator_tIlNS8_12zip_iteratorINS8_5tupleINS8_6detail15normal_iteratorINS8_10device_ptrIiEEEESH_NS8_9null_typeESI_SI_SI_SI_SI_SI_SI_EEEENS9_21zip_adj_not_predicateINS8_8equal_toIiEEEEEEPllNS8_4plusIlEEEE10hipError_tPvRmT1_T2_T3_mT4_P12ihipStream_tbEUlT_E0_NS1_11comp_targetILNS1_3genE3ELNS1_11target_archE908ELNS1_3gpuE7ELNS1_3repE0EEENS1_30default_config_static_selectorELNS0_4arch9wavefront6targetE1EEEvSW_.uses_vcc, 0
	.set _ZN7rocprim17ROCPRIM_400000_NS6detail17trampoline_kernelINS0_14default_configENS1_22reduce_config_selectorIlEEZNS1_11reduce_implILb1ES3_N6thrust23THRUST_200600_302600_NS11hip_rocprim26transform_input_iterator_tIlNS8_12zip_iteratorINS8_5tupleINS8_6detail15normal_iteratorINS8_10device_ptrIiEEEESH_NS8_9null_typeESI_SI_SI_SI_SI_SI_SI_EEEENS9_21zip_adj_not_predicateINS8_8equal_toIiEEEEEEPllNS8_4plusIlEEEE10hipError_tPvRmT1_T2_T3_mT4_P12ihipStream_tbEUlT_E0_NS1_11comp_targetILNS1_3genE3ELNS1_11target_archE908ELNS1_3gpuE7ELNS1_3repE0EEENS1_30default_config_static_selectorELNS0_4arch9wavefront6targetE1EEEvSW_.uses_flat_scratch, 0
	.set _ZN7rocprim17ROCPRIM_400000_NS6detail17trampoline_kernelINS0_14default_configENS1_22reduce_config_selectorIlEEZNS1_11reduce_implILb1ES3_N6thrust23THRUST_200600_302600_NS11hip_rocprim26transform_input_iterator_tIlNS8_12zip_iteratorINS8_5tupleINS8_6detail15normal_iteratorINS8_10device_ptrIiEEEESH_NS8_9null_typeESI_SI_SI_SI_SI_SI_SI_EEEENS9_21zip_adj_not_predicateINS8_8equal_toIiEEEEEEPllNS8_4plusIlEEEE10hipError_tPvRmT1_T2_T3_mT4_P12ihipStream_tbEUlT_E0_NS1_11comp_targetILNS1_3genE3ELNS1_11target_archE908ELNS1_3gpuE7ELNS1_3repE0EEENS1_30default_config_static_selectorELNS0_4arch9wavefront6targetE1EEEvSW_.has_dyn_sized_stack, 0
	.set _ZN7rocprim17ROCPRIM_400000_NS6detail17trampoline_kernelINS0_14default_configENS1_22reduce_config_selectorIlEEZNS1_11reduce_implILb1ES3_N6thrust23THRUST_200600_302600_NS11hip_rocprim26transform_input_iterator_tIlNS8_12zip_iteratorINS8_5tupleINS8_6detail15normal_iteratorINS8_10device_ptrIiEEEESH_NS8_9null_typeESI_SI_SI_SI_SI_SI_SI_EEEENS9_21zip_adj_not_predicateINS8_8equal_toIiEEEEEEPllNS8_4plusIlEEEE10hipError_tPvRmT1_T2_T3_mT4_P12ihipStream_tbEUlT_E0_NS1_11comp_targetILNS1_3genE3ELNS1_11target_archE908ELNS1_3gpuE7ELNS1_3repE0EEENS1_30default_config_static_selectorELNS0_4arch9wavefront6targetE1EEEvSW_.has_recursion, 0
	.set _ZN7rocprim17ROCPRIM_400000_NS6detail17trampoline_kernelINS0_14default_configENS1_22reduce_config_selectorIlEEZNS1_11reduce_implILb1ES3_N6thrust23THRUST_200600_302600_NS11hip_rocprim26transform_input_iterator_tIlNS8_12zip_iteratorINS8_5tupleINS8_6detail15normal_iteratorINS8_10device_ptrIiEEEESH_NS8_9null_typeESI_SI_SI_SI_SI_SI_SI_EEEENS9_21zip_adj_not_predicateINS8_8equal_toIiEEEEEEPllNS8_4plusIlEEEE10hipError_tPvRmT1_T2_T3_mT4_P12ihipStream_tbEUlT_E0_NS1_11comp_targetILNS1_3genE3ELNS1_11target_archE908ELNS1_3gpuE7ELNS1_3repE0EEENS1_30default_config_static_selectorELNS0_4arch9wavefront6targetE1EEEvSW_.has_indirect_call, 0
	.section	.AMDGPU.csdata,"",@progbits
; Kernel info:
; codeLenInByte = 0
; TotalNumSgprs: 4
; NumVgprs: 0
; ScratchSize: 0
; MemoryBound: 0
; FloatMode: 240
; IeeeMode: 1
; LDSByteSize: 0 bytes/workgroup (compile time only)
; SGPRBlocks: 0
; VGPRBlocks: 0
; NumSGPRsForWavesPerEU: 4
; NumVGPRsForWavesPerEU: 1
; Occupancy: 10
; WaveLimiterHint : 0
; COMPUTE_PGM_RSRC2:SCRATCH_EN: 0
; COMPUTE_PGM_RSRC2:USER_SGPR: 6
; COMPUTE_PGM_RSRC2:TRAP_HANDLER: 0
; COMPUTE_PGM_RSRC2:TGID_X_EN: 1
; COMPUTE_PGM_RSRC2:TGID_Y_EN: 0
; COMPUTE_PGM_RSRC2:TGID_Z_EN: 0
; COMPUTE_PGM_RSRC2:TIDIG_COMP_CNT: 0
	.section	.text._ZN7rocprim17ROCPRIM_400000_NS6detail17trampoline_kernelINS0_14default_configENS1_22reduce_config_selectorIlEEZNS1_11reduce_implILb1ES3_N6thrust23THRUST_200600_302600_NS11hip_rocprim26transform_input_iterator_tIlNS8_12zip_iteratorINS8_5tupleINS8_6detail15normal_iteratorINS8_10device_ptrIiEEEESH_NS8_9null_typeESI_SI_SI_SI_SI_SI_SI_EEEENS9_21zip_adj_not_predicateINS8_8equal_toIiEEEEEEPllNS8_4plusIlEEEE10hipError_tPvRmT1_T2_T3_mT4_P12ihipStream_tbEUlT_E0_NS1_11comp_targetILNS1_3genE2ELNS1_11target_archE906ELNS1_3gpuE6ELNS1_3repE0EEENS1_30default_config_static_selectorELNS0_4arch9wavefront6targetE1EEEvSW_,"axG",@progbits,_ZN7rocprim17ROCPRIM_400000_NS6detail17trampoline_kernelINS0_14default_configENS1_22reduce_config_selectorIlEEZNS1_11reduce_implILb1ES3_N6thrust23THRUST_200600_302600_NS11hip_rocprim26transform_input_iterator_tIlNS8_12zip_iteratorINS8_5tupleINS8_6detail15normal_iteratorINS8_10device_ptrIiEEEESH_NS8_9null_typeESI_SI_SI_SI_SI_SI_SI_EEEENS9_21zip_adj_not_predicateINS8_8equal_toIiEEEEEEPllNS8_4plusIlEEEE10hipError_tPvRmT1_T2_T3_mT4_P12ihipStream_tbEUlT_E0_NS1_11comp_targetILNS1_3genE2ELNS1_11target_archE906ELNS1_3gpuE6ELNS1_3repE0EEENS1_30default_config_static_selectorELNS0_4arch9wavefront6targetE1EEEvSW_,comdat
	.protected	_ZN7rocprim17ROCPRIM_400000_NS6detail17trampoline_kernelINS0_14default_configENS1_22reduce_config_selectorIlEEZNS1_11reduce_implILb1ES3_N6thrust23THRUST_200600_302600_NS11hip_rocprim26transform_input_iterator_tIlNS8_12zip_iteratorINS8_5tupleINS8_6detail15normal_iteratorINS8_10device_ptrIiEEEESH_NS8_9null_typeESI_SI_SI_SI_SI_SI_SI_EEEENS9_21zip_adj_not_predicateINS8_8equal_toIiEEEEEEPllNS8_4plusIlEEEE10hipError_tPvRmT1_T2_T3_mT4_P12ihipStream_tbEUlT_E0_NS1_11comp_targetILNS1_3genE2ELNS1_11target_archE906ELNS1_3gpuE6ELNS1_3repE0EEENS1_30default_config_static_selectorELNS0_4arch9wavefront6targetE1EEEvSW_ ; -- Begin function _ZN7rocprim17ROCPRIM_400000_NS6detail17trampoline_kernelINS0_14default_configENS1_22reduce_config_selectorIlEEZNS1_11reduce_implILb1ES3_N6thrust23THRUST_200600_302600_NS11hip_rocprim26transform_input_iterator_tIlNS8_12zip_iteratorINS8_5tupleINS8_6detail15normal_iteratorINS8_10device_ptrIiEEEESH_NS8_9null_typeESI_SI_SI_SI_SI_SI_SI_EEEENS9_21zip_adj_not_predicateINS8_8equal_toIiEEEEEEPllNS8_4plusIlEEEE10hipError_tPvRmT1_T2_T3_mT4_P12ihipStream_tbEUlT_E0_NS1_11comp_targetILNS1_3genE2ELNS1_11target_archE906ELNS1_3gpuE6ELNS1_3repE0EEENS1_30default_config_static_selectorELNS0_4arch9wavefront6targetE1EEEvSW_
	.globl	_ZN7rocprim17ROCPRIM_400000_NS6detail17trampoline_kernelINS0_14default_configENS1_22reduce_config_selectorIlEEZNS1_11reduce_implILb1ES3_N6thrust23THRUST_200600_302600_NS11hip_rocprim26transform_input_iterator_tIlNS8_12zip_iteratorINS8_5tupleINS8_6detail15normal_iteratorINS8_10device_ptrIiEEEESH_NS8_9null_typeESI_SI_SI_SI_SI_SI_SI_EEEENS9_21zip_adj_not_predicateINS8_8equal_toIiEEEEEEPllNS8_4plusIlEEEE10hipError_tPvRmT1_T2_T3_mT4_P12ihipStream_tbEUlT_E0_NS1_11comp_targetILNS1_3genE2ELNS1_11target_archE906ELNS1_3gpuE6ELNS1_3repE0EEENS1_30default_config_static_selectorELNS0_4arch9wavefront6targetE1EEEvSW_
	.p2align	8
	.type	_ZN7rocprim17ROCPRIM_400000_NS6detail17trampoline_kernelINS0_14default_configENS1_22reduce_config_selectorIlEEZNS1_11reduce_implILb1ES3_N6thrust23THRUST_200600_302600_NS11hip_rocprim26transform_input_iterator_tIlNS8_12zip_iteratorINS8_5tupleINS8_6detail15normal_iteratorINS8_10device_ptrIiEEEESH_NS8_9null_typeESI_SI_SI_SI_SI_SI_SI_EEEENS9_21zip_adj_not_predicateINS8_8equal_toIiEEEEEEPllNS8_4plusIlEEEE10hipError_tPvRmT1_T2_T3_mT4_P12ihipStream_tbEUlT_E0_NS1_11comp_targetILNS1_3genE2ELNS1_11target_archE906ELNS1_3gpuE6ELNS1_3repE0EEENS1_30default_config_static_selectorELNS0_4arch9wavefront6targetE1EEEvSW_,@function
_ZN7rocprim17ROCPRIM_400000_NS6detail17trampoline_kernelINS0_14default_configENS1_22reduce_config_selectorIlEEZNS1_11reduce_implILb1ES3_N6thrust23THRUST_200600_302600_NS11hip_rocprim26transform_input_iterator_tIlNS8_12zip_iteratorINS8_5tupleINS8_6detail15normal_iteratorINS8_10device_ptrIiEEEESH_NS8_9null_typeESI_SI_SI_SI_SI_SI_SI_EEEENS9_21zip_adj_not_predicateINS8_8equal_toIiEEEEEEPllNS8_4plusIlEEEE10hipError_tPvRmT1_T2_T3_mT4_P12ihipStream_tbEUlT_E0_NS1_11comp_targetILNS1_3genE2ELNS1_11target_archE906ELNS1_3gpuE6ELNS1_3repE0EEENS1_30default_config_static_selectorELNS0_4arch9wavefront6targetE1EEEvSW_: ; @_ZN7rocprim17ROCPRIM_400000_NS6detail17trampoline_kernelINS0_14default_configENS1_22reduce_config_selectorIlEEZNS1_11reduce_implILb1ES3_N6thrust23THRUST_200600_302600_NS11hip_rocprim26transform_input_iterator_tIlNS8_12zip_iteratorINS8_5tupleINS8_6detail15normal_iteratorINS8_10device_ptrIiEEEESH_NS8_9null_typeESI_SI_SI_SI_SI_SI_SI_EEEENS9_21zip_adj_not_predicateINS8_8equal_toIiEEEEEEPllNS8_4plusIlEEEE10hipError_tPvRmT1_T2_T3_mT4_P12ihipStream_tbEUlT_E0_NS1_11comp_targetILNS1_3genE2ELNS1_11target_archE906ELNS1_3gpuE6ELNS1_3repE0EEENS1_30default_config_static_selectorELNS0_4arch9wavefront6targetE1EEEvSW_
; %bb.0:
	s_load_dwordx8 s[8:15], s[4:5], 0x18
	s_load_dwordx4 s[0:3], s[4:5], 0x0
	s_load_dwordx4 s[16:19], s[4:5], 0x38
	v_lshlrev_b32_e32 v6, 2, v0
	v_mbcnt_lo_u32_b32 v5, -1, 0
	s_waitcnt lgkmcnt(0)
	s_lshl_b64 s[4:5], s[8:9], 2
	s_add_u32 s0, s0, s4
	s_addc_u32 s1, s1, s5
	s_add_u32 s20, s2, s4
	s_addc_u32 s21, s3, s5
	s_lshl_b32 s4, s6, 9
	s_mov_b32 s5, 0
	s_lshr_b64 s[8:9], s[10:11], 9
	s_lshl_b64 s[2:3], s[4:5], 2
	s_add_u32 s0, s0, s2
	s_addc_u32 s1, s1, s3
	s_add_u32 s2, s20, s2
	s_mov_b32 s7, s5
	s_addc_u32 s3, s21, s3
	s_cmp_lg_u64 s[8:9], s[6:7]
	s_cbranch_scc0 .LBB963_6
; %bb.1:
	global_load_dword v1, v6, s[0:1]
	global_load_dword v2, v6, s[2:3]
	global_load_dword v7, v6, s[2:3] offset:1024
	global_load_dword v8, v6, s[0:1] offset:1024
	v_mov_b32_e32 v4, 0
	v_mbcnt_hi_u32_b32 v3, -1, v5
	s_waitcnt vmcnt(2)
	v_cmp_ne_u32_e32 vcc, v1, v2
	v_cndmask_b32_e64 v1, 0, 1, vcc
	s_waitcnt vmcnt(0)
	v_cmp_ne_u32_e32 vcc, v8, v7
	v_addc_co_u32_e32 v1, vcc, 0, v1, vcc
	v_mov_b32_dpp v9, v4 quad_perm:[1,0,3,2] row_mask:0xf bank_mask:0xf bound_ctrl:1
	s_nop 0
	v_mov_b32_dpp v2, v1 quad_perm:[1,0,3,2] row_mask:0xf bank_mask:0xf bound_ctrl:1
	v_add_co_u32_e32 v1, vcc, v1, v2
	v_addc_co_u32_e64 v2, s[8:9], 0, 0, vcc
	v_add_co_u32_e32 v7, vcc, 0, v1
	v_addc_co_u32_e32 v2, vcc, v9, v2, vcc
	v_mov_b32_dpp v1, v1 quad_perm:[2,3,0,1] row_mask:0xf bank_mask:0xf bound_ctrl:1
	v_add_co_u32_e32 v1, vcc, v7, v1
	v_mov_b32_dpp v8, v2 quad_perm:[2,3,0,1] row_mask:0xf bank_mask:0xf bound_ctrl:1
	v_addc_co_u32_e32 v2, vcc, 0, v2, vcc
	v_add_co_u32_e32 v7, vcc, 0, v1
	v_addc_co_u32_e32 v2, vcc, v2, v8, vcc
	v_mov_b32_dpp v1, v1 row_ror:4 row_mask:0xf bank_mask:0xf bound_ctrl:1
	v_add_co_u32_e32 v1, vcc, v7, v1
	v_mov_b32_dpp v8, v2 row_ror:4 row_mask:0xf bank_mask:0xf bound_ctrl:1
	v_addc_co_u32_e32 v2, vcc, 0, v2, vcc
	v_add_co_u32_e32 v7, vcc, 0, v1
	v_addc_co_u32_e32 v2, vcc, v2, v8, vcc
	v_mov_b32_dpp v1, v1 row_ror:8 row_mask:0xf bank_mask:0xf bound_ctrl:1
	v_add_co_u32_e32 v1, vcc, v7, v1
	v_mov_b32_dpp v8, v2 row_ror:8 row_mask:0xf bank_mask:0xf bound_ctrl:1
	v_addc_co_u32_e32 v2, vcc, 0, v2, vcc
	v_add_co_u32_e32 v7, vcc, 0, v1
	v_addc_co_u32_e32 v2, vcc, v2, v8, vcc
	v_mov_b32_dpp v1, v1 row_bcast:15 row_mask:0xf bank_mask:0xf bound_ctrl:1
	v_add_co_u32_e32 v1, vcc, v7, v1
	v_mov_b32_dpp v8, v2 row_bcast:15 row_mask:0xf bank_mask:0xf bound_ctrl:1
	v_addc_co_u32_e32 v2, vcc, 0, v2, vcc
	v_add_co_u32_e32 v7, vcc, 0, v1
	v_addc_co_u32_e32 v2, vcc, v2, v8, vcc
	v_mov_b32_dpp v1, v1 row_bcast:31 row_mask:0xf bank_mask:0xf bound_ctrl:1
	v_add_co_u32_e32 v1, vcc, v7, v1
	v_lshlrev_b32_e32 v4, 2, v3
	v_addc_co_u32_e32 v7, vcc, 0, v2, vcc
	v_or_b32_e32 v10, 0xfc, v4
	s_nop 0
	v_add_u32_dpp v2, v2, v7 row_bcast:31 row_mask:0xf bank_mask:0xf bound_ctrl:1
	ds_bpermute_b32 v1, v10, v1
	ds_bpermute_b32 v2, v10, v2
	v_cmp_eq_u32_e32 vcc, 0, v3
	s_and_saveexec_b64 s[8:9], vcc
	s_cbranch_execz .LBB963_3
; %bb.2:
	v_lshrrev_b32_e32 v7, 3, v0
	v_and_b32_e32 v7, 24, v7
	s_waitcnt lgkmcnt(0)
	ds_write_b64 v7, v[1:2]
.LBB963_3:
	s_or_b64 exec, exec, s[8:9]
	v_cmp_gt_u32_e32 vcc, 64, v0
	s_waitcnt lgkmcnt(0)
	s_barrier
	s_and_saveexec_b64 s[8:9], vcc
	s_cbranch_execz .LBB963_5
; %bb.4:
	v_and_b32_e32 v7, 3, v3
	v_lshlrev_b32_e32 v1, 3, v7
	ds_read_b64 v[1:2], v1
	v_cmp_ne_u32_e32 vcc, 3, v7
	v_addc_co_u32_e32 v3, vcc, 0, v3, vcc
	v_lshlrev_b32_e32 v3, 2, v3
	s_waitcnt lgkmcnt(0)
	ds_bpermute_b32 v7, v3, v1
	ds_bpermute_b32 v3, v3, v2
	v_or_b32_e32 v4, 8, v4
	s_waitcnt lgkmcnt(1)
	v_add_co_u32_e32 v1, vcc, v1, v7
	v_addc_co_u32_e32 v2, vcc, 0, v2, vcc
	ds_bpermute_b32 v7, v4, v1
	v_add_co_u32_e32 v1, vcc, 0, v1
	s_waitcnt lgkmcnt(1)
	v_addc_co_u32_e32 v2, vcc, v3, v2, vcc
	ds_bpermute_b32 v3, v4, v2
	s_waitcnt lgkmcnt(1)
	v_add_co_u32_e32 v1, vcc, v1, v7
	v_addc_co_u32_e32 v2, vcc, 0, v2, vcc
	v_add_co_u32_e32 v1, vcc, 0, v1
	s_waitcnt lgkmcnt(0)
	v_addc_co_u32_e32 v2, vcc, v2, v3, vcc
.LBB963_5:
	s_or_b64 exec, exec, s[8:9]
	s_branch .LBB963_28
.LBB963_6:
                                        ; implicit-def: $vgpr1_vgpr2
	s_cbranch_execz .LBB963_28
; %bb.7:
	s_sub_i32 s8, s10, s4
	v_mov_b32_e32 v1, 0
	v_cmp_gt_u32_e32 vcc, s8, v0
	v_mov_b32_e32 v2, v1
	v_mov_b32_e32 v3, v1
	;; [unrolled: 1-line block ×3, first 2 shown]
	s_and_saveexec_b64 s[4:5], vcc
	s_cbranch_execz .LBB963_9
; %bb.8:
	global_load_dword v2, v6, s[0:1]
	global_load_dword v3, v6, s[2:3]
	v_mov_b32_e32 v8, v1
	v_mov_b32_e32 v9, v1
	;; [unrolled: 1-line block ×3, first 2 shown]
	s_waitcnt vmcnt(0)
	v_cmp_ne_u32_e32 vcc, v2, v3
	v_cndmask_b32_e64 v2, 0, 1, vcc
	v_and_b32_e32 v7, 0xffff, v2
	v_mov_b32_e32 v1, v7
	v_mov_b32_e32 v2, v8
	;; [unrolled: 1-line block ×4, first 2 shown]
.LBB963_9:
	s_or_b64 exec, exec, s[4:5]
	v_or_b32_e32 v7, 0x100, v0
	v_cmp_gt_u32_e32 vcc, s8, v7
	s_and_saveexec_b64 s[4:5], vcc
	s_cbranch_execz .LBB963_11
; %bb.10:
	global_load_dword v3, v6, s[0:1] offset:1024
	global_load_dword v4, v6, s[2:3] offset:1024
	s_mov_b32 s2, 0
	s_waitcnt vmcnt(0)
	v_cmp_ne_u32_e64 s[0:1], v3, v4
	v_cndmask_b32_e64 v3, 0, 1, s[0:1]
	v_mov_b32_e32 v4, s2
.LBB963_11:
	s_or_b64 exec, exec, s[4:5]
	v_cndmask_b32_e32 v3, 0, v3, vcc
	v_cndmask_b32_e32 v4, 0, v4, vcc
	v_add_co_u32_e32 v1, vcc, v3, v1
	v_mbcnt_hi_u32_b32 v3, -1, v5
	v_addc_co_u32_e32 v2, vcc, v4, v2, vcc
	v_and_b32_e32 v4, 63, v3
	v_cmp_ne_u32_e32 vcc, 63, v4
	v_addc_co_u32_e32 v6, vcc, 0, v3, vcc
	v_lshlrev_b32_e32 v6, 2, v6
	ds_bpermute_b32 v8, v6, v1
	ds_bpermute_b32 v7, v6, v2
	s_min_u32 s2, s8, 0x100
	v_and_b32_e32 v5, 0xc0, v0
	v_sub_u32_e64 v5, s2, v5 clamp
	v_add_u32_e32 v6, 1, v4
	v_cmp_lt_u32_e32 vcc, v6, v5
	v_mov_b32_e32 v6, v1
	s_and_saveexec_b64 s[0:1], vcc
	s_cbranch_execz .LBB963_13
; %bb.12:
	s_waitcnt lgkmcnt(1)
	v_add_co_u32_e32 v6, vcc, v1, v8
	v_addc_co_u32_e32 v2, vcc, 0, v2, vcc
	v_add_co_u32_e32 v1, vcc, 0, v6
	s_waitcnt lgkmcnt(0)
	v_addc_co_u32_e32 v2, vcc, v7, v2, vcc
.LBB963_13:
	s_or_b64 exec, exec, s[0:1]
	v_cmp_gt_u32_e32 vcc, 62, v4
	s_waitcnt lgkmcnt(0)
	v_cndmask_b32_e64 v7, 0, 2, vcc
	v_add_lshl_u32 v7, v7, v3, 2
	ds_bpermute_b32 v8, v7, v6
	ds_bpermute_b32 v7, v7, v2
	v_add_u32_e32 v9, 2, v4
	v_cmp_lt_u32_e32 vcc, v9, v5
	s_and_saveexec_b64 s[0:1], vcc
	s_cbranch_execz .LBB963_15
; %bb.14:
	s_waitcnt lgkmcnt(1)
	v_add_co_u32_e32 v6, vcc, v1, v8
	v_addc_co_u32_e32 v2, vcc, 0, v2, vcc
	v_add_co_u32_e32 v1, vcc, 0, v6
	s_waitcnt lgkmcnt(0)
	v_addc_co_u32_e32 v2, vcc, v7, v2, vcc
.LBB963_15:
	s_or_b64 exec, exec, s[0:1]
	v_cmp_gt_u32_e32 vcc, 60, v4
	s_waitcnt lgkmcnt(0)
	v_cndmask_b32_e64 v7, 0, 4, vcc
	v_add_lshl_u32 v7, v7, v3, 2
	ds_bpermute_b32 v8, v7, v6
	ds_bpermute_b32 v7, v7, v2
	v_add_u32_e32 v9, 4, v4
	v_cmp_lt_u32_e32 vcc, v9, v5
	;; [unrolled: 19-line block ×4, first 2 shown]
	s_and_saveexec_b64 s[0:1], vcc
	s_cbranch_execz .LBB963_21
; %bb.20:
	s_waitcnt lgkmcnt(1)
	v_add_co_u32_e32 v6, vcc, v1, v8
	v_addc_co_u32_e32 v2, vcc, 0, v2, vcc
	v_add_co_u32_e32 v1, vcc, 0, v6
	s_waitcnt lgkmcnt(0)
	v_addc_co_u32_e32 v2, vcc, v7, v2, vcc
.LBB963_21:
	s_or_b64 exec, exec, s[0:1]
	s_waitcnt lgkmcnt(0)
	v_lshlrev_b32_e32 v7, 2, v3
	v_or_b32_e32 v8, 0x80, v7
	ds_bpermute_b32 v6, v8, v6
	ds_bpermute_b32 v8, v8, v2
	v_add_u32_e32 v4, 32, v4
	s_waitcnt lgkmcnt(1)
	v_add_co_u32_e32 v6, vcc, v1, v6
	v_addc_co_u32_e32 v9, vcc, 0, v2, vcc
	v_add_co_u32_e32 v6, vcc, 0, v6
	s_waitcnt lgkmcnt(0)
	v_addc_co_u32_e32 v8, vcc, v9, v8, vcc
	v_cmp_lt_u32_e32 vcc, v4, v5
	v_cndmask_b32_e32 v2, v2, v8, vcc
	v_cndmask_b32_e32 v1, v1, v6, vcc
	v_cmp_eq_u32_e32 vcc, 0, v3
	s_and_saveexec_b64 s[0:1], vcc
; %bb.22:
	v_lshrrev_b32_e32 v4, 3, v0
	v_and_b32_e32 v4, 24, v4
	ds_write_b64 v4, v[1:2] offset:32
; %bb.23:
	s_or_b64 exec, exec, s[0:1]
	v_cmp_gt_u32_e32 vcc, 4, v0
	s_waitcnt lgkmcnt(0)
	s_barrier
	s_and_saveexec_b64 s[0:1], vcc
	s_cbranch_execz .LBB963_27
; %bb.24:
	v_lshlrev_b32_e32 v1, 3, v3
	ds_read_b64 v[1:2], v1 offset:32
	v_and_b32_e32 v4, 3, v3
	v_cmp_ne_u32_e32 vcc, 3, v4
	v_addc_co_u32_e32 v3, vcc, 0, v3, vcc
	v_lshlrev_b32_e32 v3, 2, v3
	s_waitcnt lgkmcnt(0)
	ds_bpermute_b32 v6, v3, v1
	ds_bpermute_b32 v5, v3, v2
	s_add_i32 s2, s2, 63
	s_lshr_b32 s4, s2, 6
	v_add_u32_e32 v3, 1, v4
	v_cmp_gt_u32_e32 vcc, s4, v3
	v_mov_b32_e32 v3, v1
	s_and_saveexec_b64 s[2:3], vcc
	s_cbranch_execz .LBB963_26
; %bb.25:
	s_waitcnt lgkmcnt(1)
	v_add_co_u32_e32 v3, vcc, v1, v6
	v_addc_co_u32_e32 v2, vcc, 0, v2, vcc
	v_add_co_u32_e32 v1, vcc, 0, v3
	s_waitcnt lgkmcnt(0)
	v_addc_co_u32_e32 v2, vcc, v5, v2, vcc
.LBB963_26:
	s_or_b64 exec, exec, s[2:3]
	s_waitcnt lgkmcnt(0)
	v_or_b32_e32 v5, 8, v7
	ds_bpermute_b32 v3, v5, v3
	ds_bpermute_b32 v5, v5, v2
	v_add_u32_e32 v4, 2, v4
	s_waitcnt lgkmcnt(1)
	v_add_co_u32_e32 v3, vcc, v1, v3
	v_addc_co_u32_e32 v6, vcc, 0, v2, vcc
	v_add_co_u32_e32 v3, vcc, 0, v3
	s_waitcnt lgkmcnt(0)
	v_addc_co_u32_e32 v5, vcc, v6, v5, vcc
	v_cmp_gt_u32_e32 vcc, s4, v4
	v_cndmask_b32_e32 v2, v2, v5, vcc
	v_cndmask_b32_e32 v1, v1, v3, vcc
.LBB963_27:
	s_or_b64 exec, exec, s[0:1]
.LBB963_28:
	v_cmp_eq_u32_e32 vcc, 0, v0
	s_and_saveexec_b64 s[0:1], vcc
	s_cbranch_execnz .LBB963_30
; %bb.29:
	s_endpgm
.LBB963_30:
	s_mul_i32 s0, s16, s15
	s_mul_hi_u32 s1, s16, s14
	s_add_i32 s0, s1, s0
	s_mul_i32 s1, s17, s14
	s_add_i32 s1, s0, s1
	s_mul_i32 s0, s16, s14
	s_lshl_b64 s[0:1], s[0:1], 3
	s_add_u32 s2, s12, s0
	s_addc_u32 s3, s13, s1
	s_cmp_eq_u64 s[10:11], 0
	v_mov_b32_e32 v0, s19
	s_cselect_b64 vcc, -1, 0
	s_lshl_b64 s[0:1], s[6:7], 3
	v_cndmask_b32_e32 v2, v2, v0, vcc
	v_mov_b32_e32 v0, s18
	s_add_u32 s0, s2, s0
	v_cndmask_b32_e32 v1, v1, v0, vcc
	s_addc_u32 s1, s3, s1
	v_mov_b32_e32 v0, 0
	global_store_dwordx2 v0, v[1:2], s[0:1]
	s_endpgm
	.section	.rodata,"a",@progbits
	.p2align	6, 0x0
	.amdhsa_kernel _ZN7rocprim17ROCPRIM_400000_NS6detail17trampoline_kernelINS0_14default_configENS1_22reduce_config_selectorIlEEZNS1_11reduce_implILb1ES3_N6thrust23THRUST_200600_302600_NS11hip_rocprim26transform_input_iterator_tIlNS8_12zip_iteratorINS8_5tupleINS8_6detail15normal_iteratorINS8_10device_ptrIiEEEESH_NS8_9null_typeESI_SI_SI_SI_SI_SI_SI_EEEENS9_21zip_adj_not_predicateINS8_8equal_toIiEEEEEEPllNS8_4plusIlEEEE10hipError_tPvRmT1_T2_T3_mT4_P12ihipStream_tbEUlT_E0_NS1_11comp_targetILNS1_3genE2ELNS1_11target_archE906ELNS1_3gpuE6ELNS1_3repE0EEENS1_30default_config_static_selectorELNS0_4arch9wavefront6targetE1EEEvSW_
		.amdhsa_group_segment_fixed_size 64
		.amdhsa_private_segment_fixed_size 0
		.amdhsa_kernarg_size 80
		.amdhsa_user_sgpr_count 6
		.amdhsa_user_sgpr_private_segment_buffer 1
		.amdhsa_user_sgpr_dispatch_ptr 0
		.amdhsa_user_sgpr_queue_ptr 0
		.amdhsa_user_sgpr_kernarg_segment_ptr 1
		.amdhsa_user_sgpr_dispatch_id 0
		.amdhsa_user_sgpr_flat_scratch_init 0
		.amdhsa_user_sgpr_private_segment_size 0
		.amdhsa_uses_dynamic_stack 0
		.amdhsa_system_sgpr_private_segment_wavefront_offset 0
		.amdhsa_system_sgpr_workgroup_id_x 1
		.amdhsa_system_sgpr_workgroup_id_y 0
		.amdhsa_system_sgpr_workgroup_id_z 0
		.amdhsa_system_sgpr_workgroup_info 0
		.amdhsa_system_vgpr_workitem_id 0
		.amdhsa_next_free_vgpr 11
		.amdhsa_next_free_sgpr 22
		.amdhsa_reserve_vcc 1
		.amdhsa_reserve_flat_scratch 0
		.amdhsa_float_round_mode_32 0
		.amdhsa_float_round_mode_16_64 0
		.amdhsa_float_denorm_mode_32 3
		.amdhsa_float_denorm_mode_16_64 3
		.amdhsa_dx10_clamp 1
		.amdhsa_ieee_mode 1
		.amdhsa_fp16_overflow 0
		.amdhsa_exception_fp_ieee_invalid_op 0
		.amdhsa_exception_fp_denorm_src 0
		.amdhsa_exception_fp_ieee_div_zero 0
		.amdhsa_exception_fp_ieee_overflow 0
		.amdhsa_exception_fp_ieee_underflow 0
		.amdhsa_exception_fp_ieee_inexact 0
		.amdhsa_exception_int_div_zero 0
	.end_amdhsa_kernel
	.section	.text._ZN7rocprim17ROCPRIM_400000_NS6detail17trampoline_kernelINS0_14default_configENS1_22reduce_config_selectorIlEEZNS1_11reduce_implILb1ES3_N6thrust23THRUST_200600_302600_NS11hip_rocprim26transform_input_iterator_tIlNS8_12zip_iteratorINS8_5tupleINS8_6detail15normal_iteratorINS8_10device_ptrIiEEEESH_NS8_9null_typeESI_SI_SI_SI_SI_SI_SI_EEEENS9_21zip_adj_not_predicateINS8_8equal_toIiEEEEEEPllNS8_4plusIlEEEE10hipError_tPvRmT1_T2_T3_mT4_P12ihipStream_tbEUlT_E0_NS1_11comp_targetILNS1_3genE2ELNS1_11target_archE906ELNS1_3gpuE6ELNS1_3repE0EEENS1_30default_config_static_selectorELNS0_4arch9wavefront6targetE1EEEvSW_,"axG",@progbits,_ZN7rocprim17ROCPRIM_400000_NS6detail17trampoline_kernelINS0_14default_configENS1_22reduce_config_selectorIlEEZNS1_11reduce_implILb1ES3_N6thrust23THRUST_200600_302600_NS11hip_rocprim26transform_input_iterator_tIlNS8_12zip_iteratorINS8_5tupleINS8_6detail15normal_iteratorINS8_10device_ptrIiEEEESH_NS8_9null_typeESI_SI_SI_SI_SI_SI_SI_EEEENS9_21zip_adj_not_predicateINS8_8equal_toIiEEEEEEPllNS8_4plusIlEEEE10hipError_tPvRmT1_T2_T3_mT4_P12ihipStream_tbEUlT_E0_NS1_11comp_targetILNS1_3genE2ELNS1_11target_archE906ELNS1_3gpuE6ELNS1_3repE0EEENS1_30default_config_static_selectorELNS0_4arch9wavefront6targetE1EEEvSW_,comdat
.Lfunc_end963:
	.size	_ZN7rocprim17ROCPRIM_400000_NS6detail17trampoline_kernelINS0_14default_configENS1_22reduce_config_selectorIlEEZNS1_11reduce_implILb1ES3_N6thrust23THRUST_200600_302600_NS11hip_rocprim26transform_input_iterator_tIlNS8_12zip_iteratorINS8_5tupleINS8_6detail15normal_iteratorINS8_10device_ptrIiEEEESH_NS8_9null_typeESI_SI_SI_SI_SI_SI_SI_EEEENS9_21zip_adj_not_predicateINS8_8equal_toIiEEEEEEPllNS8_4plusIlEEEE10hipError_tPvRmT1_T2_T3_mT4_P12ihipStream_tbEUlT_E0_NS1_11comp_targetILNS1_3genE2ELNS1_11target_archE906ELNS1_3gpuE6ELNS1_3repE0EEENS1_30default_config_static_selectorELNS0_4arch9wavefront6targetE1EEEvSW_, .Lfunc_end963-_ZN7rocprim17ROCPRIM_400000_NS6detail17trampoline_kernelINS0_14default_configENS1_22reduce_config_selectorIlEEZNS1_11reduce_implILb1ES3_N6thrust23THRUST_200600_302600_NS11hip_rocprim26transform_input_iterator_tIlNS8_12zip_iteratorINS8_5tupleINS8_6detail15normal_iteratorINS8_10device_ptrIiEEEESH_NS8_9null_typeESI_SI_SI_SI_SI_SI_SI_EEEENS9_21zip_adj_not_predicateINS8_8equal_toIiEEEEEEPllNS8_4plusIlEEEE10hipError_tPvRmT1_T2_T3_mT4_P12ihipStream_tbEUlT_E0_NS1_11comp_targetILNS1_3genE2ELNS1_11target_archE906ELNS1_3gpuE6ELNS1_3repE0EEENS1_30default_config_static_selectorELNS0_4arch9wavefront6targetE1EEEvSW_
                                        ; -- End function
	.set _ZN7rocprim17ROCPRIM_400000_NS6detail17trampoline_kernelINS0_14default_configENS1_22reduce_config_selectorIlEEZNS1_11reduce_implILb1ES3_N6thrust23THRUST_200600_302600_NS11hip_rocprim26transform_input_iterator_tIlNS8_12zip_iteratorINS8_5tupleINS8_6detail15normal_iteratorINS8_10device_ptrIiEEEESH_NS8_9null_typeESI_SI_SI_SI_SI_SI_SI_EEEENS9_21zip_adj_not_predicateINS8_8equal_toIiEEEEEEPllNS8_4plusIlEEEE10hipError_tPvRmT1_T2_T3_mT4_P12ihipStream_tbEUlT_E0_NS1_11comp_targetILNS1_3genE2ELNS1_11target_archE906ELNS1_3gpuE6ELNS1_3repE0EEENS1_30default_config_static_selectorELNS0_4arch9wavefront6targetE1EEEvSW_.num_vgpr, 11
	.set _ZN7rocprim17ROCPRIM_400000_NS6detail17trampoline_kernelINS0_14default_configENS1_22reduce_config_selectorIlEEZNS1_11reduce_implILb1ES3_N6thrust23THRUST_200600_302600_NS11hip_rocprim26transform_input_iterator_tIlNS8_12zip_iteratorINS8_5tupleINS8_6detail15normal_iteratorINS8_10device_ptrIiEEEESH_NS8_9null_typeESI_SI_SI_SI_SI_SI_SI_EEEENS9_21zip_adj_not_predicateINS8_8equal_toIiEEEEEEPllNS8_4plusIlEEEE10hipError_tPvRmT1_T2_T3_mT4_P12ihipStream_tbEUlT_E0_NS1_11comp_targetILNS1_3genE2ELNS1_11target_archE906ELNS1_3gpuE6ELNS1_3repE0EEENS1_30default_config_static_selectorELNS0_4arch9wavefront6targetE1EEEvSW_.num_agpr, 0
	.set _ZN7rocprim17ROCPRIM_400000_NS6detail17trampoline_kernelINS0_14default_configENS1_22reduce_config_selectorIlEEZNS1_11reduce_implILb1ES3_N6thrust23THRUST_200600_302600_NS11hip_rocprim26transform_input_iterator_tIlNS8_12zip_iteratorINS8_5tupleINS8_6detail15normal_iteratorINS8_10device_ptrIiEEEESH_NS8_9null_typeESI_SI_SI_SI_SI_SI_SI_EEEENS9_21zip_adj_not_predicateINS8_8equal_toIiEEEEEEPllNS8_4plusIlEEEE10hipError_tPvRmT1_T2_T3_mT4_P12ihipStream_tbEUlT_E0_NS1_11comp_targetILNS1_3genE2ELNS1_11target_archE906ELNS1_3gpuE6ELNS1_3repE0EEENS1_30default_config_static_selectorELNS0_4arch9wavefront6targetE1EEEvSW_.numbered_sgpr, 22
	.set _ZN7rocprim17ROCPRIM_400000_NS6detail17trampoline_kernelINS0_14default_configENS1_22reduce_config_selectorIlEEZNS1_11reduce_implILb1ES3_N6thrust23THRUST_200600_302600_NS11hip_rocprim26transform_input_iterator_tIlNS8_12zip_iteratorINS8_5tupleINS8_6detail15normal_iteratorINS8_10device_ptrIiEEEESH_NS8_9null_typeESI_SI_SI_SI_SI_SI_SI_EEEENS9_21zip_adj_not_predicateINS8_8equal_toIiEEEEEEPllNS8_4plusIlEEEE10hipError_tPvRmT1_T2_T3_mT4_P12ihipStream_tbEUlT_E0_NS1_11comp_targetILNS1_3genE2ELNS1_11target_archE906ELNS1_3gpuE6ELNS1_3repE0EEENS1_30default_config_static_selectorELNS0_4arch9wavefront6targetE1EEEvSW_.num_named_barrier, 0
	.set _ZN7rocprim17ROCPRIM_400000_NS6detail17trampoline_kernelINS0_14default_configENS1_22reduce_config_selectorIlEEZNS1_11reduce_implILb1ES3_N6thrust23THRUST_200600_302600_NS11hip_rocprim26transform_input_iterator_tIlNS8_12zip_iteratorINS8_5tupleINS8_6detail15normal_iteratorINS8_10device_ptrIiEEEESH_NS8_9null_typeESI_SI_SI_SI_SI_SI_SI_EEEENS9_21zip_adj_not_predicateINS8_8equal_toIiEEEEEEPllNS8_4plusIlEEEE10hipError_tPvRmT1_T2_T3_mT4_P12ihipStream_tbEUlT_E0_NS1_11comp_targetILNS1_3genE2ELNS1_11target_archE906ELNS1_3gpuE6ELNS1_3repE0EEENS1_30default_config_static_selectorELNS0_4arch9wavefront6targetE1EEEvSW_.private_seg_size, 0
	.set _ZN7rocprim17ROCPRIM_400000_NS6detail17trampoline_kernelINS0_14default_configENS1_22reduce_config_selectorIlEEZNS1_11reduce_implILb1ES3_N6thrust23THRUST_200600_302600_NS11hip_rocprim26transform_input_iterator_tIlNS8_12zip_iteratorINS8_5tupleINS8_6detail15normal_iteratorINS8_10device_ptrIiEEEESH_NS8_9null_typeESI_SI_SI_SI_SI_SI_SI_EEEENS9_21zip_adj_not_predicateINS8_8equal_toIiEEEEEEPllNS8_4plusIlEEEE10hipError_tPvRmT1_T2_T3_mT4_P12ihipStream_tbEUlT_E0_NS1_11comp_targetILNS1_3genE2ELNS1_11target_archE906ELNS1_3gpuE6ELNS1_3repE0EEENS1_30default_config_static_selectorELNS0_4arch9wavefront6targetE1EEEvSW_.uses_vcc, 1
	.set _ZN7rocprim17ROCPRIM_400000_NS6detail17trampoline_kernelINS0_14default_configENS1_22reduce_config_selectorIlEEZNS1_11reduce_implILb1ES3_N6thrust23THRUST_200600_302600_NS11hip_rocprim26transform_input_iterator_tIlNS8_12zip_iteratorINS8_5tupleINS8_6detail15normal_iteratorINS8_10device_ptrIiEEEESH_NS8_9null_typeESI_SI_SI_SI_SI_SI_SI_EEEENS9_21zip_adj_not_predicateINS8_8equal_toIiEEEEEEPllNS8_4plusIlEEEE10hipError_tPvRmT1_T2_T3_mT4_P12ihipStream_tbEUlT_E0_NS1_11comp_targetILNS1_3genE2ELNS1_11target_archE906ELNS1_3gpuE6ELNS1_3repE0EEENS1_30default_config_static_selectorELNS0_4arch9wavefront6targetE1EEEvSW_.uses_flat_scratch, 0
	.set _ZN7rocprim17ROCPRIM_400000_NS6detail17trampoline_kernelINS0_14default_configENS1_22reduce_config_selectorIlEEZNS1_11reduce_implILb1ES3_N6thrust23THRUST_200600_302600_NS11hip_rocprim26transform_input_iterator_tIlNS8_12zip_iteratorINS8_5tupleINS8_6detail15normal_iteratorINS8_10device_ptrIiEEEESH_NS8_9null_typeESI_SI_SI_SI_SI_SI_SI_EEEENS9_21zip_adj_not_predicateINS8_8equal_toIiEEEEEEPllNS8_4plusIlEEEE10hipError_tPvRmT1_T2_T3_mT4_P12ihipStream_tbEUlT_E0_NS1_11comp_targetILNS1_3genE2ELNS1_11target_archE906ELNS1_3gpuE6ELNS1_3repE0EEENS1_30default_config_static_selectorELNS0_4arch9wavefront6targetE1EEEvSW_.has_dyn_sized_stack, 0
	.set _ZN7rocprim17ROCPRIM_400000_NS6detail17trampoline_kernelINS0_14default_configENS1_22reduce_config_selectorIlEEZNS1_11reduce_implILb1ES3_N6thrust23THRUST_200600_302600_NS11hip_rocprim26transform_input_iterator_tIlNS8_12zip_iteratorINS8_5tupleINS8_6detail15normal_iteratorINS8_10device_ptrIiEEEESH_NS8_9null_typeESI_SI_SI_SI_SI_SI_SI_EEEENS9_21zip_adj_not_predicateINS8_8equal_toIiEEEEEEPllNS8_4plusIlEEEE10hipError_tPvRmT1_T2_T3_mT4_P12ihipStream_tbEUlT_E0_NS1_11comp_targetILNS1_3genE2ELNS1_11target_archE906ELNS1_3gpuE6ELNS1_3repE0EEENS1_30default_config_static_selectorELNS0_4arch9wavefront6targetE1EEEvSW_.has_recursion, 0
	.set _ZN7rocprim17ROCPRIM_400000_NS6detail17trampoline_kernelINS0_14default_configENS1_22reduce_config_selectorIlEEZNS1_11reduce_implILb1ES3_N6thrust23THRUST_200600_302600_NS11hip_rocprim26transform_input_iterator_tIlNS8_12zip_iteratorINS8_5tupleINS8_6detail15normal_iteratorINS8_10device_ptrIiEEEESH_NS8_9null_typeESI_SI_SI_SI_SI_SI_SI_EEEENS9_21zip_adj_not_predicateINS8_8equal_toIiEEEEEEPllNS8_4plusIlEEEE10hipError_tPvRmT1_T2_T3_mT4_P12ihipStream_tbEUlT_E0_NS1_11comp_targetILNS1_3genE2ELNS1_11target_archE906ELNS1_3gpuE6ELNS1_3repE0EEENS1_30default_config_static_selectorELNS0_4arch9wavefront6targetE1EEEvSW_.has_indirect_call, 0
	.section	.AMDGPU.csdata,"",@progbits
; Kernel info:
; codeLenInByte = 1616
; TotalNumSgprs: 26
; NumVgprs: 11
; ScratchSize: 0
; MemoryBound: 0
; FloatMode: 240
; IeeeMode: 1
; LDSByteSize: 64 bytes/workgroup (compile time only)
; SGPRBlocks: 3
; VGPRBlocks: 2
; NumSGPRsForWavesPerEU: 26
; NumVGPRsForWavesPerEU: 11
; Occupancy: 10
; WaveLimiterHint : 0
; COMPUTE_PGM_RSRC2:SCRATCH_EN: 0
; COMPUTE_PGM_RSRC2:USER_SGPR: 6
; COMPUTE_PGM_RSRC2:TRAP_HANDLER: 0
; COMPUTE_PGM_RSRC2:TGID_X_EN: 1
; COMPUTE_PGM_RSRC2:TGID_Y_EN: 0
; COMPUTE_PGM_RSRC2:TGID_Z_EN: 0
; COMPUTE_PGM_RSRC2:TIDIG_COMP_CNT: 0
	.section	.text._ZN7rocprim17ROCPRIM_400000_NS6detail17trampoline_kernelINS0_14default_configENS1_22reduce_config_selectorIlEEZNS1_11reduce_implILb1ES3_N6thrust23THRUST_200600_302600_NS11hip_rocprim26transform_input_iterator_tIlNS8_12zip_iteratorINS8_5tupleINS8_6detail15normal_iteratorINS8_10device_ptrIiEEEESH_NS8_9null_typeESI_SI_SI_SI_SI_SI_SI_EEEENS9_21zip_adj_not_predicateINS8_8equal_toIiEEEEEEPllNS8_4plusIlEEEE10hipError_tPvRmT1_T2_T3_mT4_P12ihipStream_tbEUlT_E0_NS1_11comp_targetILNS1_3genE10ELNS1_11target_archE1201ELNS1_3gpuE5ELNS1_3repE0EEENS1_30default_config_static_selectorELNS0_4arch9wavefront6targetE1EEEvSW_,"axG",@progbits,_ZN7rocprim17ROCPRIM_400000_NS6detail17trampoline_kernelINS0_14default_configENS1_22reduce_config_selectorIlEEZNS1_11reduce_implILb1ES3_N6thrust23THRUST_200600_302600_NS11hip_rocprim26transform_input_iterator_tIlNS8_12zip_iteratorINS8_5tupleINS8_6detail15normal_iteratorINS8_10device_ptrIiEEEESH_NS8_9null_typeESI_SI_SI_SI_SI_SI_SI_EEEENS9_21zip_adj_not_predicateINS8_8equal_toIiEEEEEEPllNS8_4plusIlEEEE10hipError_tPvRmT1_T2_T3_mT4_P12ihipStream_tbEUlT_E0_NS1_11comp_targetILNS1_3genE10ELNS1_11target_archE1201ELNS1_3gpuE5ELNS1_3repE0EEENS1_30default_config_static_selectorELNS0_4arch9wavefront6targetE1EEEvSW_,comdat
	.protected	_ZN7rocprim17ROCPRIM_400000_NS6detail17trampoline_kernelINS0_14default_configENS1_22reduce_config_selectorIlEEZNS1_11reduce_implILb1ES3_N6thrust23THRUST_200600_302600_NS11hip_rocprim26transform_input_iterator_tIlNS8_12zip_iteratorINS8_5tupleINS8_6detail15normal_iteratorINS8_10device_ptrIiEEEESH_NS8_9null_typeESI_SI_SI_SI_SI_SI_SI_EEEENS9_21zip_adj_not_predicateINS8_8equal_toIiEEEEEEPllNS8_4plusIlEEEE10hipError_tPvRmT1_T2_T3_mT4_P12ihipStream_tbEUlT_E0_NS1_11comp_targetILNS1_3genE10ELNS1_11target_archE1201ELNS1_3gpuE5ELNS1_3repE0EEENS1_30default_config_static_selectorELNS0_4arch9wavefront6targetE1EEEvSW_ ; -- Begin function _ZN7rocprim17ROCPRIM_400000_NS6detail17trampoline_kernelINS0_14default_configENS1_22reduce_config_selectorIlEEZNS1_11reduce_implILb1ES3_N6thrust23THRUST_200600_302600_NS11hip_rocprim26transform_input_iterator_tIlNS8_12zip_iteratorINS8_5tupleINS8_6detail15normal_iteratorINS8_10device_ptrIiEEEESH_NS8_9null_typeESI_SI_SI_SI_SI_SI_SI_EEEENS9_21zip_adj_not_predicateINS8_8equal_toIiEEEEEEPllNS8_4plusIlEEEE10hipError_tPvRmT1_T2_T3_mT4_P12ihipStream_tbEUlT_E0_NS1_11comp_targetILNS1_3genE10ELNS1_11target_archE1201ELNS1_3gpuE5ELNS1_3repE0EEENS1_30default_config_static_selectorELNS0_4arch9wavefront6targetE1EEEvSW_
	.globl	_ZN7rocprim17ROCPRIM_400000_NS6detail17trampoline_kernelINS0_14default_configENS1_22reduce_config_selectorIlEEZNS1_11reduce_implILb1ES3_N6thrust23THRUST_200600_302600_NS11hip_rocprim26transform_input_iterator_tIlNS8_12zip_iteratorINS8_5tupleINS8_6detail15normal_iteratorINS8_10device_ptrIiEEEESH_NS8_9null_typeESI_SI_SI_SI_SI_SI_SI_EEEENS9_21zip_adj_not_predicateINS8_8equal_toIiEEEEEEPllNS8_4plusIlEEEE10hipError_tPvRmT1_T2_T3_mT4_P12ihipStream_tbEUlT_E0_NS1_11comp_targetILNS1_3genE10ELNS1_11target_archE1201ELNS1_3gpuE5ELNS1_3repE0EEENS1_30default_config_static_selectorELNS0_4arch9wavefront6targetE1EEEvSW_
	.p2align	8
	.type	_ZN7rocprim17ROCPRIM_400000_NS6detail17trampoline_kernelINS0_14default_configENS1_22reduce_config_selectorIlEEZNS1_11reduce_implILb1ES3_N6thrust23THRUST_200600_302600_NS11hip_rocprim26transform_input_iterator_tIlNS8_12zip_iteratorINS8_5tupleINS8_6detail15normal_iteratorINS8_10device_ptrIiEEEESH_NS8_9null_typeESI_SI_SI_SI_SI_SI_SI_EEEENS9_21zip_adj_not_predicateINS8_8equal_toIiEEEEEEPllNS8_4plusIlEEEE10hipError_tPvRmT1_T2_T3_mT4_P12ihipStream_tbEUlT_E0_NS1_11comp_targetILNS1_3genE10ELNS1_11target_archE1201ELNS1_3gpuE5ELNS1_3repE0EEENS1_30default_config_static_selectorELNS0_4arch9wavefront6targetE1EEEvSW_,@function
_ZN7rocprim17ROCPRIM_400000_NS6detail17trampoline_kernelINS0_14default_configENS1_22reduce_config_selectorIlEEZNS1_11reduce_implILb1ES3_N6thrust23THRUST_200600_302600_NS11hip_rocprim26transform_input_iterator_tIlNS8_12zip_iteratorINS8_5tupleINS8_6detail15normal_iteratorINS8_10device_ptrIiEEEESH_NS8_9null_typeESI_SI_SI_SI_SI_SI_SI_EEEENS9_21zip_adj_not_predicateINS8_8equal_toIiEEEEEEPllNS8_4plusIlEEEE10hipError_tPvRmT1_T2_T3_mT4_P12ihipStream_tbEUlT_E0_NS1_11comp_targetILNS1_3genE10ELNS1_11target_archE1201ELNS1_3gpuE5ELNS1_3repE0EEENS1_30default_config_static_selectorELNS0_4arch9wavefront6targetE1EEEvSW_: ; @_ZN7rocprim17ROCPRIM_400000_NS6detail17trampoline_kernelINS0_14default_configENS1_22reduce_config_selectorIlEEZNS1_11reduce_implILb1ES3_N6thrust23THRUST_200600_302600_NS11hip_rocprim26transform_input_iterator_tIlNS8_12zip_iteratorINS8_5tupleINS8_6detail15normal_iteratorINS8_10device_ptrIiEEEESH_NS8_9null_typeESI_SI_SI_SI_SI_SI_SI_EEEENS9_21zip_adj_not_predicateINS8_8equal_toIiEEEEEEPllNS8_4plusIlEEEE10hipError_tPvRmT1_T2_T3_mT4_P12ihipStream_tbEUlT_E0_NS1_11comp_targetILNS1_3genE10ELNS1_11target_archE1201ELNS1_3gpuE5ELNS1_3repE0EEENS1_30default_config_static_selectorELNS0_4arch9wavefront6targetE1EEEvSW_
; %bb.0:
	.section	.rodata,"a",@progbits
	.p2align	6, 0x0
	.amdhsa_kernel _ZN7rocprim17ROCPRIM_400000_NS6detail17trampoline_kernelINS0_14default_configENS1_22reduce_config_selectorIlEEZNS1_11reduce_implILb1ES3_N6thrust23THRUST_200600_302600_NS11hip_rocprim26transform_input_iterator_tIlNS8_12zip_iteratorINS8_5tupleINS8_6detail15normal_iteratorINS8_10device_ptrIiEEEESH_NS8_9null_typeESI_SI_SI_SI_SI_SI_SI_EEEENS9_21zip_adj_not_predicateINS8_8equal_toIiEEEEEEPllNS8_4plusIlEEEE10hipError_tPvRmT1_T2_T3_mT4_P12ihipStream_tbEUlT_E0_NS1_11comp_targetILNS1_3genE10ELNS1_11target_archE1201ELNS1_3gpuE5ELNS1_3repE0EEENS1_30default_config_static_selectorELNS0_4arch9wavefront6targetE1EEEvSW_
		.amdhsa_group_segment_fixed_size 0
		.amdhsa_private_segment_fixed_size 0
		.amdhsa_kernarg_size 80
		.amdhsa_user_sgpr_count 6
		.amdhsa_user_sgpr_private_segment_buffer 1
		.amdhsa_user_sgpr_dispatch_ptr 0
		.amdhsa_user_sgpr_queue_ptr 0
		.amdhsa_user_sgpr_kernarg_segment_ptr 1
		.amdhsa_user_sgpr_dispatch_id 0
		.amdhsa_user_sgpr_flat_scratch_init 0
		.amdhsa_user_sgpr_private_segment_size 0
		.amdhsa_uses_dynamic_stack 0
		.amdhsa_system_sgpr_private_segment_wavefront_offset 0
		.amdhsa_system_sgpr_workgroup_id_x 1
		.amdhsa_system_sgpr_workgroup_id_y 0
		.amdhsa_system_sgpr_workgroup_id_z 0
		.amdhsa_system_sgpr_workgroup_info 0
		.amdhsa_system_vgpr_workitem_id 0
		.amdhsa_next_free_vgpr 1
		.amdhsa_next_free_sgpr 0
		.amdhsa_reserve_vcc 0
		.amdhsa_reserve_flat_scratch 0
		.amdhsa_float_round_mode_32 0
		.amdhsa_float_round_mode_16_64 0
		.amdhsa_float_denorm_mode_32 3
		.amdhsa_float_denorm_mode_16_64 3
		.amdhsa_dx10_clamp 1
		.amdhsa_ieee_mode 1
		.amdhsa_fp16_overflow 0
		.amdhsa_exception_fp_ieee_invalid_op 0
		.amdhsa_exception_fp_denorm_src 0
		.amdhsa_exception_fp_ieee_div_zero 0
		.amdhsa_exception_fp_ieee_overflow 0
		.amdhsa_exception_fp_ieee_underflow 0
		.amdhsa_exception_fp_ieee_inexact 0
		.amdhsa_exception_int_div_zero 0
	.end_amdhsa_kernel
	.section	.text._ZN7rocprim17ROCPRIM_400000_NS6detail17trampoline_kernelINS0_14default_configENS1_22reduce_config_selectorIlEEZNS1_11reduce_implILb1ES3_N6thrust23THRUST_200600_302600_NS11hip_rocprim26transform_input_iterator_tIlNS8_12zip_iteratorINS8_5tupleINS8_6detail15normal_iteratorINS8_10device_ptrIiEEEESH_NS8_9null_typeESI_SI_SI_SI_SI_SI_SI_EEEENS9_21zip_adj_not_predicateINS8_8equal_toIiEEEEEEPllNS8_4plusIlEEEE10hipError_tPvRmT1_T2_T3_mT4_P12ihipStream_tbEUlT_E0_NS1_11comp_targetILNS1_3genE10ELNS1_11target_archE1201ELNS1_3gpuE5ELNS1_3repE0EEENS1_30default_config_static_selectorELNS0_4arch9wavefront6targetE1EEEvSW_,"axG",@progbits,_ZN7rocprim17ROCPRIM_400000_NS6detail17trampoline_kernelINS0_14default_configENS1_22reduce_config_selectorIlEEZNS1_11reduce_implILb1ES3_N6thrust23THRUST_200600_302600_NS11hip_rocprim26transform_input_iterator_tIlNS8_12zip_iteratorINS8_5tupleINS8_6detail15normal_iteratorINS8_10device_ptrIiEEEESH_NS8_9null_typeESI_SI_SI_SI_SI_SI_SI_EEEENS9_21zip_adj_not_predicateINS8_8equal_toIiEEEEEEPllNS8_4plusIlEEEE10hipError_tPvRmT1_T2_T3_mT4_P12ihipStream_tbEUlT_E0_NS1_11comp_targetILNS1_3genE10ELNS1_11target_archE1201ELNS1_3gpuE5ELNS1_3repE0EEENS1_30default_config_static_selectorELNS0_4arch9wavefront6targetE1EEEvSW_,comdat
.Lfunc_end964:
	.size	_ZN7rocprim17ROCPRIM_400000_NS6detail17trampoline_kernelINS0_14default_configENS1_22reduce_config_selectorIlEEZNS1_11reduce_implILb1ES3_N6thrust23THRUST_200600_302600_NS11hip_rocprim26transform_input_iterator_tIlNS8_12zip_iteratorINS8_5tupleINS8_6detail15normal_iteratorINS8_10device_ptrIiEEEESH_NS8_9null_typeESI_SI_SI_SI_SI_SI_SI_EEEENS9_21zip_adj_not_predicateINS8_8equal_toIiEEEEEEPllNS8_4plusIlEEEE10hipError_tPvRmT1_T2_T3_mT4_P12ihipStream_tbEUlT_E0_NS1_11comp_targetILNS1_3genE10ELNS1_11target_archE1201ELNS1_3gpuE5ELNS1_3repE0EEENS1_30default_config_static_selectorELNS0_4arch9wavefront6targetE1EEEvSW_, .Lfunc_end964-_ZN7rocprim17ROCPRIM_400000_NS6detail17trampoline_kernelINS0_14default_configENS1_22reduce_config_selectorIlEEZNS1_11reduce_implILb1ES3_N6thrust23THRUST_200600_302600_NS11hip_rocprim26transform_input_iterator_tIlNS8_12zip_iteratorINS8_5tupleINS8_6detail15normal_iteratorINS8_10device_ptrIiEEEESH_NS8_9null_typeESI_SI_SI_SI_SI_SI_SI_EEEENS9_21zip_adj_not_predicateINS8_8equal_toIiEEEEEEPllNS8_4plusIlEEEE10hipError_tPvRmT1_T2_T3_mT4_P12ihipStream_tbEUlT_E0_NS1_11comp_targetILNS1_3genE10ELNS1_11target_archE1201ELNS1_3gpuE5ELNS1_3repE0EEENS1_30default_config_static_selectorELNS0_4arch9wavefront6targetE1EEEvSW_
                                        ; -- End function
	.set _ZN7rocprim17ROCPRIM_400000_NS6detail17trampoline_kernelINS0_14default_configENS1_22reduce_config_selectorIlEEZNS1_11reduce_implILb1ES3_N6thrust23THRUST_200600_302600_NS11hip_rocprim26transform_input_iterator_tIlNS8_12zip_iteratorINS8_5tupleINS8_6detail15normal_iteratorINS8_10device_ptrIiEEEESH_NS8_9null_typeESI_SI_SI_SI_SI_SI_SI_EEEENS9_21zip_adj_not_predicateINS8_8equal_toIiEEEEEEPllNS8_4plusIlEEEE10hipError_tPvRmT1_T2_T3_mT4_P12ihipStream_tbEUlT_E0_NS1_11comp_targetILNS1_3genE10ELNS1_11target_archE1201ELNS1_3gpuE5ELNS1_3repE0EEENS1_30default_config_static_selectorELNS0_4arch9wavefront6targetE1EEEvSW_.num_vgpr, 0
	.set _ZN7rocprim17ROCPRIM_400000_NS6detail17trampoline_kernelINS0_14default_configENS1_22reduce_config_selectorIlEEZNS1_11reduce_implILb1ES3_N6thrust23THRUST_200600_302600_NS11hip_rocprim26transform_input_iterator_tIlNS8_12zip_iteratorINS8_5tupleINS8_6detail15normal_iteratorINS8_10device_ptrIiEEEESH_NS8_9null_typeESI_SI_SI_SI_SI_SI_SI_EEEENS9_21zip_adj_not_predicateINS8_8equal_toIiEEEEEEPllNS8_4plusIlEEEE10hipError_tPvRmT1_T2_T3_mT4_P12ihipStream_tbEUlT_E0_NS1_11comp_targetILNS1_3genE10ELNS1_11target_archE1201ELNS1_3gpuE5ELNS1_3repE0EEENS1_30default_config_static_selectorELNS0_4arch9wavefront6targetE1EEEvSW_.num_agpr, 0
	.set _ZN7rocprim17ROCPRIM_400000_NS6detail17trampoline_kernelINS0_14default_configENS1_22reduce_config_selectorIlEEZNS1_11reduce_implILb1ES3_N6thrust23THRUST_200600_302600_NS11hip_rocprim26transform_input_iterator_tIlNS8_12zip_iteratorINS8_5tupleINS8_6detail15normal_iteratorINS8_10device_ptrIiEEEESH_NS8_9null_typeESI_SI_SI_SI_SI_SI_SI_EEEENS9_21zip_adj_not_predicateINS8_8equal_toIiEEEEEEPllNS8_4plusIlEEEE10hipError_tPvRmT1_T2_T3_mT4_P12ihipStream_tbEUlT_E0_NS1_11comp_targetILNS1_3genE10ELNS1_11target_archE1201ELNS1_3gpuE5ELNS1_3repE0EEENS1_30default_config_static_selectorELNS0_4arch9wavefront6targetE1EEEvSW_.numbered_sgpr, 0
	.set _ZN7rocprim17ROCPRIM_400000_NS6detail17trampoline_kernelINS0_14default_configENS1_22reduce_config_selectorIlEEZNS1_11reduce_implILb1ES3_N6thrust23THRUST_200600_302600_NS11hip_rocprim26transform_input_iterator_tIlNS8_12zip_iteratorINS8_5tupleINS8_6detail15normal_iteratorINS8_10device_ptrIiEEEESH_NS8_9null_typeESI_SI_SI_SI_SI_SI_SI_EEEENS9_21zip_adj_not_predicateINS8_8equal_toIiEEEEEEPllNS8_4plusIlEEEE10hipError_tPvRmT1_T2_T3_mT4_P12ihipStream_tbEUlT_E0_NS1_11comp_targetILNS1_3genE10ELNS1_11target_archE1201ELNS1_3gpuE5ELNS1_3repE0EEENS1_30default_config_static_selectorELNS0_4arch9wavefront6targetE1EEEvSW_.num_named_barrier, 0
	.set _ZN7rocprim17ROCPRIM_400000_NS6detail17trampoline_kernelINS0_14default_configENS1_22reduce_config_selectorIlEEZNS1_11reduce_implILb1ES3_N6thrust23THRUST_200600_302600_NS11hip_rocprim26transform_input_iterator_tIlNS8_12zip_iteratorINS8_5tupleINS8_6detail15normal_iteratorINS8_10device_ptrIiEEEESH_NS8_9null_typeESI_SI_SI_SI_SI_SI_SI_EEEENS9_21zip_adj_not_predicateINS8_8equal_toIiEEEEEEPllNS8_4plusIlEEEE10hipError_tPvRmT1_T2_T3_mT4_P12ihipStream_tbEUlT_E0_NS1_11comp_targetILNS1_3genE10ELNS1_11target_archE1201ELNS1_3gpuE5ELNS1_3repE0EEENS1_30default_config_static_selectorELNS0_4arch9wavefront6targetE1EEEvSW_.private_seg_size, 0
	.set _ZN7rocprim17ROCPRIM_400000_NS6detail17trampoline_kernelINS0_14default_configENS1_22reduce_config_selectorIlEEZNS1_11reduce_implILb1ES3_N6thrust23THRUST_200600_302600_NS11hip_rocprim26transform_input_iterator_tIlNS8_12zip_iteratorINS8_5tupleINS8_6detail15normal_iteratorINS8_10device_ptrIiEEEESH_NS8_9null_typeESI_SI_SI_SI_SI_SI_SI_EEEENS9_21zip_adj_not_predicateINS8_8equal_toIiEEEEEEPllNS8_4plusIlEEEE10hipError_tPvRmT1_T2_T3_mT4_P12ihipStream_tbEUlT_E0_NS1_11comp_targetILNS1_3genE10ELNS1_11target_archE1201ELNS1_3gpuE5ELNS1_3repE0EEENS1_30default_config_static_selectorELNS0_4arch9wavefront6targetE1EEEvSW_.uses_vcc, 0
	.set _ZN7rocprim17ROCPRIM_400000_NS6detail17trampoline_kernelINS0_14default_configENS1_22reduce_config_selectorIlEEZNS1_11reduce_implILb1ES3_N6thrust23THRUST_200600_302600_NS11hip_rocprim26transform_input_iterator_tIlNS8_12zip_iteratorINS8_5tupleINS8_6detail15normal_iteratorINS8_10device_ptrIiEEEESH_NS8_9null_typeESI_SI_SI_SI_SI_SI_SI_EEEENS9_21zip_adj_not_predicateINS8_8equal_toIiEEEEEEPllNS8_4plusIlEEEE10hipError_tPvRmT1_T2_T3_mT4_P12ihipStream_tbEUlT_E0_NS1_11comp_targetILNS1_3genE10ELNS1_11target_archE1201ELNS1_3gpuE5ELNS1_3repE0EEENS1_30default_config_static_selectorELNS0_4arch9wavefront6targetE1EEEvSW_.uses_flat_scratch, 0
	.set _ZN7rocprim17ROCPRIM_400000_NS6detail17trampoline_kernelINS0_14default_configENS1_22reduce_config_selectorIlEEZNS1_11reduce_implILb1ES3_N6thrust23THRUST_200600_302600_NS11hip_rocprim26transform_input_iterator_tIlNS8_12zip_iteratorINS8_5tupleINS8_6detail15normal_iteratorINS8_10device_ptrIiEEEESH_NS8_9null_typeESI_SI_SI_SI_SI_SI_SI_EEEENS9_21zip_adj_not_predicateINS8_8equal_toIiEEEEEEPllNS8_4plusIlEEEE10hipError_tPvRmT1_T2_T3_mT4_P12ihipStream_tbEUlT_E0_NS1_11comp_targetILNS1_3genE10ELNS1_11target_archE1201ELNS1_3gpuE5ELNS1_3repE0EEENS1_30default_config_static_selectorELNS0_4arch9wavefront6targetE1EEEvSW_.has_dyn_sized_stack, 0
	.set _ZN7rocprim17ROCPRIM_400000_NS6detail17trampoline_kernelINS0_14default_configENS1_22reduce_config_selectorIlEEZNS1_11reduce_implILb1ES3_N6thrust23THRUST_200600_302600_NS11hip_rocprim26transform_input_iterator_tIlNS8_12zip_iteratorINS8_5tupleINS8_6detail15normal_iteratorINS8_10device_ptrIiEEEESH_NS8_9null_typeESI_SI_SI_SI_SI_SI_SI_EEEENS9_21zip_adj_not_predicateINS8_8equal_toIiEEEEEEPllNS8_4plusIlEEEE10hipError_tPvRmT1_T2_T3_mT4_P12ihipStream_tbEUlT_E0_NS1_11comp_targetILNS1_3genE10ELNS1_11target_archE1201ELNS1_3gpuE5ELNS1_3repE0EEENS1_30default_config_static_selectorELNS0_4arch9wavefront6targetE1EEEvSW_.has_recursion, 0
	.set _ZN7rocprim17ROCPRIM_400000_NS6detail17trampoline_kernelINS0_14default_configENS1_22reduce_config_selectorIlEEZNS1_11reduce_implILb1ES3_N6thrust23THRUST_200600_302600_NS11hip_rocprim26transform_input_iterator_tIlNS8_12zip_iteratorINS8_5tupleINS8_6detail15normal_iteratorINS8_10device_ptrIiEEEESH_NS8_9null_typeESI_SI_SI_SI_SI_SI_SI_EEEENS9_21zip_adj_not_predicateINS8_8equal_toIiEEEEEEPllNS8_4plusIlEEEE10hipError_tPvRmT1_T2_T3_mT4_P12ihipStream_tbEUlT_E0_NS1_11comp_targetILNS1_3genE10ELNS1_11target_archE1201ELNS1_3gpuE5ELNS1_3repE0EEENS1_30default_config_static_selectorELNS0_4arch9wavefront6targetE1EEEvSW_.has_indirect_call, 0
	.section	.AMDGPU.csdata,"",@progbits
; Kernel info:
; codeLenInByte = 0
; TotalNumSgprs: 4
; NumVgprs: 0
; ScratchSize: 0
; MemoryBound: 0
; FloatMode: 240
; IeeeMode: 1
; LDSByteSize: 0 bytes/workgroup (compile time only)
; SGPRBlocks: 0
; VGPRBlocks: 0
; NumSGPRsForWavesPerEU: 4
; NumVGPRsForWavesPerEU: 1
; Occupancy: 10
; WaveLimiterHint : 0
; COMPUTE_PGM_RSRC2:SCRATCH_EN: 0
; COMPUTE_PGM_RSRC2:USER_SGPR: 6
; COMPUTE_PGM_RSRC2:TRAP_HANDLER: 0
; COMPUTE_PGM_RSRC2:TGID_X_EN: 1
; COMPUTE_PGM_RSRC2:TGID_Y_EN: 0
; COMPUTE_PGM_RSRC2:TGID_Z_EN: 0
; COMPUTE_PGM_RSRC2:TIDIG_COMP_CNT: 0
	.section	.text._ZN7rocprim17ROCPRIM_400000_NS6detail17trampoline_kernelINS0_14default_configENS1_22reduce_config_selectorIlEEZNS1_11reduce_implILb1ES3_N6thrust23THRUST_200600_302600_NS11hip_rocprim26transform_input_iterator_tIlNS8_12zip_iteratorINS8_5tupleINS8_6detail15normal_iteratorINS8_10device_ptrIiEEEESH_NS8_9null_typeESI_SI_SI_SI_SI_SI_SI_EEEENS9_21zip_adj_not_predicateINS8_8equal_toIiEEEEEEPllNS8_4plusIlEEEE10hipError_tPvRmT1_T2_T3_mT4_P12ihipStream_tbEUlT_E0_NS1_11comp_targetILNS1_3genE10ELNS1_11target_archE1200ELNS1_3gpuE4ELNS1_3repE0EEENS1_30default_config_static_selectorELNS0_4arch9wavefront6targetE1EEEvSW_,"axG",@progbits,_ZN7rocprim17ROCPRIM_400000_NS6detail17trampoline_kernelINS0_14default_configENS1_22reduce_config_selectorIlEEZNS1_11reduce_implILb1ES3_N6thrust23THRUST_200600_302600_NS11hip_rocprim26transform_input_iterator_tIlNS8_12zip_iteratorINS8_5tupleINS8_6detail15normal_iteratorINS8_10device_ptrIiEEEESH_NS8_9null_typeESI_SI_SI_SI_SI_SI_SI_EEEENS9_21zip_adj_not_predicateINS8_8equal_toIiEEEEEEPllNS8_4plusIlEEEE10hipError_tPvRmT1_T2_T3_mT4_P12ihipStream_tbEUlT_E0_NS1_11comp_targetILNS1_3genE10ELNS1_11target_archE1200ELNS1_3gpuE4ELNS1_3repE0EEENS1_30default_config_static_selectorELNS0_4arch9wavefront6targetE1EEEvSW_,comdat
	.protected	_ZN7rocprim17ROCPRIM_400000_NS6detail17trampoline_kernelINS0_14default_configENS1_22reduce_config_selectorIlEEZNS1_11reduce_implILb1ES3_N6thrust23THRUST_200600_302600_NS11hip_rocprim26transform_input_iterator_tIlNS8_12zip_iteratorINS8_5tupleINS8_6detail15normal_iteratorINS8_10device_ptrIiEEEESH_NS8_9null_typeESI_SI_SI_SI_SI_SI_SI_EEEENS9_21zip_adj_not_predicateINS8_8equal_toIiEEEEEEPllNS8_4plusIlEEEE10hipError_tPvRmT1_T2_T3_mT4_P12ihipStream_tbEUlT_E0_NS1_11comp_targetILNS1_3genE10ELNS1_11target_archE1200ELNS1_3gpuE4ELNS1_3repE0EEENS1_30default_config_static_selectorELNS0_4arch9wavefront6targetE1EEEvSW_ ; -- Begin function _ZN7rocprim17ROCPRIM_400000_NS6detail17trampoline_kernelINS0_14default_configENS1_22reduce_config_selectorIlEEZNS1_11reduce_implILb1ES3_N6thrust23THRUST_200600_302600_NS11hip_rocprim26transform_input_iterator_tIlNS8_12zip_iteratorINS8_5tupleINS8_6detail15normal_iteratorINS8_10device_ptrIiEEEESH_NS8_9null_typeESI_SI_SI_SI_SI_SI_SI_EEEENS9_21zip_adj_not_predicateINS8_8equal_toIiEEEEEEPllNS8_4plusIlEEEE10hipError_tPvRmT1_T2_T3_mT4_P12ihipStream_tbEUlT_E0_NS1_11comp_targetILNS1_3genE10ELNS1_11target_archE1200ELNS1_3gpuE4ELNS1_3repE0EEENS1_30default_config_static_selectorELNS0_4arch9wavefront6targetE1EEEvSW_
	.globl	_ZN7rocprim17ROCPRIM_400000_NS6detail17trampoline_kernelINS0_14default_configENS1_22reduce_config_selectorIlEEZNS1_11reduce_implILb1ES3_N6thrust23THRUST_200600_302600_NS11hip_rocprim26transform_input_iterator_tIlNS8_12zip_iteratorINS8_5tupleINS8_6detail15normal_iteratorINS8_10device_ptrIiEEEESH_NS8_9null_typeESI_SI_SI_SI_SI_SI_SI_EEEENS9_21zip_adj_not_predicateINS8_8equal_toIiEEEEEEPllNS8_4plusIlEEEE10hipError_tPvRmT1_T2_T3_mT4_P12ihipStream_tbEUlT_E0_NS1_11comp_targetILNS1_3genE10ELNS1_11target_archE1200ELNS1_3gpuE4ELNS1_3repE0EEENS1_30default_config_static_selectorELNS0_4arch9wavefront6targetE1EEEvSW_
	.p2align	8
	.type	_ZN7rocprim17ROCPRIM_400000_NS6detail17trampoline_kernelINS0_14default_configENS1_22reduce_config_selectorIlEEZNS1_11reduce_implILb1ES3_N6thrust23THRUST_200600_302600_NS11hip_rocprim26transform_input_iterator_tIlNS8_12zip_iteratorINS8_5tupleINS8_6detail15normal_iteratorINS8_10device_ptrIiEEEESH_NS8_9null_typeESI_SI_SI_SI_SI_SI_SI_EEEENS9_21zip_adj_not_predicateINS8_8equal_toIiEEEEEEPllNS8_4plusIlEEEE10hipError_tPvRmT1_T2_T3_mT4_P12ihipStream_tbEUlT_E0_NS1_11comp_targetILNS1_3genE10ELNS1_11target_archE1200ELNS1_3gpuE4ELNS1_3repE0EEENS1_30default_config_static_selectorELNS0_4arch9wavefront6targetE1EEEvSW_,@function
_ZN7rocprim17ROCPRIM_400000_NS6detail17trampoline_kernelINS0_14default_configENS1_22reduce_config_selectorIlEEZNS1_11reduce_implILb1ES3_N6thrust23THRUST_200600_302600_NS11hip_rocprim26transform_input_iterator_tIlNS8_12zip_iteratorINS8_5tupleINS8_6detail15normal_iteratorINS8_10device_ptrIiEEEESH_NS8_9null_typeESI_SI_SI_SI_SI_SI_SI_EEEENS9_21zip_adj_not_predicateINS8_8equal_toIiEEEEEEPllNS8_4plusIlEEEE10hipError_tPvRmT1_T2_T3_mT4_P12ihipStream_tbEUlT_E0_NS1_11comp_targetILNS1_3genE10ELNS1_11target_archE1200ELNS1_3gpuE4ELNS1_3repE0EEENS1_30default_config_static_selectorELNS0_4arch9wavefront6targetE1EEEvSW_: ; @_ZN7rocprim17ROCPRIM_400000_NS6detail17trampoline_kernelINS0_14default_configENS1_22reduce_config_selectorIlEEZNS1_11reduce_implILb1ES3_N6thrust23THRUST_200600_302600_NS11hip_rocprim26transform_input_iterator_tIlNS8_12zip_iteratorINS8_5tupleINS8_6detail15normal_iteratorINS8_10device_ptrIiEEEESH_NS8_9null_typeESI_SI_SI_SI_SI_SI_SI_EEEENS9_21zip_adj_not_predicateINS8_8equal_toIiEEEEEEPllNS8_4plusIlEEEE10hipError_tPvRmT1_T2_T3_mT4_P12ihipStream_tbEUlT_E0_NS1_11comp_targetILNS1_3genE10ELNS1_11target_archE1200ELNS1_3gpuE4ELNS1_3repE0EEENS1_30default_config_static_selectorELNS0_4arch9wavefront6targetE1EEEvSW_
; %bb.0:
	.section	.rodata,"a",@progbits
	.p2align	6, 0x0
	.amdhsa_kernel _ZN7rocprim17ROCPRIM_400000_NS6detail17trampoline_kernelINS0_14default_configENS1_22reduce_config_selectorIlEEZNS1_11reduce_implILb1ES3_N6thrust23THRUST_200600_302600_NS11hip_rocprim26transform_input_iterator_tIlNS8_12zip_iteratorINS8_5tupleINS8_6detail15normal_iteratorINS8_10device_ptrIiEEEESH_NS8_9null_typeESI_SI_SI_SI_SI_SI_SI_EEEENS9_21zip_adj_not_predicateINS8_8equal_toIiEEEEEEPllNS8_4plusIlEEEE10hipError_tPvRmT1_T2_T3_mT4_P12ihipStream_tbEUlT_E0_NS1_11comp_targetILNS1_3genE10ELNS1_11target_archE1200ELNS1_3gpuE4ELNS1_3repE0EEENS1_30default_config_static_selectorELNS0_4arch9wavefront6targetE1EEEvSW_
		.amdhsa_group_segment_fixed_size 0
		.amdhsa_private_segment_fixed_size 0
		.amdhsa_kernarg_size 80
		.amdhsa_user_sgpr_count 6
		.amdhsa_user_sgpr_private_segment_buffer 1
		.amdhsa_user_sgpr_dispatch_ptr 0
		.amdhsa_user_sgpr_queue_ptr 0
		.amdhsa_user_sgpr_kernarg_segment_ptr 1
		.amdhsa_user_sgpr_dispatch_id 0
		.amdhsa_user_sgpr_flat_scratch_init 0
		.amdhsa_user_sgpr_private_segment_size 0
		.amdhsa_uses_dynamic_stack 0
		.amdhsa_system_sgpr_private_segment_wavefront_offset 0
		.amdhsa_system_sgpr_workgroup_id_x 1
		.amdhsa_system_sgpr_workgroup_id_y 0
		.amdhsa_system_sgpr_workgroup_id_z 0
		.amdhsa_system_sgpr_workgroup_info 0
		.amdhsa_system_vgpr_workitem_id 0
		.amdhsa_next_free_vgpr 1
		.amdhsa_next_free_sgpr 0
		.amdhsa_reserve_vcc 0
		.amdhsa_reserve_flat_scratch 0
		.amdhsa_float_round_mode_32 0
		.amdhsa_float_round_mode_16_64 0
		.amdhsa_float_denorm_mode_32 3
		.amdhsa_float_denorm_mode_16_64 3
		.amdhsa_dx10_clamp 1
		.amdhsa_ieee_mode 1
		.amdhsa_fp16_overflow 0
		.amdhsa_exception_fp_ieee_invalid_op 0
		.amdhsa_exception_fp_denorm_src 0
		.amdhsa_exception_fp_ieee_div_zero 0
		.amdhsa_exception_fp_ieee_overflow 0
		.amdhsa_exception_fp_ieee_underflow 0
		.amdhsa_exception_fp_ieee_inexact 0
		.amdhsa_exception_int_div_zero 0
	.end_amdhsa_kernel
	.section	.text._ZN7rocprim17ROCPRIM_400000_NS6detail17trampoline_kernelINS0_14default_configENS1_22reduce_config_selectorIlEEZNS1_11reduce_implILb1ES3_N6thrust23THRUST_200600_302600_NS11hip_rocprim26transform_input_iterator_tIlNS8_12zip_iteratorINS8_5tupleINS8_6detail15normal_iteratorINS8_10device_ptrIiEEEESH_NS8_9null_typeESI_SI_SI_SI_SI_SI_SI_EEEENS9_21zip_adj_not_predicateINS8_8equal_toIiEEEEEEPllNS8_4plusIlEEEE10hipError_tPvRmT1_T2_T3_mT4_P12ihipStream_tbEUlT_E0_NS1_11comp_targetILNS1_3genE10ELNS1_11target_archE1200ELNS1_3gpuE4ELNS1_3repE0EEENS1_30default_config_static_selectorELNS0_4arch9wavefront6targetE1EEEvSW_,"axG",@progbits,_ZN7rocprim17ROCPRIM_400000_NS6detail17trampoline_kernelINS0_14default_configENS1_22reduce_config_selectorIlEEZNS1_11reduce_implILb1ES3_N6thrust23THRUST_200600_302600_NS11hip_rocprim26transform_input_iterator_tIlNS8_12zip_iteratorINS8_5tupleINS8_6detail15normal_iteratorINS8_10device_ptrIiEEEESH_NS8_9null_typeESI_SI_SI_SI_SI_SI_SI_EEEENS9_21zip_adj_not_predicateINS8_8equal_toIiEEEEEEPllNS8_4plusIlEEEE10hipError_tPvRmT1_T2_T3_mT4_P12ihipStream_tbEUlT_E0_NS1_11comp_targetILNS1_3genE10ELNS1_11target_archE1200ELNS1_3gpuE4ELNS1_3repE0EEENS1_30default_config_static_selectorELNS0_4arch9wavefront6targetE1EEEvSW_,comdat
.Lfunc_end965:
	.size	_ZN7rocprim17ROCPRIM_400000_NS6detail17trampoline_kernelINS0_14default_configENS1_22reduce_config_selectorIlEEZNS1_11reduce_implILb1ES3_N6thrust23THRUST_200600_302600_NS11hip_rocprim26transform_input_iterator_tIlNS8_12zip_iteratorINS8_5tupleINS8_6detail15normal_iteratorINS8_10device_ptrIiEEEESH_NS8_9null_typeESI_SI_SI_SI_SI_SI_SI_EEEENS9_21zip_adj_not_predicateINS8_8equal_toIiEEEEEEPllNS8_4plusIlEEEE10hipError_tPvRmT1_T2_T3_mT4_P12ihipStream_tbEUlT_E0_NS1_11comp_targetILNS1_3genE10ELNS1_11target_archE1200ELNS1_3gpuE4ELNS1_3repE0EEENS1_30default_config_static_selectorELNS0_4arch9wavefront6targetE1EEEvSW_, .Lfunc_end965-_ZN7rocprim17ROCPRIM_400000_NS6detail17trampoline_kernelINS0_14default_configENS1_22reduce_config_selectorIlEEZNS1_11reduce_implILb1ES3_N6thrust23THRUST_200600_302600_NS11hip_rocprim26transform_input_iterator_tIlNS8_12zip_iteratorINS8_5tupleINS8_6detail15normal_iteratorINS8_10device_ptrIiEEEESH_NS8_9null_typeESI_SI_SI_SI_SI_SI_SI_EEEENS9_21zip_adj_not_predicateINS8_8equal_toIiEEEEEEPllNS8_4plusIlEEEE10hipError_tPvRmT1_T2_T3_mT4_P12ihipStream_tbEUlT_E0_NS1_11comp_targetILNS1_3genE10ELNS1_11target_archE1200ELNS1_3gpuE4ELNS1_3repE0EEENS1_30default_config_static_selectorELNS0_4arch9wavefront6targetE1EEEvSW_
                                        ; -- End function
	.set _ZN7rocprim17ROCPRIM_400000_NS6detail17trampoline_kernelINS0_14default_configENS1_22reduce_config_selectorIlEEZNS1_11reduce_implILb1ES3_N6thrust23THRUST_200600_302600_NS11hip_rocprim26transform_input_iterator_tIlNS8_12zip_iteratorINS8_5tupleINS8_6detail15normal_iteratorINS8_10device_ptrIiEEEESH_NS8_9null_typeESI_SI_SI_SI_SI_SI_SI_EEEENS9_21zip_adj_not_predicateINS8_8equal_toIiEEEEEEPllNS8_4plusIlEEEE10hipError_tPvRmT1_T2_T3_mT4_P12ihipStream_tbEUlT_E0_NS1_11comp_targetILNS1_3genE10ELNS1_11target_archE1200ELNS1_3gpuE4ELNS1_3repE0EEENS1_30default_config_static_selectorELNS0_4arch9wavefront6targetE1EEEvSW_.num_vgpr, 0
	.set _ZN7rocprim17ROCPRIM_400000_NS6detail17trampoline_kernelINS0_14default_configENS1_22reduce_config_selectorIlEEZNS1_11reduce_implILb1ES3_N6thrust23THRUST_200600_302600_NS11hip_rocprim26transform_input_iterator_tIlNS8_12zip_iteratorINS8_5tupleINS8_6detail15normal_iteratorINS8_10device_ptrIiEEEESH_NS8_9null_typeESI_SI_SI_SI_SI_SI_SI_EEEENS9_21zip_adj_not_predicateINS8_8equal_toIiEEEEEEPllNS8_4plusIlEEEE10hipError_tPvRmT1_T2_T3_mT4_P12ihipStream_tbEUlT_E0_NS1_11comp_targetILNS1_3genE10ELNS1_11target_archE1200ELNS1_3gpuE4ELNS1_3repE0EEENS1_30default_config_static_selectorELNS0_4arch9wavefront6targetE1EEEvSW_.num_agpr, 0
	.set _ZN7rocprim17ROCPRIM_400000_NS6detail17trampoline_kernelINS0_14default_configENS1_22reduce_config_selectorIlEEZNS1_11reduce_implILb1ES3_N6thrust23THRUST_200600_302600_NS11hip_rocprim26transform_input_iterator_tIlNS8_12zip_iteratorINS8_5tupleINS8_6detail15normal_iteratorINS8_10device_ptrIiEEEESH_NS8_9null_typeESI_SI_SI_SI_SI_SI_SI_EEEENS9_21zip_adj_not_predicateINS8_8equal_toIiEEEEEEPllNS8_4plusIlEEEE10hipError_tPvRmT1_T2_T3_mT4_P12ihipStream_tbEUlT_E0_NS1_11comp_targetILNS1_3genE10ELNS1_11target_archE1200ELNS1_3gpuE4ELNS1_3repE0EEENS1_30default_config_static_selectorELNS0_4arch9wavefront6targetE1EEEvSW_.numbered_sgpr, 0
	.set _ZN7rocprim17ROCPRIM_400000_NS6detail17trampoline_kernelINS0_14default_configENS1_22reduce_config_selectorIlEEZNS1_11reduce_implILb1ES3_N6thrust23THRUST_200600_302600_NS11hip_rocprim26transform_input_iterator_tIlNS8_12zip_iteratorINS8_5tupleINS8_6detail15normal_iteratorINS8_10device_ptrIiEEEESH_NS8_9null_typeESI_SI_SI_SI_SI_SI_SI_EEEENS9_21zip_adj_not_predicateINS8_8equal_toIiEEEEEEPllNS8_4plusIlEEEE10hipError_tPvRmT1_T2_T3_mT4_P12ihipStream_tbEUlT_E0_NS1_11comp_targetILNS1_3genE10ELNS1_11target_archE1200ELNS1_3gpuE4ELNS1_3repE0EEENS1_30default_config_static_selectorELNS0_4arch9wavefront6targetE1EEEvSW_.num_named_barrier, 0
	.set _ZN7rocprim17ROCPRIM_400000_NS6detail17trampoline_kernelINS0_14default_configENS1_22reduce_config_selectorIlEEZNS1_11reduce_implILb1ES3_N6thrust23THRUST_200600_302600_NS11hip_rocprim26transform_input_iterator_tIlNS8_12zip_iteratorINS8_5tupleINS8_6detail15normal_iteratorINS8_10device_ptrIiEEEESH_NS8_9null_typeESI_SI_SI_SI_SI_SI_SI_EEEENS9_21zip_adj_not_predicateINS8_8equal_toIiEEEEEEPllNS8_4plusIlEEEE10hipError_tPvRmT1_T2_T3_mT4_P12ihipStream_tbEUlT_E0_NS1_11comp_targetILNS1_3genE10ELNS1_11target_archE1200ELNS1_3gpuE4ELNS1_3repE0EEENS1_30default_config_static_selectorELNS0_4arch9wavefront6targetE1EEEvSW_.private_seg_size, 0
	.set _ZN7rocprim17ROCPRIM_400000_NS6detail17trampoline_kernelINS0_14default_configENS1_22reduce_config_selectorIlEEZNS1_11reduce_implILb1ES3_N6thrust23THRUST_200600_302600_NS11hip_rocprim26transform_input_iterator_tIlNS8_12zip_iteratorINS8_5tupleINS8_6detail15normal_iteratorINS8_10device_ptrIiEEEESH_NS8_9null_typeESI_SI_SI_SI_SI_SI_SI_EEEENS9_21zip_adj_not_predicateINS8_8equal_toIiEEEEEEPllNS8_4plusIlEEEE10hipError_tPvRmT1_T2_T3_mT4_P12ihipStream_tbEUlT_E0_NS1_11comp_targetILNS1_3genE10ELNS1_11target_archE1200ELNS1_3gpuE4ELNS1_3repE0EEENS1_30default_config_static_selectorELNS0_4arch9wavefront6targetE1EEEvSW_.uses_vcc, 0
	.set _ZN7rocprim17ROCPRIM_400000_NS6detail17trampoline_kernelINS0_14default_configENS1_22reduce_config_selectorIlEEZNS1_11reduce_implILb1ES3_N6thrust23THRUST_200600_302600_NS11hip_rocprim26transform_input_iterator_tIlNS8_12zip_iteratorINS8_5tupleINS8_6detail15normal_iteratorINS8_10device_ptrIiEEEESH_NS8_9null_typeESI_SI_SI_SI_SI_SI_SI_EEEENS9_21zip_adj_not_predicateINS8_8equal_toIiEEEEEEPllNS8_4plusIlEEEE10hipError_tPvRmT1_T2_T3_mT4_P12ihipStream_tbEUlT_E0_NS1_11comp_targetILNS1_3genE10ELNS1_11target_archE1200ELNS1_3gpuE4ELNS1_3repE0EEENS1_30default_config_static_selectorELNS0_4arch9wavefront6targetE1EEEvSW_.uses_flat_scratch, 0
	.set _ZN7rocprim17ROCPRIM_400000_NS6detail17trampoline_kernelINS0_14default_configENS1_22reduce_config_selectorIlEEZNS1_11reduce_implILb1ES3_N6thrust23THRUST_200600_302600_NS11hip_rocprim26transform_input_iterator_tIlNS8_12zip_iteratorINS8_5tupleINS8_6detail15normal_iteratorINS8_10device_ptrIiEEEESH_NS8_9null_typeESI_SI_SI_SI_SI_SI_SI_EEEENS9_21zip_adj_not_predicateINS8_8equal_toIiEEEEEEPllNS8_4plusIlEEEE10hipError_tPvRmT1_T2_T3_mT4_P12ihipStream_tbEUlT_E0_NS1_11comp_targetILNS1_3genE10ELNS1_11target_archE1200ELNS1_3gpuE4ELNS1_3repE0EEENS1_30default_config_static_selectorELNS0_4arch9wavefront6targetE1EEEvSW_.has_dyn_sized_stack, 0
	.set _ZN7rocprim17ROCPRIM_400000_NS6detail17trampoline_kernelINS0_14default_configENS1_22reduce_config_selectorIlEEZNS1_11reduce_implILb1ES3_N6thrust23THRUST_200600_302600_NS11hip_rocprim26transform_input_iterator_tIlNS8_12zip_iteratorINS8_5tupleINS8_6detail15normal_iteratorINS8_10device_ptrIiEEEESH_NS8_9null_typeESI_SI_SI_SI_SI_SI_SI_EEEENS9_21zip_adj_not_predicateINS8_8equal_toIiEEEEEEPllNS8_4plusIlEEEE10hipError_tPvRmT1_T2_T3_mT4_P12ihipStream_tbEUlT_E0_NS1_11comp_targetILNS1_3genE10ELNS1_11target_archE1200ELNS1_3gpuE4ELNS1_3repE0EEENS1_30default_config_static_selectorELNS0_4arch9wavefront6targetE1EEEvSW_.has_recursion, 0
	.set _ZN7rocprim17ROCPRIM_400000_NS6detail17trampoline_kernelINS0_14default_configENS1_22reduce_config_selectorIlEEZNS1_11reduce_implILb1ES3_N6thrust23THRUST_200600_302600_NS11hip_rocprim26transform_input_iterator_tIlNS8_12zip_iteratorINS8_5tupleINS8_6detail15normal_iteratorINS8_10device_ptrIiEEEESH_NS8_9null_typeESI_SI_SI_SI_SI_SI_SI_EEEENS9_21zip_adj_not_predicateINS8_8equal_toIiEEEEEEPllNS8_4plusIlEEEE10hipError_tPvRmT1_T2_T3_mT4_P12ihipStream_tbEUlT_E0_NS1_11comp_targetILNS1_3genE10ELNS1_11target_archE1200ELNS1_3gpuE4ELNS1_3repE0EEENS1_30default_config_static_selectorELNS0_4arch9wavefront6targetE1EEEvSW_.has_indirect_call, 0
	.section	.AMDGPU.csdata,"",@progbits
; Kernel info:
; codeLenInByte = 0
; TotalNumSgprs: 4
; NumVgprs: 0
; ScratchSize: 0
; MemoryBound: 0
; FloatMode: 240
; IeeeMode: 1
; LDSByteSize: 0 bytes/workgroup (compile time only)
; SGPRBlocks: 0
; VGPRBlocks: 0
; NumSGPRsForWavesPerEU: 4
; NumVGPRsForWavesPerEU: 1
; Occupancy: 10
; WaveLimiterHint : 0
; COMPUTE_PGM_RSRC2:SCRATCH_EN: 0
; COMPUTE_PGM_RSRC2:USER_SGPR: 6
; COMPUTE_PGM_RSRC2:TRAP_HANDLER: 0
; COMPUTE_PGM_RSRC2:TGID_X_EN: 1
; COMPUTE_PGM_RSRC2:TGID_Y_EN: 0
; COMPUTE_PGM_RSRC2:TGID_Z_EN: 0
; COMPUTE_PGM_RSRC2:TIDIG_COMP_CNT: 0
	.section	.text._ZN7rocprim17ROCPRIM_400000_NS6detail17trampoline_kernelINS0_14default_configENS1_22reduce_config_selectorIlEEZNS1_11reduce_implILb1ES3_N6thrust23THRUST_200600_302600_NS11hip_rocprim26transform_input_iterator_tIlNS8_12zip_iteratorINS8_5tupleINS8_6detail15normal_iteratorINS8_10device_ptrIiEEEESH_NS8_9null_typeESI_SI_SI_SI_SI_SI_SI_EEEENS9_21zip_adj_not_predicateINS8_8equal_toIiEEEEEEPllNS8_4plusIlEEEE10hipError_tPvRmT1_T2_T3_mT4_P12ihipStream_tbEUlT_E0_NS1_11comp_targetILNS1_3genE9ELNS1_11target_archE1100ELNS1_3gpuE3ELNS1_3repE0EEENS1_30default_config_static_selectorELNS0_4arch9wavefront6targetE1EEEvSW_,"axG",@progbits,_ZN7rocprim17ROCPRIM_400000_NS6detail17trampoline_kernelINS0_14default_configENS1_22reduce_config_selectorIlEEZNS1_11reduce_implILb1ES3_N6thrust23THRUST_200600_302600_NS11hip_rocprim26transform_input_iterator_tIlNS8_12zip_iteratorINS8_5tupleINS8_6detail15normal_iteratorINS8_10device_ptrIiEEEESH_NS8_9null_typeESI_SI_SI_SI_SI_SI_SI_EEEENS9_21zip_adj_not_predicateINS8_8equal_toIiEEEEEEPllNS8_4plusIlEEEE10hipError_tPvRmT1_T2_T3_mT4_P12ihipStream_tbEUlT_E0_NS1_11comp_targetILNS1_3genE9ELNS1_11target_archE1100ELNS1_3gpuE3ELNS1_3repE0EEENS1_30default_config_static_selectorELNS0_4arch9wavefront6targetE1EEEvSW_,comdat
	.protected	_ZN7rocprim17ROCPRIM_400000_NS6detail17trampoline_kernelINS0_14default_configENS1_22reduce_config_selectorIlEEZNS1_11reduce_implILb1ES3_N6thrust23THRUST_200600_302600_NS11hip_rocprim26transform_input_iterator_tIlNS8_12zip_iteratorINS8_5tupleINS8_6detail15normal_iteratorINS8_10device_ptrIiEEEESH_NS8_9null_typeESI_SI_SI_SI_SI_SI_SI_EEEENS9_21zip_adj_not_predicateINS8_8equal_toIiEEEEEEPllNS8_4plusIlEEEE10hipError_tPvRmT1_T2_T3_mT4_P12ihipStream_tbEUlT_E0_NS1_11comp_targetILNS1_3genE9ELNS1_11target_archE1100ELNS1_3gpuE3ELNS1_3repE0EEENS1_30default_config_static_selectorELNS0_4arch9wavefront6targetE1EEEvSW_ ; -- Begin function _ZN7rocprim17ROCPRIM_400000_NS6detail17trampoline_kernelINS0_14default_configENS1_22reduce_config_selectorIlEEZNS1_11reduce_implILb1ES3_N6thrust23THRUST_200600_302600_NS11hip_rocprim26transform_input_iterator_tIlNS8_12zip_iteratorINS8_5tupleINS8_6detail15normal_iteratorINS8_10device_ptrIiEEEESH_NS8_9null_typeESI_SI_SI_SI_SI_SI_SI_EEEENS9_21zip_adj_not_predicateINS8_8equal_toIiEEEEEEPllNS8_4plusIlEEEE10hipError_tPvRmT1_T2_T3_mT4_P12ihipStream_tbEUlT_E0_NS1_11comp_targetILNS1_3genE9ELNS1_11target_archE1100ELNS1_3gpuE3ELNS1_3repE0EEENS1_30default_config_static_selectorELNS0_4arch9wavefront6targetE1EEEvSW_
	.globl	_ZN7rocprim17ROCPRIM_400000_NS6detail17trampoline_kernelINS0_14default_configENS1_22reduce_config_selectorIlEEZNS1_11reduce_implILb1ES3_N6thrust23THRUST_200600_302600_NS11hip_rocprim26transform_input_iterator_tIlNS8_12zip_iteratorINS8_5tupleINS8_6detail15normal_iteratorINS8_10device_ptrIiEEEESH_NS8_9null_typeESI_SI_SI_SI_SI_SI_SI_EEEENS9_21zip_adj_not_predicateINS8_8equal_toIiEEEEEEPllNS8_4plusIlEEEE10hipError_tPvRmT1_T2_T3_mT4_P12ihipStream_tbEUlT_E0_NS1_11comp_targetILNS1_3genE9ELNS1_11target_archE1100ELNS1_3gpuE3ELNS1_3repE0EEENS1_30default_config_static_selectorELNS0_4arch9wavefront6targetE1EEEvSW_
	.p2align	8
	.type	_ZN7rocprim17ROCPRIM_400000_NS6detail17trampoline_kernelINS0_14default_configENS1_22reduce_config_selectorIlEEZNS1_11reduce_implILb1ES3_N6thrust23THRUST_200600_302600_NS11hip_rocprim26transform_input_iterator_tIlNS8_12zip_iteratorINS8_5tupleINS8_6detail15normal_iteratorINS8_10device_ptrIiEEEESH_NS8_9null_typeESI_SI_SI_SI_SI_SI_SI_EEEENS9_21zip_adj_not_predicateINS8_8equal_toIiEEEEEEPllNS8_4plusIlEEEE10hipError_tPvRmT1_T2_T3_mT4_P12ihipStream_tbEUlT_E0_NS1_11comp_targetILNS1_3genE9ELNS1_11target_archE1100ELNS1_3gpuE3ELNS1_3repE0EEENS1_30default_config_static_selectorELNS0_4arch9wavefront6targetE1EEEvSW_,@function
_ZN7rocprim17ROCPRIM_400000_NS6detail17trampoline_kernelINS0_14default_configENS1_22reduce_config_selectorIlEEZNS1_11reduce_implILb1ES3_N6thrust23THRUST_200600_302600_NS11hip_rocprim26transform_input_iterator_tIlNS8_12zip_iteratorINS8_5tupleINS8_6detail15normal_iteratorINS8_10device_ptrIiEEEESH_NS8_9null_typeESI_SI_SI_SI_SI_SI_SI_EEEENS9_21zip_adj_not_predicateINS8_8equal_toIiEEEEEEPllNS8_4plusIlEEEE10hipError_tPvRmT1_T2_T3_mT4_P12ihipStream_tbEUlT_E0_NS1_11comp_targetILNS1_3genE9ELNS1_11target_archE1100ELNS1_3gpuE3ELNS1_3repE0EEENS1_30default_config_static_selectorELNS0_4arch9wavefront6targetE1EEEvSW_: ; @_ZN7rocprim17ROCPRIM_400000_NS6detail17trampoline_kernelINS0_14default_configENS1_22reduce_config_selectorIlEEZNS1_11reduce_implILb1ES3_N6thrust23THRUST_200600_302600_NS11hip_rocprim26transform_input_iterator_tIlNS8_12zip_iteratorINS8_5tupleINS8_6detail15normal_iteratorINS8_10device_ptrIiEEEESH_NS8_9null_typeESI_SI_SI_SI_SI_SI_SI_EEEENS9_21zip_adj_not_predicateINS8_8equal_toIiEEEEEEPllNS8_4plusIlEEEE10hipError_tPvRmT1_T2_T3_mT4_P12ihipStream_tbEUlT_E0_NS1_11comp_targetILNS1_3genE9ELNS1_11target_archE1100ELNS1_3gpuE3ELNS1_3repE0EEENS1_30default_config_static_selectorELNS0_4arch9wavefront6targetE1EEEvSW_
; %bb.0:
	.section	.rodata,"a",@progbits
	.p2align	6, 0x0
	.amdhsa_kernel _ZN7rocprim17ROCPRIM_400000_NS6detail17trampoline_kernelINS0_14default_configENS1_22reduce_config_selectorIlEEZNS1_11reduce_implILb1ES3_N6thrust23THRUST_200600_302600_NS11hip_rocprim26transform_input_iterator_tIlNS8_12zip_iteratorINS8_5tupleINS8_6detail15normal_iteratorINS8_10device_ptrIiEEEESH_NS8_9null_typeESI_SI_SI_SI_SI_SI_SI_EEEENS9_21zip_adj_not_predicateINS8_8equal_toIiEEEEEEPllNS8_4plusIlEEEE10hipError_tPvRmT1_T2_T3_mT4_P12ihipStream_tbEUlT_E0_NS1_11comp_targetILNS1_3genE9ELNS1_11target_archE1100ELNS1_3gpuE3ELNS1_3repE0EEENS1_30default_config_static_selectorELNS0_4arch9wavefront6targetE1EEEvSW_
		.amdhsa_group_segment_fixed_size 0
		.amdhsa_private_segment_fixed_size 0
		.amdhsa_kernarg_size 80
		.amdhsa_user_sgpr_count 6
		.amdhsa_user_sgpr_private_segment_buffer 1
		.amdhsa_user_sgpr_dispatch_ptr 0
		.amdhsa_user_sgpr_queue_ptr 0
		.amdhsa_user_sgpr_kernarg_segment_ptr 1
		.amdhsa_user_sgpr_dispatch_id 0
		.amdhsa_user_sgpr_flat_scratch_init 0
		.amdhsa_user_sgpr_private_segment_size 0
		.amdhsa_uses_dynamic_stack 0
		.amdhsa_system_sgpr_private_segment_wavefront_offset 0
		.amdhsa_system_sgpr_workgroup_id_x 1
		.amdhsa_system_sgpr_workgroup_id_y 0
		.amdhsa_system_sgpr_workgroup_id_z 0
		.amdhsa_system_sgpr_workgroup_info 0
		.amdhsa_system_vgpr_workitem_id 0
		.amdhsa_next_free_vgpr 1
		.amdhsa_next_free_sgpr 0
		.amdhsa_reserve_vcc 0
		.amdhsa_reserve_flat_scratch 0
		.amdhsa_float_round_mode_32 0
		.amdhsa_float_round_mode_16_64 0
		.amdhsa_float_denorm_mode_32 3
		.amdhsa_float_denorm_mode_16_64 3
		.amdhsa_dx10_clamp 1
		.amdhsa_ieee_mode 1
		.amdhsa_fp16_overflow 0
		.amdhsa_exception_fp_ieee_invalid_op 0
		.amdhsa_exception_fp_denorm_src 0
		.amdhsa_exception_fp_ieee_div_zero 0
		.amdhsa_exception_fp_ieee_overflow 0
		.amdhsa_exception_fp_ieee_underflow 0
		.amdhsa_exception_fp_ieee_inexact 0
		.amdhsa_exception_int_div_zero 0
	.end_amdhsa_kernel
	.section	.text._ZN7rocprim17ROCPRIM_400000_NS6detail17trampoline_kernelINS0_14default_configENS1_22reduce_config_selectorIlEEZNS1_11reduce_implILb1ES3_N6thrust23THRUST_200600_302600_NS11hip_rocprim26transform_input_iterator_tIlNS8_12zip_iteratorINS8_5tupleINS8_6detail15normal_iteratorINS8_10device_ptrIiEEEESH_NS8_9null_typeESI_SI_SI_SI_SI_SI_SI_EEEENS9_21zip_adj_not_predicateINS8_8equal_toIiEEEEEEPllNS8_4plusIlEEEE10hipError_tPvRmT1_T2_T3_mT4_P12ihipStream_tbEUlT_E0_NS1_11comp_targetILNS1_3genE9ELNS1_11target_archE1100ELNS1_3gpuE3ELNS1_3repE0EEENS1_30default_config_static_selectorELNS0_4arch9wavefront6targetE1EEEvSW_,"axG",@progbits,_ZN7rocprim17ROCPRIM_400000_NS6detail17trampoline_kernelINS0_14default_configENS1_22reduce_config_selectorIlEEZNS1_11reduce_implILb1ES3_N6thrust23THRUST_200600_302600_NS11hip_rocprim26transform_input_iterator_tIlNS8_12zip_iteratorINS8_5tupleINS8_6detail15normal_iteratorINS8_10device_ptrIiEEEESH_NS8_9null_typeESI_SI_SI_SI_SI_SI_SI_EEEENS9_21zip_adj_not_predicateINS8_8equal_toIiEEEEEEPllNS8_4plusIlEEEE10hipError_tPvRmT1_T2_T3_mT4_P12ihipStream_tbEUlT_E0_NS1_11comp_targetILNS1_3genE9ELNS1_11target_archE1100ELNS1_3gpuE3ELNS1_3repE0EEENS1_30default_config_static_selectorELNS0_4arch9wavefront6targetE1EEEvSW_,comdat
.Lfunc_end966:
	.size	_ZN7rocprim17ROCPRIM_400000_NS6detail17trampoline_kernelINS0_14default_configENS1_22reduce_config_selectorIlEEZNS1_11reduce_implILb1ES3_N6thrust23THRUST_200600_302600_NS11hip_rocprim26transform_input_iterator_tIlNS8_12zip_iteratorINS8_5tupleINS8_6detail15normal_iteratorINS8_10device_ptrIiEEEESH_NS8_9null_typeESI_SI_SI_SI_SI_SI_SI_EEEENS9_21zip_adj_not_predicateINS8_8equal_toIiEEEEEEPllNS8_4plusIlEEEE10hipError_tPvRmT1_T2_T3_mT4_P12ihipStream_tbEUlT_E0_NS1_11comp_targetILNS1_3genE9ELNS1_11target_archE1100ELNS1_3gpuE3ELNS1_3repE0EEENS1_30default_config_static_selectorELNS0_4arch9wavefront6targetE1EEEvSW_, .Lfunc_end966-_ZN7rocprim17ROCPRIM_400000_NS6detail17trampoline_kernelINS0_14default_configENS1_22reduce_config_selectorIlEEZNS1_11reduce_implILb1ES3_N6thrust23THRUST_200600_302600_NS11hip_rocprim26transform_input_iterator_tIlNS8_12zip_iteratorINS8_5tupleINS8_6detail15normal_iteratorINS8_10device_ptrIiEEEESH_NS8_9null_typeESI_SI_SI_SI_SI_SI_SI_EEEENS9_21zip_adj_not_predicateINS8_8equal_toIiEEEEEEPllNS8_4plusIlEEEE10hipError_tPvRmT1_T2_T3_mT4_P12ihipStream_tbEUlT_E0_NS1_11comp_targetILNS1_3genE9ELNS1_11target_archE1100ELNS1_3gpuE3ELNS1_3repE0EEENS1_30default_config_static_selectorELNS0_4arch9wavefront6targetE1EEEvSW_
                                        ; -- End function
	.set _ZN7rocprim17ROCPRIM_400000_NS6detail17trampoline_kernelINS0_14default_configENS1_22reduce_config_selectorIlEEZNS1_11reduce_implILb1ES3_N6thrust23THRUST_200600_302600_NS11hip_rocprim26transform_input_iterator_tIlNS8_12zip_iteratorINS8_5tupleINS8_6detail15normal_iteratorINS8_10device_ptrIiEEEESH_NS8_9null_typeESI_SI_SI_SI_SI_SI_SI_EEEENS9_21zip_adj_not_predicateINS8_8equal_toIiEEEEEEPllNS8_4plusIlEEEE10hipError_tPvRmT1_T2_T3_mT4_P12ihipStream_tbEUlT_E0_NS1_11comp_targetILNS1_3genE9ELNS1_11target_archE1100ELNS1_3gpuE3ELNS1_3repE0EEENS1_30default_config_static_selectorELNS0_4arch9wavefront6targetE1EEEvSW_.num_vgpr, 0
	.set _ZN7rocprim17ROCPRIM_400000_NS6detail17trampoline_kernelINS0_14default_configENS1_22reduce_config_selectorIlEEZNS1_11reduce_implILb1ES3_N6thrust23THRUST_200600_302600_NS11hip_rocprim26transform_input_iterator_tIlNS8_12zip_iteratorINS8_5tupleINS8_6detail15normal_iteratorINS8_10device_ptrIiEEEESH_NS8_9null_typeESI_SI_SI_SI_SI_SI_SI_EEEENS9_21zip_adj_not_predicateINS8_8equal_toIiEEEEEEPllNS8_4plusIlEEEE10hipError_tPvRmT1_T2_T3_mT4_P12ihipStream_tbEUlT_E0_NS1_11comp_targetILNS1_3genE9ELNS1_11target_archE1100ELNS1_3gpuE3ELNS1_3repE0EEENS1_30default_config_static_selectorELNS0_4arch9wavefront6targetE1EEEvSW_.num_agpr, 0
	.set _ZN7rocprim17ROCPRIM_400000_NS6detail17trampoline_kernelINS0_14default_configENS1_22reduce_config_selectorIlEEZNS1_11reduce_implILb1ES3_N6thrust23THRUST_200600_302600_NS11hip_rocprim26transform_input_iterator_tIlNS8_12zip_iteratorINS8_5tupleINS8_6detail15normal_iteratorINS8_10device_ptrIiEEEESH_NS8_9null_typeESI_SI_SI_SI_SI_SI_SI_EEEENS9_21zip_adj_not_predicateINS8_8equal_toIiEEEEEEPllNS8_4plusIlEEEE10hipError_tPvRmT1_T2_T3_mT4_P12ihipStream_tbEUlT_E0_NS1_11comp_targetILNS1_3genE9ELNS1_11target_archE1100ELNS1_3gpuE3ELNS1_3repE0EEENS1_30default_config_static_selectorELNS0_4arch9wavefront6targetE1EEEvSW_.numbered_sgpr, 0
	.set _ZN7rocprim17ROCPRIM_400000_NS6detail17trampoline_kernelINS0_14default_configENS1_22reduce_config_selectorIlEEZNS1_11reduce_implILb1ES3_N6thrust23THRUST_200600_302600_NS11hip_rocprim26transform_input_iterator_tIlNS8_12zip_iteratorINS8_5tupleINS8_6detail15normal_iteratorINS8_10device_ptrIiEEEESH_NS8_9null_typeESI_SI_SI_SI_SI_SI_SI_EEEENS9_21zip_adj_not_predicateINS8_8equal_toIiEEEEEEPllNS8_4plusIlEEEE10hipError_tPvRmT1_T2_T3_mT4_P12ihipStream_tbEUlT_E0_NS1_11comp_targetILNS1_3genE9ELNS1_11target_archE1100ELNS1_3gpuE3ELNS1_3repE0EEENS1_30default_config_static_selectorELNS0_4arch9wavefront6targetE1EEEvSW_.num_named_barrier, 0
	.set _ZN7rocprim17ROCPRIM_400000_NS6detail17trampoline_kernelINS0_14default_configENS1_22reduce_config_selectorIlEEZNS1_11reduce_implILb1ES3_N6thrust23THRUST_200600_302600_NS11hip_rocprim26transform_input_iterator_tIlNS8_12zip_iteratorINS8_5tupleINS8_6detail15normal_iteratorINS8_10device_ptrIiEEEESH_NS8_9null_typeESI_SI_SI_SI_SI_SI_SI_EEEENS9_21zip_adj_not_predicateINS8_8equal_toIiEEEEEEPllNS8_4plusIlEEEE10hipError_tPvRmT1_T2_T3_mT4_P12ihipStream_tbEUlT_E0_NS1_11comp_targetILNS1_3genE9ELNS1_11target_archE1100ELNS1_3gpuE3ELNS1_3repE0EEENS1_30default_config_static_selectorELNS0_4arch9wavefront6targetE1EEEvSW_.private_seg_size, 0
	.set _ZN7rocprim17ROCPRIM_400000_NS6detail17trampoline_kernelINS0_14default_configENS1_22reduce_config_selectorIlEEZNS1_11reduce_implILb1ES3_N6thrust23THRUST_200600_302600_NS11hip_rocprim26transform_input_iterator_tIlNS8_12zip_iteratorINS8_5tupleINS8_6detail15normal_iteratorINS8_10device_ptrIiEEEESH_NS8_9null_typeESI_SI_SI_SI_SI_SI_SI_EEEENS9_21zip_adj_not_predicateINS8_8equal_toIiEEEEEEPllNS8_4plusIlEEEE10hipError_tPvRmT1_T2_T3_mT4_P12ihipStream_tbEUlT_E0_NS1_11comp_targetILNS1_3genE9ELNS1_11target_archE1100ELNS1_3gpuE3ELNS1_3repE0EEENS1_30default_config_static_selectorELNS0_4arch9wavefront6targetE1EEEvSW_.uses_vcc, 0
	.set _ZN7rocprim17ROCPRIM_400000_NS6detail17trampoline_kernelINS0_14default_configENS1_22reduce_config_selectorIlEEZNS1_11reduce_implILb1ES3_N6thrust23THRUST_200600_302600_NS11hip_rocprim26transform_input_iterator_tIlNS8_12zip_iteratorINS8_5tupleINS8_6detail15normal_iteratorINS8_10device_ptrIiEEEESH_NS8_9null_typeESI_SI_SI_SI_SI_SI_SI_EEEENS9_21zip_adj_not_predicateINS8_8equal_toIiEEEEEEPllNS8_4plusIlEEEE10hipError_tPvRmT1_T2_T3_mT4_P12ihipStream_tbEUlT_E0_NS1_11comp_targetILNS1_3genE9ELNS1_11target_archE1100ELNS1_3gpuE3ELNS1_3repE0EEENS1_30default_config_static_selectorELNS0_4arch9wavefront6targetE1EEEvSW_.uses_flat_scratch, 0
	.set _ZN7rocprim17ROCPRIM_400000_NS6detail17trampoline_kernelINS0_14default_configENS1_22reduce_config_selectorIlEEZNS1_11reduce_implILb1ES3_N6thrust23THRUST_200600_302600_NS11hip_rocprim26transform_input_iterator_tIlNS8_12zip_iteratorINS8_5tupleINS8_6detail15normal_iteratorINS8_10device_ptrIiEEEESH_NS8_9null_typeESI_SI_SI_SI_SI_SI_SI_EEEENS9_21zip_adj_not_predicateINS8_8equal_toIiEEEEEEPllNS8_4plusIlEEEE10hipError_tPvRmT1_T2_T3_mT4_P12ihipStream_tbEUlT_E0_NS1_11comp_targetILNS1_3genE9ELNS1_11target_archE1100ELNS1_3gpuE3ELNS1_3repE0EEENS1_30default_config_static_selectorELNS0_4arch9wavefront6targetE1EEEvSW_.has_dyn_sized_stack, 0
	.set _ZN7rocprim17ROCPRIM_400000_NS6detail17trampoline_kernelINS0_14default_configENS1_22reduce_config_selectorIlEEZNS1_11reduce_implILb1ES3_N6thrust23THRUST_200600_302600_NS11hip_rocprim26transform_input_iterator_tIlNS8_12zip_iteratorINS8_5tupleINS8_6detail15normal_iteratorINS8_10device_ptrIiEEEESH_NS8_9null_typeESI_SI_SI_SI_SI_SI_SI_EEEENS9_21zip_adj_not_predicateINS8_8equal_toIiEEEEEEPllNS8_4plusIlEEEE10hipError_tPvRmT1_T2_T3_mT4_P12ihipStream_tbEUlT_E0_NS1_11comp_targetILNS1_3genE9ELNS1_11target_archE1100ELNS1_3gpuE3ELNS1_3repE0EEENS1_30default_config_static_selectorELNS0_4arch9wavefront6targetE1EEEvSW_.has_recursion, 0
	.set _ZN7rocprim17ROCPRIM_400000_NS6detail17trampoline_kernelINS0_14default_configENS1_22reduce_config_selectorIlEEZNS1_11reduce_implILb1ES3_N6thrust23THRUST_200600_302600_NS11hip_rocprim26transform_input_iterator_tIlNS8_12zip_iteratorINS8_5tupleINS8_6detail15normal_iteratorINS8_10device_ptrIiEEEESH_NS8_9null_typeESI_SI_SI_SI_SI_SI_SI_EEEENS9_21zip_adj_not_predicateINS8_8equal_toIiEEEEEEPllNS8_4plusIlEEEE10hipError_tPvRmT1_T2_T3_mT4_P12ihipStream_tbEUlT_E0_NS1_11comp_targetILNS1_3genE9ELNS1_11target_archE1100ELNS1_3gpuE3ELNS1_3repE0EEENS1_30default_config_static_selectorELNS0_4arch9wavefront6targetE1EEEvSW_.has_indirect_call, 0
	.section	.AMDGPU.csdata,"",@progbits
; Kernel info:
; codeLenInByte = 0
; TotalNumSgprs: 4
; NumVgprs: 0
; ScratchSize: 0
; MemoryBound: 0
; FloatMode: 240
; IeeeMode: 1
; LDSByteSize: 0 bytes/workgroup (compile time only)
; SGPRBlocks: 0
; VGPRBlocks: 0
; NumSGPRsForWavesPerEU: 4
; NumVGPRsForWavesPerEU: 1
; Occupancy: 10
; WaveLimiterHint : 0
; COMPUTE_PGM_RSRC2:SCRATCH_EN: 0
; COMPUTE_PGM_RSRC2:USER_SGPR: 6
; COMPUTE_PGM_RSRC2:TRAP_HANDLER: 0
; COMPUTE_PGM_RSRC2:TGID_X_EN: 1
; COMPUTE_PGM_RSRC2:TGID_Y_EN: 0
; COMPUTE_PGM_RSRC2:TGID_Z_EN: 0
; COMPUTE_PGM_RSRC2:TIDIG_COMP_CNT: 0
	.section	.text._ZN7rocprim17ROCPRIM_400000_NS6detail17trampoline_kernelINS0_14default_configENS1_22reduce_config_selectorIlEEZNS1_11reduce_implILb1ES3_N6thrust23THRUST_200600_302600_NS11hip_rocprim26transform_input_iterator_tIlNS8_12zip_iteratorINS8_5tupleINS8_6detail15normal_iteratorINS8_10device_ptrIiEEEESH_NS8_9null_typeESI_SI_SI_SI_SI_SI_SI_EEEENS9_21zip_adj_not_predicateINS8_8equal_toIiEEEEEEPllNS8_4plusIlEEEE10hipError_tPvRmT1_T2_T3_mT4_P12ihipStream_tbEUlT_E0_NS1_11comp_targetILNS1_3genE8ELNS1_11target_archE1030ELNS1_3gpuE2ELNS1_3repE0EEENS1_30default_config_static_selectorELNS0_4arch9wavefront6targetE1EEEvSW_,"axG",@progbits,_ZN7rocprim17ROCPRIM_400000_NS6detail17trampoline_kernelINS0_14default_configENS1_22reduce_config_selectorIlEEZNS1_11reduce_implILb1ES3_N6thrust23THRUST_200600_302600_NS11hip_rocprim26transform_input_iterator_tIlNS8_12zip_iteratorINS8_5tupleINS8_6detail15normal_iteratorINS8_10device_ptrIiEEEESH_NS8_9null_typeESI_SI_SI_SI_SI_SI_SI_EEEENS9_21zip_adj_not_predicateINS8_8equal_toIiEEEEEEPllNS8_4plusIlEEEE10hipError_tPvRmT1_T2_T3_mT4_P12ihipStream_tbEUlT_E0_NS1_11comp_targetILNS1_3genE8ELNS1_11target_archE1030ELNS1_3gpuE2ELNS1_3repE0EEENS1_30default_config_static_selectorELNS0_4arch9wavefront6targetE1EEEvSW_,comdat
	.protected	_ZN7rocprim17ROCPRIM_400000_NS6detail17trampoline_kernelINS0_14default_configENS1_22reduce_config_selectorIlEEZNS1_11reduce_implILb1ES3_N6thrust23THRUST_200600_302600_NS11hip_rocprim26transform_input_iterator_tIlNS8_12zip_iteratorINS8_5tupleINS8_6detail15normal_iteratorINS8_10device_ptrIiEEEESH_NS8_9null_typeESI_SI_SI_SI_SI_SI_SI_EEEENS9_21zip_adj_not_predicateINS8_8equal_toIiEEEEEEPllNS8_4plusIlEEEE10hipError_tPvRmT1_T2_T3_mT4_P12ihipStream_tbEUlT_E0_NS1_11comp_targetILNS1_3genE8ELNS1_11target_archE1030ELNS1_3gpuE2ELNS1_3repE0EEENS1_30default_config_static_selectorELNS0_4arch9wavefront6targetE1EEEvSW_ ; -- Begin function _ZN7rocprim17ROCPRIM_400000_NS6detail17trampoline_kernelINS0_14default_configENS1_22reduce_config_selectorIlEEZNS1_11reduce_implILb1ES3_N6thrust23THRUST_200600_302600_NS11hip_rocprim26transform_input_iterator_tIlNS8_12zip_iteratorINS8_5tupleINS8_6detail15normal_iteratorINS8_10device_ptrIiEEEESH_NS8_9null_typeESI_SI_SI_SI_SI_SI_SI_EEEENS9_21zip_adj_not_predicateINS8_8equal_toIiEEEEEEPllNS8_4plusIlEEEE10hipError_tPvRmT1_T2_T3_mT4_P12ihipStream_tbEUlT_E0_NS1_11comp_targetILNS1_3genE8ELNS1_11target_archE1030ELNS1_3gpuE2ELNS1_3repE0EEENS1_30default_config_static_selectorELNS0_4arch9wavefront6targetE1EEEvSW_
	.globl	_ZN7rocprim17ROCPRIM_400000_NS6detail17trampoline_kernelINS0_14default_configENS1_22reduce_config_selectorIlEEZNS1_11reduce_implILb1ES3_N6thrust23THRUST_200600_302600_NS11hip_rocprim26transform_input_iterator_tIlNS8_12zip_iteratorINS8_5tupleINS8_6detail15normal_iteratorINS8_10device_ptrIiEEEESH_NS8_9null_typeESI_SI_SI_SI_SI_SI_SI_EEEENS9_21zip_adj_not_predicateINS8_8equal_toIiEEEEEEPllNS8_4plusIlEEEE10hipError_tPvRmT1_T2_T3_mT4_P12ihipStream_tbEUlT_E0_NS1_11comp_targetILNS1_3genE8ELNS1_11target_archE1030ELNS1_3gpuE2ELNS1_3repE0EEENS1_30default_config_static_selectorELNS0_4arch9wavefront6targetE1EEEvSW_
	.p2align	8
	.type	_ZN7rocprim17ROCPRIM_400000_NS6detail17trampoline_kernelINS0_14default_configENS1_22reduce_config_selectorIlEEZNS1_11reduce_implILb1ES3_N6thrust23THRUST_200600_302600_NS11hip_rocprim26transform_input_iterator_tIlNS8_12zip_iteratorINS8_5tupleINS8_6detail15normal_iteratorINS8_10device_ptrIiEEEESH_NS8_9null_typeESI_SI_SI_SI_SI_SI_SI_EEEENS9_21zip_adj_not_predicateINS8_8equal_toIiEEEEEEPllNS8_4plusIlEEEE10hipError_tPvRmT1_T2_T3_mT4_P12ihipStream_tbEUlT_E0_NS1_11comp_targetILNS1_3genE8ELNS1_11target_archE1030ELNS1_3gpuE2ELNS1_3repE0EEENS1_30default_config_static_selectorELNS0_4arch9wavefront6targetE1EEEvSW_,@function
_ZN7rocprim17ROCPRIM_400000_NS6detail17trampoline_kernelINS0_14default_configENS1_22reduce_config_selectorIlEEZNS1_11reduce_implILb1ES3_N6thrust23THRUST_200600_302600_NS11hip_rocprim26transform_input_iterator_tIlNS8_12zip_iteratorINS8_5tupleINS8_6detail15normal_iteratorINS8_10device_ptrIiEEEESH_NS8_9null_typeESI_SI_SI_SI_SI_SI_SI_EEEENS9_21zip_adj_not_predicateINS8_8equal_toIiEEEEEEPllNS8_4plusIlEEEE10hipError_tPvRmT1_T2_T3_mT4_P12ihipStream_tbEUlT_E0_NS1_11comp_targetILNS1_3genE8ELNS1_11target_archE1030ELNS1_3gpuE2ELNS1_3repE0EEENS1_30default_config_static_selectorELNS0_4arch9wavefront6targetE1EEEvSW_: ; @_ZN7rocprim17ROCPRIM_400000_NS6detail17trampoline_kernelINS0_14default_configENS1_22reduce_config_selectorIlEEZNS1_11reduce_implILb1ES3_N6thrust23THRUST_200600_302600_NS11hip_rocprim26transform_input_iterator_tIlNS8_12zip_iteratorINS8_5tupleINS8_6detail15normal_iteratorINS8_10device_ptrIiEEEESH_NS8_9null_typeESI_SI_SI_SI_SI_SI_SI_EEEENS9_21zip_adj_not_predicateINS8_8equal_toIiEEEEEEPllNS8_4plusIlEEEE10hipError_tPvRmT1_T2_T3_mT4_P12ihipStream_tbEUlT_E0_NS1_11comp_targetILNS1_3genE8ELNS1_11target_archE1030ELNS1_3gpuE2ELNS1_3repE0EEENS1_30default_config_static_selectorELNS0_4arch9wavefront6targetE1EEEvSW_
; %bb.0:
	.section	.rodata,"a",@progbits
	.p2align	6, 0x0
	.amdhsa_kernel _ZN7rocprim17ROCPRIM_400000_NS6detail17trampoline_kernelINS0_14default_configENS1_22reduce_config_selectorIlEEZNS1_11reduce_implILb1ES3_N6thrust23THRUST_200600_302600_NS11hip_rocprim26transform_input_iterator_tIlNS8_12zip_iteratorINS8_5tupleINS8_6detail15normal_iteratorINS8_10device_ptrIiEEEESH_NS8_9null_typeESI_SI_SI_SI_SI_SI_SI_EEEENS9_21zip_adj_not_predicateINS8_8equal_toIiEEEEEEPllNS8_4plusIlEEEE10hipError_tPvRmT1_T2_T3_mT4_P12ihipStream_tbEUlT_E0_NS1_11comp_targetILNS1_3genE8ELNS1_11target_archE1030ELNS1_3gpuE2ELNS1_3repE0EEENS1_30default_config_static_selectorELNS0_4arch9wavefront6targetE1EEEvSW_
		.amdhsa_group_segment_fixed_size 0
		.amdhsa_private_segment_fixed_size 0
		.amdhsa_kernarg_size 80
		.amdhsa_user_sgpr_count 6
		.amdhsa_user_sgpr_private_segment_buffer 1
		.amdhsa_user_sgpr_dispatch_ptr 0
		.amdhsa_user_sgpr_queue_ptr 0
		.amdhsa_user_sgpr_kernarg_segment_ptr 1
		.amdhsa_user_sgpr_dispatch_id 0
		.amdhsa_user_sgpr_flat_scratch_init 0
		.amdhsa_user_sgpr_private_segment_size 0
		.amdhsa_uses_dynamic_stack 0
		.amdhsa_system_sgpr_private_segment_wavefront_offset 0
		.amdhsa_system_sgpr_workgroup_id_x 1
		.amdhsa_system_sgpr_workgroup_id_y 0
		.amdhsa_system_sgpr_workgroup_id_z 0
		.amdhsa_system_sgpr_workgroup_info 0
		.amdhsa_system_vgpr_workitem_id 0
		.amdhsa_next_free_vgpr 1
		.amdhsa_next_free_sgpr 0
		.amdhsa_reserve_vcc 0
		.amdhsa_reserve_flat_scratch 0
		.amdhsa_float_round_mode_32 0
		.amdhsa_float_round_mode_16_64 0
		.amdhsa_float_denorm_mode_32 3
		.amdhsa_float_denorm_mode_16_64 3
		.amdhsa_dx10_clamp 1
		.amdhsa_ieee_mode 1
		.amdhsa_fp16_overflow 0
		.amdhsa_exception_fp_ieee_invalid_op 0
		.amdhsa_exception_fp_denorm_src 0
		.amdhsa_exception_fp_ieee_div_zero 0
		.amdhsa_exception_fp_ieee_overflow 0
		.amdhsa_exception_fp_ieee_underflow 0
		.amdhsa_exception_fp_ieee_inexact 0
		.amdhsa_exception_int_div_zero 0
	.end_amdhsa_kernel
	.section	.text._ZN7rocprim17ROCPRIM_400000_NS6detail17trampoline_kernelINS0_14default_configENS1_22reduce_config_selectorIlEEZNS1_11reduce_implILb1ES3_N6thrust23THRUST_200600_302600_NS11hip_rocprim26transform_input_iterator_tIlNS8_12zip_iteratorINS8_5tupleINS8_6detail15normal_iteratorINS8_10device_ptrIiEEEESH_NS8_9null_typeESI_SI_SI_SI_SI_SI_SI_EEEENS9_21zip_adj_not_predicateINS8_8equal_toIiEEEEEEPllNS8_4plusIlEEEE10hipError_tPvRmT1_T2_T3_mT4_P12ihipStream_tbEUlT_E0_NS1_11comp_targetILNS1_3genE8ELNS1_11target_archE1030ELNS1_3gpuE2ELNS1_3repE0EEENS1_30default_config_static_selectorELNS0_4arch9wavefront6targetE1EEEvSW_,"axG",@progbits,_ZN7rocprim17ROCPRIM_400000_NS6detail17trampoline_kernelINS0_14default_configENS1_22reduce_config_selectorIlEEZNS1_11reduce_implILb1ES3_N6thrust23THRUST_200600_302600_NS11hip_rocprim26transform_input_iterator_tIlNS8_12zip_iteratorINS8_5tupleINS8_6detail15normal_iteratorINS8_10device_ptrIiEEEESH_NS8_9null_typeESI_SI_SI_SI_SI_SI_SI_EEEENS9_21zip_adj_not_predicateINS8_8equal_toIiEEEEEEPllNS8_4plusIlEEEE10hipError_tPvRmT1_T2_T3_mT4_P12ihipStream_tbEUlT_E0_NS1_11comp_targetILNS1_3genE8ELNS1_11target_archE1030ELNS1_3gpuE2ELNS1_3repE0EEENS1_30default_config_static_selectorELNS0_4arch9wavefront6targetE1EEEvSW_,comdat
.Lfunc_end967:
	.size	_ZN7rocprim17ROCPRIM_400000_NS6detail17trampoline_kernelINS0_14default_configENS1_22reduce_config_selectorIlEEZNS1_11reduce_implILb1ES3_N6thrust23THRUST_200600_302600_NS11hip_rocprim26transform_input_iterator_tIlNS8_12zip_iteratorINS8_5tupleINS8_6detail15normal_iteratorINS8_10device_ptrIiEEEESH_NS8_9null_typeESI_SI_SI_SI_SI_SI_SI_EEEENS9_21zip_adj_not_predicateINS8_8equal_toIiEEEEEEPllNS8_4plusIlEEEE10hipError_tPvRmT1_T2_T3_mT4_P12ihipStream_tbEUlT_E0_NS1_11comp_targetILNS1_3genE8ELNS1_11target_archE1030ELNS1_3gpuE2ELNS1_3repE0EEENS1_30default_config_static_selectorELNS0_4arch9wavefront6targetE1EEEvSW_, .Lfunc_end967-_ZN7rocprim17ROCPRIM_400000_NS6detail17trampoline_kernelINS0_14default_configENS1_22reduce_config_selectorIlEEZNS1_11reduce_implILb1ES3_N6thrust23THRUST_200600_302600_NS11hip_rocprim26transform_input_iterator_tIlNS8_12zip_iteratorINS8_5tupleINS8_6detail15normal_iteratorINS8_10device_ptrIiEEEESH_NS8_9null_typeESI_SI_SI_SI_SI_SI_SI_EEEENS9_21zip_adj_not_predicateINS8_8equal_toIiEEEEEEPllNS8_4plusIlEEEE10hipError_tPvRmT1_T2_T3_mT4_P12ihipStream_tbEUlT_E0_NS1_11comp_targetILNS1_3genE8ELNS1_11target_archE1030ELNS1_3gpuE2ELNS1_3repE0EEENS1_30default_config_static_selectorELNS0_4arch9wavefront6targetE1EEEvSW_
                                        ; -- End function
	.set _ZN7rocprim17ROCPRIM_400000_NS6detail17trampoline_kernelINS0_14default_configENS1_22reduce_config_selectorIlEEZNS1_11reduce_implILb1ES3_N6thrust23THRUST_200600_302600_NS11hip_rocprim26transform_input_iterator_tIlNS8_12zip_iteratorINS8_5tupleINS8_6detail15normal_iteratorINS8_10device_ptrIiEEEESH_NS8_9null_typeESI_SI_SI_SI_SI_SI_SI_EEEENS9_21zip_adj_not_predicateINS8_8equal_toIiEEEEEEPllNS8_4plusIlEEEE10hipError_tPvRmT1_T2_T3_mT4_P12ihipStream_tbEUlT_E0_NS1_11comp_targetILNS1_3genE8ELNS1_11target_archE1030ELNS1_3gpuE2ELNS1_3repE0EEENS1_30default_config_static_selectorELNS0_4arch9wavefront6targetE1EEEvSW_.num_vgpr, 0
	.set _ZN7rocprim17ROCPRIM_400000_NS6detail17trampoline_kernelINS0_14default_configENS1_22reduce_config_selectorIlEEZNS1_11reduce_implILb1ES3_N6thrust23THRUST_200600_302600_NS11hip_rocprim26transform_input_iterator_tIlNS8_12zip_iteratorINS8_5tupleINS8_6detail15normal_iteratorINS8_10device_ptrIiEEEESH_NS8_9null_typeESI_SI_SI_SI_SI_SI_SI_EEEENS9_21zip_adj_not_predicateINS8_8equal_toIiEEEEEEPllNS8_4plusIlEEEE10hipError_tPvRmT1_T2_T3_mT4_P12ihipStream_tbEUlT_E0_NS1_11comp_targetILNS1_3genE8ELNS1_11target_archE1030ELNS1_3gpuE2ELNS1_3repE0EEENS1_30default_config_static_selectorELNS0_4arch9wavefront6targetE1EEEvSW_.num_agpr, 0
	.set _ZN7rocprim17ROCPRIM_400000_NS6detail17trampoline_kernelINS0_14default_configENS1_22reduce_config_selectorIlEEZNS1_11reduce_implILb1ES3_N6thrust23THRUST_200600_302600_NS11hip_rocprim26transform_input_iterator_tIlNS8_12zip_iteratorINS8_5tupleINS8_6detail15normal_iteratorINS8_10device_ptrIiEEEESH_NS8_9null_typeESI_SI_SI_SI_SI_SI_SI_EEEENS9_21zip_adj_not_predicateINS8_8equal_toIiEEEEEEPllNS8_4plusIlEEEE10hipError_tPvRmT1_T2_T3_mT4_P12ihipStream_tbEUlT_E0_NS1_11comp_targetILNS1_3genE8ELNS1_11target_archE1030ELNS1_3gpuE2ELNS1_3repE0EEENS1_30default_config_static_selectorELNS0_4arch9wavefront6targetE1EEEvSW_.numbered_sgpr, 0
	.set _ZN7rocprim17ROCPRIM_400000_NS6detail17trampoline_kernelINS0_14default_configENS1_22reduce_config_selectorIlEEZNS1_11reduce_implILb1ES3_N6thrust23THRUST_200600_302600_NS11hip_rocprim26transform_input_iterator_tIlNS8_12zip_iteratorINS8_5tupleINS8_6detail15normal_iteratorINS8_10device_ptrIiEEEESH_NS8_9null_typeESI_SI_SI_SI_SI_SI_SI_EEEENS9_21zip_adj_not_predicateINS8_8equal_toIiEEEEEEPllNS8_4plusIlEEEE10hipError_tPvRmT1_T2_T3_mT4_P12ihipStream_tbEUlT_E0_NS1_11comp_targetILNS1_3genE8ELNS1_11target_archE1030ELNS1_3gpuE2ELNS1_3repE0EEENS1_30default_config_static_selectorELNS0_4arch9wavefront6targetE1EEEvSW_.num_named_barrier, 0
	.set _ZN7rocprim17ROCPRIM_400000_NS6detail17trampoline_kernelINS0_14default_configENS1_22reduce_config_selectorIlEEZNS1_11reduce_implILb1ES3_N6thrust23THRUST_200600_302600_NS11hip_rocprim26transform_input_iterator_tIlNS8_12zip_iteratorINS8_5tupleINS8_6detail15normal_iteratorINS8_10device_ptrIiEEEESH_NS8_9null_typeESI_SI_SI_SI_SI_SI_SI_EEEENS9_21zip_adj_not_predicateINS8_8equal_toIiEEEEEEPllNS8_4plusIlEEEE10hipError_tPvRmT1_T2_T3_mT4_P12ihipStream_tbEUlT_E0_NS1_11comp_targetILNS1_3genE8ELNS1_11target_archE1030ELNS1_3gpuE2ELNS1_3repE0EEENS1_30default_config_static_selectorELNS0_4arch9wavefront6targetE1EEEvSW_.private_seg_size, 0
	.set _ZN7rocprim17ROCPRIM_400000_NS6detail17trampoline_kernelINS0_14default_configENS1_22reduce_config_selectorIlEEZNS1_11reduce_implILb1ES3_N6thrust23THRUST_200600_302600_NS11hip_rocprim26transform_input_iterator_tIlNS8_12zip_iteratorINS8_5tupleINS8_6detail15normal_iteratorINS8_10device_ptrIiEEEESH_NS8_9null_typeESI_SI_SI_SI_SI_SI_SI_EEEENS9_21zip_adj_not_predicateINS8_8equal_toIiEEEEEEPllNS8_4plusIlEEEE10hipError_tPvRmT1_T2_T3_mT4_P12ihipStream_tbEUlT_E0_NS1_11comp_targetILNS1_3genE8ELNS1_11target_archE1030ELNS1_3gpuE2ELNS1_3repE0EEENS1_30default_config_static_selectorELNS0_4arch9wavefront6targetE1EEEvSW_.uses_vcc, 0
	.set _ZN7rocprim17ROCPRIM_400000_NS6detail17trampoline_kernelINS0_14default_configENS1_22reduce_config_selectorIlEEZNS1_11reduce_implILb1ES3_N6thrust23THRUST_200600_302600_NS11hip_rocprim26transform_input_iterator_tIlNS8_12zip_iteratorINS8_5tupleINS8_6detail15normal_iteratorINS8_10device_ptrIiEEEESH_NS8_9null_typeESI_SI_SI_SI_SI_SI_SI_EEEENS9_21zip_adj_not_predicateINS8_8equal_toIiEEEEEEPllNS8_4plusIlEEEE10hipError_tPvRmT1_T2_T3_mT4_P12ihipStream_tbEUlT_E0_NS1_11comp_targetILNS1_3genE8ELNS1_11target_archE1030ELNS1_3gpuE2ELNS1_3repE0EEENS1_30default_config_static_selectorELNS0_4arch9wavefront6targetE1EEEvSW_.uses_flat_scratch, 0
	.set _ZN7rocprim17ROCPRIM_400000_NS6detail17trampoline_kernelINS0_14default_configENS1_22reduce_config_selectorIlEEZNS1_11reduce_implILb1ES3_N6thrust23THRUST_200600_302600_NS11hip_rocprim26transform_input_iterator_tIlNS8_12zip_iteratorINS8_5tupleINS8_6detail15normal_iteratorINS8_10device_ptrIiEEEESH_NS8_9null_typeESI_SI_SI_SI_SI_SI_SI_EEEENS9_21zip_adj_not_predicateINS8_8equal_toIiEEEEEEPllNS8_4plusIlEEEE10hipError_tPvRmT1_T2_T3_mT4_P12ihipStream_tbEUlT_E0_NS1_11comp_targetILNS1_3genE8ELNS1_11target_archE1030ELNS1_3gpuE2ELNS1_3repE0EEENS1_30default_config_static_selectorELNS0_4arch9wavefront6targetE1EEEvSW_.has_dyn_sized_stack, 0
	.set _ZN7rocprim17ROCPRIM_400000_NS6detail17trampoline_kernelINS0_14default_configENS1_22reduce_config_selectorIlEEZNS1_11reduce_implILb1ES3_N6thrust23THRUST_200600_302600_NS11hip_rocprim26transform_input_iterator_tIlNS8_12zip_iteratorINS8_5tupleINS8_6detail15normal_iteratorINS8_10device_ptrIiEEEESH_NS8_9null_typeESI_SI_SI_SI_SI_SI_SI_EEEENS9_21zip_adj_not_predicateINS8_8equal_toIiEEEEEEPllNS8_4plusIlEEEE10hipError_tPvRmT1_T2_T3_mT4_P12ihipStream_tbEUlT_E0_NS1_11comp_targetILNS1_3genE8ELNS1_11target_archE1030ELNS1_3gpuE2ELNS1_3repE0EEENS1_30default_config_static_selectorELNS0_4arch9wavefront6targetE1EEEvSW_.has_recursion, 0
	.set _ZN7rocprim17ROCPRIM_400000_NS6detail17trampoline_kernelINS0_14default_configENS1_22reduce_config_selectorIlEEZNS1_11reduce_implILb1ES3_N6thrust23THRUST_200600_302600_NS11hip_rocprim26transform_input_iterator_tIlNS8_12zip_iteratorINS8_5tupleINS8_6detail15normal_iteratorINS8_10device_ptrIiEEEESH_NS8_9null_typeESI_SI_SI_SI_SI_SI_SI_EEEENS9_21zip_adj_not_predicateINS8_8equal_toIiEEEEEEPllNS8_4plusIlEEEE10hipError_tPvRmT1_T2_T3_mT4_P12ihipStream_tbEUlT_E0_NS1_11comp_targetILNS1_3genE8ELNS1_11target_archE1030ELNS1_3gpuE2ELNS1_3repE0EEENS1_30default_config_static_selectorELNS0_4arch9wavefront6targetE1EEEvSW_.has_indirect_call, 0
	.section	.AMDGPU.csdata,"",@progbits
; Kernel info:
; codeLenInByte = 0
; TotalNumSgprs: 4
; NumVgprs: 0
; ScratchSize: 0
; MemoryBound: 0
; FloatMode: 240
; IeeeMode: 1
; LDSByteSize: 0 bytes/workgroup (compile time only)
; SGPRBlocks: 0
; VGPRBlocks: 0
; NumSGPRsForWavesPerEU: 4
; NumVGPRsForWavesPerEU: 1
; Occupancy: 10
; WaveLimiterHint : 0
; COMPUTE_PGM_RSRC2:SCRATCH_EN: 0
; COMPUTE_PGM_RSRC2:USER_SGPR: 6
; COMPUTE_PGM_RSRC2:TRAP_HANDLER: 0
; COMPUTE_PGM_RSRC2:TGID_X_EN: 1
; COMPUTE_PGM_RSRC2:TGID_Y_EN: 0
; COMPUTE_PGM_RSRC2:TGID_Z_EN: 0
; COMPUTE_PGM_RSRC2:TIDIG_COMP_CNT: 0
	.section	.text._ZN7rocprim17ROCPRIM_400000_NS6detail17trampoline_kernelINS0_14default_configENS1_22reduce_config_selectorIlEEZNS1_11reduce_implILb1ES3_N6thrust23THRUST_200600_302600_NS11hip_rocprim26transform_input_iterator_tIlNS8_12zip_iteratorINS8_5tupleINS8_6detail15normal_iteratorINS8_10device_ptrIiEEEESH_NS8_9null_typeESI_SI_SI_SI_SI_SI_SI_EEEENS9_21zip_adj_not_predicateINS8_8equal_toIiEEEEEEPllNS8_4plusIlEEEE10hipError_tPvRmT1_T2_T3_mT4_P12ihipStream_tbEUlT_E1_NS1_11comp_targetILNS1_3genE0ELNS1_11target_archE4294967295ELNS1_3gpuE0ELNS1_3repE0EEENS1_30default_config_static_selectorELNS0_4arch9wavefront6targetE1EEEvSW_,"axG",@progbits,_ZN7rocprim17ROCPRIM_400000_NS6detail17trampoline_kernelINS0_14default_configENS1_22reduce_config_selectorIlEEZNS1_11reduce_implILb1ES3_N6thrust23THRUST_200600_302600_NS11hip_rocprim26transform_input_iterator_tIlNS8_12zip_iteratorINS8_5tupleINS8_6detail15normal_iteratorINS8_10device_ptrIiEEEESH_NS8_9null_typeESI_SI_SI_SI_SI_SI_SI_EEEENS9_21zip_adj_not_predicateINS8_8equal_toIiEEEEEEPllNS8_4plusIlEEEE10hipError_tPvRmT1_T2_T3_mT4_P12ihipStream_tbEUlT_E1_NS1_11comp_targetILNS1_3genE0ELNS1_11target_archE4294967295ELNS1_3gpuE0ELNS1_3repE0EEENS1_30default_config_static_selectorELNS0_4arch9wavefront6targetE1EEEvSW_,comdat
	.protected	_ZN7rocprim17ROCPRIM_400000_NS6detail17trampoline_kernelINS0_14default_configENS1_22reduce_config_selectorIlEEZNS1_11reduce_implILb1ES3_N6thrust23THRUST_200600_302600_NS11hip_rocprim26transform_input_iterator_tIlNS8_12zip_iteratorINS8_5tupleINS8_6detail15normal_iteratorINS8_10device_ptrIiEEEESH_NS8_9null_typeESI_SI_SI_SI_SI_SI_SI_EEEENS9_21zip_adj_not_predicateINS8_8equal_toIiEEEEEEPllNS8_4plusIlEEEE10hipError_tPvRmT1_T2_T3_mT4_P12ihipStream_tbEUlT_E1_NS1_11comp_targetILNS1_3genE0ELNS1_11target_archE4294967295ELNS1_3gpuE0ELNS1_3repE0EEENS1_30default_config_static_selectorELNS0_4arch9wavefront6targetE1EEEvSW_ ; -- Begin function _ZN7rocprim17ROCPRIM_400000_NS6detail17trampoline_kernelINS0_14default_configENS1_22reduce_config_selectorIlEEZNS1_11reduce_implILb1ES3_N6thrust23THRUST_200600_302600_NS11hip_rocprim26transform_input_iterator_tIlNS8_12zip_iteratorINS8_5tupleINS8_6detail15normal_iteratorINS8_10device_ptrIiEEEESH_NS8_9null_typeESI_SI_SI_SI_SI_SI_SI_EEEENS9_21zip_adj_not_predicateINS8_8equal_toIiEEEEEEPllNS8_4plusIlEEEE10hipError_tPvRmT1_T2_T3_mT4_P12ihipStream_tbEUlT_E1_NS1_11comp_targetILNS1_3genE0ELNS1_11target_archE4294967295ELNS1_3gpuE0ELNS1_3repE0EEENS1_30default_config_static_selectorELNS0_4arch9wavefront6targetE1EEEvSW_
	.globl	_ZN7rocprim17ROCPRIM_400000_NS6detail17trampoline_kernelINS0_14default_configENS1_22reduce_config_selectorIlEEZNS1_11reduce_implILb1ES3_N6thrust23THRUST_200600_302600_NS11hip_rocprim26transform_input_iterator_tIlNS8_12zip_iteratorINS8_5tupleINS8_6detail15normal_iteratorINS8_10device_ptrIiEEEESH_NS8_9null_typeESI_SI_SI_SI_SI_SI_SI_EEEENS9_21zip_adj_not_predicateINS8_8equal_toIiEEEEEEPllNS8_4plusIlEEEE10hipError_tPvRmT1_T2_T3_mT4_P12ihipStream_tbEUlT_E1_NS1_11comp_targetILNS1_3genE0ELNS1_11target_archE4294967295ELNS1_3gpuE0ELNS1_3repE0EEENS1_30default_config_static_selectorELNS0_4arch9wavefront6targetE1EEEvSW_
	.p2align	8
	.type	_ZN7rocprim17ROCPRIM_400000_NS6detail17trampoline_kernelINS0_14default_configENS1_22reduce_config_selectorIlEEZNS1_11reduce_implILb1ES3_N6thrust23THRUST_200600_302600_NS11hip_rocprim26transform_input_iterator_tIlNS8_12zip_iteratorINS8_5tupleINS8_6detail15normal_iteratorINS8_10device_ptrIiEEEESH_NS8_9null_typeESI_SI_SI_SI_SI_SI_SI_EEEENS9_21zip_adj_not_predicateINS8_8equal_toIiEEEEEEPllNS8_4plusIlEEEE10hipError_tPvRmT1_T2_T3_mT4_P12ihipStream_tbEUlT_E1_NS1_11comp_targetILNS1_3genE0ELNS1_11target_archE4294967295ELNS1_3gpuE0ELNS1_3repE0EEENS1_30default_config_static_selectorELNS0_4arch9wavefront6targetE1EEEvSW_,@function
_ZN7rocprim17ROCPRIM_400000_NS6detail17trampoline_kernelINS0_14default_configENS1_22reduce_config_selectorIlEEZNS1_11reduce_implILb1ES3_N6thrust23THRUST_200600_302600_NS11hip_rocprim26transform_input_iterator_tIlNS8_12zip_iteratorINS8_5tupleINS8_6detail15normal_iteratorINS8_10device_ptrIiEEEESH_NS8_9null_typeESI_SI_SI_SI_SI_SI_SI_EEEENS9_21zip_adj_not_predicateINS8_8equal_toIiEEEEEEPllNS8_4plusIlEEEE10hipError_tPvRmT1_T2_T3_mT4_P12ihipStream_tbEUlT_E1_NS1_11comp_targetILNS1_3genE0ELNS1_11target_archE4294967295ELNS1_3gpuE0ELNS1_3repE0EEENS1_30default_config_static_selectorELNS0_4arch9wavefront6targetE1EEEvSW_: ; @_ZN7rocprim17ROCPRIM_400000_NS6detail17trampoline_kernelINS0_14default_configENS1_22reduce_config_selectorIlEEZNS1_11reduce_implILb1ES3_N6thrust23THRUST_200600_302600_NS11hip_rocprim26transform_input_iterator_tIlNS8_12zip_iteratorINS8_5tupleINS8_6detail15normal_iteratorINS8_10device_ptrIiEEEESH_NS8_9null_typeESI_SI_SI_SI_SI_SI_SI_EEEENS9_21zip_adj_not_predicateINS8_8equal_toIiEEEEEEPllNS8_4plusIlEEEE10hipError_tPvRmT1_T2_T3_mT4_P12ihipStream_tbEUlT_E1_NS1_11comp_targetILNS1_3genE0ELNS1_11target_archE4294967295ELNS1_3gpuE0ELNS1_3repE0EEENS1_30default_config_static_selectorELNS0_4arch9wavefront6targetE1EEEvSW_
; %bb.0:
	.section	.rodata,"a",@progbits
	.p2align	6, 0x0
	.amdhsa_kernel _ZN7rocprim17ROCPRIM_400000_NS6detail17trampoline_kernelINS0_14default_configENS1_22reduce_config_selectorIlEEZNS1_11reduce_implILb1ES3_N6thrust23THRUST_200600_302600_NS11hip_rocprim26transform_input_iterator_tIlNS8_12zip_iteratorINS8_5tupleINS8_6detail15normal_iteratorINS8_10device_ptrIiEEEESH_NS8_9null_typeESI_SI_SI_SI_SI_SI_SI_EEEENS9_21zip_adj_not_predicateINS8_8equal_toIiEEEEEEPllNS8_4plusIlEEEE10hipError_tPvRmT1_T2_T3_mT4_P12ihipStream_tbEUlT_E1_NS1_11comp_targetILNS1_3genE0ELNS1_11target_archE4294967295ELNS1_3gpuE0ELNS1_3repE0EEENS1_30default_config_static_selectorELNS0_4arch9wavefront6targetE1EEEvSW_
		.amdhsa_group_segment_fixed_size 0
		.amdhsa_private_segment_fixed_size 0
		.amdhsa_kernarg_size 64
		.amdhsa_user_sgpr_count 6
		.amdhsa_user_sgpr_private_segment_buffer 1
		.amdhsa_user_sgpr_dispatch_ptr 0
		.amdhsa_user_sgpr_queue_ptr 0
		.amdhsa_user_sgpr_kernarg_segment_ptr 1
		.amdhsa_user_sgpr_dispatch_id 0
		.amdhsa_user_sgpr_flat_scratch_init 0
		.amdhsa_user_sgpr_private_segment_size 0
		.amdhsa_uses_dynamic_stack 0
		.amdhsa_system_sgpr_private_segment_wavefront_offset 0
		.amdhsa_system_sgpr_workgroup_id_x 1
		.amdhsa_system_sgpr_workgroup_id_y 0
		.amdhsa_system_sgpr_workgroup_id_z 0
		.amdhsa_system_sgpr_workgroup_info 0
		.amdhsa_system_vgpr_workitem_id 0
		.amdhsa_next_free_vgpr 1
		.amdhsa_next_free_sgpr 0
		.amdhsa_reserve_vcc 0
		.amdhsa_reserve_flat_scratch 0
		.amdhsa_float_round_mode_32 0
		.amdhsa_float_round_mode_16_64 0
		.amdhsa_float_denorm_mode_32 3
		.amdhsa_float_denorm_mode_16_64 3
		.amdhsa_dx10_clamp 1
		.amdhsa_ieee_mode 1
		.amdhsa_fp16_overflow 0
		.amdhsa_exception_fp_ieee_invalid_op 0
		.amdhsa_exception_fp_denorm_src 0
		.amdhsa_exception_fp_ieee_div_zero 0
		.amdhsa_exception_fp_ieee_overflow 0
		.amdhsa_exception_fp_ieee_underflow 0
		.amdhsa_exception_fp_ieee_inexact 0
		.amdhsa_exception_int_div_zero 0
	.end_amdhsa_kernel
	.section	.text._ZN7rocprim17ROCPRIM_400000_NS6detail17trampoline_kernelINS0_14default_configENS1_22reduce_config_selectorIlEEZNS1_11reduce_implILb1ES3_N6thrust23THRUST_200600_302600_NS11hip_rocprim26transform_input_iterator_tIlNS8_12zip_iteratorINS8_5tupleINS8_6detail15normal_iteratorINS8_10device_ptrIiEEEESH_NS8_9null_typeESI_SI_SI_SI_SI_SI_SI_EEEENS9_21zip_adj_not_predicateINS8_8equal_toIiEEEEEEPllNS8_4plusIlEEEE10hipError_tPvRmT1_T2_T3_mT4_P12ihipStream_tbEUlT_E1_NS1_11comp_targetILNS1_3genE0ELNS1_11target_archE4294967295ELNS1_3gpuE0ELNS1_3repE0EEENS1_30default_config_static_selectorELNS0_4arch9wavefront6targetE1EEEvSW_,"axG",@progbits,_ZN7rocprim17ROCPRIM_400000_NS6detail17trampoline_kernelINS0_14default_configENS1_22reduce_config_selectorIlEEZNS1_11reduce_implILb1ES3_N6thrust23THRUST_200600_302600_NS11hip_rocprim26transform_input_iterator_tIlNS8_12zip_iteratorINS8_5tupleINS8_6detail15normal_iteratorINS8_10device_ptrIiEEEESH_NS8_9null_typeESI_SI_SI_SI_SI_SI_SI_EEEENS9_21zip_adj_not_predicateINS8_8equal_toIiEEEEEEPllNS8_4plusIlEEEE10hipError_tPvRmT1_T2_T3_mT4_P12ihipStream_tbEUlT_E1_NS1_11comp_targetILNS1_3genE0ELNS1_11target_archE4294967295ELNS1_3gpuE0ELNS1_3repE0EEENS1_30default_config_static_selectorELNS0_4arch9wavefront6targetE1EEEvSW_,comdat
.Lfunc_end968:
	.size	_ZN7rocprim17ROCPRIM_400000_NS6detail17trampoline_kernelINS0_14default_configENS1_22reduce_config_selectorIlEEZNS1_11reduce_implILb1ES3_N6thrust23THRUST_200600_302600_NS11hip_rocprim26transform_input_iterator_tIlNS8_12zip_iteratorINS8_5tupleINS8_6detail15normal_iteratorINS8_10device_ptrIiEEEESH_NS8_9null_typeESI_SI_SI_SI_SI_SI_SI_EEEENS9_21zip_adj_not_predicateINS8_8equal_toIiEEEEEEPllNS8_4plusIlEEEE10hipError_tPvRmT1_T2_T3_mT4_P12ihipStream_tbEUlT_E1_NS1_11comp_targetILNS1_3genE0ELNS1_11target_archE4294967295ELNS1_3gpuE0ELNS1_3repE0EEENS1_30default_config_static_selectorELNS0_4arch9wavefront6targetE1EEEvSW_, .Lfunc_end968-_ZN7rocprim17ROCPRIM_400000_NS6detail17trampoline_kernelINS0_14default_configENS1_22reduce_config_selectorIlEEZNS1_11reduce_implILb1ES3_N6thrust23THRUST_200600_302600_NS11hip_rocprim26transform_input_iterator_tIlNS8_12zip_iteratorINS8_5tupleINS8_6detail15normal_iteratorINS8_10device_ptrIiEEEESH_NS8_9null_typeESI_SI_SI_SI_SI_SI_SI_EEEENS9_21zip_adj_not_predicateINS8_8equal_toIiEEEEEEPllNS8_4plusIlEEEE10hipError_tPvRmT1_T2_T3_mT4_P12ihipStream_tbEUlT_E1_NS1_11comp_targetILNS1_3genE0ELNS1_11target_archE4294967295ELNS1_3gpuE0ELNS1_3repE0EEENS1_30default_config_static_selectorELNS0_4arch9wavefront6targetE1EEEvSW_
                                        ; -- End function
	.set _ZN7rocprim17ROCPRIM_400000_NS6detail17trampoline_kernelINS0_14default_configENS1_22reduce_config_selectorIlEEZNS1_11reduce_implILb1ES3_N6thrust23THRUST_200600_302600_NS11hip_rocprim26transform_input_iterator_tIlNS8_12zip_iteratorINS8_5tupleINS8_6detail15normal_iteratorINS8_10device_ptrIiEEEESH_NS8_9null_typeESI_SI_SI_SI_SI_SI_SI_EEEENS9_21zip_adj_not_predicateINS8_8equal_toIiEEEEEEPllNS8_4plusIlEEEE10hipError_tPvRmT1_T2_T3_mT4_P12ihipStream_tbEUlT_E1_NS1_11comp_targetILNS1_3genE0ELNS1_11target_archE4294967295ELNS1_3gpuE0ELNS1_3repE0EEENS1_30default_config_static_selectorELNS0_4arch9wavefront6targetE1EEEvSW_.num_vgpr, 0
	.set _ZN7rocprim17ROCPRIM_400000_NS6detail17trampoline_kernelINS0_14default_configENS1_22reduce_config_selectorIlEEZNS1_11reduce_implILb1ES3_N6thrust23THRUST_200600_302600_NS11hip_rocprim26transform_input_iterator_tIlNS8_12zip_iteratorINS8_5tupleINS8_6detail15normal_iteratorINS8_10device_ptrIiEEEESH_NS8_9null_typeESI_SI_SI_SI_SI_SI_SI_EEEENS9_21zip_adj_not_predicateINS8_8equal_toIiEEEEEEPllNS8_4plusIlEEEE10hipError_tPvRmT1_T2_T3_mT4_P12ihipStream_tbEUlT_E1_NS1_11comp_targetILNS1_3genE0ELNS1_11target_archE4294967295ELNS1_3gpuE0ELNS1_3repE0EEENS1_30default_config_static_selectorELNS0_4arch9wavefront6targetE1EEEvSW_.num_agpr, 0
	.set _ZN7rocprim17ROCPRIM_400000_NS6detail17trampoline_kernelINS0_14default_configENS1_22reduce_config_selectorIlEEZNS1_11reduce_implILb1ES3_N6thrust23THRUST_200600_302600_NS11hip_rocprim26transform_input_iterator_tIlNS8_12zip_iteratorINS8_5tupleINS8_6detail15normal_iteratorINS8_10device_ptrIiEEEESH_NS8_9null_typeESI_SI_SI_SI_SI_SI_SI_EEEENS9_21zip_adj_not_predicateINS8_8equal_toIiEEEEEEPllNS8_4plusIlEEEE10hipError_tPvRmT1_T2_T3_mT4_P12ihipStream_tbEUlT_E1_NS1_11comp_targetILNS1_3genE0ELNS1_11target_archE4294967295ELNS1_3gpuE0ELNS1_3repE0EEENS1_30default_config_static_selectorELNS0_4arch9wavefront6targetE1EEEvSW_.numbered_sgpr, 0
	.set _ZN7rocprim17ROCPRIM_400000_NS6detail17trampoline_kernelINS0_14default_configENS1_22reduce_config_selectorIlEEZNS1_11reduce_implILb1ES3_N6thrust23THRUST_200600_302600_NS11hip_rocprim26transform_input_iterator_tIlNS8_12zip_iteratorINS8_5tupleINS8_6detail15normal_iteratorINS8_10device_ptrIiEEEESH_NS8_9null_typeESI_SI_SI_SI_SI_SI_SI_EEEENS9_21zip_adj_not_predicateINS8_8equal_toIiEEEEEEPllNS8_4plusIlEEEE10hipError_tPvRmT1_T2_T3_mT4_P12ihipStream_tbEUlT_E1_NS1_11comp_targetILNS1_3genE0ELNS1_11target_archE4294967295ELNS1_3gpuE0ELNS1_3repE0EEENS1_30default_config_static_selectorELNS0_4arch9wavefront6targetE1EEEvSW_.num_named_barrier, 0
	.set _ZN7rocprim17ROCPRIM_400000_NS6detail17trampoline_kernelINS0_14default_configENS1_22reduce_config_selectorIlEEZNS1_11reduce_implILb1ES3_N6thrust23THRUST_200600_302600_NS11hip_rocprim26transform_input_iterator_tIlNS8_12zip_iteratorINS8_5tupleINS8_6detail15normal_iteratorINS8_10device_ptrIiEEEESH_NS8_9null_typeESI_SI_SI_SI_SI_SI_SI_EEEENS9_21zip_adj_not_predicateINS8_8equal_toIiEEEEEEPllNS8_4plusIlEEEE10hipError_tPvRmT1_T2_T3_mT4_P12ihipStream_tbEUlT_E1_NS1_11comp_targetILNS1_3genE0ELNS1_11target_archE4294967295ELNS1_3gpuE0ELNS1_3repE0EEENS1_30default_config_static_selectorELNS0_4arch9wavefront6targetE1EEEvSW_.private_seg_size, 0
	.set _ZN7rocprim17ROCPRIM_400000_NS6detail17trampoline_kernelINS0_14default_configENS1_22reduce_config_selectorIlEEZNS1_11reduce_implILb1ES3_N6thrust23THRUST_200600_302600_NS11hip_rocprim26transform_input_iterator_tIlNS8_12zip_iteratorINS8_5tupleINS8_6detail15normal_iteratorINS8_10device_ptrIiEEEESH_NS8_9null_typeESI_SI_SI_SI_SI_SI_SI_EEEENS9_21zip_adj_not_predicateINS8_8equal_toIiEEEEEEPllNS8_4plusIlEEEE10hipError_tPvRmT1_T2_T3_mT4_P12ihipStream_tbEUlT_E1_NS1_11comp_targetILNS1_3genE0ELNS1_11target_archE4294967295ELNS1_3gpuE0ELNS1_3repE0EEENS1_30default_config_static_selectorELNS0_4arch9wavefront6targetE1EEEvSW_.uses_vcc, 0
	.set _ZN7rocprim17ROCPRIM_400000_NS6detail17trampoline_kernelINS0_14default_configENS1_22reduce_config_selectorIlEEZNS1_11reduce_implILb1ES3_N6thrust23THRUST_200600_302600_NS11hip_rocprim26transform_input_iterator_tIlNS8_12zip_iteratorINS8_5tupleINS8_6detail15normal_iteratorINS8_10device_ptrIiEEEESH_NS8_9null_typeESI_SI_SI_SI_SI_SI_SI_EEEENS9_21zip_adj_not_predicateINS8_8equal_toIiEEEEEEPllNS8_4plusIlEEEE10hipError_tPvRmT1_T2_T3_mT4_P12ihipStream_tbEUlT_E1_NS1_11comp_targetILNS1_3genE0ELNS1_11target_archE4294967295ELNS1_3gpuE0ELNS1_3repE0EEENS1_30default_config_static_selectorELNS0_4arch9wavefront6targetE1EEEvSW_.uses_flat_scratch, 0
	.set _ZN7rocprim17ROCPRIM_400000_NS6detail17trampoline_kernelINS0_14default_configENS1_22reduce_config_selectorIlEEZNS1_11reduce_implILb1ES3_N6thrust23THRUST_200600_302600_NS11hip_rocprim26transform_input_iterator_tIlNS8_12zip_iteratorINS8_5tupleINS8_6detail15normal_iteratorINS8_10device_ptrIiEEEESH_NS8_9null_typeESI_SI_SI_SI_SI_SI_SI_EEEENS9_21zip_adj_not_predicateINS8_8equal_toIiEEEEEEPllNS8_4plusIlEEEE10hipError_tPvRmT1_T2_T3_mT4_P12ihipStream_tbEUlT_E1_NS1_11comp_targetILNS1_3genE0ELNS1_11target_archE4294967295ELNS1_3gpuE0ELNS1_3repE0EEENS1_30default_config_static_selectorELNS0_4arch9wavefront6targetE1EEEvSW_.has_dyn_sized_stack, 0
	.set _ZN7rocprim17ROCPRIM_400000_NS6detail17trampoline_kernelINS0_14default_configENS1_22reduce_config_selectorIlEEZNS1_11reduce_implILb1ES3_N6thrust23THRUST_200600_302600_NS11hip_rocprim26transform_input_iterator_tIlNS8_12zip_iteratorINS8_5tupleINS8_6detail15normal_iteratorINS8_10device_ptrIiEEEESH_NS8_9null_typeESI_SI_SI_SI_SI_SI_SI_EEEENS9_21zip_adj_not_predicateINS8_8equal_toIiEEEEEEPllNS8_4plusIlEEEE10hipError_tPvRmT1_T2_T3_mT4_P12ihipStream_tbEUlT_E1_NS1_11comp_targetILNS1_3genE0ELNS1_11target_archE4294967295ELNS1_3gpuE0ELNS1_3repE0EEENS1_30default_config_static_selectorELNS0_4arch9wavefront6targetE1EEEvSW_.has_recursion, 0
	.set _ZN7rocprim17ROCPRIM_400000_NS6detail17trampoline_kernelINS0_14default_configENS1_22reduce_config_selectorIlEEZNS1_11reduce_implILb1ES3_N6thrust23THRUST_200600_302600_NS11hip_rocprim26transform_input_iterator_tIlNS8_12zip_iteratorINS8_5tupleINS8_6detail15normal_iteratorINS8_10device_ptrIiEEEESH_NS8_9null_typeESI_SI_SI_SI_SI_SI_SI_EEEENS9_21zip_adj_not_predicateINS8_8equal_toIiEEEEEEPllNS8_4plusIlEEEE10hipError_tPvRmT1_T2_T3_mT4_P12ihipStream_tbEUlT_E1_NS1_11comp_targetILNS1_3genE0ELNS1_11target_archE4294967295ELNS1_3gpuE0ELNS1_3repE0EEENS1_30default_config_static_selectorELNS0_4arch9wavefront6targetE1EEEvSW_.has_indirect_call, 0
	.section	.AMDGPU.csdata,"",@progbits
; Kernel info:
; codeLenInByte = 0
; TotalNumSgprs: 4
; NumVgprs: 0
; ScratchSize: 0
; MemoryBound: 0
; FloatMode: 240
; IeeeMode: 1
; LDSByteSize: 0 bytes/workgroup (compile time only)
; SGPRBlocks: 0
; VGPRBlocks: 0
; NumSGPRsForWavesPerEU: 4
; NumVGPRsForWavesPerEU: 1
; Occupancy: 10
; WaveLimiterHint : 0
; COMPUTE_PGM_RSRC2:SCRATCH_EN: 0
; COMPUTE_PGM_RSRC2:USER_SGPR: 6
; COMPUTE_PGM_RSRC2:TRAP_HANDLER: 0
; COMPUTE_PGM_RSRC2:TGID_X_EN: 1
; COMPUTE_PGM_RSRC2:TGID_Y_EN: 0
; COMPUTE_PGM_RSRC2:TGID_Z_EN: 0
; COMPUTE_PGM_RSRC2:TIDIG_COMP_CNT: 0
	.section	.text._ZN7rocprim17ROCPRIM_400000_NS6detail17trampoline_kernelINS0_14default_configENS1_22reduce_config_selectorIlEEZNS1_11reduce_implILb1ES3_N6thrust23THRUST_200600_302600_NS11hip_rocprim26transform_input_iterator_tIlNS8_12zip_iteratorINS8_5tupleINS8_6detail15normal_iteratorINS8_10device_ptrIiEEEESH_NS8_9null_typeESI_SI_SI_SI_SI_SI_SI_EEEENS9_21zip_adj_not_predicateINS8_8equal_toIiEEEEEEPllNS8_4plusIlEEEE10hipError_tPvRmT1_T2_T3_mT4_P12ihipStream_tbEUlT_E1_NS1_11comp_targetILNS1_3genE5ELNS1_11target_archE942ELNS1_3gpuE9ELNS1_3repE0EEENS1_30default_config_static_selectorELNS0_4arch9wavefront6targetE1EEEvSW_,"axG",@progbits,_ZN7rocprim17ROCPRIM_400000_NS6detail17trampoline_kernelINS0_14default_configENS1_22reduce_config_selectorIlEEZNS1_11reduce_implILb1ES3_N6thrust23THRUST_200600_302600_NS11hip_rocprim26transform_input_iterator_tIlNS8_12zip_iteratorINS8_5tupleINS8_6detail15normal_iteratorINS8_10device_ptrIiEEEESH_NS8_9null_typeESI_SI_SI_SI_SI_SI_SI_EEEENS9_21zip_adj_not_predicateINS8_8equal_toIiEEEEEEPllNS8_4plusIlEEEE10hipError_tPvRmT1_T2_T3_mT4_P12ihipStream_tbEUlT_E1_NS1_11comp_targetILNS1_3genE5ELNS1_11target_archE942ELNS1_3gpuE9ELNS1_3repE0EEENS1_30default_config_static_selectorELNS0_4arch9wavefront6targetE1EEEvSW_,comdat
	.protected	_ZN7rocprim17ROCPRIM_400000_NS6detail17trampoline_kernelINS0_14default_configENS1_22reduce_config_selectorIlEEZNS1_11reduce_implILb1ES3_N6thrust23THRUST_200600_302600_NS11hip_rocprim26transform_input_iterator_tIlNS8_12zip_iteratorINS8_5tupleINS8_6detail15normal_iteratorINS8_10device_ptrIiEEEESH_NS8_9null_typeESI_SI_SI_SI_SI_SI_SI_EEEENS9_21zip_adj_not_predicateINS8_8equal_toIiEEEEEEPllNS8_4plusIlEEEE10hipError_tPvRmT1_T2_T3_mT4_P12ihipStream_tbEUlT_E1_NS1_11comp_targetILNS1_3genE5ELNS1_11target_archE942ELNS1_3gpuE9ELNS1_3repE0EEENS1_30default_config_static_selectorELNS0_4arch9wavefront6targetE1EEEvSW_ ; -- Begin function _ZN7rocprim17ROCPRIM_400000_NS6detail17trampoline_kernelINS0_14default_configENS1_22reduce_config_selectorIlEEZNS1_11reduce_implILb1ES3_N6thrust23THRUST_200600_302600_NS11hip_rocprim26transform_input_iterator_tIlNS8_12zip_iteratorINS8_5tupleINS8_6detail15normal_iteratorINS8_10device_ptrIiEEEESH_NS8_9null_typeESI_SI_SI_SI_SI_SI_SI_EEEENS9_21zip_adj_not_predicateINS8_8equal_toIiEEEEEEPllNS8_4plusIlEEEE10hipError_tPvRmT1_T2_T3_mT4_P12ihipStream_tbEUlT_E1_NS1_11comp_targetILNS1_3genE5ELNS1_11target_archE942ELNS1_3gpuE9ELNS1_3repE0EEENS1_30default_config_static_selectorELNS0_4arch9wavefront6targetE1EEEvSW_
	.globl	_ZN7rocprim17ROCPRIM_400000_NS6detail17trampoline_kernelINS0_14default_configENS1_22reduce_config_selectorIlEEZNS1_11reduce_implILb1ES3_N6thrust23THRUST_200600_302600_NS11hip_rocprim26transform_input_iterator_tIlNS8_12zip_iteratorINS8_5tupleINS8_6detail15normal_iteratorINS8_10device_ptrIiEEEESH_NS8_9null_typeESI_SI_SI_SI_SI_SI_SI_EEEENS9_21zip_adj_not_predicateINS8_8equal_toIiEEEEEEPllNS8_4plusIlEEEE10hipError_tPvRmT1_T2_T3_mT4_P12ihipStream_tbEUlT_E1_NS1_11comp_targetILNS1_3genE5ELNS1_11target_archE942ELNS1_3gpuE9ELNS1_3repE0EEENS1_30default_config_static_selectorELNS0_4arch9wavefront6targetE1EEEvSW_
	.p2align	8
	.type	_ZN7rocprim17ROCPRIM_400000_NS6detail17trampoline_kernelINS0_14default_configENS1_22reduce_config_selectorIlEEZNS1_11reduce_implILb1ES3_N6thrust23THRUST_200600_302600_NS11hip_rocprim26transform_input_iterator_tIlNS8_12zip_iteratorINS8_5tupleINS8_6detail15normal_iteratorINS8_10device_ptrIiEEEESH_NS8_9null_typeESI_SI_SI_SI_SI_SI_SI_EEEENS9_21zip_adj_not_predicateINS8_8equal_toIiEEEEEEPllNS8_4plusIlEEEE10hipError_tPvRmT1_T2_T3_mT4_P12ihipStream_tbEUlT_E1_NS1_11comp_targetILNS1_3genE5ELNS1_11target_archE942ELNS1_3gpuE9ELNS1_3repE0EEENS1_30default_config_static_selectorELNS0_4arch9wavefront6targetE1EEEvSW_,@function
_ZN7rocprim17ROCPRIM_400000_NS6detail17trampoline_kernelINS0_14default_configENS1_22reduce_config_selectorIlEEZNS1_11reduce_implILb1ES3_N6thrust23THRUST_200600_302600_NS11hip_rocprim26transform_input_iterator_tIlNS8_12zip_iteratorINS8_5tupleINS8_6detail15normal_iteratorINS8_10device_ptrIiEEEESH_NS8_9null_typeESI_SI_SI_SI_SI_SI_SI_EEEENS9_21zip_adj_not_predicateINS8_8equal_toIiEEEEEEPllNS8_4plusIlEEEE10hipError_tPvRmT1_T2_T3_mT4_P12ihipStream_tbEUlT_E1_NS1_11comp_targetILNS1_3genE5ELNS1_11target_archE942ELNS1_3gpuE9ELNS1_3repE0EEENS1_30default_config_static_selectorELNS0_4arch9wavefront6targetE1EEEvSW_: ; @_ZN7rocprim17ROCPRIM_400000_NS6detail17trampoline_kernelINS0_14default_configENS1_22reduce_config_selectorIlEEZNS1_11reduce_implILb1ES3_N6thrust23THRUST_200600_302600_NS11hip_rocprim26transform_input_iterator_tIlNS8_12zip_iteratorINS8_5tupleINS8_6detail15normal_iteratorINS8_10device_ptrIiEEEESH_NS8_9null_typeESI_SI_SI_SI_SI_SI_SI_EEEENS9_21zip_adj_not_predicateINS8_8equal_toIiEEEEEEPllNS8_4plusIlEEEE10hipError_tPvRmT1_T2_T3_mT4_P12ihipStream_tbEUlT_E1_NS1_11comp_targetILNS1_3genE5ELNS1_11target_archE942ELNS1_3gpuE9ELNS1_3repE0EEENS1_30default_config_static_selectorELNS0_4arch9wavefront6targetE1EEEvSW_
; %bb.0:
	.section	.rodata,"a",@progbits
	.p2align	6, 0x0
	.amdhsa_kernel _ZN7rocprim17ROCPRIM_400000_NS6detail17trampoline_kernelINS0_14default_configENS1_22reduce_config_selectorIlEEZNS1_11reduce_implILb1ES3_N6thrust23THRUST_200600_302600_NS11hip_rocprim26transform_input_iterator_tIlNS8_12zip_iteratorINS8_5tupleINS8_6detail15normal_iteratorINS8_10device_ptrIiEEEESH_NS8_9null_typeESI_SI_SI_SI_SI_SI_SI_EEEENS9_21zip_adj_not_predicateINS8_8equal_toIiEEEEEEPllNS8_4plusIlEEEE10hipError_tPvRmT1_T2_T3_mT4_P12ihipStream_tbEUlT_E1_NS1_11comp_targetILNS1_3genE5ELNS1_11target_archE942ELNS1_3gpuE9ELNS1_3repE0EEENS1_30default_config_static_selectorELNS0_4arch9wavefront6targetE1EEEvSW_
		.amdhsa_group_segment_fixed_size 0
		.amdhsa_private_segment_fixed_size 0
		.amdhsa_kernarg_size 64
		.amdhsa_user_sgpr_count 6
		.amdhsa_user_sgpr_private_segment_buffer 1
		.amdhsa_user_sgpr_dispatch_ptr 0
		.amdhsa_user_sgpr_queue_ptr 0
		.amdhsa_user_sgpr_kernarg_segment_ptr 1
		.amdhsa_user_sgpr_dispatch_id 0
		.amdhsa_user_sgpr_flat_scratch_init 0
		.amdhsa_user_sgpr_private_segment_size 0
		.amdhsa_uses_dynamic_stack 0
		.amdhsa_system_sgpr_private_segment_wavefront_offset 0
		.amdhsa_system_sgpr_workgroup_id_x 1
		.amdhsa_system_sgpr_workgroup_id_y 0
		.amdhsa_system_sgpr_workgroup_id_z 0
		.amdhsa_system_sgpr_workgroup_info 0
		.amdhsa_system_vgpr_workitem_id 0
		.amdhsa_next_free_vgpr 1
		.amdhsa_next_free_sgpr 0
		.amdhsa_reserve_vcc 0
		.amdhsa_reserve_flat_scratch 0
		.amdhsa_float_round_mode_32 0
		.amdhsa_float_round_mode_16_64 0
		.amdhsa_float_denorm_mode_32 3
		.amdhsa_float_denorm_mode_16_64 3
		.amdhsa_dx10_clamp 1
		.amdhsa_ieee_mode 1
		.amdhsa_fp16_overflow 0
		.amdhsa_exception_fp_ieee_invalid_op 0
		.amdhsa_exception_fp_denorm_src 0
		.amdhsa_exception_fp_ieee_div_zero 0
		.amdhsa_exception_fp_ieee_overflow 0
		.amdhsa_exception_fp_ieee_underflow 0
		.amdhsa_exception_fp_ieee_inexact 0
		.amdhsa_exception_int_div_zero 0
	.end_amdhsa_kernel
	.section	.text._ZN7rocprim17ROCPRIM_400000_NS6detail17trampoline_kernelINS0_14default_configENS1_22reduce_config_selectorIlEEZNS1_11reduce_implILb1ES3_N6thrust23THRUST_200600_302600_NS11hip_rocprim26transform_input_iterator_tIlNS8_12zip_iteratorINS8_5tupleINS8_6detail15normal_iteratorINS8_10device_ptrIiEEEESH_NS8_9null_typeESI_SI_SI_SI_SI_SI_SI_EEEENS9_21zip_adj_not_predicateINS8_8equal_toIiEEEEEEPllNS8_4plusIlEEEE10hipError_tPvRmT1_T2_T3_mT4_P12ihipStream_tbEUlT_E1_NS1_11comp_targetILNS1_3genE5ELNS1_11target_archE942ELNS1_3gpuE9ELNS1_3repE0EEENS1_30default_config_static_selectorELNS0_4arch9wavefront6targetE1EEEvSW_,"axG",@progbits,_ZN7rocprim17ROCPRIM_400000_NS6detail17trampoline_kernelINS0_14default_configENS1_22reduce_config_selectorIlEEZNS1_11reduce_implILb1ES3_N6thrust23THRUST_200600_302600_NS11hip_rocprim26transform_input_iterator_tIlNS8_12zip_iteratorINS8_5tupleINS8_6detail15normal_iteratorINS8_10device_ptrIiEEEESH_NS8_9null_typeESI_SI_SI_SI_SI_SI_SI_EEEENS9_21zip_adj_not_predicateINS8_8equal_toIiEEEEEEPllNS8_4plusIlEEEE10hipError_tPvRmT1_T2_T3_mT4_P12ihipStream_tbEUlT_E1_NS1_11comp_targetILNS1_3genE5ELNS1_11target_archE942ELNS1_3gpuE9ELNS1_3repE0EEENS1_30default_config_static_selectorELNS0_4arch9wavefront6targetE1EEEvSW_,comdat
.Lfunc_end969:
	.size	_ZN7rocprim17ROCPRIM_400000_NS6detail17trampoline_kernelINS0_14default_configENS1_22reduce_config_selectorIlEEZNS1_11reduce_implILb1ES3_N6thrust23THRUST_200600_302600_NS11hip_rocprim26transform_input_iterator_tIlNS8_12zip_iteratorINS8_5tupleINS8_6detail15normal_iteratorINS8_10device_ptrIiEEEESH_NS8_9null_typeESI_SI_SI_SI_SI_SI_SI_EEEENS9_21zip_adj_not_predicateINS8_8equal_toIiEEEEEEPllNS8_4plusIlEEEE10hipError_tPvRmT1_T2_T3_mT4_P12ihipStream_tbEUlT_E1_NS1_11comp_targetILNS1_3genE5ELNS1_11target_archE942ELNS1_3gpuE9ELNS1_3repE0EEENS1_30default_config_static_selectorELNS0_4arch9wavefront6targetE1EEEvSW_, .Lfunc_end969-_ZN7rocprim17ROCPRIM_400000_NS6detail17trampoline_kernelINS0_14default_configENS1_22reduce_config_selectorIlEEZNS1_11reduce_implILb1ES3_N6thrust23THRUST_200600_302600_NS11hip_rocprim26transform_input_iterator_tIlNS8_12zip_iteratorINS8_5tupleINS8_6detail15normal_iteratorINS8_10device_ptrIiEEEESH_NS8_9null_typeESI_SI_SI_SI_SI_SI_SI_EEEENS9_21zip_adj_not_predicateINS8_8equal_toIiEEEEEEPllNS8_4plusIlEEEE10hipError_tPvRmT1_T2_T3_mT4_P12ihipStream_tbEUlT_E1_NS1_11comp_targetILNS1_3genE5ELNS1_11target_archE942ELNS1_3gpuE9ELNS1_3repE0EEENS1_30default_config_static_selectorELNS0_4arch9wavefront6targetE1EEEvSW_
                                        ; -- End function
	.set _ZN7rocprim17ROCPRIM_400000_NS6detail17trampoline_kernelINS0_14default_configENS1_22reduce_config_selectorIlEEZNS1_11reduce_implILb1ES3_N6thrust23THRUST_200600_302600_NS11hip_rocprim26transform_input_iterator_tIlNS8_12zip_iteratorINS8_5tupleINS8_6detail15normal_iteratorINS8_10device_ptrIiEEEESH_NS8_9null_typeESI_SI_SI_SI_SI_SI_SI_EEEENS9_21zip_adj_not_predicateINS8_8equal_toIiEEEEEEPllNS8_4plusIlEEEE10hipError_tPvRmT1_T2_T3_mT4_P12ihipStream_tbEUlT_E1_NS1_11comp_targetILNS1_3genE5ELNS1_11target_archE942ELNS1_3gpuE9ELNS1_3repE0EEENS1_30default_config_static_selectorELNS0_4arch9wavefront6targetE1EEEvSW_.num_vgpr, 0
	.set _ZN7rocprim17ROCPRIM_400000_NS6detail17trampoline_kernelINS0_14default_configENS1_22reduce_config_selectorIlEEZNS1_11reduce_implILb1ES3_N6thrust23THRUST_200600_302600_NS11hip_rocprim26transform_input_iterator_tIlNS8_12zip_iteratorINS8_5tupleINS8_6detail15normal_iteratorINS8_10device_ptrIiEEEESH_NS8_9null_typeESI_SI_SI_SI_SI_SI_SI_EEEENS9_21zip_adj_not_predicateINS8_8equal_toIiEEEEEEPllNS8_4plusIlEEEE10hipError_tPvRmT1_T2_T3_mT4_P12ihipStream_tbEUlT_E1_NS1_11comp_targetILNS1_3genE5ELNS1_11target_archE942ELNS1_3gpuE9ELNS1_3repE0EEENS1_30default_config_static_selectorELNS0_4arch9wavefront6targetE1EEEvSW_.num_agpr, 0
	.set _ZN7rocprim17ROCPRIM_400000_NS6detail17trampoline_kernelINS0_14default_configENS1_22reduce_config_selectorIlEEZNS1_11reduce_implILb1ES3_N6thrust23THRUST_200600_302600_NS11hip_rocprim26transform_input_iterator_tIlNS8_12zip_iteratorINS8_5tupleINS8_6detail15normal_iteratorINS8_10device_ptrIiEEEESH_NS8_9null_typeESI_SI_SI_SI_SI_SI_SI_EEEENS9_21zip_adj_not_predicateINS8_8equal_toIiEEEEEEPllNS8_4plusIlEEEE10hipError_tPvRmT1_T2_T3_mT4_P12ihipStream_tbEUlT_E1_NS1_11comp_targetILNS1_3genE5ELNS1_11target_archE942ELNS1_3gpuE9ELNS1_3repE0EEENS1_30default_config_static_selectorELNS0_4arch9wavefront6targetE1EEEvSW_.numbered_sgpr, 0
	.set _ZN7rocprim17ROCPRIM_400000_NS6detail17trampoline_kernelINS0_14default_configENS1_22reduce_config_selectorIlEEZNS1_11reduce_implILb1ES3_N6thrust23THRUST_200600_302600_NS11hip_rocprim26transform_input_iterator_tIlNS8_12zip_iteratorINS8_5tupleINS8_6detail15normal_iteratorINS8_10device_ptrIiEEEESH_NS8_9null_typeESI_SI_SI_SI_SI_SI_SI_EEEENS9_21zip_adj_not_predicateINS8_8equal_toIiEEEEEEPllNS8_4plusIlEEEE10hipError_tPvRmT1_T2_T3_mT4_P12ihipStream_tbEUlT_E1_NS1_11comp_targetILNS1_3genE5ELNS1_11target_archE942ELNS1_3gpuE9ELNS1_3repE0EEENS1_30default_config_static_selectorELNS0_4arch9wavefront6targetE1EEEvSW_.num_named_barrier, 0
	.set _ZN7rocprim17ROCPRIM_400000_NS6detail17trampoline_kernelINS0_14default_configENS1_22reduce_config_selectorIlEEZNS1_11reduce_implILb1ES3_N6thrust23THRUST_200600_302600_NS11hip_rocprim26transform_input_iterator_tIlNS8_12zip_iteratorINS8_5tupleINS8_6detail15normal_iteratorINS8_10device_ptrIiEEEESH_NS8_9null_typeESI_SI_SI_SI_SI_SI_SI_EEEENS9_21zip_adj_not_predicateINS8_8equal_toIiEEEEEEPllNS8_4plusIlEEEE10hipError_tPvRmT1_T2_T3_mT4_P12ihipStream_tbEUlT_E1_NS1_11comp_targetILNS1_3genE5ELNS1_11target_archE942ELNS1_3gpuE9ELNS1_3repE0EEENS1_30default_config_static_selectorELNS0_4arch9wavefront6targetE1EEEvSW_.private_seg_size, 0
	.set _ZN7rocprim17ROCPRIM_400000_NS6detail17trampoline_kernelINS0_14default_configENS1_22reduce_config_selectorIlEEZNS1_11reduce_implILb1ES3_N6thrust23THRUST_200600_302600_NS11hip_rocprim26transform_input_iterator_tIlNS8_12zip_iteratorINS8_5tupleINS8_6detail15normal_iteratorINS8_10device_ptrIiEEEESH_NS8_9null_typeESI_SI_SI_SI_SI_SI_SI_EEEENS9_21zip_adj_not_predicateINS8_8equal_toIiEEEEEEPllNS8_4plusIlEEEE10hipError_tPvRmT1_T2_T3_mT4_P12ihipStream_tbEUlT_E1_NS1_11comp_targetILNS1_3genE5ELNS1_11target_archE942ELNS1_3gpuE9ELNS1_3repE0EEENS1_30default_config_static_selectorELNS0_4arch9wavefront6targetE1EEEvSW_.uses_vcc, 0
	.set _ZN7rocprim17ROCPRIM_400000_NS6detail17trampoline_kernelINS0_14default_configENS1_22reduce_config_selectorIlEEZNS1_11reduce_implILb1ES3_N6thrust23THRUST_200600_302600_NS11hip_rocprim26transform_input_iterator_tIlNS8_12zip_iteratorINS8_5tupleINS8_6detail15normal_iteratorINS8_10device_ptrIiEEEESH_NS8_9null_typeESI_SI_SI_SI_SI_SI_SI_EEEENS9_21zip_adj_not_predicateINS8_8equal_toIiEEEEEEPllNS8_4plusIlEEEE10hipError_tPvRmT1_T2_T3_mT4_P12ihipStream_tbEUlT_E1_NS1_11comp_targetILNS1_3genE5ELNS1_11target_archE942ELNS1_3gpuE9ELNS1_3repE0EEENS1_30default_config_static_selectorELNS0_4arch9wavefront6targetE1EEEvSW_.uses_flat_scratch, 0
	.set _ZN7rocprim17ROCPRIM_400000_NS6detail17trampoline_kernelINS0_14default_configENS1_22reduce_config_selectorIlEEZNS1_11reduce_implILb1ES3_N6thrust23THRUST_200600_302600_NS11hip_rocprim26transform_input_iterator_tIlNS8_12zip_iteratorINS8_5tupleINS8_6detail15normal_iteratorINS8_10device_ptrIiEEEESH_NS8_9null_typeESI_SI_SI_SI_SI_SI_SI_EEEENS9_21zip_adj_not_predicateINS8_8equal_toIiEEEEEEPllNS8_4plusIlEEEE10hipError_tPvRmT1_T2_T3_mT4_P12ihipStream_tbEUlT_E1_NS1_11comp_targetILNS1_3genE5ELNS1_11target_archE942ELNS1_3gpuE9ELNS1_3repE0EEENS1_30default_config_static_selectorELNS0_4arch9wavefront6targetE1EEEvSW_.has_dyn_sized_stack, 0
	.set _ZN7rocprim17ROCPRIM_400000_NS6detail17trampoline_kernelINS0_14default_configENS1_22reduce_config_selectorIlEEZNS1_11reduce_implILb1ES3_N6thrust23THRUST_200600_302600_NS11hip_rocprim26transform_input_iterator_tIlNS8_12zip_iteratorINS8_5tupleINS8_6detail15normal_iteratorINS8_10device_ptrIiEEEESH_NS8_9null_typeESI_SI_SI_SI_SI_SI_SI_EEEENS9_21zip_adj_not_predicateINS8_8equal_toIiEEEEEEPllNS8_4plusIlEEEE10hipError_tPvRmT1_T2_T3_mT4_P12ihipStream_tbEUlT_E1_NS1_11comp_targetILNS1_3genE5ELNS1_11target_archE942ELNS1_3gpuE9ELNS1_3repE0EEENS1_30default_config_static_selectorELNS0_4arch9wavefront6targetE1EEEvSW_.has_recursion, 0
	.set _ZN7rocprim17ROCPRIM_400000_NS6detail17trampoline_kernelINS0_14default_configENS1_22reduce_config_selectorIlEEZNS1_11reduce_implILb1ES3_N6thrust23THRUST_200600_302600_NS11hip_rocprim26transform_input_iterator_tIlNS8_12zip_iteratorINS8_5tupleINS8_6detail15normal_iteratorINS8_10device_ptrIiEEEESH_NS8_9null_typeESI_SI_SI_SI_SI_SI_SI_EEEENS9_21zip_adj_not_predicateINS8_8equal_toIiEEEEEEPllNS8_4plusIlEEEE10hipError_tPvRmT1_T2_T3_mT4_P12ihipStream_tbEUlT_E1_NS1_11comp_targetILNS1_3genE5ELNS1_11target_archE942ELNS1_3gpuE9ELNS1_3repE0EEENS1_30default_config_static_selectorELNS0_4arch9wavefront6targetE1EEEvSW_.has_indirect_call, 0
	.section	.AMDGPU.csdata,"",@progbits
; Kernel info:
; codeLenInByte = 0
; TotalNumSgprs: 4
; NumVgprs: 0
; ScratchSize: 0
; MemoryBound: 0
; FloatMode: 240
; IeeeMode: 1
; LDSByteSize: 0 bytes/workgroup (compile time only)
; SGPRBlocks: 0
; VGPRBlocks: 0
; NumSGPRsForWavesPerEU: 4
; NumVGPRsForWavesPerEU: 1
; Occupancy: 10
; WaveLimiterHint : 0
; COMPUTE_PGM_RSRC2:SCRATCH_EN: 0
; COMPUTE_PGM_RSRC2:USER_SGPR: 6
; COMPUTE_PGM_RSRC2:TRAP_HANDLER: 0
; COMPUTE_PGM_RSRC2:TGID_X_EN: 1
; COMPUTE_PGM_RSRC2:TGID_Y_EN: 0
; COMPUTE_PGM_RSRC2:TGID_Z_EN: 0
; COMPUTE_PGM_RSRC2:TIDIG_COMP_CNT: 0
	.section	.text._ZN7rocprim17ROCPRIM_400000_NS6detail17trampoline_kernelINS0_14default_configENS1_22reduce_config_selectorIlEEZNS1_11reduce_implILb1ES3_N6thrust23THRUST_200600_302600_NS11hip_rocprim26transform_input_iterator_tIlNS8_12zip_iteratorINS8_5tupleINS8_6detail15normal_iteratorINS8_10device_ptrIiEEEESH_NS8_9null_typeESI_SI_SI_SI_SI_SI_SI_EEEENS9_21zip_adj_not_predicateINS8_8equal_toIiEEEEEEPllNS8_4plusIlEEEE10hipError_tPvRmT1_T2_T3_mT4_P12ihipStream_tbEUlT_E1_NS1_11comp_targetILNS1_3genE4ELNS1_11target_archE910ELNS1_3gpuE8ELNS1_3repE0EEENS1_30default_config_static_selectorELNS0_4arch9wavefront6targetE1EEEvSW_,"axG",@progbits,_ZN7rocprim17ROCPRIM_400000_NS6detail17trampoline_kernelINS0_14default_configENS1_22reduce_config_selectorIlEEZNS1_11reduce_implILb1ES3_N6thrust23THRUST_200600_302600_NS11hip_rocprim26transform_input_iterator_tIlNS8_12zip_iteratorINS8_5tupleINS8_6detail15normal_iteratorINS8_10device_ptrIiEEEESH_NS8_9null_typeESI_SI_SI_SI_SI_SI_SI_EEEENS9_21zip_adj_not_predicateINS8_8equal_toIiEEEEEEPllNS8_4plusIlEEEE10hipError_tPvRmT1_T2_T3_mT4_P12ihipStream_tbEUlT_E1_NS1_11comp_targetILNS1_3genE4ELNS1_11target_archE910ELNS1_3gpuE8ELNS1_3repE0EEENS1_30default_config_static_selectorELNS0_4arch9wavefront6targetE1EEEvSW_,comdat
	.protected	_ZN7rocprim17ROCPRIM_400000_NS6detail17trampoline_kernelINS0_14default_configENS1_22reduce_config_selectorIlEEZNS1_11reduce_implILb1ES3_N6thrust23THRUST_200600_302600_NS11hip_rocprim26transform_input_iterator_tIlNS8_12zip_iteratorINS8_5tupleINS8_6detail15normal_iteratorINS8_10device_ptrIiEEEESH_NS8_9null_typeESI_SI_SI_SI_SI_SI_SI_EEEENS9_21zip_adj_not_predicateINS8_8equal_toIiEEEEEEPllNS8_4plusIlEEEE10hipError_tPvRmT1_T2_T3_mT4_P12ihipStream_tbEUlT_E1_NS1_11comp_targetILNS1_3genE4ELNS1_11target_archE910ELNS1_3gpuE8ELNS1_3repE0EEENS1_30default_config_static_selectorELNS0_4arch9wavefront6targetE1EEEvSW_ ; -- Begin function _ZN7rocprim17ROCPRIM_400000_NS6detail17trampoline_kernelINS0_14default_configENS1_22reduce_config_selectorIlEEZNS1_11reduce_implILb1ES3_N6thrust23THRUST_200600_302600_NS11hip_rocprim26transform_input_iterator_tIlNS8_12zip_iteratorINS8_5tupleINS8_6detail15normal_iteratorINS8_10device_ptrIiEEEESH_NS8_9null_typeESI_SI_SI_SI_SI_SI_SI_EEEENS9_21zip_adj_not_predicateINS8_8equal_toIiEEEEEEPllNS8_4plusIlEEEE10hipError_tPvRmT1_T2_T3_mT4_P12ihipStream_tbEUlT_E1_NS1_11comp_targetILNS1_3genE4ELNS1_11target_archE910ELNS1_3gpuE8ELNS1_3repE0EEENS1_30default_config_static_selectorELNS0_4arch9wavefront6targetE1EEEvSW_
	.globl	_ZN7rocprim17ROCPRIM_400000_NS6detail17trampoline_kernelINS0_14default_configENS1_22reduce_config_selectorIlEEZNS1_11reduce_implILb1ES3_N6thrust23THRUST_200600_302600_NS11hip_rocprim26transform_input_iterator_tIlNS8_12zip_iteratorINS8_5tupleINS8_6detail15normal_iteratorINS8_10device_ptrIiEEEESH_NS8_9null_typeESI_SI_SI_SI_SI_SI_SI_EEEENS9_21zip_adj_not_predicateINS8_8equal_toIiEEEEEEPllNS8_4plusIlEEEE10hipError_tPvRmT1_T2_T3_mT4_P12ihipStream_tbEUlT_E1_NS1_11comp_targetILNS1_3genE4ELNS1_11target_archE910ELNS1_3gpuE8ELNS1_3repE0EEENS1_30default_config_static_selectorELNS0_4arch9wavefront6targetE1EEEvSW_
	.p2align	8
	.type	_ZN7rocprim17ROCPRIM_400000_NS6detail17trampoline_kernelINS0_14default_configENS1_22reduce_config_selectorIlEEZNS1_11reduce_implILb1ES3_N6thrust23THRUST_200600_302600_NS11hip_rocprim26transform_input_iterator_tIlNS8_12zip_iteratorINS8_5tupleINS8_6detail15normal_iteratorINS8_10device_ptrIiEEEESH_NS8_9null_typeESI_SI_SI_SI_SI_SI_SI_EEEENS9_21zip_adj_not_predicateINS8_8equal_toIiEEEEEEPllNS8_4plusIlEEEE10hipError_tPvRmT1_T2_T3_mT4_P12ihipStream_tbEUlT_E1_NS1_11comp_targetILNS1_3genE4ELNS1_11target_archE910ELNS1_3gpuE8ELNS1_3repE0EEENS1_30default_config_static_selectorELNS0_4arch9wavefront6targetE1EEEvSW_,@function
_ZN7rocprim17ROCPRIM_400000_NS6detail17trampoline_kernelINS0_14default_configENS1_22reduce_config_selectorIlEEZNS1_11reduce_implILb1ES3_N6thrust23THRUST_200600_302600_NS11hip_rocprim26transform_input_iterator_tIlNS8_12zip_iteratorINS8_5tupleINS8_6detail15normal_iteratorINS8_10device_ptrIiEEEESH_NS8_9null_typeESI_SI_SI_SI_SI_SI_SI_EEEENS9_21zip_adj_not_predicateINS8_8equal_toIiEEEEEEPllNS8_4plusIlEEEE10hipError_tPvRmT1_T2_T3_mT4_P12ihipStream_tbEUlT_E1_NS1_11comp_targetILNS1_3genE4ELNS1_11target_archE910ELNS1_3gpuE8ELNS1_3repE0EEENS1_30default_config_static_selectorELNS0_4arch9wavefront6targetE1EEEvSW_: ; @_ZN7rocprim17ROCPRIM_400000_NS6detail17trampoline_kernelINS0_14default_configENS1_22reduce_config_selectorIlEEZNS1_11reduce_implILb1ES3_N6thrust23THRUST_200600_302600_NS11hip_rocprim26transform_input_iterator_tIlNS8_12zip_iteratorINS8_5tupleINS8_6detail15normal_iteratorINS8_10device_ptrIiEEEESH_NS8_9null_typeESI_SI_SI_SI_SI_SI_SI_EEEENS9_21zip_adj_not_predicateINS8_8equal_toIiEEEEEEPllNS8_4plusIlEEEE10hipError_tPvRmT1_T2_T3_mT4_P12ihipStream_tbEUlT_E1_NS1_11comp_targetILNS1_3genE4ELNS1_11target_archE910ELNS1_3gpuE8ELNS1_3repE0EEENS1_30default_config_static_selectorELNS0_4arch9wavefront6targetE1EEEvSW_
; %bb.0:
	.section	.rodata,"a",@progbits
	.p2align	6, 0x0
	.amdhsa_kernel _ZN7rocprim17ROCPRIM_400000_NS6detail17trampoline_kernelINS0_14default_configENS1_22reduce_config_selectorIlEEZNS1_11reduce_implILb1ES3_N6thrust23THRUST_200600_302600_NS11hip_rocprim26transform_input_iterator_tIlNS8_12zip_iteratorINS8_5tupleINS8_6detail15normal_iteratorINS8_10device_ptrIiEEEESH_NS8_9null_typeESI_SI_SI_SI_SI_SI_SI_EEEENS9_21zip_adj_not_predicateINS8_8equal_toIiEEEEEEPllNS8_4plusIlEEEE10hipError_tPvRmT1_T2_T3_mT4_P12ihipStream_tbEUlT_E1_NS1_11comp_targetILNS1_3genE4ELNS1_11target_archE910ELNS1_3gpuE8ELNS1_3repE0EEENS1_30default_config_static_selectorELNS0_4arch9wavefront6targetE1EEEvSW_
		.amdhsa_group_segment_fixed_size 0
		.amdhsa_private_segment_fixed_size 0
		.amdhsa_kernarg_size 64
		.amdhsa_user_sgpr_count 6
		.amdhsa_user_sgpr_private_segment_buffer 1
		.amdhsa_user_sgpr_dispatch_ptr 0
		.amdhsa_user_sgpr_queue_ptr 0
		.amdhsa_user_sgpr_kernarg_segment_ptr 1
		.amdhsa_user_sgpr_dispatch_id 0
		.amdhsa_user_sgpr_flat_scratch_init 0
		.amdhsa_user_sgpr_private_segment_size 0
		.amdhsa_uses_dynamic_stack 0
		.amdhsa_system_sgpr_private_segment_wavefront_offset 0
		.amdhsa_system_sgpr_workgroup_id_x 1
		.amdhsa_system_sgpr_workgroup_id_y 0
		.amdhsa_system_sgpr_workgroup_id_z 0
		.amdhsa_system_sgpr_workgroup_info 0
		.amdhsa_system_vgpr_workitem_id 0
		.amdhsa_next_free_vgpr 1
		.amdhsa_next_free_sgpr 0
		.amdhsa_reserve_vcc 0
		.amdhsa_reserve_flat_scratch 0
		.amdhsa_float_round_mode_32 0
		.amdhsa_float_round_mode_16_64 0
		.amdhsa_float_denorm_mode_32 3
		.amdhsa_float_denorm_mode_16_64 3
		.amdhsa_dx10_clamp 1
		.amdhsa_ieee_mode 1
		.amdhsa_fp16_overflow 0
		.amdhsa_exception_fp_ieee_invalid_op 0
		.amdhsa_exception_fp_denorm_src 0
		.amdhsa_exception_fp_ieee_div_zero 0
		.amdhsa_exception_fp_ieee_overflow 0
		.amdhsa_exception_fp_ieee_underflow 0
		.amdhsa_exception_fp_ieee_inexact 0
		.amdhsa_exception_int_div_zero 0
	.end_amdhsa_kernel
	.section	.text._ZN7rocprim17ROCPRIM_400000_NS6detail17trampoline_kernelINS0_14default_configENS1_22reduce_config_selectorIlEEZNS1_11reduce_implILb1ES3_N6thrust23THRUST_200600_302600_NS11hip_rocprim26transform_input_iterator_tIlNS8_12zip_iteratorINS8_5tupleINS8_6detail15normal_iteratorINS8_10device_ptrIiEEEESH_NS8_9null_typeESI_SI_SI_SI_SI_SI_SI_EEEENS9_21zip_adj_not_predicateINS8_8equal_toIiEEEEEEPllNS8_4plusIlEEEE10hipError_tPvRmT1_T2_T3_mT4_P12ihipStream_tbEUlT_E1_NS1_11comp_targetILNS1_3genE4ELNS1_11target_archE910ELNS1_3gpuE8ELNS1_3repE0EEENS1_30default_config_static_selectorELNS0_4arch9wavefront6targetE1EEEvSW_,"axG",@progbits,_ZN7rocprim17ROCPRIM_400000_NS6detail17trampoline_kernelINS0_14default_configENS1_22reduce_config_selectorIlEEZNS1_11reduce_implILb1ES3_N6thrust23THRUST_200600_302600_NS11hip_rocprim26transform_input_iterator_tIlNS8_12zip_iteratorINS8_5tupleINS8_6detail15normal_iteratorINS8_10device_ptrIiEEEESH_NS8_9null_typeESI_SI_SI_SI_SI_SI_SI_EEEENS9_21zip_adj_not_predicateINS8_8equal_toIiEEEEEEPllNS8_4plusIlEEEE10hipError_tPvRmT1_T2_T3_mT4_P12ihipStream_tbEUlT_E1_NS1_11comp_targetILNS1_3genE4ELNS1_11target_archE910ELNS1_3gpuE8ELNS1_3repE0EEENS1_30default_config_static_selectorELNS0_4arch9wavefront6targetE1EEEvSW_,comdat
.Lfunc_end970:
	.size	_ZN7rocprim17ROCPRIM_400000_NS6detail17trampoline_kernelINS0_14default_configENS1_22reduce_config_selectorIlEEZNS1_11reduce_implILb1ES3_N6thrust23THRUST_200600_302600_NS11hip_rocprim26transform_input_iterator_tIlNS8_12zip_iteratorINS8_5tupleINS8_6detail15normal_iteratorINS8_10device_ptrIiEEEESH_NS8_9null_typeESI_SI_SI_SI_SI_SI_SI_EEEENS9_21zip_adj_not_predicateINS8_8equal_toIiEEEEEEPllNS8_4plusIlEEEE10hipError_tPvRmT1_T2_T3_mT4_P12ihipStream_tbEUlT_E1_NS1_11comp_targetILNS1_3genE4ELNS1_11target_archE910ELNS1_3gpuE8ELNS1_3repE0EEENS1_30default_config_static_selectorELNS0_4arch9wavefront6targetE1EEEvSW_, .Lfunc_end970-_ZN7rocprim17ROCPRIM_400000_NS6detail17trampoline_kernelINS0_14default_configENS1_22reduce_config_selectorIlEEZNS1_11reduce_implILb1ES3_N6thrust23THRUST_200600_302600_NS11hip_rocprim26transform_input_iterator_tIlNS8_12zip_iteratorINS8_5tupleINS8_6detail15normal_iteratorINS8_10device_ptrIiEEEESH_NS8_9null_typeESI_SI_SI_SI_SI_SI_SI_EEEENS9_21zip_adj_not_predicateINS8_8equal_toIiEEEEEEPllNS8_4plusIlEEEE10hipError_tPvRmT1_T2_T3_mT4_P12ihipStream_tbEUlT_E1_NS1_11comp_targetILNS1_3genE4ELNS1_11target_archE910ELNS1_3gpuE8ELNS1_3repE0EEENS1_30default_config_static_selectorELNS0_4arch9wavefront6targetE1EEEvSW_
                                        ; -- End function
	.set _ZN7rocprim17ROCPRIM_400000_NS6detail17trampoline_kernelINS0_14default_configENS1_22reduce_config_selectorIlEEZNS1_11reduce_implILb1ES3_N6thrust23THRUST_200600_302600_NS11hip_rocprim26transform_input_iterator_tIlNS8_12zip_iteratorINS8_5tupleINS8_6detail15normal_iteratorINS8_10device_ptrIiEEEESH_NS8_9null_typeESI_SI_SI_SI_SI_SI_SI_EEEENS9_21zip_adj_not_predicateINS8_8equal_toIiEEEEEEPllNS8_4plusIlEEEE10hipError_tPvRmT1_T2_T3_mT4_P12ihipStream_tbEUlT_E1_NS1_11comp_targetILNS1_3genE4ELNS1_11target_archE910ELNS1_3gpuE8ELNS1_3repE0EEENS1_30default_config_static_selectorELNS0_4arch9wavefront6targetE1EEEvSW_.num_vgpr, 0
	.set _ZN7rocprim17ROCPRIM_400000_NS6detail17trampoline_kernelINS0_14default_configENS1_22reduce_config_selectorIlEEZNS1_11reduce_implILb1ES3_N6thrust23THRUST_200600_302600_NS11hip_rocprim26transform_input_iterator_tIlNS8_12zip_iteratorINS8_5tupleINS8_6detail15normal_iteratorINS8_10device_ptrIiEEEESH_NS8_9null_typeESI_SI_SI_SI_SI_SI_SI_EEEENS9_21zip_adj_not_predicateINS8_8equal_toIiEEEEEEPllNS8_4plusIlEEEE10hipError_tPvRmT1_T2_T3_mT4_P12ihipStream_tbEUlT_E1_NS1_11comp_targetILNS1_3genE4ELNS1_11target_archE910ELNS1_3gpuE8ELNS1_3repE0EEENS1_30default_config_static_selectorELNS0_4arch9wavefront6targetE1EEEvSW_.num_agpr, 0
	.set _ZN7rocprim17ROCPRIM_400000_NS6detail17trampoline_kernelINS0_14default_configENS1_22reduce_config_selectorIlEEZNS1_11reduce_implILb1ES3_N6thrust23THRUST_200600_302600_NS11hip_rocprim26transform_input_iterator_tIlNS8_12zip_iteratorINS8_5tupleINS8_6detail15normal_iteratorINS8_10device_ptrIiEEEESH_NS8_9null_typeESI_SI_SI_SI_SI_SI_SI_EEEENS9_21zip_adj_not_predicateINS8_8equal_toIiEEEEEEPllNS8_4plusIlEEEE10hipError_tPvRmT1_T2_T3_mT4_P12ihipStream_tbEUlT_E1_NS1_11comp_targetILNS1_3genE4ELNS1_11target_archE910ELNS1_3gpuE8ELNS1_3repE0EEENS1_30default_config_static_selectorELNS0_4arch9wavefront6targetE1EEEvSW_.numbered_sgpr, 0
	.set _ZN7rocprim17ROCPRIM_400000_NS6detail17trampoline_kernelINS0_14default_configENS1_22reduce_config_selectorIlEEZNS1_11reduce_implILb1ES3_N6thrust23THRUST_200600_302600_NS11hip_rocprim26transform_input_iterator_tIlNS8_12zip_iteratorINS8_5tupleINS8_6detail15normal_iteratorINS8_10device_ptrIiEEEESH_NS8_9null_typeESI_SI_SI_SI_SI_SI_SI_EEEENS9_21zip_adj_not_predicateINS8_8equal_toIiEEEEEEPllNS8_4plusIlEEEE10hipError_tPvRmT1_T2_T3_mT4_P12ihipStream_tbEUlT_E1_NS1_11comp_targetILNS1_3genE4ELNS1_11target_archE910ELNS1_3gpuE8ELNS1_3repE0EEENS1_30default_config_static_selectorELNS0_4arch9wavefront6targetE1EEEvSW_.num_named_barrier, 0
	.set _ZN7rocprim17ROCPRIM_400000_NS6detail17trampoline_kernelINS0_14default_configENS1_22reduce_config_selectorIlEEZNS1_11reduce_implILb1ES3_N6thrust23THRUST_200600_302600_NS11hip_rocprim26transform_input_iterator_tIlNS8_12zip_iteratorINS8_5tupleINS8_6detail15normal_iteratorINS8_10device_ptrIiEEEESH_NS8_9null_typeESI_SI_SI_SI_SI_SI_SI_EEEENS9_21zip_adj_not_predicateINS8_8equal_toIiEEEEEEPllNS8_4plusIlEEEE10hipError_tPvRmT1_T2_T3_mT4_P12ihipStream_tbEUlT_E1_NS1_11comp_targetILNS1_3genE4ELNS1_11target_archE910ELNS1_3gpuE8ELNS1_3repE0EEENS1_30default_config_static_selectorELNS0_4arch9wavefront6targetE1EEEvSW_.private_seg_size, 0
	.set _ZN7rocprim17ROCPRIM_400000_NS6detail17trampoline_kernelINS0_14default_configENS1_22reduce_config_selectorIlEEZNS1_11reduce_implILb1ES3_N6thrust23THRUST_200600_302600_NS11hip_rocprim26transform_input_iterator_tIlNS8_12zip_iteratorINS8_5tupleINS8_6detail15normal_iteratorINS8_10device_ptrIiEEEESH_NS8_9null_typeESI_SI_SI_SI_SI_SI_SI_EEEENS9_21zip_adj_not_predicateINS8_8equal_toIiEEEEEEPllNS8_4plusIlEEEE10hipError_tPvRmT1_T2_T3_mT4_P12ihipStream_tbEUlT_E1_NS1_11comp_targetILNS1_3genE4ELNS1_11target_archE910ELNS1_3gpuE8ELNS1_3repE0EEENS1_30default_config_static_selectorELNS0_4arch9wavefront6targetE1EEEvSW_.uses_vcc, 0
	.set _ZN7rocprim17ROCPRIM_400000_NS6detail17trampoline_kernelINS0_14default_configENS1_22reduce_config_selectorIlEEZNS1_11reduce_implILb1ES3_N6thrust23THRUST_200600_302600_NS11hip_rocprim26transform_input_iterator_tIlNS8_12zip_iteratorINS8_5tupleINS8_6detail15normal_iteratorINS8_10device_ptrIiEEEESH_NS8_9null_typeESI_SI_SI_SI_SI_SI_SI_EEEENS9_21zip_adj_not_predicateINS8_8equal_toIiEEEEEEPllNS8_4plusIlEEEE10hipError_tPvRmT1_T2_T3_mT4_P12ihipStream_tbEUlT_E1_NS1_11comp_targetILNS1_3genE4ELNS1_11target_archE910ELNS1_3gpuE8ELNS1_3repE0EEENS1_30default_config_static_selectorELNS0_4arch9wavefront6targetE1EEEvSW_.uses_flat_scratch, 0
	.set _ZN7rocprim17ROCPRIM_400000_NS6detail17trampoline_kernelINS0_14default_configENS1_22reduce_config_selectorIlEEZNS1_11reduce_implILb1ES3_N6thrust23THRUST_200600_302600_NS11hip_rocprim26transform_input_iterator_tIlNS8_12zip_iteratorINS8_5tupleINS8_6detail15normal_iteratorINS8_10device_ptrIiEEEESH_NS8_9null_typeESI_SI_SI_SI_SI_SI_SI_EEEENS9_21zip_adj_not_predicateINS8_8equal_toIiEEEEEEPllNS8_4plusIlEEEE10hipError_tPvRmT1_T2_T3_mT4_P12ihipStream_tbEUlT_E1_NS1_11comp_targetILNS1_3genE4ELNS1_11target_archE910ELNS1_3gpuE8ELNS1_3repE0EEENS1_30default_config_static_selectorELNS0_4arch9wavefront6targetE1EEEvSW_.has_dyn_sized_stack, 0
	.set _ZN7rocprim17ROCPRIM_400000_NS6detail17trampoline_kernelINS0_14default_configENS1_22reduce_config_selectorIlEEZNS1_11reduce_implILb1ES3_N6thrust23THRUST_200600_302600_NS11hip_rocprim26transform_input_iterator_tIlNS8_12zip_iteratorINS8_5tupleINS8_6detail15normal_iteratorINS8_10device_ptrIiEEEESH_NS8_9null_typeESI_SI_SI_SI_SI_SI_SI_EEEENS9_21zip_adj_not_predicateINS8_8equal_toIiEEEEEEPllNS8_4plusIlEEEE10hipError_tPvRmT1_T2_T3_mT4_P12ihipStream_tbEUlT_E1_NS1_11comp_targetILNS1_3genE4ELNS1_11target_archE910ELNS1_3gpuE8ELNS1_3repE0EEENS1_30default_config_static_selectorELNS0_4arch9wavefront6targetE1EEEvSW_.has_recursion, 0
	.set _ZN7rocprim17ROCPRIM_400000_NS6detail17trampoline_kernelINS0_14default_configENS1_22reduce_config_selectorIlEEZNS1_11reduce_implILb1ES3_N6thrust23THRUST_200600_302600_NS11hip_rocprim26transform_input_iterator_tIlNS8_12zip_iteratorINS8_5tupleINS8_6detail15normal_iteratorINS8_10device_ptrIiEEEESH_NS8_9null_typeESI_SI_SI_SI_SI_SI_SI_EEEENS9_21zip_adj_not_predicateINS8_8equal_toIiEEEEEEPllNS8_4plusIlEEEE10hipError_tPvRmT1_T2_T3_mT4_P12ihipStream_tbEUlT_E1_NS1_11comp_targetILNS1_3genE4ELNS1_11target_archE910ELNS1_3gpuE8ELNS1_3repE0EEENS1_30default_config_static_selectorELNS0_4arch9wavefront6targetE1EEEvSW_.has_indirect_call, 0
	.section	.AMDGPU.csdata,"",@progbits
; Kernel info:
; codeLenInByte = 0
; TotalNumSgprs: 4
; NumVgprs: 0
; ScratchSize: 0
; MemoryBound: 0
; FloatMode: 240
; IeeeMode: 1
; LDSByteSize: 0 bytes/workgroup (compile time only)
; SGPRBlocks: 0
; VGPRBlocks: 0
; NumSGPRsForWavesPerEU: 4
; NumVGPRsForWavesPerEU: 1
; Occupancy: 10
; WaveLimiterHint : 0
; COMPUTE_PGM_RSRC2:SCRATCH_EN: 0
; COMPUTE_PGM_RSRC2:USER_SGPR: 6
; COMPUTE_PGM_RSRC2:TRAP_HANDLER: 0
; COMPUTE_PGM_RSRC2:TGID_X_EN: 1
; COMPUTE_PGM_RSRC2:TGID_Y_EN: 0
; COMPUTE_PGM_RSRC2:TGID_Z_EN: 0
; COMPUTE_PGM_RSRC2:TIDIG_COMP_CNT: 0
	.section	.text._ZN7rocprim17ROCPRIM_400000_NS6detail17trampoline_kernelINS0_14default_configENS1_22reduce_config_selectorIlEEZNS1_11reduce_implILb1ES3_N6thrust23THRUST_200600_302600_NS11hip_rocprim26transform_input_iterator_tIlNS8_12zip_iteratorINS8_5tupleINS8_6detail15normal_iteratorINS8_10device_ptrIiEEEESH_NS8_9null_typeESI_SI_SI_SI_SI_SI_SI_EEEENS9_21zip_adj_not_predicateINS8_8equal_toIiEEEEEEPllNS8_4plusIlEEEE10hipError_tPvRmT1_T2_T3_mT4_P12ihipStream_tbEUlT_E1_NS1_11comp_targetILNS1_3genE3ELNS1_11target_archE908ELNS1_3gpuE7ELNS1_3repE0EEENS1_30default_config_static_selectorELNS0_4arch9wavefront6targetE1EEEvSW_,"axG",@progbits,_ZN7rocprim17ROCPRIM_400000_NS6detail17trampoline_kernelINS0_14default_configENS1_22reduce_config_selectorIlEEZNS1_11reduce_implILb1ES3_N6thrust23THRUST_200600_302600_NS11hip_rocprim26transform_input_iterator_tIlNS8_12zip_iteratorINS8_5tupleINS8_6detail15normal_iteratorINS8_10device_ptrIiEEEESH_NS8_9null_typeESI_SI_SI_SI_SI_SI_SI_EEEENS9_21zip_adj_not_predicateINS8_8equal_toIiEEEEEEPllNS8_4plusIlEEEE10hipError_tPvRmT1_T2_T3_mT4_P12ihipStream_tbEUlT_E1_NS1_11comp_targetILNS1_3genE3ELNS1_11target_archE908ELNS1_3gpuE7ELNS1_3repE0EEENS1_30default_config_static_selectorELNS0_4arch9wavefront6targetE1EEEvSW_,comdat
	.protected	_ZN7rocprim17ROCPRIM_400000_NS6detail17trampoline_kernelINS0_14default_configENS1_22reduce_config_selectorIlEEZNS1_11reduce_implILb1ES3_N6thrust23THRUST_200600_302600_NS11hip_rocprim26transform_input_iterator_tIlNS8_12zip_iteratorINS8_5tupleINS8_6detail15normal_iteratorINS8_10device_ptrIiEEEESH_NS8_9null_typeESI_SI_SI_SI_SI_SI_SI_EEEENS9_21zip_adj_not_predicateINS8_8equal_toIiEEEEEEPllNS8_4plusIlEEEE10hipError_tPvRmT1_T2_T3_mT4_P12ihipStream_tbEUlT_E1_NS1_11comp_targetILNS1_3genE3ELNS1_11target_archE908ELNS1_3gpuE7ELNS1_3repE0EEENS1_30default_config_static_selectorELNS0_4arch9wavefront6targetE1EEEvSW_ ; -- Begin function _ZN7rocprim17ROCPRIM_400000_NS6detail17trampoline_kernelINS0_14default_configENS1_22reduce_config_selectorIlEEZNS1_11reduce_implILb1ES3_N6thrust23THRUST_200600_302600_NS11hip_rocprim26transform_input_iterator_tIlNS8_12zip_iteratorINS8_5tupleINS8_6detail15normal_iteratorINS8_10device_ptrIiEEEESH_NS8_9null_typeESI_SI_SI_SI_SI_SI_SI_EEEENS9_21zip_adj_not_predicateINS8_8equal_toIiEEEEEEPllNS8_4plusIlEEEE10hipError_tPvRmT1_T2_T3_mT4_P12ihipStream_tbEUlT_E1_NS1_11comp_targetILNS1_3genE3ELNS1_11target_archE908ELNS1_3gpuE7ELNS1_3repE0EEENS1_30default_config_static_selectorELNS0_4arch9wavefront6targetE1EEEvSW_
	.globl	_ZN7rocprim17ROCPRIM_400000_NS6detail17trampoline_kernelINS0_14default_configENS1_22reduce_config_selectorIlEEZNS1_11reduce_implILb1ES3_N6thrust23THRUST_200600_302600_NS11hip_rocprim26transform_input_iterator_tIlNS8_12zip_iteratorINS8_5tupleINS8_6detail15normal_iteratorINS8_10device_ptrIiEEEESH_NS8_9null_typeESI_SI_SI_SI_SI_SI_SI_EEEENS9_21zip_adj_not_predicateINS8_8equal_toIiEEEEEEPllNS8_4plusIlEEEE10hipError_tPvRmT1_T2_T3_mT4_P12ihipStream_tbEUlT_E1_NS1_11comp_targetILNS1_3genE3ELNS1_11target_archE908ELNS1_3gpuE7ELNS1_3repE0EEENS1_30default_config_static_selectorELNS0_4arch9wavefront6targetE1EEEvSW_
	.p2align	8
	.type	_ZN7rocprim17ROCPRIM_400000_NS6detail17trampoline_kernelINS0_14default_configENS1_22reduce_config_selectorIlEEZNS1_11reduce_implILb1ES3_N6thrust23THRUST_200600_302600_NS11hip_rocprim26transform_input_iterator_tIlNS8_12zip_iteratorINS8_5tupleINS8_6detail15normal_iteratorINS8_10device_ptrIiEEEESH_NS8_9null_typeESI_SI_SI_SI_SI_SI_SI_EEEENS9_21zip_adj_not_predicateINS8_8equal_toIiEEEEEEPllNS8_4plusIlEEEE10hipError_tPvRmT1_T2_T3_mT4_P12ihipStream_tbEUlT_E1_NS1_11comp_targetILNS1_3genE3ELNS1_11target_archE908ELNS1_3gpuE7ELNS1_3repE0EEENS1_30default_config_static_selectorELNS0_4arch9wavefront6targetE1EEEvSW_,@function
_ZN7rocprim17ROCPRIM_400000_NS6detail17trampoline_kernelINS0_14default_configENS1_22reduce_config_selectorIlEEZNS1_11reduce_implILb1ES3_N6thrust23THRUST_200600_302600_NS11hip_rocprim26transform_input_iterator_tIlNS8_12zip_iteratorINS8_5tupleINS8_6detail15normal_iteratorINS8_10device_ptrIiEEEESH_NS8_9null_typeESI_SI_SI_SI_SI_SI_SI_EEEENS9_21zip_adj_not_predicateINS8_8equal_toIiEEEEEEPllNS8_4plusIlEEEE10hipError_tPvRmT1_T2_T3_mT4_P12ihipStream_tbEUlT_E1_NS1_11comp_targetILNS1_3genE3ELNS1_11target_archE908ELNS1_3gpuE7ELNS1_3repE0EEENS1_30default_config_static_selectorELNS0_4arch9wavefront6targetE1EEEvSW_: ; @_ZN7rocprim17ROCPRIM_400000_NS6detail17trampoline_kernelINS0_14default_configENS1_22reduce_config_selectorIlEEZNS1_11reduce_implILb1ES3_N6thrust23THRUST_200600_302600_NS11hip_rocprim26transform_input_iterator_tIlNS8_12zip_iteratorINS8_5tupleINS8_6detail15normal_iteratorINS8_10device_ptrIiEEEESH_NS8_9null_typeESI_SI_SI_SI_SI_SI_SI_EEEENS9_21zip_adj_not_predicateINS8_8equal_toIiEEEEEEPllNS8_4plusIlEEEE10hipError_tPvRmT1_T2_T3_mT4_P12ihipStream_tbEUlT_E1_NS1_11comp_targetILNS1_3genE3ELNS1_11target_archE908ELNS1_3gpuE7ELNS1_3repE0EEENS1_30default_config_static_selectorELNS0_4arch9wavefront6targetE1EEEvSW_
; %bb.0:
	.section	.rodata,"a",@progbits
	.p2align	6, 0x0
	.amdhsa_kernel _ZN7rocprim17ROCPRIM_400000_NS6detail17trampoline_kernelINS0_14default_configENS1_22reduce_config_selectorIlEEZNS1_11reduce_implILb1ES3_N6thrust23THRUST_200600_302600_NS11hip_rocprim26transform_input_iterator_tIlNS8_12zip_iteratorINS8_5tupleINS8_6detail15normal_iteratorINS8_10device_ptrIiEEEESH_NS8_9null_typeESI_SI_SI_SI_SI_SI_SI_EEEENS9_21zip_adj_not_predicateINS8_8equal_toIiEEEEEEPllNS8_4plusIlEEEE10hipError_tPvRmT1_T2_T3_mT4_P12ihipStream_tbEUlT_E1_NS1_11comp_targetILNS1_3genE3ELNS1_11target_archE908ELNS1_3gpuE7ELNS1_3repE0EEENS1_30default_config_static_selectorELNS0_4arch9wavefront6targetE1EEEvSW_
		.amdhsa_group_segment_fixed_size 0
		.amdhsa_private_segment_fixed_size 0
		.amdhsa_kernarg_size 64
		.amdhsa_user_sgpr_count 6
		.amdhsa_user_sgpr_private_segment_buffer 1
		.amdhsa_user_sgpr_dispatch_ptr 0
		.amdhsa_user_sgpr_queue_ptr 0
		.amdhsa_user_sgpr_kernarg_segment_ptr 1
		.amdhsa_user_sgpr_dispatch_id 0
		.amdhsa_user_sgpr_flat_scratch_init 0
		.amdhsa_user_sgpr_private_segment_size 0
		.amdhsa_uses_dynamic_stack 0
		.amdhsa_system_sgpr_private_segment_wavefront_offset 0
		.amdhsa_system_sgpr_workgroup_id_x 1
		.amdhsa_system_sgpr_workgroup_id_y 0
		.amdhsa_system_sgpr_workgroup_id_z 0
		.amdhsa_system_sgpr_workgroup_info 0
		.amdhsa_system_vgpr_workitem_id 0
		.amdhsa_next_free_vgpr 1
		.amdhsa_next_free_sgpr 0
		.amdhsa_reserve_vcc 0
		.amdhsa_reserve_flat_scratch 0
		.amdhsa_float_round_mode_32 0
		.amdhsa_float_round_mode_16_64 0
		.amdhsa_float_denorm_mode_32 3
		.amdhsa_float_denorm_mode_16_64 3
		.amdhsa_dx10_clamp 1
		.amdhsa_ieee_mode 1
		.amdhsa_fp16_overflow 0
		.amdhsa_exception_fp_ieee_invalid_op 0
		.amdhsa_exception_fp_denorm_src 0
		.amdhsa_exception_fp_ieee_div_zero 0
		.amdhsa_exception_fp_ieee_overflow 0
		.amdhsa_exception_fp_ieee_underflow 0
		.amdhsa_exception_fp_ieee_inexact 0
		.amdhsa_exception_int_div_zero 0
	.end_amdhsa_kernel
	.section	.text._ZN7rocprim17ROCPRIM_400000_NS6detail17trampoline_kernelINS0_14default_configENS1_22reduce_config_selectorIlEEZNS1_11reduce_implILb1ES3_N6thrust23THRUST_200600_302600_NS11hip_rocprim26transform_input_iterator_tIlNS8_12zip_iteratorINS8_5tupleINS8_6detail15normal_iteratorINS8_10device_ptrIiEEEESH_NS8_9null_typeESI_SI_SI_SI_SI_SI_SI_EEEENS9_21zip_adj_not_predicateINS8_8equal_toIiEEEEEEPllNS8_4plusIlEEEE10hipError_tPvRmT1_T2_T3_mT4_P12ihipStream_tbEUlT_E1_NS1_11comp_targetILNS1_3genE3ELNS1_11target_archE908ELNS1_3gpuE7ELNS1_3repE0EEENS1_30default_config_static_selectorELNS0_4arch9wavefront6targetE1EEEvSW_,"axG",@progbits,_ZN7rocprim17ROCPRIM_400000_NS6detail17trampoline_kernelINS0_14default_configENS1_22reduce_config_selectorIlEEZNS1_11reduce_implILb1ES3_N6thrust23THRUST_200600_302600_NS11hip_rocprim26transform_input_iterator_tIlNS8_12zip_iteratorINS8_5tupleINS8_6detail15normal_iteratorINS8_10device_ptrIiEEEESH_NS8_9null_typeESI_SI_SI_SI_SI_SI_SI_EEEENS9_21zip_adj_not_predicateINS8_8equal_toIiEEEEEEPllNS8_4plusIlEEEE10hipError_tPvRmT1_T2_T3_mT4_P12ihipStream_tbEUlT_E1_NS1_11comp_targetILNS1_3genE3ELNS1_11target_archE908ELNS1_3gpuE7ELNS1_3repE0EEENS1_30default_config_static_selectorELNS0_4arch9wavefront6targetE1EEEvSW_,comdat
.Lfunc_end971:
	.size	_ZN7rocprim17ROCPRIM_400000_NS6detail17trampoline_kernelINS0_14default_configENS1_22reduce_config_selectorIlEEZNS1_11reduce_implILb1ES3_N6thrust23THRUST_200600_302600_NS11hip_rocprim26transform_input_iterator_tIlNS8_12zip_iteratorINS8_5tupleINS8_6detail15normal_iteratorINS8_10device_ptrIiEEEESH_NS8_9null_typeESI_SI_SI_SI_SI_SI_SI_EEEENS9_21zip_adj_not_predicateINS8_8equal_toIiEEEEEEPllNS8_4plusIlEEEE10hipError_tPvRmT1_T2_T3_mT4_P12ihipStream_tbEUlT_E1_NS1_11comp_targetILNS1_3genE3ELNS1_11target_archE908ELNS1_3gpuE7ELNS1_3repE0EEENS1_30default_config_static_selectorELNS0_4arch9wavefront6targetE1EEEvSW_, .Lfunc_end971-_ZN7rocprim17ROCPRIM_400000_NS6detail17trampoline_kernelINS0_14default_configENS1_22reduce_config_selectorIlEEZNS1_11reduce_implILb1ES3_N6thrust23THRUST_200600_302600_NS11hip_rocprim26transform_input_iterator_tIlNS8_12zip_iteratorINS8_5tupleINS8_6detail15normal_iteratorINS8_10device_ptrIiEEEESH_NS8_9null_typeESI_SI_SI_SI_SI_SI_SI_EEEENS9_21zip_adj_not_predicateINS8_8equal_toIiEEEEEEPllNS8_4plusIlEEEE10hipError_tPvRmT1_T2_T3_mT4_P12ihipStream_tbEUlT_E1_NS1_11comp_targetILNS1_3genE3ELNS1_11target_archE908ELNS1_3gpuE7ELNS1_3repE0EEENS1_30default_config_static_selectorELNS0_4arch9wavefront6targetE1EEEvSW_
                                        ; -- End function
	.set _ZN7rocprim17ROCPRIM_400000_NS6detail17trampoline_kernelINS0_14default_configENS1_22reduce_config_selectorIlEEZNS1_11reduce_implILb1ES3_N6thrust23THRUST_200600_302600_NS11hip_rocprim26transform_input_iterator_tIlNS8_12zip_iteratorINS8_5tupleINS8_6detail15normal_iteratorINS8_10device_ptrIiEEEESH_NS8_9null_typeESI_SI_SI_SI_SI_SI_SI_EEEENS9_21zip_adj_not_predicateINS8_8equal_toIiEEEEEEPllNS8_4plusIlEEEE10hipError_tPvRmT1_T2_T3_mT4_P12ihipStream_tbEUlT_E1_NS1_11comp_targetILNS1_3genE3ELNS1_11target_archE908ELNS1_3gpuE7ELNS1_3repE0EEENS1_30default_config_static_selectorELNS0_4arch9wavefront6targetE1EEEvSW_.num_vgpr, 0
	.set _ZN7rocprim17ROCPRIM_400000_NS6detail17trampoline_kernelINS0_14default_configENS1_22reduce_config_selectorIlEEZNS1_11reduce_implILb1ES3_N6thrust23THRUST_200600_302600_NS11hip_rocprim26transform_input_iterator_tIlNS8_12zip_iteratorINS8_5tupleINS8_6detail15normal_iteratorINS8_10device_ptrIiEEEESH_NS8_9null_typeESI_SI_SI_SI_SI_SI_SI_EEEENS9_21zip_adj_not_predicateINS8_8equal_toIiEEEEEEPllNS8_4plusIlEEEE10hipError_tPvRmT1_T2_T3_mT4_P12ihipStream_tbEUlT_E1_NS1_11comp_targetILNS1_3genE3ELNS1_11target_archE908ELNS1_3gpuE7ELNS1_3repE0EEENS1_30default_config_static_selectorELNS0_4arch9wavefront6targetE1EEEvSW_.num_agpr, 0
	.set _ZN7rocprim17ROCPRIM_400000_NS6detail17trampoline_kernelINS0_14default_configENS1_22reduce_config_selectorIlEEZNS1_11reduce_implILb1ES3_N6thrust23THRUST_200600_302600_NS11hip_rocprim26transform_input_iterator_tIlNS8_12zip_iteratorINS8_5tupleINS8_6detail15normal_iteratorINS8_10device_ptrIiEEEESH_NS8_9null_typeESI_SI_SI_SI_SI_SI_SI_EEEENS9_21zip_adj_not_predicateINS8_8equal_toIiEEEEEEPllNS8_4plusIlEEEE10hipError_tPvRmT1_T2_T3_mT4_P12ihipStream_tbEUlT_E1_NS1_11comp_targetILNS1_3genE3ELNS1_11target_archE908ELNS1_3gpuE7ELNS1_3repE0EEENS1_30default_config_static_selectorELNS0_4arch9wavefront6targetE1EEEvSW_.numbered_sgpr, 0
	.set _ZN7rocprim17ROCPRIM_400000_NS6detail17trampoline_kernelINS0_14default_configENS1_22reduce_config_selectorIlEEZNS1_11reduce_implILb1ES3_N6thrust23THRUST_200600_302600_NS11hip_rocprim26transform_input_iterator_tIlNS8_12zip_iteratorINS8_5tupleINS8_6detail15normal_iteratorINS8_10device_ptrIiEEEESH_NS8_9null_typeESI_SI_SI_SI_SI_SI_SI_EEEENS9_21zip_adj_not_predicateINS8_8equal_toIiEEEEEEPllNS8_4plusIlEEEE10hipError_tPvRmT1_T2_T3_mT4_P12ihipStream_tbEUlT_E1_NS1_11comp_targetILNS1_3genE3ELNS1_11target_archE908ELNS1_3gpuE7ELNS1_3repE0EEENS1_30default_config_static_selectorELNS0_4arch9wavefront6targetE1EEEvSW_.num_named_barrier, 0
	.set _ZN7rocprim17ROCPRIM_400000_NS6detail17trampoline_kernelINS0_14default_configENS1_22reduce_config_selectorIlEEZNS1_11reduce_implILb1ES3_N6thrust23THRUST_200600_302600_NS11hip_rocprim26transform_input_iterator_tIlNS8_12zip_iteratorINS8_5tupleINS8_6detail15normal_iteratorINS8_10device_ptrIiEEEESH_NS8_9null_typeESI_SI_SI_SI_SI_SI_SI_EEEENS9_21zip_adj_not_predicateINS8_8equal_toIiEEEEEEPllNS8_4plusIlEEEE10hipError_tPvRmT1_T2_T3_mT4_P12ihipStream_tbEUlT_E1_NS1_11comp_targetILNS1_3genE3ELNS1_11target_archE908ELNS1_3gpuE7ELNS1_3repE0EEENS1_30default_config_static_selectorELNS0_4arch9wavefront6targetE1EEEvSW_.private_seg_size, 0
	.set _ZN7rocprim17ROCPRIM_400000_NS6detail17trampoline_kernelINS0_14default_configENS1_22reduce_config_selectorIlEEZNS1_11reduce_implILb1ES3_N6thrust23THRUST_200600_302600_NS11hip_rocprim26transform_input_iterator_tIlNS8_12zip_iteratorINS8_5tupleINS8_6detail15normal_iteratorINS8_10device_ptrIiEEEESH_NS8_9null_typeESI_SI_SI_SI_SI_SI_SI_EEEENS9_21zip_adj_not_predicateINS8_8equal_toIiEEEEEEPllNS8_4plusIlEEEE10hipError_tPvRmT1_T2_T3_mT4_P12ihipStream_tbEUlT_E1_NS1_11comp_targetILNS1_3genE3ELNS1_11target_archE908ELNS1_3gpuE7ELNS1_3repE0EEENS1_30default_config_static_selectorELNS0_4arch9wavefront6targetE1EEEvSW_.uses_vcc, 0
	.set _ZN7rocprim17ROCPRIM_400000_NS6detail17trampoline_kernelINS0_14default_configENS1_22reduce_config_selectorIlEEZNS1_11reduce_implILb1ES3_N6thrust23THRUST_200600_302600_NS11hip_rocprim26transform_input_iterator_tIlNS8_12zip_iteratorINS8_5tupleINS8_6detail15normal_iteratorINS8_10device_ptrIiEEEESH_NS8_9null_typeESI_SI_SI_SI_SI_SI_SI_EEEENS9_21zip_adj_not_predicateINS8_8equal_toIiEEEEEEPllNS8_4plusIlEEEE10hipError_tPvRmT1_T2_T3_mT4_P12ihipStream_tbEUlT_E1_NS1_11comp_targetILNS1_3genE3ELNS1_11target_archE908ELNS1_3gpuE7ELNS1_3repE0EEENS1_30default_config_static_selectorELNS0_4arch9wavefront6targetE1EEEvSW_.uses_flat_scratch, 0
	.set _ZN7rocprim17ROCPRIM_400000_NS6detail17trampoline_kernelINS0_14default_configENS1_22reduce_config_selectorIlEEZNS1_11reduce_implILb1ES3_N6thrust23THRUST_200600_302600_NS11hip_rocprim26transform_input_iterator_tIlNS8_12zip_iteratorINS8_5tupleINS8_6detail15normal_iteratorINS8_10device_ptrIiEEEESH_NS8_9null_typeESI_SI_SI_SI_SI_SI_SI_EEEENS9_21zip_adj_not_predicateINS8_8equal_toIiEEEEEEPllNS8_4plusIlEEEE10hipError_tPvRmT1_T2_T3_mT4_P12ihipStream_tbEUlT_E1_NS1_11comp_targetILNS1_3genE3ELNS1_11target_archE908ELNS1_3gpuE7ELNS1_3repE0EEENS1_30default_config_static_selectorELNS0_4arch9wavefront6targetE1EEEvSW_.has_dyn_sized_stack, 0
	.set _ZN7rocprim17ROCPRIM_400000_NS6detail17trampoline_kernelINS0_14default_configENS1_22reduce_config_selectorIlEEZNS1_11reduce_implILb1ES3_N6thrust23THRUST_200600_302600_NS11hip_rocprim26transform_input_iterator_tIlNS8_12zip_iteratorINS8_5tupleINS8_6detail15normal_iteratorINS8_10device_ptrIiEEEESH_NS8_9null_typeESI_SI_SI_SI_SI_SI_SI_EEEENS9_21zip_adj_not_predicateINS8_8equal_toIiEEEEEEPllNS8_4plusIlEEEE10hipError_tPvRmT1_T2_T3_mT4_P12ihipStream_tbEUlT_E1_NS1_11comp_targetILNS1_3genE3ELNS1_11target_archE908ELNS1_3gpuE7ELNS1_3repE0EEENS1_30default_config_static_selectorELNS0_4arch9wavefront6targetE1EEEvSW_.has_recursion, 0
	.set _ZN7rocprim17ROCPRIM_400000_NS6detail17trampoline_kernelINS0_14default_configENS1_22reduce_config_selectorIlEEZNS1_11reduce_implILb1ES3_N6thrust23THRUST_200600_302600_NS11hip_rocprim26transform_input_iterator_tIlNS8_12zip_iteratorINS8_5tupleINS8_6detail15normal_iteratorINS8_10device_ptrIiEEEESH_NS8_9null_typeESI_SI_SI_SI_SI_SI_SI_EEEENS9_21zip_adj_not_predicateINS8_8equal_toIiEEEEEEPllNS8_4plusIlEEEE10hipError_tPvRmT1_T2_T3_mT4_P12ihipStream_tbEUlT_E1_NS1_11comp_targetILNS1_3genE3ELNS1_11target_archE908ELNS1_3gpuE7ELNS1_3repE0EEENS1_30default_config_static_selectorELNS0_4arch9wavefront6targetE1EEEvSW_.has_indirect_call, 0
	.section	.AMDGPU.csdata,"",@progbits
; Kernel info:
; codeLenInByte = 0
; TotalNumSgprs: 4
; NumVgprs: 0
; ScratchSize: 0
; MemoryBound: 0
; FloatMode: 240
; IeeeMode: 1
; LDSByteSize: 0 bytes/workgroup (compile time only)
; SGPRBlocks: 0
; VGPRBlocks: 0
; NumSGPRsForWavesPerEU: 4
; NumVGPRsForWavesPerEU: 1
; Occupancy: 10
; WaveLimiterHint : 0
; COMPUTE_PGM_RSRC2:SCRATCH_EN: 0
; COMPUTE_PGM_RSRC2:USER_SGPR: 6
; COMPUTE_PGM_RSRC2:TRAP_HANDLER: 0
; COMPUTE_PGM_RSRC2:TGID_X_EN: 1
; COMPUTE_PGM_RSRC2:TGID_Y_EN: 0
; COMPUTE_PGM_RSRC2:TGID_Z_EN: 0
; COMPUTE_PGM_RSRC2:TIDIG_COMP_CNT: 0
	.section	.text._ZN7rocprim17ROCPRIM_400000_NS6detail17trampoline_kernelINS0_14default_configENS1_22reduce_config_selectorIlEEZNS1_11reduce_implILb1ES3_N6thrust23THRUST_200600_302600_NS11hip_rocprim26transform_input_iterator_tIlNS8_12zip_iteratorINS8_5tupleINS8_6detail15normal_iteratorINS8_10device_ptrIiEEEESH_NS8_9null_typeESI_SI_SI_SI_SI_SI_SI_EEEENS9_21zip_adj_not_predicateINS8_8equal_toIiEEEEEEPllNS8_4plusIlEEEE10hipError_tPvRmT1_T2_T3_mT4_P12ihipStream_tbEUlT_E1_NS1_11comp_targetILNS1_3genE2ELNS1_11target_archE906ELNS1_3gpuE6ELNS1_3repE0EEENS1_30default_config_static_selectorELNS0_4arch9wavefront6targetE1EEEvSW_,"axG",@progbits,_ZN7rocprim17ROCPRIM_400000_NS6detail17trampoline_kernelINS0_14default_configENS1_22reduce_config_selectorIlEEZNS1_11reduce_implILb1ES3_N6thrust23THRUST_200600_302600_NS11hip_rocprim26transform_input_iterator_tIlNS8_12zip_iteratorINS8_5tupleINS8_6detail15normal_iteratorINS8_10device_ptrIiEEEESH_NS8_9null_typeESI_SI_SI_SI_SI_SI_SI_EEEENS9_21zip_adj_not_predicateINS8_8equal_toIiEEEEEEPllNS8_4plusIlEEEE10hipError_tPvRmT1_T2_T3_mT4_P12ihipStream_tbEUlT_E1_NS1_11comp_targetILNS1_3genE2ELNS1_11target_archE906ELNS1_3gpuE6ELNS1_3repE0EEENS1_30default_config_static_selectorELNS0_4arch9wavefront6targetE1EEEvSW_,comdat
	.protected	_ZN7rocprim17ROCPRIM_400000_NS6detail17trampoline_kernelINS0_14default_configENS1_22reduce_config_selectorIlEEZNS1_11reduce_implILb1ES3_N6thrust23THRUST_200600_302600_NS11hip_rocprim26transform_input_iterator_tIlNS8_12zip_iteratorINS8_5tupleINS8_6detail15normal_iteratorINS8_10device_ptrIiEEEESH_NS8_9null_typeESI_SI_SI_SI_SI_SI_SI_EEEENS9_21zip_adj_not_predicateINS8_8equal_toIiEEEEEEPllNS8_4plusIlEEEE10hipError_tPvRmT1_T2_T3_mT4_P12ihipStream_tbEUlT_E1_NS1_11comp_targetILNS1_3genE2ELNS1_11target_archE906ELNS1_3gpuE6ELNS1_3repE0EEENS1_30default_config_static_selectorELNS0_4arch9wavefront6targetE1EEEvSW_ ; -- Begin function _ZN7rocprim17ROCPRIM_400000_NS6detail17trampoline_kernelINS0_14default_configENS1_22reduce_config_selectorIlEEZNS1_11reduce_implILb1ES3_N6thrust23THRUST_200600_302600_NS11hip_rocprim26transform_input_iterator_tIlNS8_12zip_iteratorINS8_5tupleINS8_6detail15normal_iteratorINS8_10device_ptrIiEEEESH_NS8_9null_typeESI_SI_SI_SI_SI_SI_SI_EEEENS9_21zip_adj_not_predicateINS8_8equal_toIiEEEEEEPllNS8_4plusIlEEEE10hipError_tPvRmT1_T2_T3_mT4_P12ihipStream_tbEUlT_E1_NS1_11comp_targetILNS1_3genE2ELNS1_11target_archE906ELNS1_3gpuE6ELNS1_3repE0EEENS1_30default_config_static_selectorELNS0_4arch9wavefront6targetE1EEEvSW_
	.globl	_ZN7rocprim17ROCPRIM_400000_NS6detail17trampoline_kernelINS0_14default_configENS1_22reduce_config_selectorIlEEZNS1_11reduce_implILb1ES3_N6thrust23THRUST_200600_302600_NS11hip_rocprim26transform_input_iterator_tIlNS8_12zip_iteratorINS8_5tupleINS8_6detail15normal_iteratorINS8_10device_ptrIiEEEESH_NS8_9null_typeESI_SI_SI_SI_SI_SI_SI_EEEENS9_21zip_adj_not_predicateINS8_8equal_toIiEEEEEEPllNS8_4plusIlEEEE10hipError_tPvRmT1_T2_T3_mT4_P12ihipStream_tbEUlT_E1_NS1_11comp_targetILNS1_3genE2ELNS1_11target_archE906ELNS1_3gpuE6ELNS1_3repE0EEENS1_30default_config_static_selectorELNS0_4arch9wavefront6targetE1EEEvSW_
	.p2align	8
	.type	_ZN7rocprim17ROCPRIM_400000_NS6detail17trampoline_kernelINS0_14default_configENS1_22reduce_config_selectorIlEEZNS1_11reduce_implILb1ES3_N6thrust23THRUST_200600_302600_NS11hip_rocprim26transform_input_iterator_tIlNS8_12zip_iteratorINS8_5tupleINS8_6detail15normal_iteratorINS8_10device_ptrIiEEEESH_NS8_9null_typeESI_SI_SI_SI_SI_SI_SI_EEEENS9_21zip_adj_not_predicateINS8_8equal_toIiEEEEEEPllNS8_4plusIlEEEE10hipError_tPvRmT1_T2_T3_mT4_P12ihipStream_tbEUlT_E1_NS1_11comp_targetILNS1_3genE2ELNS1_11target_archE906ELNS1_3gpuE6ELNS1_3repE0EEENS1_30default_config_static_selectorELNS0_4arch9wavefront6targetE1EEEvSW_,@function
_ZN7rocprim17ROCPRIM_400000_NS6detail17trampoline_kernelINS0_14default_configENS1_22reduce_config_selectorIlEEZNS1_11reduce_implILb1ES3_N6thrust23THRUST_200600_302600_NS11hip_rocprim26transform_input_iterator_tIlNS8_12zip_iteratorINS8_5tupleINS8_6detail15normal_iteratorINS8_10device_ptrIiEEEESH_NS8_9null_typeESI_SI_SI_SI_SI_SI_SI_EEEENS9_21zip_adj_not_predicateINS8_8equal_toIiEEEEEEPllNS8_4plusIlEEEE10hipError_tPvRmT1_T2_T3_mT4_P12ihipStream_tbEUlT_E1_NS1_11comp_targetILNS1_3genE2ELNS1_11target_archE906ELNS1_3gpuE6ELNS1_3repE0EEENS1_30default_config_static_selectorELNS0_4arch9wavefront6targetE1EEEvSW_: ; @_ZN7rocprim17ROCPRIM_400000_NS6detail17trampoline_kernelINS0_14default_configENS1_22reduce_config_selectorIlEEZNS1_11reduce_implILb1ES3_N6thrust23THRUST_200600_302600_NS11hip_rocprim26transform_input_iterator_tIlNS8_12zip_iteratorINS8_5tupleINS8_6detail15normal_iteratorINS8_10device_ptrIiEEEESH_NS8_9null_typeESI_SI_SI_SI_SI_SI_SI_EEEENS9_21zip_adj_not_predicateINS8_8equal_toIiEEEEEEPllNS8_4plusIlEEEE10hipError_tPvRmT1_T2_T3_mT4_P12ihipStream_tbEUlT_E1_NS1_11comp_targetILNS1_3genE2ELNS1_11target_archE906ELNS1_3gpuE6ELNS1_3repE0EEENS1_30default_config_static_selectorELNS0_4arch9wavefront6targetE1EEEvSW_
; %bb.0:
	s_load_dword s30, s[4:5], 0x4
	s_load_dwordx4 s[24:27], s[4:5], 0x8
	s_load_dwordx4 s[20:23], s[4:5], 0x20
	s_waitcnt lgkmcnt(0)
	s_cmp_lt_i32 s30, 4
	s_cbranch_scc1 .LBB972_10
; %bb.1:
	s_cmp_gt_i32 s30, 7
	s_cbranch_scc0 .LBB972_11
; %bb.2:
	s_cmp_gt_i32 s30, 15
	s_cbranch_scc0 .LBB972_12
; %bb.3:
	s_mov_b64 s[2:3], 0
	s_cmp_eq_u32 s30, 16
	s_mov_b64 s[0:1], 0
                                        ; implicit-def: $vgpr1_vgpr2
                                        ; implicit-def: $vgpr3_vgpr4
	s_cbranch_scc0 .LBB972_13
; %bb.4:
	s_mov_b32 s7, 0
	s_lshl_b32 s12, s6, 12
	s_mov_b32 s13, s7
	s_lshr_b64 s[0:1], s[20:21], 12
	s_lshl_b64 s[10:11], s[12:13], 2
	s_add_u32 s8, s24, s10
	s_addc_u32 s9, s25, s11
	s_add_u32 s10, s26, s10
	s_addc_u32 s11, s27, s11
	s_cmp_lg_u64 s[0:1], s[6:7]
	s_cbranch_scc0 .LBB972_21
; %bb.5:
	v_lshlrev_b32_e32 v13, 2, v0
	v_mov_b32_e32 v1, s9
	v_add_co_u32_e32 v9, vcc, s8, v13
	v_addc_co_u32_e32 v10, vcc, 0, v1, vcc
	v_mov_b32_e32 v1, s11
	v_add_co_u32_e32 v11, vcc, s10, v13
	v_addc_co_u32_e32 v12, vcc, 0, v1, vcc
	s_movk_i32 s0, 0x2000
	v_add_co_u32_e32 v1, vcc, s0, v9
	v_addc_co_u32_e32 v2, vcc, 0, v10, vcc
	v_add_co_u32_e32 v3, vcc, s0, v11
	v_addc_co_u32_e32 v4, vcc, 0, v12, vcc
	global_load_dword v14, v[1:2], off offset:-4096
	global_load_dword v15, v[3:4], off offset:-4096
	global_load_dword v16, v13, s[10:11] offset:3072
	global_load_dword v17, v13, s[8:9] offset:3072
	s_movk_i32 s0, 0x1000
	v_add_co_u32_e32 v5, vcc, s0, v9
	v_addc_co_u32_e32 v6, vcc, 0, v10, vcc
	v_add_co_u32_e32 v7, vcc, s0, v11
	s_movk_i32 s1, 0x3000
	v_addc_co_u32_e32 v8, vcc, 0, v12, vcc
	v_add_co_u32_e32 v9, vcc, s1, v9
	v_addc_co_u32_e32 v10, vcc, 0, v10, vcc
	v_add_co_u32_e32 v11, vcc, s1, v11
	v_addc_co_u32_e32 v12, vcc, 0, v12, vcc
	global_load_dword v18, v[5:6], off offset:1024
	global_load_dword v19, v[5:6], off offset:2048
	;; [unrolled: 1-line block ×6, first 2 shown]
	global_load_dword v24, v[1:2], off
	global_load_dword v25, v[1:2], off offset:1024
	global_load_dword v26, v[1:2], off offset:2048
	;; [unrolled: 1-line block ×3, first 2 shown]
	global_load_dword v28, v[3:4], off
	global_load_dword v29, v[3:4], off offset:1024
	global_load_dword v30, v[3:4], off offset:2048
	;; [unrolled: 1-line block ×3, first 2 shown]
	global_load_dword v32, v[9:10], off
                                        ; kill: killed $vgpr3 killed $vgpr4
                                        ; kill: killed $vgpr1 killed $vgpr2
                                        ; kill: killed $vgpr7 killed $vgpr8
                                        ; kill: killed $vgpr5 killed $vgpr6
	global_load_dword v1, v[9:10], off offset:1024
	global_load_dword v2, v[9:10], off offset:2048
	s_nop 0
	global_load_dword v3, v[9:10], off offset:3072
	global_load_dword v4, v[11:12], off
	global_load_dword v5, v[11:12], off offset:1024
	global_load_dword v6, v[11:12], off offset:2048
	;; [unrolled: 1-line block ×3, first 2 shown]
	s_waitcnt vmcnt(24)
	v_cmp_ne_u32_e32 vcc, v14, v15
	global_load_dword v8, v13, s[10:11] offset:1024
	global_load_dword v9, v13, s[10:11] offset:2048
	;; [unrolled: 1-line block ×3, first 2 shown]
	global_load_dword v11, v13, s[10:11]
	global_load_dword v12, v13, s[8:9] offset:2048
	global_load_dword v14, v13, s[8:9]
	s_waitcnt vmcnt(28)
	v_cmp_ne_u32_e64 s[0:1], v17, v16
	v_cndmask_b32_e64 v16, 0, 1, vcc
	s_waitcnt vmcnt(24)
	v_cmp_ne_u32_e32 vcc, v18, v21
	v_cndmask_b32_e64 v17, 0, 1, vcc
	s_waitcnt vmcnt(23)
	v_cmp_ne_u32_e32 vcc, v19, v22
	;; [unrolled: 3-line block ×11, first 2 shown]
	v_cndmask_b32_e64 v3, 0, 1, vcc
	v_cndmask_b32_e64 v15, 0, 1, s[0:1]
	v_mov_b32_e32 v13, 0
	s_waitcnt vmcnt(3)
	v_cmp_ne_u32_e32 vcc, v10, v8
	v_cndmask_b32_e64 v5, 0, 1, vcc
	s_waitcnt vmcnt(0)
	v_cmp_ne_u32_e32 vcc, v14, v11
	v_cndmask_b32_e64 v6, 0, 1, vcc
	v_cmp_ne_u32_e32 vcc, v12, v9
	v_addc_co_u32_e32 v5, vcc, v5, v6, vcc
	v_add_co_u32_e32 v5, vcc, v5, v15
	v_addc_co_u32_e64 v6, s[0:1], 0, 0, vcc
	v_add_co_u32_e32 v5, vcc, v5, v16
	v_addc_co_u32_e32 v6, vcc, 0, v6, vcc
	v_add_co_u32_e32 v5, vcc, v5, v17
	v_addc_co_u32_e32 v6, vcc, 0, v6, vcc
	;; [unrolled: 2-line block ×12, first 2 shown]
	s_nop 0
	v_mov_b32_dpp v4, v1 quad_perm:[1,0,3,2] row_mask:0xf bank_mask:0xf bound_ctrl:1
	v_add_co_u32_e32 v1, vcc, v1, v4
	v_addc_co_u32_e32 v2, vcc, 0, v2, vcc
	v_mov_b32_dpp v5, v13 quad_perm:[1,0,3,2] row_mask:0xf bank_mask:0xf bound_ctrl:1
	v_add_co_u32_e32 v4, vcc, 0, v1
	v_addc_co_u32_e32 v2, vcc, v5, v2, vcc
	v_mov_b32_dpp v1, v1 quad_perm:[2,3,0,1] row_mask:0xf bank_mask:0xf bound_ctrl:1
	v_add_co_u32_e32 v1, vcc, v4, v1
	v_mov_b32_dpp v5, v2 quad_perm:[2,3,0,1] row_mask:0xf bank_mask:0xf bound_ctrl:1
	v_addc_co_u32_e32 v2, vcc, 0, v2, vcc
	v_add_co_u32_e32 v4, vcc, 0, v1
	v_addc_co_u32_e32 v2, vcc, v2, v5, vcc
	v_mov_b32_dpp v1, v1 row_ror:4 row_mask:0xf bank_mask:0xf bound_ctrl:1
	v_add_co_u32_e32 v1, vcc, v4, v1
	v_mov_b32_dpp v5, v2 row_ror:4 row_mask:0xf bank_mask:0xf bound_ctrl:1
	v_addc_co_u32_e32 v2, vcc, 0, v2, vcc
	v_add_co_u32_e32 v4, vcc, 0, v1
	v_addc_co_u32_e32 v2, vcc, v2, v5, vcc
	v_mov_b32_dpp v1, v1 row_ror:8 row_mask:0xf bank_mask:0xf bound_ctrl:1
	v_add_co_u32_e32 v1, vcc, v4, v1
	v_mov_b32_dpp v5, v2 row_ror:8 row_mask:0xf bank_mask:0xf bound_ctrl:1
	v_addc_co_u32_e32 v2, vcc, 0, v2, vcc
	v_add_co_u32_e32 v4, vcc, 0, v1
	v_addc_co_u32_e32 v2, vcc, v2, v5, vcc
	v_mov_b32_dpp v1, v1 row_bcast:15 row_mask:0xf bank_mask:0xf bound_ctrl:1
	v_add_co_u32_e32 v1, vcc, v4, v1
	v_mov_b32_dpp v5, v2 row_bcast:15 row_mask:0xf bank_mask:0xf bound_ctrl:1
	v_addc_co_u32_e32 v2, vcc, 0, v2, vcc
	v_add_co_u32_e32 v4, vcc, 0, v1
	v_addc_co_u32_e32 v2, vcc, v2, v5, vcc
	v_mov_b32_dpp v1, v1 row_bcast:31 row_mask:0xf bank_mask:0xf bound_ctrl:1
	v_mbcnt_lo_u32_b32 v3, -1, 0
	v_add_co_u32_e32 v1, vcc, v4, v1
	v_mbcnt_hi_u32_b32 v3, -1, v3
	v_addc_co_u32_e32 v4, vcc, 0, v2, vcc
	v_cmp_eq_u32_e32 vcc, 0, v3
	s_nop 0
	v_add_u32_dpp v2, v2, v4 row_bcast:31 row_mask:0xf bank_mask:0xf bound_ctrl:1
	v_lshlrev_b32_e32 v4, 2, v3
	v_or_b32_e32 v5, 0xfc, v4
	ds_bpermute_b32 v1, v5, v1
	ds_bpermute_b32 v2, v5, v2
	s_and_saveexec_b64 s[0:1], vcc
	s_cbranch_execz .LBB972_7
; %bb.6:
	v_lshrrev_b32_e32 v5, 3, v0
	v_and_b32_e32 v5, 24, v5
	s_waitcnt lgkmcnt(0)
	ds_write_b64 v5, v[1:2]
.LBB972_7:
	s_or_b64 exec, exec, s[0:1]
	v_cmp_gt_u32_e32 vcc, 64, v0
	s_waitcnt lgkmcnt(0)
	s_barrier
	s_and_saveexec_b64 s[0:1], vcc
	s_cbranch_execz .LBB972_9
; %bb.8:
	v_and_b32_e32 v5, 3, v3
	v_lshlrev_b32_e32 v1, 3, v5
	ds_read_b64 v[1:2], v1
	v_cmp_ne_u32_e32 vcc, 3, v5
	v_addc_co_u32_e32 v3, vcc, 0, v3, vcc
	v_lshlrev_b32_e32 v3, 2, v3
	s_waitcnt lgkmcnt(0)
	ds_bpermute_b32 v5, v3, v1
	ds_bpermute_b32 v3, v3, v2
	v_or_b32_e32 v4, 8, v4
	s_waitcnt lgkmcnt(1)
	v_add_co_u32_e32 v1, vcc, v1, v5
	v_addc_co_u32_e32 v2, vcc, 0, v2, vcc
	ds_bpermute_b32 v5, v4, v1
	v_add_co_u32_e32 v1, vcc, 0, v1
	s_waitcnt lgkmcnt(1)
	v_addc_co_u32_e32 v2, vcc, v3, v2, vcc
	ds_bpermute_b32 v3, v4, v2
	s_waitcnt lgkmcnt(1)
	v_add_co_u32_e32 v1, vcc, v1, v5
	v_addc_co_u32_e32 v2, vcc, 0, v2, vcc
	v_add_co_u32_e32 v1, vcc, 0, v1
	s_waitcnt lgkmcnt(0)
	v_addc_co_u32_e32 v2, vcc, v2, v3, vcc
.LBB972_9:
	s_or_b64 exec, exec, s[0:1]
	s_mov_b64 s[0:1], 0
	s_branch .LBB972_22
.LBB972_10:
	s_mov_b64 s[0:1], 0
                                        ; implicit-def: $vgpr1_vgpr2
                                        ; implicit-def: $vgpr3_vgpr4
	s_cbranch_execnz .LBB972_145
	s_branch .LBB972_206
.LBB972_11:
	s_mov_b64 s[0:1], 0
                                        ; implicit-def: $vgpr1_vgpr2
                                        ; implicit-def: $vgpr3_vgpr4
	s_cbranch_execnz .LBB972_110
	s_branch .LBB972_144
.LBB972_12:
	s_mov_b64 s[2:3], -1
	s_mov_b64 s[0:1], 0
                                        ; implicit-def: $vgpr1_vgpr2
                                        ; implicit-def: $vgpr3_vgpr4
.LBB972_13:
	s_and_b64 vcc, exec, s[2:3]
	s_cbranch_vccz .LBB972_109
.LBB972_14:
	s_cmp_eq_u32 s30, 8
                                        ; implicit-def: $vgpr1_vgpr2
                                        ; implicit-def: $vgpr3_vgpr4
	s_cbranch_scc0 .LBB972_109
; %bb.15:
	s_mov_b32 s7, 0
	s_lshl_b32 s0, s6, 11
	s_mov_b32 s1, s7
	s_lshr_b64 s[2:3], s[20:21], 11
	s_lshl_b64 s[8:9], s[0:1], 2
	s_add_u32 s16, s24, s8
	s_addc_u32 s17, s25, s9
	s_add_u32 s18, s26, s8
	s_addc_u32 s19, s27, s9
	s_cmp_lg_u64 s[2:3], s[6:7]
	s_cbranch_scc0 .LBB972_73
; %bb.16:
	v_lshlrev_b32_e32 v1, 2, v0
	v_mov_b32_e32 v2, s17
	v_add_co_u32_e32 v3, vcc, s16, v1
	global_load_dword v6, v1, s[16:17]
	global_load_dword v7, v1, s[18:19]
	global_load_dword v8, v1, s[16:17] offset:1024
	global_load_dword v9, v1, s[18:19] offset:1024
	;; [unrolled: 1-line block ×6, first 2 shown]
	v_addc_co_u32_e32 v2, vcc, 0, v2, vcc
	v_mov_b32_e32 v4, s19
	v_add_co_u32_e32 v5, vcc, s18, v1
	v_addc_co_u32_e32 v4, vcc, 0, v4, vcc
	s_movk_i32 s1, 0x1000
	v_add_co_u32_e32 v1, vcc, s1, v3
	v_addc_co_u32_e32 v2, vcc, 0, v2, vcc
	v_add_co_u32_e32 v3, vcc, s1, v5
	v_addc_co_u32_e32 v4, vcc, 0, v4, vcc
	global_load_dword v5, v[3:4], off
	global_load_dword v14, v[1:2], off
	global_load_dword v15, v[1:2], off offset:1024
	global_load_dword v16, v[3:4], off offset:1024
	;; [unrolled: 1-line block ×6, first 2 shown]
	v_mbcnt_lo_u32_b32 v2, -1, 0
	v_mbcnt_hi_u32_b32 v3, -1, v2
	v_mov_b32_e32 v1, 0
	s_waitcnt vmcnt(8)
	v_cmp_ne_u32_e32 vcc, v13, v12
	v_cndmask_b32_e64 v2, 0, 1, vcc
	v_cmp_ne_u32_e32 vcc, v8, v9
	v_cndmask_b32_e64 v4, 0, 1, vcc
	;; [unrolled: 2-line block ×3, first 2 shown]
	v_cmp_ne_u32_e32 vcc, v10, v11
	v_addc_co_u32_e32 v4, vcc, v4, v6, vcc
	v_mov_b32_dpp v1, v1 quad_perm:[1,0,3,2] row_mask:0xf bank_mask:0xf bound_ctrl:1
	s_waitcnt vmcnt(6)
	v_cmp_ne_u32_e32 vcc, v14, v5
	v_cndmask_b32_e64 v5, 0, 1, vcc
	s_waitcnt vmcnt(4)
	v_cmp_ne_u32_e32 vcc, v15, v16
	v_cndmask_b32_e64 v6, 0, 1, vcc
	;; [unrolled: 3-line block ×4, first 2 shown]
	v_add_co_u32_e32 v2, vcc, v4, v2
	v_addc_co_u32_e64 v4, s[2:3], 0, 0, vcc
	v_add_co_u32_e32 v2, vcc, v2, v5
	v_addc_co_u32_e32 v4, vcc, 0, v4, vcc
	v_add_co_u32_e32 v2, vcc, v2, v6
	v_addc_co_u32_e32 v4, vcc, 0, v4, vcc
	;; [unrolled: 2-line block ×4, first 2 shown]
	s_nop 0
	v_mov_b32_dpp v5, v2 quad_perm:[1,0,3,2] row_mask:0xf bank_mask:0xf bound_ctrl:1
	v_add_co_u32_e32 v2, vcc, v2, v5
	v_addc_co_u32_e32 v4, vcc, 0, v4, vcc
	v_add_co_u32_e32 v5, vcc, 0, v2
	v_addc_co_u32_e32 v1, vcc, v1, v4, vcc
	v_mov_b32_dpp v2, v2 quad_perm:[2,3,0,1] row_mask:0xf bank_mask:0xf bound_ctrl:1
	v_add_co_u32_e32 v2, vcc, v5, v2
	v_mov_b32_dpp v4, v1 quad_perm:[2,3,0,1] row_mask:0xf bank_mask:0xf bound_ctrl:1
	v_addc_co_u32_e32 v1, vcc, 0, v1, vcc
	v_add_co_u32_e32 v5, vcc, 0, v2
	v_addc_co_u32_e32 v1, vcc, v1, v4, vcc
	v_mov_b32_dpp v2, v2 row_ror:4 row_mask:0xf bank_mask:0xf bound_ctrl:1
	v_add_co_u32_e32 v2, vcc, v5, v2
	v_mov_b32_dpp v4, v1 row_ror:4 row_mask:0xf bank_mask:0xf bound_ctrl:1
	v_addc_co_u32_e32 v1, vcc, 0, v1, vcc
	v_add_co_u32_e32 v5, vcc, 0, v2
	v_addc_co_u32_e32 v1, vcc, v1, v4, vcc
	v_mov_b32_dpp v2, v2 row_ror:8 row_mask:0xf bank_mask:0xf bound_ctrl:1
	v_add_co_u32_e32 v2, vcc, v5, v2
	v_mov_b32_dpp v4, v1 row_ror:8 row_mask:0xf bank_mask:0xf bound_ctrl:1
	v_addc_co_u32_e32 v1, vcc, 0, v1, vcc
	v_add_co_u32_e32 v5, vcc, 0, v2
	v_addc_co_u32_e32 v1, vcc, v1, v4, vcc
	v_mov_b32_dpp v2, v2 row_bcast:15 row_mask:0xf bank_mask:0xf bound_ctrl:1
	v_add_co_u32_e32 v2, vcc, v5, v2
	v_mov_b32_dpp v4, v1 row_bcast:15 row_mask:0xf bank_mask:0xf bound_ctrl:1
	v_addc_co_u32_e32 v1, vcc, 0, v1, vcc
	v_add_co_u32_e32 v5, vcc, 0, v2
	v_addc_co_u32_e32 v1, vcc, v1, v4, vcc
	v_mov_b32_dpp v2, v2 row_bcast:31 row_mask:0xf bank_mask:0xf bound_ctrl:1
	v_add_co_u32_e32 v2, vcc, v5, v2
	v_addc_co_u32_e32 v4, vcc, 0, v1, vcc
	v_cmp_eq_u32_e32 vcc, 0, v3
	s_nop 0
	v_add_u32_dpp v5, v1, v4 row_bcast:31 row_mask:0xf bank_mask:0xf bound_ctrl:1
	v_lshlrev_b32_e32 v4, 2, v3
	v_or_b32_e32 v6, 0xfc, v4
	ds_bpermute_b32 v1, v6, v2
	ds_bpermute_b32 v2, v6, v5
	s_and_saveexec_b64 s[2:3], vcc
	s_cbranch_execz .LBB972_18
; %bb.17:
	v_lshrrev_b32_e32 v5, 3, v0
	v_and_b32_e32 v5, 24, v5
	s_waitcnt lgkmcnt(0)
	ds_write_b64 v5, v[1:2] offset:128
.LBB972_18:
	s_or_b64 exec, exec, s[2:3]
	v_cmp_gt_u32_e32 vcc, 64, v0
	s_waitcnt lgkmcnt(0)
	s_barrier
	s_and_saveexec_b64 s[2:3], vcc
	s_cbranch_execz .LBB972_20
; %bb.19:
	v_and_b32_e32 v5, 3, v3
	v_lshlrev_b32_e32 v1, 3, v5
	ds_read_b64 v[1:2], v1 offset:128
	v_cmp_ne_u32_e32 vcc, 3, v5
	v_addc_co_u32_e32 v3, vcc, 0, v3, vcc
	v_lshlrev_b32_e32 v3, 2, v3
	s_waitcnt lgkmcnt(0)
	ds_bpermute_b32 v5, v3, v1
	ds_bpermute_b32 v3, v3, v2
	v_or_b32_e32 v4, 8, v4
	s_waitcnt lgkmcnt(1)
	v_add_co_u32_e32 v1, vcc, v1, v5
	v_addc_co_u32_e32 v2, vcc, 0, v2, vcc
	ds_bpermute_b32 v5, v4, v1
	v_add_co_u32_e32 v1, vcc, 0, v1
	s_waitcnt lgkmcnt(1)
	v_addc_co_u32_e32 v2, vcc, v3, v2, vcc
	ds_bpermute_b32 v3, v4, v2
	s_waitcnt lgkmcnt(1)
	v_add_co_u32_e32 v1, vcc, v1, v5
	v_addc_co_u32_e32 v2, vcc, 0, v2, vcc
	v_add_co_u32_e32 v1, vcc, 0, v1
	s_waitcnt lgkmcnt(0)
	v_addc_co_u32_e32 v2, vcc, v2, v3, vcc
.LBB972_20:
	s_or_b64 exec, exec, s[2:3]
	s_mov_b64 s[2:3], 0
	s_branch .LBB972_74
.LBB972_21:
	s_mov_b64 s[0:1], -1
                                        ; implicit-def: $vgpr1_vgpr2
.LBB972_22:
	s_and_b64 vcc, exec, s[0:1]
	s_cbranch_vccz .LBB972_72
; %bb.23:
	s_sub_i32 s12, s20, s12
	v_cmp_gt_u32_e32 vcc, s12, v0
                                        ; implicit-def: $vgpr1_vgpr2
	s_and_saveexec_b64 s[0:1], vcc
	s_cbranch_execz .LBB972_25
; %bb.24:
	v_lshlrev_b32_e32 v1, 2, v0
	global_load_dword v2, v1, s[8:9]
	global_load_dword v3, v1, s[10:11]
	s_mov_b32 s13, 0
	s_waitcnt vmcnt(0)
	v_cmp_ne_u32_e32 vcc, v2, v3
	v_cndmask_b32_e64 v1, 0, 1, vcc
	v_mov_b32_e32 v2, s13
.LBB972_25:
	s_or_b64 exec, exec, s[0:1]
	v_or_b32_e32 v7, 0x100, v0
	v_mov_b32_e32 v3, 0
	v_mov_b32_e32 v5, 0
	;; [unrolled: 1-line block ×4, first 2 shown]
	v_cmp_gt_u32_e32 vcc, s12, v7
	s_and_saveexec_b64 s[0:1], vcc
	s_cbranch_execz .LBB972_27
; %bb.26:
	v_lshlrev_b32_e32 v5, 2, v0
	global_load_dword v6, v5, s[8:9] offset:1024
	global_load_dword v7, v5, s[10:11] offset:1024
	s_mov_b32 s13, 0
	s_waitcnt vmcnt(0)
	v_cmp_ne_u32_e32 vcc, v6, v7
	v_cndmask_b32_e64 v5, 0, 1, vcc
	v_mov_b32_e32 v6, s13
.LBB972_27:
	s_or_b64 exec, exec, s[0:1]
	v_or_b32_e32 v7, 0x200, v0
	v_cmp_gt_u32_e32 vcc, s12, v7
	s_and_saveexec_b64 s[0:1], vcc
	s_cbranch_execz .LBB972_29
; %bb.28:
	v_lshlrev_b32_e32 v3, 2, v0
	global_load_dword v4, v3, s[8:9] offset:2048
	global_load_dword v7, v3, s[10:11] offset:2048
	s_mov_b32 s13, 0
	s_waitcnt vmcnt(0)
	v_cmp_ne_u32_e32 vcc, v4, v7
	v_cndmask_b32_e64 v3, 0, 1, vcc
	v_mov_b32_e32 v4, s13
.LBB972_29:
	s_or_b64 exec, exec, s[0:1]
	v_or_b32_e32 v11, 0x300, v0
	v_mov_b32_e32 v7, 0
	v_mov_b32_e32 v9, 0
	v_mov_b32_e32 v8, 0
	v_mov_b32_e32 v10, 0
	v_cmp_gt_u32_e32 vcc, s12, v11
	s_and_saveexec_b64 s[0:1], vcc
	s_cbranch_execz .LBB972_31
; %bb.30:
	v_lshlrev_b32_e32 v9, 2, v0
	global_load_dword v10, v9, s[8:9] offset:3072
	global_load_dword v11, v9, s[10:11] offset:3072
	s_mov_b32 s13, 0
	s_waitcnt vmcnt(0)
	v_cmp_ne_u32_e32 vcc, v10, v11
	v_cndmask_b32_e64 v9, 0, 1, vcc
	v_mov_b32_e32 v10, s13
.LBB972_31:
	s_or_b64 exec, exec, s[0:1]
	v_or_b32_e32 v11, 0x400, v0
	v_cmp_gt_u32_e32 vcc, s12, v11
	s_and_saveexec_b64 s[0:1], vcc
	s_cbranch_execz .LBB972_33
; %bb.32:
	v_lshlrev_b32_e32 v7, 2, v11
	global_load_dword v8, v7, s[8:9]
	global_load_dword v11, v7, s[10:11]
	s_mov_b32 s13, 0
	s_waitcnt vmcnt(0)
	v_cmp_ne_u32_e32 vcc, v8, v11
	v_cndmask_b32_e64 v7, 0, 1, vcc
	v_mov_b32_e32 v8, s13
.LBB972_33:
	s_or_b64 exec, exec, s[0:1]
	v_or_b32_e32 v15, 0x500, v0
	v_mov_b32_e32 v11, 0
	v_mov_b32_e32 v13, 0
	v_mov_b32_e32 v12, 0
	v_mov_b32_e32 v14, 0
	v_cmp_gt_u32_e32 vcc, s12, v15
	s_and_saveexec_b64 s[0:1], vcc
	s_cbranch_execz .LBB972_35
; %bb.34:
	v_lshlrev_b32_e32 v13, 2, v15
	global_load_dword v14, v13, s[8:9]
	global_load_dword v15, v13, s[10:11]
	s_mov_b32 s13, 0
	s_waitcnt vmcnt(0)
	v_cmp_ne_u32_e32 vcc, v14, v15
	v_cndmask_b32_e64 v13, 0, 1, vcc
	v_mov_b32_e32 v14, s13
.LBB972_35:
	s_or_b64 exec, exec, s[0:1]
	v_or_b32_e32 v15, 0x600, v0
	v_cmp_gt_u32_e32 vcc, s12, v15
	s_and_saveexec_b64 s[0:1], vcc
	s_cbranch_execz .LBB972_37
; %bb.36:
	v_lshlrev_b32_e32 v11, 2, v15
	global_load_dword v12, v11, s[8:9]
	global_load_dword v15, v11, s[10:11]
	s_mov_b32 s13, 0
	s_waitcnt vmcnt(0)
	v_cmp_ne_u32_e32 vcc, v12, v15
	v_cndmask_b32_e64 v11, 0, 1, vcc
	v_mov_b32_e32 v12, s13
.LBB972_37:
	s_or_b64 exec, exec, s[0:1]
	v_or_b32_e32 v19, 0x700, v0
	v_mov_b32_e32 v15, 0
	v_mov_b32_e32 v17, 0
	v_mov_b32_e32 v16, 0
	v_mov_b32_e32 v18, 0
	v_cmp_gt_u32_e32 vcc, s12, v19
	s_and_saveexec_b64 s[0:1], vcc
	s_cbranch_execz .LBB972_39
; %bb.38:
	v_lshlrev_b32_e32 v17, 2, v19
	global_load_dword v18, v17, s[8:9]
	global_load_dword v19, v17, s[10:11]
	s_mov_b32 s13, 0
	s_waitcnt vmcnt(0)
	v_cmp_ne_u32_e32 vcc, v18, v19
	v_cndmask_b32_e64 v17, 0, 1, vcc
	v_mov_b32_e32 v18, s13
.LBB972_39:
	;; [unrolled: 34-line block ×5, first 2 shown]
	s_or_b64 exec, exec, s[0:1]
	v_or_b32_e32 v31, 0xe00, v0
	v_cmp_gt_u32_e32 vcc, s12, v31
	s_and_saveexec_b64 s[0:1], vcc
	s_cbranch_execz .LBB972_53
; %bb.52:
	v_lshlrev_b32_e32 v27, 2, v31
	global_load_dword v28, v27, s[8:9]
	global_load_dword v31, v27, s[10:11]
	s_mov_b32 s13, 0
	s_waitcnt vmcnt(0)
	v_cmp_ne_u32_e32 vcc, v28, v31
	v_cndmask_b32_e64 v27, 0, 1, vcc
	v_mov_b32_e32 v28, s13
.LBB972_53:
	s_or_b64 exec, exec, s[0:1]
	v_or_b32_e32 v33, 0xf00, v0
	v_mov_b32_e32 v31, 0
	v_mov_b32_e32 v32, 0
	v_cmp_gt_u32_e32 vcc, s12, v33
	s_and_saveexec_b64 s[0:1], vcc
	s_cbranch_execz .LBB972_55
; %bb.54:
	v_lshlrev_b32_e32 v31, 2, v33
	global_load_dword v32, v31, s[8:9]
	global_load_dword v33, v31, s[10:11]
	s_mov_b32 s8, 0
	s_waitcnt vmcnt(0)
	v_cmp_ne_u32_e32 vcc, v32, v33
	v_cndmask_b32_e64 v31, 0, 1, vcc
	v_mov_b32_e32 v32, s8
.LBB972_55:
	s_or_b64 exec, exec, s[0:1]
	v_add_co_u32_e32 v1, vcc, v5, v1
	v_addc_co_u32_e32 v2, vcc, v6, v2, vcc
	v_add_co_u32_e32 v1, vcc, v1, v3
	v_addc_co_u32_e32 v2, vcc, v2, v4, vcc
	;; [unrolled: 2-line block ×14, first 2 shown]
	v_mbcnt_lo_u32_b32 v3, -1, 0
	v_add_co_u32_e32 v1, vcc, v1, v31
	v_mbcnt_hi_u32_b32 v3, -1, v3
	v_addc_co_u32_e32 v2, vcc, v2, v32, vcc
	v_and_b32_e32 v4, 63, v3
	v_cmp_ne_u32_e32 vcc, 63, v4
	v_addc_co_u32_e32 v6, vcc, 0, v3, vcc
	v_lshlrev_b32_e32 v6, 2, v6
	ds_bpermute_b32 v8, v6, v1
	ds_bpermute_b32 v7, v6, v2
	s_min_u32 s8, s12, 0x100
	v_and_b32_e32 v5, 0xc0, v0
	v_sub_u32_e64 v5, s8, v5 clamp
	v_add_u32_e32 v6, 1, v4
	v_cmp_lt_u32_e32 vcc, v6, v5
	v_mov_b32_e32 v6, v1
	s_and_saveexec_b64 s[0:1], vcc
	s_cbranch_execz .LBB972_57
; %bb.56:
	s_waitcnt lgkmcnt(1)
	v_add_co_u32_e32 v6, vcc, v1, v8
	v_addc_co_u32_e32 v2, vcc, 0, v2, vcc
	v_add_co_u32_e32 v1, vcc, 0, v6
	s_waitcnt lgkmcnt(0)
	v_addc_co_u32_e32 v2, vcc, v7, v2, vcc
.LBB972_57:
	s_or_b64 exec, exec, s[0:1]
	v_cmp_gt_u32_e32 vcc, 62, v4
	s_waitcnt lgkmcnt(0)
	v_cndmask_b32_e64 v7, 0, 2, vcc
	v_add_lshl_u32 v7, v7, v3, 2
	ds_bpermute_b32 v8, v7, v6
	ds_bpermute_b32 v7, v7, v2
	v_add_u32_e32 v9, 2, v4
	v_cmp_lt_u32_e32 vcc, v9, v5
	s_and_saveexec_b64 s[0:1], vcc
	s_cbranch_execz .LBB972_59
; %bb.58:
	s_waitcnt lgkmcnt(1)
	v_add_co_u32_e32 v6, vcc, v1, v8
	v_addc_co_u32_e32 v2, vcc, 0, v2, vcc
	v_add_co_u32_e32 v1, vcc, 0, v6
	s_waitcnt lgkmcnt(0)
	v_addc_co_u32_e32 v2, vcc, v7, v2, vcc
.LBB972_59:
	s_or_b64 exec, exec, s[0:1]
	v_cmp_gt_u32_e32 vcc, 60, v4
	s_waitcnt lgkmcnt(0)
	v_cndmask_b32_e64 v7, 0, 4, vcc
	v_add_lshl_u32 v7, v7, v3, 2
	ds_bpermute_b32 v8, v7, v6
	ds_bpermute_b32 v7, v7, v2
	v_add_u32_e32 v9, 4, v4
	v_cmp_lt_u32_e32 vcc, v9, v5
	;; [unrolled: 19-line block ×4, first 2 shown]
	s_and_saveexec_b64 s[0:1], vcc
	s_cbranch_execz .LBB972_65
; %bb.64:
	s_waitcnt lgkmcnt(1)
	v_add_co_u32_e32 v6, vcc, v1, v8
	v_addc_co_u32_e32 v2, vcc, 0, v2, vcc
	v_add_co_u32_e32 v1, vcc, 0, v6
	s_waitcnt lgkmcnt(0)
	v_addc_co_u32_e32 v2, vcc, v7, v2, vcc
.LBB972_65:
	s_or_b64 exec, exec, s[0:1]
	s_waitcnt lgkmcnt(0)
	v_lshlrev_b32_e32 v7, 2, v3
	v_or_b32_e32 v8, 0x80, v7
	ds_bpermute_b32 v6, v8, v6
	ds_bpermute_b32 v8, v8, v2
	v_add_u32_e32 v4, 32, v4
	s_waitcnt lgkmcnt(1)
	v_add_co_u32_e32 v6, vcc, v1, v6
	v_addc_co_u32_e32 v9, vcc, 0, v2, vcc
	v_add_co_u32_e32 v6, vcc, 0, v6
	s_waitcnt lgkmcnt(0)
	v_addc_co_u32_e32 v8, vcc, v9, v8, vcc
	v_cmp_lt_u32_e32 vcc, v4, v5
	v_cndmask_b32_e32 v2, v2, v8, vcc
	v_cndmask_b32_e32 v1, v1, v6, vcc
	v_cmp_eq_u32_e32 vcc, 0, v3
	s_and_saveexec_b64 s[0:1], vcc
; %bb.66:
	v_lshrrev_b32_e32 v4, 3, v0
	v_and_b32_e32 v4, 24, v4
	ds_write_b64 v4, v[1:2] offset:160
; %bb.67:
	s_or_b64 exec, exec, s[0:1]
	v_cmp_gt_u32_e32 vcc, 4, v0
	s_waitcnt lgkmcnt(0)
	s_barrier
	s_and_saveexec_b64 s[0:1], vcc
	s_cbranch_execz .LBB972_71
; %bb.68:
	v_lshlrev_b32_e32 v1, 3, v3
	ds_read_b64 v[1:2], v1 offset:160
	v_and_b32_e32 v4, 3, v3
	v_cmp_ne_u32_e32 vcc, 3, v4
	v_addc_co_u32_e32 v3, vcc, 0, v3, vcc
	v_lshlrev_b32_e32 v3, 2, v3
	s_waitcnt lgkmcnt(0)
	ds_bpermute_b32 v6, v3, v1
	ds_bpermute_b32 v5, v3, v2
	s_add_i32 s8, s8, 63
	s_lshr_b32 s10, s8, 6
	v_add_u32_e32 v3, 1, v4
	v_cmp_gt_u32_e32 vcc, s10, v3
	v_mov_b32_e32 v3, v1
	s_and_saveexec_b64 s[8:9], vcc
	s_cbranch_execz .LBB972_70
; %bb.69:
	s_waitcnt lgkmcnt(1)
	v_add_co_u32_e32 v3, vcc, v1, v6
	v_addc_co_u32_e32 v2, vcc, 0, v2, vcc
	v_add_co_u32_e32 v1, vcc, 0, v3
	s_waitcnt lgkmcnt(0)
	v_addc_co_u32_e32 v2, vcc, v5, v2, vcc
.LBB972_70:
	s_or_b64 exec, exec, s[8:9]
	s_waitcnt lgkmcnt(0)
	v_or_b32_e32 v5, 8, v7
	ds_bpermute_b32 v3, v5, v3
	ds_bpermute_b32 v5, v5, v2
	v_add_u32_e32 v4, 2, v4
	s_waitcnt lgkmcnt(1)
	v_add_co_u32_e32 v3, vcc, v1, v3
	v_addc_co_u32_e32 v6, vcc, 0, v2, vcc
	v_add_co_u32_e32 v3, vcc, 0, v3
	s_waitcnt lgkmcnt(0)
	v_addc_co_u32_e32 v5, vcc, v6, v5, vcc
	v_cmp_gt_u32_e32 vcc, s10, v4
	v_cndmask_b32_e32 v2, v2, v5, vcc
	v_cndmask_b32_e32 v1, v1, v3, vcc
.LBB972_71:
	s_or_b64 exec, exec, s[0:1]
.LBB972_72:
	v_mov_b32_e32 v3, s6
	v_cmp_eq_u32_e64 s[0:1], 0, v0
	v_mov_b32_e32 v4, s7
	s_and_b64 vcc, exec, s[2:3]
	s_cbranch_vccnz .LBB972_14
	s_branch .LBB972_109
.LBB972_73:
	s_mov_b64 s[2:3], -1
                                        ; implicit-def: $vgpr1_vgpr2
.LBB972_74:
	s_and_b64 vcc, exec, s[2:3]
	s_cbranch_vccz .LBB972_108
; %bb.75:
	s_sub_i32 s31, s20, s0
	v_mov_b32_e32 v1, 0
	v_cmp_gt_u32_e32 vcc, s31, v0
	v_mov_b32_e32 v2, v1
	v_mov_b32_e32 v3, v1
	;; [unrolled: 1-line block ×15, first 2 shown]
	s_and_saveexec_b64 s[0:1], vcc
	s_cbranch_execz .LBB972_77
; %bb.76:
	v_mov_b32_e32 v2, v1
	v_mov_b32_e32 v3, v1
	;; [unrolled: 1-line block ×15, first 2 shown]
	v_lshlrev_b32_e32 v1, 2, v0
	global_load_dword v17, v1, s[16:17]
	global_load_dword v18, v1, s[18:19]
	s_waitcnt vmcnt(0)
	v_cmp_ne_u32_e32 vcc, v17, v18
	v_cndmask_b32_e64 v1, 0, 1, vcc
	v_and_b32_e32 v1, 0xffff, v1
.LBB972_77:
	s_or_b64 exec, exec, s[0:1]
	v_or_b32_e32 v17, 0x100, v0
	v_cmp_gt_u32_e32 vcc, s31, v17
	s_and_saveexec_b64 s[2:3], vcc
	s_cbranch_execz .LBB972_79
; %bb.78:
	v_lshlrev_b32_e32 v3, 2, v0
	global_load_dword v4, v3, s[16:17] offset:1024
	global_load_dword v17, v3, s[18:19] offset:1024
	s_mov_b32 s8, 0
	s_waitcnt vmcnt(0)
	v_cmp_ne_u32_e64 s[0:1], v4, v17
	v_cndmask_b32_e64 v3, 0, 1, s[0:1]
	v_mov_b32_e32 v4, s8
.LBB972_79:
	s_or_b64 exec, exec, s[2:3]
	v_or_b32_e32 v17, 0x200, v0
	v_cmp_gt_u32_e64 s[0:1], s31, v17
	s_and_saveexec_b64 s[8:9], s[0:1]
	s_cbranch_execz .LBB972_81
; %bb.80:
	v_lshlrev_b32_e32 v5, 2, v0
	global_load_dword v6, v5, s[16:17] offset:2048
	global_load_dword v17, v5, s[18:19] offset:2048
	s_mov_b32 s10, 0
	s_waitcnt vmcnt(0)
	v_cmp_ne_u32_e64 s[2:3], v6, v17
	v_cndmask_b32_e64 v5, 0, 1, s[2:3]
	v_mov_b32_e32 v6, s10
.LBB972_81:
	s_or_b64 exec, exec, s[8:9]
	v_or_b32_e32 v17, 0x300, v0
	v_cmp_gt_u32_e64 s[2:3], s31, v17
	s_and_saveexec_b64 s[10:11], s[2:3]
	;; [unrolled: 15-line block ×3, first 2 shown]
	s_cbranch_execz .LBB972_85
; %bb.84:
	v_lshlrev_b32_e32 v9, 2, v17
	global_load_dword v10, v9, s[16:17]
	global_load_dword v17, v9, s[18:19]
	s_mov_b32 s14, 0
	s_waitcnt vmcnt(0)
	v_cmp_ne_u32_e64 s[10:11], v10, v17
	v_cndmask_b32_e64 v9, 0, 1, s[10:11]
	v_mov_b32_e32 v10, s14
.LBB972_85:
	s_or_b64 exec, exec, s[12:13]
	v_or_b32_e32 v17, 0x500, v0
	v_cmp_gt_u32_e64 s[10:11], s31, v17
	s_and_saveexec_b64 s[14:15], s[10:11]
	s_cbranch_execz .LBB972_87
; %bb.86:
	v_lshlrev_b32_e32 v11, 2, v17
	global_load_dword v12, v11, s[16:17]
	global_load_dword v17, v11, s[18:19]
	s_mov_b32 s28, 0
	s_waitcnt vmcnt(0)
	v_cmp_ne_u32_e64 s[12:13], v12, v17
	v_cndmask_b32_e64 v11, 0, 1, s[12:13]
	v_mov_b32_e32 v12, s28
.LBB972_87:
	s_or_b64 exec, exec, s[14:15]
	v_or_b32_e32 v17, 0x600, v0
	v_cmp_gt_u32_e64 s[12:13], s31, v17
	s_and_saveexec_b64 s[28:29], s[12:13]
	;; [unrolled: 15-line block ×3, first 2 shown]
	s_cbranch_execz .LBB972_91
; %bb.90:
	v_lshlrev_b32_e32 v15, 2, v17
	global_load_dword v16, v15, s[16:17]
	global_load_dword v17, v15, s[18:19]
	s_mov_b32 s18, 0
	s_waitcnt vmcnt(0)
	v_cmp_ne_u32_e64 s[16:17], v16, v17
	v_cndmask_b32_e64 v15, 0, 1, s[16:17]
	v_mov_b32_e32 v16, s18
.LBB972_91:
	s_or_b64 exec, exec, s[28:29]
	v_cndmask_b32_e32 v3, 0, v3, vcc
	v_cndmask_b32_e32 v4, 0, v4, vcc
	v_add_co_u32_e32 v1, vcc, v3, v1
	v_addc_co_u32_e32 v2, vcc, v4, v2, vcc
	v_cndmask_b32_e64 v4, 0, v5, s[0:1]
	v_cndmask_b32_e64 v3, 0, v6, s[0:1]
	v_add_co_u32_e32 v1, vcc, v1, v4
	v_addc_co_u32_e32 v2, vcc, v2, v3, vcc
	v_cndmask_b32_e64 v4, 0, v7, s[2:3]
	v_cndmask_b32_e64 v3, 0, v8, s[2:3]
	;; [unrolled: 4-line block ×6, first 2 shown]
	v_add_co_u32_e32 v1, vcc, v1, v4
	v_addc_co_u32_e32 v2, vcc, v2, v3, vcc
	v_mbcnt_lo_u32_b32 v3, -1, 0
	v_mbcnt_hi_u32_b32 v3, -1, v3
	v_and_b32_e32 v4, 63, v3
	v_cmp_ne_u32_e32 vcc, 63, v4
	v_addc_co_u32_e32 v6, vcc, 0, v3, vcc
	v_lshlrev_b32_e32 v6, 2, v6
	ds_bpermute_b32 v8, v6, v1
	ds_bpermute_b32 v7, v6, v2
	s_min_u32 s2, s31, 0x100
	v_and_b32_e32 v5, 0xc0, v0
	v_sub_u32_e64 v5, s2, v5 clamp
	v_add_u32_e32 v6, 1, v4
	v_cmp_lt_u32_e32 vcc, v6, v5
	v_mov_b32_e32 v6, v1
	s_and_saveexec_b64 s[0:1], vcc
	s_cbranch_execz .LBB972_93
; %bb.92:
	s_waitcnt lgkmcnt(1)
	v_add_co_u32_e32 v6, vcc, v1, v8
	v_addc_co_u32_e32 v2, vcc, 0, v2, vcc
	v_add_co_u32_e32 v1, vcc, 0, v6
	s_waitcnt lgkmcnt(0)
	v_addc_co_u32_e32 v2, vcc, v2, v7, vcc
.LBB972_93:
	s_or_b64 exec, exec, s[0:1]
	v_cmp_gt_u32_e32 vcc, 62, v4
	s_waitcnt lgkmcnt(0)
	v_cndmask_b32_e64 v7, 0, 2, vcc
	v_add_lshl_u32 v7, v7, v3, 2
	ds_bpermute_b32 v8, v7, v6
	ds_bpermute_b32 v7, v7, v2
	v_add_u32_e32 v9, 2, v4
	v_cmp_lt_u32_e32 vcc, v9, v5
	s_and_saveexec_b64 s[0:1], vcc
	s_cbranch_execz .LBB972_95
; %bb.94:
	s_waitcnt lgkmcnt(1)
	v_add_co_u32_e32 v6, vcc, v1, v8
	v_addc_co_u32_e32 v2, vcc, 0, v2, vcc
	v_add_co_u32_e32 v1, vcc, 0, v6
	s_waitcnt lgkmcnt(0)
	v_addc_co_u32_e32 v2, vcc, v7, v2, vcc
.LBB972_95:
	s_or_b64 exec, exec, s[0:1]
	v_cmp_gt_u32_e32 vcc, 60, v4
	s_waitcnt lgkmcnt(0)
	v_cndmask_b32_e64 v7, 0, 4, vcc
	v_add_lshl_u32 v7, v7, v3, 2
	ds_bpermute_b32 v8, v7, v6
	ds_bpermute_b32 v7, v7, v2
	v_add_u32_e32 v9, 4, v4
	v_cmp_lt_u32_e32 vcc, v9, v5
	s_and_saveexec_b64 s[0:1], vcc
	s_cbranch_execz .LBB972_97
; %bb.96:
	s_waitcnt lgkmcnt(1)
	v_add_co_u32_e32 v6, vcc, v1, v8
	v_addc_co_u32_e32 v2, vcc, 0, v2, vcc
	v_add_co_u32_e32 v1, vcc, 0, v6
	s_waitcnt lgkmcnt(0)
	v_addc_co_u32_e32 v2, vcc, v7, v2, vcc
.LBB972_97:
	s_or_b64 exec, exec, s[0:1]
	v_cmp_gt_u32_e32 vcc, 56, v4
	s_waitcnt lgkmcnt(0)
	v_cndmask_b32_e64 v7, 0, 8, vcc
	v_add_lshl_u32 v7, v7, v3, 2
	ds_bpermute_b32 v8, v7, v6
	ds_bpermute_b32 v7, v7, v2
	v_add_u32_e32 v9, 8, v4
	v_cmp_lt_u32_e32 vcc, v9, v5
	s_and_saveexec_b64 s[0:1], vcc
	s_cbranch_execz .LBB972_99
; %bb.98:
	s_waitcnt lgkmcnt(1)
	v_add_co_u32_e32 v6, vcc, v1, v8
	v_addc_co_u32_e32 v2, vcc, 0, v2, vcc
	v_add_co_u32_e32 v1, vcc, 0, v6
	s_waitcnt lgkmcnt(0)
	v_addc_co_u32_e32 v2, vcc, v7, v2, vcc
.LBB972_99:
	s_or_b64 exec, exec, s[0:1]
	v_cmp_gt_u32_e32 vcc, 48, v4
	s_waitcnt lgkmcnt(0)
	v_cndmask_b32_e64 v7, 0, 16, vcc
	v_add_lshl_u32 v7, v7, v3, 2
	ds_bpermute_b32 v8, v7, v6
	ds_bpermute_b32 v7, v7, v2
	v_add_u32_e32 v9, 16, v4
	v_cmp_lt_u32_e32 vcc, v9, v5
	s_and_saveexec_b64 s[0:1], vcc
	s_cbranch_execz .LBB972_101
; %bb.100:
	s_waitcnt lgkmcnt(1)
	v_add_co_u32_e32 v6, vcc, v1, v8
	v_addc_co_u32_e32 v2, vcc, 0, v2, vcc
	v_add_co_u32_e32 v1, vcc, 0, v6
	s_waitcnt lgkmcnt(0)
	v_addc_co_u32_e32 v2, vcc, v7, v2, vcc
.LBB972_101:
	s_or_b64 exec, exec, s[0:1]
	s_waitcnt lgkmcnt(0)
	v_lshlrev_b32_e32 v7, 2, v3
	v_or_b32_e32 v8, 0x80, v7
	ds_bpermute_b32 v6, v8, v6
	ds_bpermute_b32 v8, v8, v2
	v_add_u32_e32 v4, 32, v4
	s_waitcnt lgkmcnt(1)
	v_add_co_u32_e32 v6, vcc, v1, v6
	v_addc_co_u32_e32 v9, vcc, 0, v2, vcc
	v_add_co_u32_e32 v6, vcc, 0, v6
	s_waitcnt lgkmcnt(0)
	v_addc_co_u32_e32 v8, vcc, v9, v8, vcc
	v_cmp_lt_u32_e32 vcc, v4, v5
	v_cndmask_b32_e32 v2, v2, v8, vcc
	v_cndmask_b32_e32 v1, v1, v6, vcc
	v_cmp_eq_u32_e32 vcc, 0, v3
	s_and_saveexec_b64 s[0:1], vcc
; %bb.102:
	v_lshrrev_b32_e32 v4, 3, v0
	v_and_b32_e32 v4, 24, v4
	ds_write_b64 v4, v[1:2] offset:160
; %bb.103:
	s_or_b64 exec, exec, s[0:1]
	v_cmp_gt_u32_e32 vcc, 4, v0
	s_waitcnt lgkmcnt(0)
	s_barrier
	s_and_saveexec_b64 s[0:1], vcc
	s_cbranch_execz .LBB972_107
; %bb.104:
	v_lshlrev_b32_e32 v1, 3, v3
	ds_read_b64 v[1:2], v1 offset:160
	v_and_b32_e32 v4, 3, v3
	v_cmp_ne_u32_e32 vcc, 3, v4
	v_addc_co_u32_e32 v3, vcc, 0, v3, vcc
	v_lshlrev_b32_e32 v3, 2, v3
	s_waitcnt lgkmcnt(0)
	ds_bpermute_b32 v6, v3, v1
	ds_bpermute_b32 v5, v3, v2
	s_add_i32 s2, s2, 63
	s_lshr_b32 s8, s2, 6
	v_add_u32_e32 v3, 1, v4
	v_cmp_gt_u32_e32 vcc, s8, v3
	v_mov_b32_e32 v3, v1
	s_and_saveexec_b64 s[2:3], vcc
	s_cbranch_execz .LBB972_106
; %bb.105:
	s_waitcnt lgkmcnt(1)
	v_add_co_u32_e32 v3, vcc, v1, v6
	v_addc_co_u32_e32 v2, vcc, 0, v2, vcc
	v_add_co_u32_e32 v1, vcc, 0, v3
	s_waitcnt lgkmcnt(0)
	v_addc_co_u32_e32 v2, vcc, v5, v2, vcc
.LBB972_106:
	s_or_b64 exec, exec, s[2:3]
	s_waitcnt lgkmcnt(0)
	v_or_b32_e32 v5, 8, v7
	ds_bpermute_b32 v3, v5, v3
	ds_bpermute_b32 v5, v5, v2
	v_add_u32_e32 v4, 2, v4
	s_waitcnt lgkmcnt(1)
	v_add_co_u32_e32 v3, vcc, v1, v3
	v_addc_co_u32_e32 v6, vcc, 0, v2, vcc
	v_add_co_u32_e32 v3, vcc, 0, v3
	s_waitcnt lgkmcnt(0)
	v_addc_co_u32_e32 v5, vcc, v6, v5, vcc
	v_cmp_gt_u32_e32 vcc, s8, v4
	v_cndmask_b32_e32 v2, v2, v5, vcc
	v_cndmask_b32_e32 v1, v1, v3, vcc
.LBB972_107:
	s_or_b64 exec, exec, s[0:1]
.LBB972_108:
	v_mov_b32_e32 v3, s6
	v_cmp_eq_u32_e64 s[0:1], 0, v0
	v_mov_b32_e32 v4, s7
.LBB972_109:
	s_branch .LBB972_144
.LBB972_110:
	s_cmp_eq_u32 s30, 4
                                        ; implicit-def: $vgpr1_vgpr2
                                        ; implicit-def: $vgpr3_vgpr4
	s_cbranch_scc0 .LBB972_144
; %bb.111:
	s_mov_b32 s7, 0
	s_lshl_b32 s0, s6, 10
	s_mov_b32 s1, s7
	s_lshr_b64 s[2:3], s[20:21], 10
	s_lshl_b64 s[10:11], s[0:1], 2
	s_add_u32 s8, s24, s10
	s_addc_u32 s9, s25, s11
	s_add_u32 s10, s26, s10
	s_addc_u32 s11, s27, s11
	s_cmp_lg_u64 s[2:3], s[6:7]
	s_cbranch_scc0 .LBB972_117
; %bb.112:
	v_lshlrev_b32_e32 v1, 2, v0
	global_load_dword v2, v1, s[10:11] offset:1024
	global_load_dword v5, v1, s[10:11] offset:2048
	;; [unrolled: 1-line block ×5, first 2 shown]
	global_load_dword v9, v1, s[10:11]
	global_load_dword v10, v1, s[8:9]
	global_load_dword v11, v1, s[8:9] offset:2048
	v_mov_b32_e32 v1, 0
	v_mbcnt_lo_u32_b32 v3, -1, 0
	v_mbcnt_hi_u32_b32 v3, -1, v3
	v_mov_b32_dpp v1, v1 quad_perm:[1,0,3,2] row_mask:0xf bank_mask:0xf bound_ctrl:1
	v_lshlrev_b32_e32 v4, 2, v3
	v_or_b32_e32 v12, 0xfc, v4
	s_waitcnt vmcnt(4)
	v_cmp_ne_u32_e32 vcc, v7, v6
	v_cndmask_b32_e64 v6, 0, 1, vcc
	s_waitcnt vmcnt(3)
	v_cmp_ne_u32_e32 vcc, v8, v2
	v_cndmask_b32_e64 v2, 0, 1, vcc
	;; [unrolled: 3-line block ×3, first 2 shown]
	s_waitcnt vmcnt(0)
	v_cmp_ne_u32_e32 vcc, v11, v5
	v_addc_co_u32_e32 v2, vcc, v2, v7, vcc
	v_add_co_u32_e32 v2, vcc, v2, v6
	v_addc_co_u32_e64 v5, s[2:3], 0, 0, vcc
	s_nop 0
	v_mov_b32_dpp v6, v2 quad_perm:[1,0,3,2] row_mask:0xf bank_mask:0xf bound_ctrl:1
	v_add_co_u32_e32 v2, vcc, v2, v6
	v_addc_co_u32_e32 v5, vcc, 0, v5, vcc
	v_add_co_u32_e32 v6, vcc, 0, v2
	v_addc_co_u32_e32 v1, vcc, v1, v5, vcc
	v_mov_b32_dpp v2, v2 quad_perm:[2,3,0,1] row_mask:0xf bank_mask:0xf bound_ctrl:1
	v_add_co_u32_e32 v2, vcc, v6, v2
	v_mov_b32_dpp v5, v1 quad_perm:[2,3,0,1] row_mask:0xf bank_mask:0xf bound_ctrl:1
	v_addc_co_u32_e32 v1, vcc, 0, v1, vcc
	v_add_co_u32_e32 v6, vcc, 0, v2
	v_addc_co_u32_e32 v1, vcc, v1, v5, vcc
	v_mov_b32_dpp v2, v2 row_ror:4 row_mask:0xf bank_mask:0xf bound_ctrl:1
	v_add_co_u32_e32 v2, vcc, v6, v2
	v_mov_b32_dpp v5, v1 row_ror:4 row_mask:0xf bank_mask:0xf bound_ctrl:1
	v_addc_co_u32_e32 v1, vcc, 0, v1, vcc
	v_add_co_u32_e32 v6, vcc, 0, v2
	v_addc_co_u32_e32 v1, vcc, v1, v5, vcc
	v_mov_b32_dpp v2, v2 row_ror:8 row_mask:0xf bank_mask:0xf bound_ctrl:1
	v_add_co_u32_e32 v2, vcc, v6, v2
	v_mov_b32_dpp v5, v1 row_ror:8 row_mask:0xf bank_mask:0xf bound_ctrl:1
	v_addc_co_u32_e32 v1, vcc, 0, v1, vcc
	v_add_co_u32_e32 v6, vcc, 0, v2
	v_addc_co_u32_e32 v1, vcc, v1, v5, vcc
	v_mov_b32_dpp v2, v2 row_bcast:15 row_mask:0xf bank_mask:0xf bound_ctrl:1
	v_add_co_u32_e32 v2, vcc, v6, v2
	v_mov_b32_dpp v5, v1 row_bcast:15 row_mask:0xf bank_mask:0xf bound_ctrl:1
	v_addc_co_u32_e32 v1, vcc, 0, v1, vcc
	v_add_co_u32_e32 v6, vcc, 0, v2
	v_addc_co_u32_e32 v1, vcc, v1, v5, vcc
	v_mov_b32_dpp v2, v2 row_bcast:31 row_mask:0xf bank_mask:0xf bound_ctrl:1
	v_add_co_u32_e32 v2, vcc, v6, v2
	v_addc_co_u32_e32 v5, vcc, 0, v1, vcc
	v_cmp_eq_u32_e32 vcc, 0, v3
	s_nop 0
	v_add_u32_dpp v5, v1, v5 row_bcast:31 row_mask:0xf bank_mask:0xf bound_ctrl:1
	ds_bpermute_b32 v1, v12, v2
	ds_bpermute_b32 v2, v12, v5
	s_and_saveexec_b64 s[2:3], vcc
	s_cbranch_execz .LBB972_114
; %bb.113:
	v_lshrrev_b32_e32 v5, 3, v0
	v_and_b32_e32 v5, 24, v5
	s_waitcnt lgkmcnt(0)
	ds_write_b64 v5, v[1:2] offset:96
.LBB972_114:
	s_or_b64 exec, exec, s[2:3]
	v_cmp_gt_u32_e32 vcc, 64, v0
	s_waitcnt lgkmcnt(0)
	s_barrier
	s_and_saveexec_b64 s[2:3], vcc
	s_cbranch_execz .LBB972_116
; %bb.115:
	v_and_b32_e32 v5, 3, v3
	v_lshlrev_b32_e32 v1, 3, v5
	ds_read_b64 v[1:2], v1 offset:96
	v_cmp_ne_u32_e32 vcc, 3, v5
	v_addc_co_u32_e32 v3, vcc, 0, v3, vcc
	v_lshlrev_b32_e32 v3, 2, v3
	s_waitcnt lgkmcnt(0)
	ds_bpermute_b32 v5, v3, v1
	ds_bpermute_b32 v3, v3, v2
	v_or_b32_e32 v4, 8, v4
	s_waitcnt lgkmcnt(1)
	v_add_co_u32_e32 v1, vcc, v1, v5
	v_addc_co_u32_e32 v2, vcc, 0, v2, vcc
	ds_bpermute_b32 v5, v4, v1
	v_add_co_u32_e32 v1, vcc, 0, v1
	s_waitcnt lgkmcnt(1)
	v_addc_co_u32_e32 v2, vcc, v3, v2, vcc
	ds_bpermute_b32 v3, v4, v2
	s_waitcnt lgkmcnt(1)
	v_add_co_u32_e32 v1, vcc, v1, v5
	v_addc_co_u32_e32 v2, vcc, 0, v2, vcc
	v_add_co_u32_e32 v1, vcc, 0, v1
	s_waitcnt lgkmcnt(0)
	v_addc_co_u32_e32 v2, vcc, v2, v3, vcc
.LBB972_116:
	s_or_b64 exec, exec, s[2:3]
	s_branch .LBB972_143
.LBB972_117:
                                        ; implicit-def: $vgpr1_vgpr2
	s_cbranch_execz .LBB972_143
; %bb.118:
	s_sub_i32 s14, s20, s0
	v_mov_b32_e32 v1, 0
	v_cmp_gt_u32_e32 vcc, s14, v0
	v_mov_b32_e32 v2, v1
	v_mov_b32_e32 v3, v1
	v_mov_b32_e32 v4, v1
	v_mov_b32_e32 v5, v1
	v_mov_b32_e32 v6, v1
	v_mov_b32_e32 v7, v1
	v_mov_b32_e32 v8, v1
	s_and_saveexec_b64 s[0:1], vcc
	s_cbranch_execz .LBB972_120
; %bb.119:
	v_lshlrev_b32_e32 v2, 2, v0
	global_load_dword v9, v2, s[8:9]
	global_load_dword v10, v2, s[10:11]
	v_mov_b32_e32 v3, v1
	v_mov_b32_e32 v4, v1
	;; [unrolled: 1-line block ×6, first 2 shown]
	s_waitcnt vmcnt(0)
	v_cmp_ne_u32_e32 vcc, v9, v10
	v_cndmask_b32_e64 v2, 0, 1, vcc
	v_and_b32_e32 v2, 0xffff, v2
	v_mov_b32_e32 v9, v1
	v_mov_b32_e32 v1, v2
	;; [unrolled: 1-line block ×9, first 2 shown]
.LBB972_120:
	s_or_b64 exec, exec, s[0:1]
	v_or_b32_e32 v9, 0x100, v0
	v_cmp_gt_u32_e32 vcc, s14, v9
	s_and_saveexec_b64 s[2:3], vcc
	s_cbranch_execz .LBB972_122
; %bb.121:
	v_lshlrev_b32_e32 v3, 2, v0
	global_load_dword v4, v3, s[8:9] offset:1024
	global_load_dword v9, v3, s[10:11] offset:1024
	s_mov_b32 s12, 0
	s_waitcnt vmcnt(0)
	v_cmp_ne_u32_e64 s[0:1], v4, v9
	v_cndmask_b32_e64 v3, 0, 1, s[0:1]
	v_mov_b32_e32 v4, s12
.LBB972_122:
	s_or_b64 exec, exec, s[2:3]
	v_or_b32_e32 v9, 0x200, v0
	v_cmp_gt_u32_e64 s[0:1], s14, v9
	s_and_saveexec_b64 s[12:13], s[0:1]
	s_cbranch_execz .LBB972_124
; %bb.123:
	v_lshlrev_b32_e32 v5, 2, v0
	global_load_dword v6, v5, s[8:9] offset:2048
	global_load_dword v9, v5, s[10:11] offset:2048
	s_mov_b32 s15, 0
	s_waitcnt vmcnt(0)
	v_cmp_ne_u32_e64 s[2:3], v6, v9
	v_cndmask_b32_e64 v5, 0, 1, s[2:3]
	v_mov_b32_e32 v6, s15
.LBB972_124:
	s_or_b64 exec, exec, s[12:13]
	v_or_b32_e32 v9, 0x300, v0
	v_cmp_gt_u32_e64 s[2:3], s14, v9
	s_and_saveexec_b64 s[12:13], s[2:3]
	s_cbranch_execz .LBB972_126
; %bb.125:
	v_lshlrev_b32_e32 v7, 2, v0
	global_load_dword v8, v7, s[8:9] offset:3072
	global_load_dword v9, v7, s[10:11] offset:3072
	s_mov_b32 s10, 0
	s_waitcnt vmcnt(0)
	v_cmp_ne_u32_e64 s[8:9], v8, v9
	v_cndmask_b32_e64 v7, 0, 1, s[8:9]
	v_mov_b32_e32 v8, s10
.LBB972_126:
	s_or_b64 exec, exec, s[12:13]
	v_cndmask_b32_e32 v3, 0, v3, vcc
	v_cndmask_b32_e32 v4, 0, v4, vcc
	v_add_co_u32_e32 v1, vcc, v3, v1
	v_addc_co_u32_e32 v2, vcc, v4, v2, vcc
	v_cndmask_b32_e64 v4, 0, v5, s[0:1]
	v_cndmask_b32_e64 v3, 0, v6, s[0:1]
	v_add_co_u32_e32 v1, vcc, v1, v4
	v_addc_co_u32_e32 v2, vcc, v2, v3, vcc
	v_cndmask_b32_e64 v4, 0, v7, s[2:3]
	v_cndmask_b32_e64 v3, 0, v8, s[2:3]
	v_add_co_u32_e32 v1, vcc, v1, v4
	v_addc_co_u32_e32 v2, vcc, v2, v3, vcc
	v_mbcnt_lo_u32_b32 v3, -1, 0
	v_mbcnt_hi_u32_b32 v3, -1, v3
	v_and_b32_e32 v4, 63, v3
	v_cmp_ne_u32_e32 vcc, 63, v4
	v_addc_co_u32_e32 v6, vcc, 0, v3, vcc
	v_lshlrev_b32_e32 v6, 2, v6
	ds_bpermute_b32 v8, v6, v1
	ds_bpermute_b32 v7, v6, v2
	s_min_u32 s2, s14, 0x100
	v_and_b32_e32 v5, 0xc0, v0
	v_sub_u32_e64 v5, s2, v5 clamp
	v_add_u32_e32 v6, 1, v4
	v_cmp_lt_u32_e32 vcc, v6, v5
	v_mov_b32_e32 v6, v1
	s_and_saveexec_b64 s[0:1], vcc
	s_cbranch_execz .LBB972_128
; %bb.127:
	s_waitcnt lgkmcnt(1)
	v_add_co_u32_e32 v6, vcc, v1, v8
	v_addc_co_u32_e32 v2, vcc, 0, v2, vcc
	v_add_co_u32_e32 v1, vcc, 0, v6
	s_waitcnt lgkmcnt(0)
	v_addc_co_u32_e32 v2, vcc, v7, v2, vcc
.LBB972_128:
	s_or_b64 exec, exec, s[0:1]
	v_cmp_gt_u32_e32 vcc, 62, v4
	s_waitcnt lgkmcnt(0)
	v_cndmask_b32_e64 v7, 0, 2, vcc
	v_add_lshl_u32 v7, v7, v3, 2
	ds_bpermute_b32 v8, v7, v6
	ds_bpermute_b32 v7, v7, v2
	v_add_u32_e32 v9, 2, v4
	v_cmp_lt_u32_e32 vcc, v9, v5
	s_and_saveexec_b64 s[0:1], vcc
	s_cbranch_execz .LBB972_130
; %bb.129:
	s_waitcnt lgkmcnt(1)
	v_add_co_u32_e32 v6, vcc, v1, v8
	v_addc_co_u32_e32 v2, vcc, 0, v2, vcc
	v_add_co_u32_e32 v1, vcc, 0, v6
	s_waitcnt lgkmcnt(0)
	v_addc_co_u32_e32 v2, vcc, v7, v2, vcc
.LBB972_130:
	s_or_b64 exec, exec, s[0:1]
	v_cmp_gt_u32_e32 vcc, 60, v4
	s_waitcnt lgkmcnt(0)
	v_cndmask_b32_e64 v7, 0, 4, vcc
	v_add_lshl_u32 v7, v7, v3, 2
	ds_bpermute_b32 v8, v7, v6
	ds_bpermute_b32 v7, v7, v2
	v_add_u32_e32 v9, 4, v4
	v_cmp_lt_u32_e32 vcc, v9, v5
	;; [unrolled: 19-line block ×4, first 2 shown]
	s_and_saveexec_b64 s[0:1], vcc
	s_cbranch_execz .LBB972_136
; %bb.135:
	s_waitcnt lgkmcnt(1)
	v_add_co_u32_e32 v6, vcc, v1, v8
	v_addc_co_u32_e32 v2, vcc, 0, v2, vcc
	v_add_co_u32_e32 v1, vcc, 0, v6
	s_waitcnt lgkmcnt(0)
	v_addc_co_u32_e32 v2, vcc, v7, v2, vcc
.LBB972_136:
	s_or_b64 exec, exec, s[0:1]
	s_waitcnt lgkmcnt(0)
	v_lshlrev_b32_e32 v7, 2, v3
	v_or_b32_e32 v8, 0x80, v7
	ds_bpermute_b32 v6, v8, v6
	ds_bpermute_b32 v8, v8, v2
	v_add_u32_e32 v4, 32, v4
	s_waitcnt lgkmcnt(1)
	v_add_co_u32_e32 v6, vcc, v1, v6
	v_addc_co_u32_e32 v9, vcc, 0, v2, vcc
	v_add_co_u32_e32 v6, vcc, 0, v6
	s_waitcnt lgkmcnt(0)
	v_addc_co_u32_e32 v8, vcc, v9, v8, vcc
	v_cmp_lt_u32_e32 vcc, v4, v5
	v_cndmask_b32_e32 v2, v2, v8, vcc
	v_cndmask_b32_e32 v1, v1, v6, vcc
	v_cmp_eq_u32_e32 vcc, 0, v3
	s_and_saveexec_b64 s[0:1], vcc
; %bb.137:
	v_lshrrev_b32_e32 v4, 3, v0
	v_and_b32_e32 v4, 24, v4
	ds_write_b64 v4, v[1:2] offset:160
; %bb.138:
	s_or_b64 exec, exec, s[0:1]
	v_cmp_gt_u32_e32 vcc, 4, v0
	s_waitcnt lgkmcnt(0)
	s_barrier
	s_and_saveexec_b64 s[0:1], vcc
	s_cbranch_execz .LBB972_142
; %bb.139:
	v_lshlrev_b32_e32 v1, 3, v3
	ds_read_b64 v[1:2], v1 offset:160
	v_and_b32_e32 v4, 3, v3
	v_cmp_ne_u32_e32 vcc, 3, v4
	v_addc_co_u32_e32 v3, vcc, 0, v3, vcc
	v_lshlrev_b32_e32 v3, 2, v3
	s_waitcnt lgkmcnt(0)
	ds_bpermute_b32 v6, v3, v1
	ds_bpermute_b32 v5, v3, v2
	s_add_i32 s2, s2, 63
	s_lshr_b32 s8, s2, 6
	v_add_u32_e32 v3, 1, v4
	v_cmp_gt_u32_e32 vcc, s8, v3
	v_mov_b32_e32 v3, v1
	s_and_saveexec_b64 s[2:3], vcc
	s_cbranch_execz .LBB972_141
; %bb.140:
	s_waitcnt lgkmcnt(1)
	v_add_co_u32_e32 v3, vcc, v1, v6
	v_addc_co_u32_e32 v2, vcc, 0, v2, vcc
	v_add_co_u32_e32 v1, vcc, 0, v3
	s_waitcnt lgkmcnt(0)
	v_addc_co_u32_e32 v2, vcc, v5, v2, vcc
.LBB972_141:
	s_or_b64 exec, exec, s[2:3]
	s_waitcnt lgkmcnt(0)
	v_or_b32_e32 v5, 8, v7
	ds_bpermute_b32 v3, v5, v3
	ds_bpermute_b32 v5, v5, v2
	v_add_u32_e32 v4, 2, v4
	s_waitcnt lgkmcnt(1)
	v_add_co_u32_e32 v3, vcc, v1, v3
	v_addc_co_u32_e32 v6, vcc, 0, v2, vcc
	v_add_co_u32_e32 v3, vcc, 0, v3
	s_waitcnt lgkmcnt(0)
	v_addc_co_u32_e32 v5, vcc, v6, v5, vcc
	v_cmp_gt_u32_e32 vcc, s8, v4
	v_cndmask_b32_e32 v2, v2, v5, vcc
	v_cndmask_b32_e32 v1, v1, v3, vcc
.LBB972_142:
	s_or_b64 exec, exec, s[0:1]
.LBB972_143:
	v_mov_b32_e32 v3, s6
	v_cmp_eq_u32_e64 s[0:1], 0, v0
	v_mov_b32_e32 v4, s7
.LBB972_144:
	s_branch .LBB972_206
.LBB972_145:
	s_cmp_gt_i32 s30, 1
	s_cbranch_scc0 .LBB972_153
; %bb.146:
	s_cmp_eq_u32 s30, 2
                                        ; implicit-def: $vgpr1_vgpr2
                                        ; implicit-def: $vgpr3_vgpr4
	s_cbranch_scc0 .LBB972_154
; %bb.147:
	s_mov_b32 s7, 0
	s_lshl_b32 s8, s6, 9
	s_mov_b32 s9, s7
	s_lshr_b64 s[10:11], s[20:21], 9
	s_lshl_b64 s[2:3], s[8:9], 2
	s_add_u32 s0, s24, s2
	s_addc_u32 s1, s25, s3
	s_add_u32 s2, s26, s2
	s_addc_u32 s3, s27, s3
	s_cmp_lg_u64 s[10:11], s[6:7]
	s_cbranch_scc0 .LBB972_155
; %bb.148:
	v_lshlrev_b32_e32 v1, 2, v0
	global_load_dword v2, v1, s[0:1]
	global_load_dword v5, v1, s[2:3]
	global_load_dword v6, v1, s[2:3] offset:1024
	global_load_dword v7, v1, s[0:1] offset:1024
	v_mov_b32_e32 v1, 0
	v_mbcnt_lo_u32_b32 v3, -1, 0
	v_mbcnt_hi_u32_b32 v3, -1, v3
	v_mov_b32_dpp v1, v1 quad_perm:[1,0,3,2] row_mask:0xf bank_mask:0xf bound_ctrl:1
	v_lshlrev_b32_e32 v4, 2, v3
	v_or_b32_e32 v8, 0xfc, v4
	s_waitcnt vmcnt(2)
	v_cmp_ne_u32_e32 vcc, v2, v5
	v_cndmask_b32_e64 v2, 0, 1, vcc
	s_waitcnt vmcnt(0)
	v_cmp_ne_u32_e32 vcc, v7, v6
	v_addc_co_u32_e32 v2, vcc, 0, v2, vcc
	s_nop 1
	v_mov_b32_dpp v5, v2 quad_perm:[1,0,3,2] row_mask:0xf bank_mask:0xf bound_ctrl:1
	v_add_co_u32_e32 v2, vcc, v2, v5
	v_addc_co_u32_e64 v5, s[10:11], 0, 0, vcc
	v_add_co_u32_e32 v6, vcc, 0, v2
	v_addc_co_u32_e32 v1, vcc, v1, v5, vcc
	v_mov_b32_dpp v2, v2 quad_perm:[2,3,0,1] row_mask:0xf bank_mask:0xf bound_ctrl:1
	v_add_co_u32_e32 v2, vcc, v6, v2
	v_mov_b32_dpp v5, v1 quad_perm:[2,3,0,1] row_mask:0xf bank_mask:0xf bound_ctrl:1
	v_addc_co_u32_e32 v1, vcc, 0, v1, vcc
	v_add_co_u32_e32 v6, vcc, 0, v2
	v_addc_co_u32_e32 v1, vcc, v1, v5, vcc
	v_mov_b32_dpp v2, v2 row_ror:4 row_mask:0xf bank_mask:0xf bound_ctrl:1
	v_add_co_u32_e32 v2, vcc, v6, v2
	v_mov_b32_dpp v5, v1 row_ror:4 row_mask:0xf bank_mask:0xf bound_ctrl:1
	v_addc_co_u32_e32 v1, vcc, 0, v1, vcc
	v_add_co_u32_e32 v6, vcc, 0, v2
	v_addc_co_u32_e32 v1, vcc, v1, v5, vcc
	v_mov_b32_dpp v2, v2 row_ror:8 row_mask:0xf bank_mask:0xf bound_ctrl:1
	v_add_co_u32_e32 v2, vcc, v6, v2
	v_mov_b32_dpp v5, v1 row_ror:8 row_mask:0xf bank_mask:0xf bound_ctrl:1
	v_addc_co_u32_e32 v1, vcc, 0, v1, vcc
	v_add_co_u32_e32 v6, vcc, 0, v2
	v_addc_co_u32_e32 v1, vcc, v1, v5, vcc
	v_mov_b32_dpp v2, v2 row_bcast:15 row_mask:0xf bank_mask:0xf bound_ctrl:1
	v_add_co_u32_e32 v2, vcc, v6, v2
	v_mov_b32_dpp v5, v1 row_bcast:15 row_mask:0xf bank_mask:0xf bound_ctrl:1
	v_addc_co_u32_e32 v1, vcc, 0, v1, vcc
	v_add_co_u32_e32 v6, vcc, 0, v2
	v_addc_co_u32_e32 v1, vcc, v1, v5, vcc
	v_mov_b32_dpp v2, v2 row_bcast:31 row_mask:0xf bank_mask:0xf bound_ctrl:1
	v_add_co_u32_e32 v2, vcc, v6, v2
	v_addc_co_u32_e32 v5, vcc, 0, v1, vcc
	v_cmp_eq_u32_e32 vcc, 0, v3
	s_nop 0
	v_add_u32_dpp v5, v1, v5 row_bcast:31 row_mask:0xf bank_mask:0xf bound_ctrl:1
	ds_bpermute_b32 v1, v8, v2
	ds_bpermute_b32 v2, v8, v5
	s_and_saveexec_b64 s[10:11], vcc
	s_cbranch_execz .LBB972_150
; %bb.149:
	v_lshrrev_b32_e32 v5, 3, v0
	v_and_b32_e32 v5, 24, v5
	s_waitcnt lgkmcnt(0)
	ds_write_b64 v5, v[1:2] offset:64
.LBB972_150:
	s_or_b64 exec, exec, s[10:11]
	v_cmp_gt_u32_e32 vcc, 64, v0
	s_waitcnt lgkmcnt(0)
	s_barrier
	s_and_saveexec_b64 s[10:11], vcc
	s_cbranch_execz .LBB972_152
; %bb.151:
	v_and_b32_e32 v5, 3, v3
	v_lshlrev_b32_e32 v1, 3, v5
	ds_read_b64 v[1:2], v1 offset:64
	v_cmp_ne_u32_e32 vcc, 3, v5
	v_addc_co_u32_e32 v3, vcc, 0, v3, vcc
	v_lshlrev_b32_e32 v3, 2, v3
	s_waitcnt lgkmcnt(0)
	ds_bpermute_b32 v5, v3, v1
	ds_bpermute_b32 v3, v3, v2
	v_or_b32_e32 v4, 8, v4
	s_waitcnt lgkmcnt(1)
	v_add_co_u32_e32 v1, vcc, v1, v5
	v_addc_co_u32_e32 v2, vcc, 0, v2, vcc
	ds_bpermute_b32 v5, v4, v1
	v_add_co_u32_e32 v1, vcc, 0, v1
	s_waitcnt lgkmcnt(1)
	v_addc_co_u32_e32 v2, vcc, v3, v2, vcc
	ds_bpermute_b32 v3, v4, v2
	s_waitcnt lgkmcnt(1)
	v_add_co_u32_e32 v1, vcc, v1, v5
	v_addc_co_u32_e32 v2, vcc, 0, v2, vcc
	v_add_co_u32_e32 v1, vcc, 0, v1
	s_waitcnt lgkmcnt(0)
	v_addc_co_u32_e32 v2, vcc, v2, v3, vcc
.LBB972_152:
	s_or_b64 exec, exec, s[10:11]
	s_branch .LBB972_177
.LBB972_153:
                                        ; implicit-def: $vgpr1_vgpr2
                                        ; implicit-def: $vgpr3_vgpr4
	s_cbranch_execnz .LBB972_178
	s_branch .LBB972_206
.LBB972_154:
	s_branch .LBB972_206
.LBB972_155:
                                        ; implicit-def: $vgpr1_vgpr2
	s_cbranch_execz .LBB972_177
; %bb.156:
	s_sub_i32 s10, s20, s8
	v_mov_b32_e32 v1, 0
	v_cmp_gt_u32_e32 vcc, s10, v0
	v_mov_b32_e32 v2, v1
	v_mov_b32_e32 v3, v1
	;; [unrolled: 1-line block ×3, first 2 shown]
	s_and_saveexec_b64 s[8:9], vcc
	s_cbranch_execz .LBB972_158
; %bb.157:
	v_lshlrev_b32_e32 v2, 2, v0
	global_load_dword v5, v2, s[0:1]
	global_load_dword v6, v2, s[2:3]
	v_mov_b32_e32 v3, v1
	v_mov_b32_e32 v4, v1
	s_waitcnt vmcnt(0)
	v_cmp_ne_u32_e32 vcc, v5, v6
	v_cndmask_b32_e64 v2, 0, 1, vcc
	v_and_b32_e32 v2, 0xffff, v2
	v_mov_b32_e32 v5, v1
	v_mov_b32_e32 v1, v2
	v_mov_b32_e32 v2, v3
	v_mov_b32_e32 v3, v4
	v_mov_b32_e32 v4, v5
.LBB972_158:
	s_or_b64 exec, exec, s[8:9]
	v_or_b32_e32 v5, 0x100, v0
	v_cmp_gt_u32_e32 vcc, s10, v5
	s_and_saveexec_b64 s[8:9], vcc
	s_cbranch_execz .LBB972_160
; %bb.159:
	v_lshlrev_b32_e32 v3, 2, v0
	global_load_dword v4, v3, s[0:1] offset:1024
	global_load_dword v5, v3, s[2:3] offset:1024
	s_mov_b32 s2, 0
	s_waitcnt vmcnt(0)
	v_cmp_ne_u32_e64 s[0:1], v4, v5
	v_cndmask_b32_e64 v3, 0, 1, s[0:1]
	v_mov_b32_e32 v4, s2
.LBB972_160:
	s_or_b64 exec, exec, s[8:9]
	v_cndmask_b32_e32 v3, 0, v3, vcc
	v_cndmask_b32_e32 v4, 0, v4, vcc
	v_add_co_u32_e32 v1, vcc, v3, v1
	v_mbcnt_lo_u32_b32 v3, -1, 0
	v_mbcnt_hi_u32_b32 v3, -1, v3
	v_addc_co_u32_e32 v2, vcc, v4, v2, vcc
	v_and_b32_e32 v4, 63, v3
	v_cmp_ne_u32_e32 vcc, 63, v4
	v_addc_co_u32_e32 v6, vcc, 0, v3, vcc
	v_lshlrev_b32_e32 v6, 2, v6
	ds_bpermute_b32 v8, v6, v1
	ds_bpermute_b32 v7, v6, v2
	s_min_u32 s2, s10, 0x100
	v_and_b32_e32 v5, 0xc0, v0
	v_sub_u32_e64 v5, s2, v5 clamp
	v_add_u32_e32 v6, 1, v4
	v_cmp_lt_u32_e32 vcc, v6, v5
	v_mov_b32_e32 v6, v1
	s_and_saveexec_b64 s[0:1], vcc
	s_cbranch_execz .LBB972_162
; %bb.161:
	s_waitcnt lgkmcnt(1)
	v_add_co_u32_e32 v6, vcc, v1, v8
	v_addc_co_u32_e32 v2, vcc, 0, v2, vcc
	v_add_co_u32_e32 v1, vcc, 0, v6
	s_waitcnt lgkmcnt(0)
	v_addc_co_u32_e32 v2, vcc, v7, v2, vcc
.LBB972_162:
	s_or_b64 exec, exec, s[0:1]
	v_cmp_gt_u32_e32 vcc, 62, v4
	s_waitcnt lgkmcnt(0)
	v_cndmask_b32_e64 v7, 0, 2, vcc
	v_add_lshl_u32 v7, v7, v3, 2
	ds_bpermute_b32 v8, v7, v6
	ds_bpermute_b32 v7, v7, v2
	v_add_u32_e32 v9, 2, v4
	v_cmp_lt_u32_e32 vcc, v9, v5
	s_and_saveexec_b64 s[0:1], vcc
	s_cbranch_execz .LBB972_164
; %bb.163:
	s_waitcnt lgkmcnt(1)
	v_add_co_u32_e32 v6, vcc, v1, v8
	v_addc_co_u32_e32 v2, vcc, 0, v2, vcc
	v_add_co_u32_e32 v1, vcc, 0, v6
	s_waitcnt lgkmcnt(0)
	v_addc_co_u32_e32 v2, vcc, v7, v2, vcc
.LBB972_164:
	s_or_b64 exec, exec, s[0:1]
	v_cmp_gt_u32_e32 vcc, 60, v4
	s_waitcnt lgkmcnt(0)
	v_cndmask_b32_e64 v7, 0, 4, vcc
	v_add_lshl_u32 v7, v7, v3, 2
	ds_bpermute_b32 v8, v7, v6
	ds_bpermute_b32 v7, v7, v2
	v_add_u32_e32 v9, 4, v4
	v_cmp_lt_u32_e32 vcc, v9, v5
	;; [unrolled: 19-line block ×4, first 2 shown]
	s_and_saveexec_b64 s[0:1], vcc
	s_cbranch_execz .LBB972_170
; %bb.169:
	s_waitcnt lgkmcnt(1)
	v_add_co_u32_e32 v6, vcc, v1, v8
	v_addc_co_u32_e32 v2, vcc, 0, v2, vcc
	v_add_co_u32_e32 v1, vcc, 0, v6
	s_waitcnt lgkmcnt(0)
	v_addc_co_u32_e32 v2, vcc, v7, v2, vcc
.LBB972_170:
	s_or_b64 exec, exec, s[0:1]
	s_waitcnt lgkmcnt(0)
	v_lshlrev_b32_e32 v7, 2, v3
	v_or_b32_e32 v8, 0x80, v7
	ds_bpermute_b32 v6, v8, v6
	ds_bpermute_b32 v8, v8, v2
	v_add_u32_e32 v4, 32, v4
	s_waitcnt lgkmcnt(1)
	v_add_co_u32_e32 v6, vcc, v1, v6
	v_addc_co_u32_e32 v9, vcc, 0, v2, vcc
	v_add_co_u32_e32 v6, vcc, 0, v6
	s_waitcnt lgkmcnt(0)
	v_addc_co_u32_e32 v8, vcc, v9, v8, vcc
	v_cmp_lt_u32_e32 vcc, v4, v5
	v_cndmask_b32_e32 v2, v2, v8, vcc
	v_cndmask_b32_e32 v1, v1, v6, vcc
	v_cmp_eq_u32_e32 vcc, 0, v3
	s_and_saveexec_b64 s[0:1], vcc
; %bb.171:
	v_lshrrev_b32_e32 v4, 3, v0
	v_and_b32_e32 v4, 24, v4
	ds_write_b64 v4, v[1:2] offset:160
; %bb.172:
	s_or_b64 exec, exec, s[0:1]
	v_cmp_gt_u32_e32 vcc, 4, v0
	s_waitcnt lgkmcnt(0)
	s_barrier
	s_and_saveexec_b64 s[0:1], vcc
	s_cbranch_execz .LBB972_176
; %bb.173:
	v_lshlrev_b32_e32 v1, 3, v3
	ds_read_b64 v[1:2], v1 offset:160
	v_and_b32_e32 v4, 3, v3
	v_cmp_ne_u32_e32 vcc, 3, v4
	v_addc_co_u32_e32 v3, vcc, 0, v3, vcc
	v_lshlrev_b32_e32 v3, 2, v3
	s_waitcnt lgkmcnt(0)
	ds_bpermute_b32 v6, v3, v1
	ds_bpermute_b32 v5, v3, v2
	s_add_i32 s2, s2, 63
	s_lshr_b32 s8, s2, 6
	v_add_u32_e32 v3, 1, v4
	v_cmp_gt_u32_e32 vcc, s8, v3
	v_mov_b32_e32 v3, v1
	s_and_saveexec_b64 s[2:3], vcc
	s_cbranch_execz .LBB972_175
; %bb.174:
	s_waitcnt lgkmcnt(1)
	v_add_co_u32_e32 v3, vcc, v1, v6
	v_addc_co_u32_e32 v2, vcc, 0, v2, vcc
	v_add_co_u32_e32 v1, vcc, 0, v3
	s_waitcnt lgkmcnt(0)
	v_addc_co_u32_e32 v2, vcc, v5, v2, vcc
.LBB972_175:
	s_or_b64 exec, exec, s[2:3]
	s_waitcnt lgkmcnt(0)
	v_or_b32_e32 v5, 8, v7
	ds_bpermute_b32 v3, v5, v3
	ds_bpermute_b32 v5, v5, v2
	v_add_u32_e32 v4, 2, v4
	s_waitcnt lgkmcnt(1)
	v_add_co_u32_e32 v3, vcc, v1, v3
	v_addc_co_u32_e32 v6, vcc, 0, v2, vcc
	v_add_co_u32_e32 v3, vcc, 0, v3
	s_waitcnt lgkmcnt(0)
	v_addc_co_u32_e32 v5, vcc, v6, v5, vcc
	v_cmp_gt_u32_e32 vcc, s8, v4
	v_cndmask_b32_e32 v2, v2, v5, vcc
	v_cndmask_b32_e32 v1, v1, v3, vcc
.LBB972_176:
	s_or_b64 exec, exec, s[0:1]
.LBB972_177:
	v_mov_b32_e32 v3, s6
	v_cmp_eq_u32_e64 s[0:1], 0, v0
	v_mov_b32_e32 v4, s7
	s_branch .LBB972_206
.LBB972_178:
	s_cmp_eq_u32 s30, 1
                                        ; implicit-def: $vgpr1_vgpr2
                                        ; implicit-def: $vgpr3_vgpr4
	s_cbranch_scc0 .LBB972_206
; %bb.179:
	s_mov_b32 s1, 0
	s_lshl_b32 s0, s6, 8
	s_mov_b32 s7, s1
	s_lshr_b64 s[2:3], s[20:21], 8
	s_cmp_lg_u64 s[2:3], s[6:7]
	v_mbcnt_lo_u32_b32 v3, -1, 0
	s_cbranch_scc0 .LBB972_185
; %bb.180:
	s_lshl_b64 s[2:3], s[0:1], 2
	s_add_u32 s8, s24, s2
	s_addc_u32 s9, s25, s3
	s_add_u32 s2, s26, s2
	v_lshlrev_b32_e32 v1, 2, v0
	s_addc_u32 s3, s27, s3
	global_load_dword v2, v1, s[8:9]
	global_load_dword v6, v1, s[2:3]
	v_mov_b32_e32 v1, 0
	v_mbcnt_hi_u32_b32 v4, -1, v3
	v_lshlrev_b32_e32 v5, 2, v4
	v_mov_b32_dpp v1, v1 quad_perm:[1,0,3,2] row_mask:0xf bank_mask:0xf bound_ctrl:1
	v_or_b32_e32 v7, 0xfc, v5
	s_waitcnt vmcnt(0)
	v_cmp_ne_u32_e32 vcc, v2, v6
	v_cndmask_b32_e64 v2, 0, 1, vcc
	s_nop 1
	v_mov_b32_dpp v6, v2 quad_perm:[1,0,3,2] row_mask:0xf bank_mask:0xf bound_ctrl:1
	v_add_co_u32_e32 v2, vcc, v6, v2
	v_addc_co_u32_e64 v6, s[2:3], 0, 0, vcc
	v_add_co_u32_e32 v8, vcc, 0, v2
	v_addc_co_u32_e32 v1, vcc, v1, v6, vcc
	v_mov_b32_dpp v2, v2 quad_perm:[2,3,0,1] row_mask:0xf bank_mask:0xf bound_ctrl:1
	v_add_co_u32_e32 v2, vcc, v8, v2
	v_mov_b32_dpp v6, v1 quad_perm:[2,3,0,1] row_mask:0xf bank_mask:0xf bound_ctrl:1
	v_addc_co_u32_e32 v1, vcc, 0, v1, vcc
	v_add_co_u32_e32 v8, vcc, 0, v2
	v_addc_co_u32_e32 v1, vcc, v1, v6, vcc
	v_mov_b32_dpp v2, v2 row_ror:4 row_mask:0xf bank_mask:0xf bound_ctrl:1
	v_add_co_u32_e32 v2, vcc, v8, v2
	v_mov_b32_dpp v6, v1 row_ror:4 row_mask:0xf bank_mask:0xf bound_ctrl:1
	v_addc_co_u32_e32 v1, vcc, 0, v1, vcc
	v_add_co_u32_e32 v8, vcc, 0, v2
	v_addc_co_u32_e32 v1, vcc, v1, v6, vcc
	v_mov_b32_dpp v2, v2 row_ror:8 row_mask:0xf bank_mask:0xf bound_ctrl:1
	v_add_co_u32_e32 v2, vcc, v8, v2
	v_mov_b32_dpp v6, v1 row_ror:8 row_mask:0xf bank_mask:0xf bound_ctrl:1
	v_addc_co_u32_e32 v1, vcc, 0, v1, vcc
	v_add_co_u32_e32 v8, vcc, 0, v2
	v_addc_co_u32_e32 v1, vcc, v1, v6, vcc
	v_mov_b32_dpp v2, v2 row_bcast:15 row_mask:0xf bank_mask:0xf bound_ctrl:1
	v_add_co_u32_e32 v2, vcc, v8, v2
	v_mov_b32_dpp v6, v1 row_bcast:15 row_mask:0xf bank_mask:0xf bound_ctrl:1
	v_addc_co_u32_e32 v1, vcc, 0, v1, vcc
	v_add_co_u32_e32 v8, vcc, 0, v2
	v_addc_co_u32_e32 v1, vcc, v1, v6, vcc
	v_mov_b32_dpp v2, v2 row_bcast:31 row_mask:0xf bank_mask:0xf bound_ctrl:1
	v_add_co_u32_e32 v2, vcc, v8, v2
	v_addc_co_u32_e32 v6, vcc, 0, v1, vcc
	v_cmp_eq_u32_e32 vcc, 0, v4
	s_nop 0
	v_add_u32_dpp v6, v1, v6 row_bcast:31 row_mask:0xf bank_mask:0xf bound_ctrl:1
	ds_bpermute_b32 v1, v7, v2
	ds_bpermute_b32 v2, v7, v6
	s_and_saveexec_b64 s[2:3], vcc
	s_cbranch_execz .LBB972_182
; %bb.181:
	v_lshrrev_b32_e32 v6, 3, v0
	v_and_b32_e32 v6, 24, v6
	s_waitcnt lgkmcnt(0)
	ds_write_b64 v6, v[1:2] offset:32
.LBB972_182:
	s_or_b64 exec, exec, s[2:3]
	v_cmp_gt_u32_e32 vcc, 64, v0
	s_waitcnt lgkmcnt(0)
	s_barrier
	s_and_saveexec_b64 s[2:3], vcc
	s_cbranch_execz .LBB972_184
; %bb.183:
	v_and_b32_e32 v6, 3, v4
	v_lshlrev_b32_e32 v1, 3, v6
	ds_read_b64 v[1:2], v1 offset:32
	v_cmp_ne_u32_e32 vcc, 3, v6
	v_addc_co_u32_e32 v4, vcc, 0, v4, vcc
	v_lshlrev_b32_e32 v4, 2, v4
	s_waitcnt lgkmcnt(0)
	ds_bpermute_b32 v6, v4, v1
	ds_bpermute_b32 v4, v4, v2
	v_or_b32_e32 v5, 8, v5
	s_waitcnt lgkmcnt(1)
	v_add_co_u32_e32 v1, vcc, v1, v6
	v_addc_co_u32_e32 v2, vcc, 0, v2, vcc
	ds_bpermute_b32 v6, v5, v1
	v_add_co_u32_e32 v1, vcc, 0, v1
	s_waitcnt lgkmcnt(1)
	v_addc_co_u32_e32 v2, vcc, v4, v2, vcc
	ds_bpermute_b32 v4, v5, v2
	s_waitcnt lgkmcnt(1)
	v_add_co_u32_e32 v1, vcc, v1, v6
	v_addc_co_u32_e32 v2, vcc, 0, v2, vcc
	v_add_co_u32_e32 v1, vcc, 0, v1
	s_waitcnt lgkmcnt(0)
	v_addc_co_u32_e32 v2, vcc, v2, v4, vcc
.LBB972_184:
	s_or_b64 exec, exec, s[2:3]
	s_branch .LBB972_205
.LBB972_185:
                                        ; implicit-def: $vgpr1_vgpr2
	s_cbranch_execz .LBB972_205
; %bb.186:
	s_sub_i32 s8, s20, s0
	v_cmp_gt_u32_e32 vcc, s8, v0
                                        ; implicit-def: $vgpr1_vgpr2
	s_and_saveexec_b64 s[2:3], vcc
	s_cbranch_execz .LBB972_188
; %bb.187:
	s_lshl_b64 s[0:1], s[0:1], 2
	s_add_u32 s10, s26, s0
	s_addc_u32 s11, s27, s1
	s_add_u32 s0, s24, s0
	v_lshlrev_b32_e32 v1, 2, v0
	s_addc_u32 s1, s25, s1
	global_load_dword v2, v1, s[0:1]
	global_load_dword v4, v1, s[10:11]
	s_mov_b32 s0, 0
	s_waitcnt vmcnt(0)
	v_cmp_ne_u32_e32 vcc, v2, v4
	v_cndmask_b32_e64 v1, 0, 1, vcc
	v_mov_b32_e32 v2, s0
.LBB972_188:
	s_or_b64 exec, exec, s[2:3]
	v_mbcnt_hi_u32_b32 v3, -1, v3
	v_and_b32_e32 v4, 63, v3
	v_cmp_ne_u32_e32 vcc, 63, v4
	v_addc_co_u32_e32 v6, vcc, 0, v3, vcc
	v_lshlrev_b32_e32 v6, 2, v6
	ds_bpermute_b32 v8, v6, v1
	ds_bpermute_b32 v7, v6, v2
	s_min_u32 s2, s8, 0x100
	v_and_b32_e32 v5, 0xc0, v0
	v_sub_u32_e64 v5, s2, v5 clamp
	v_add_u32_e32 v6, 1, v4
	v_cmp_lt_u32_e32 vcc, v6, v5
	v_mov_b32_e32 v6, v1
	s_and_saveexec_b64 s[0:1], vcc
	s_cbranch_execz .LBB972_190
; %bb.189:
	s_waitcnt lgkmcnt(1)
	v_add_co_u32_e32 v6, vcc, v1, v8
	v_addc_co_u32_e32 v2, vcc, 0, v2, vcc
	v_add_co_u32_e32 v1, vcc, 0, v6
	s_waitcnt lgkmcnt(0)
	v_addc_co_u32_e32 v2, vcc, v7, v2, vcc
.LBB972_190:
	s_or_b64 exec, exec, s[0:1]
	v_cmp_gt_u32_e32 vcc, 62, v4
	s_waitcnt lgkmcnt(0)
	v_cndmask_b32_e64 v7, 0, 2, vcc
	v_add_lshl_u32 v7, v7, v3, 2
	ds_bpermute_b32 v8, v7, v6
	ds_bpermute_b32 v7, v7, v2
	v_add_u32_e32 v9, 2, v4
	v_cmp_lt_u32_e32 vcc, v9, v5
	s_and_saveexec_b64 s[0:1], vcc
	s_cbranch_execz .LBB972_192
; %bb.191:
	s_waitcnt lgkmcnt(1)
	v_add_co_u32_e32 v6, vcc, v1, v8
	v_addc_co_u32_e32 v2, vcc, 0, v2, vcc
	v_add_co_u32_e32 v1, vcc, 0, v6
	s_waitcnt lgkmcnt(0)
	v_addc_co_u32_e32 v2, vcc, v7, v2, vcc
.LBB972_192:
	s_or_b64 exec, exec, s[0:1]
	v_cmp_gt_u32_e32 vcc, 60, v4
	s_waitcnt lgkmcnt(0)
	v_cndmask_b32_e64 v7, 0, 4, vcc
	v_add_lshl_u32 v7, v7, v3, 2
	ds_bpermute_b32 v8, v7, v6
	ds_bpermute_b32 v7, v7, v2
	v_add_u32_e32 v9, 4, v4
	v_cmp_lt_u32_e32 vcc, v9, v5
	;; [unrolled: 19-line block ×4, first 2 shown]
	s_and_saveexec_b64 s[0:1], vcc
	s_cbranch_execz .LBB972_198
; %bb.197:
	s_waitcnt lgkmcnt(1)
	v_add_co_u32_e32 v6, vcc, v1, v8
	v_addc_co_u32_e32 v2, vcc, 0, v2, vcc
	v_add_co_u32_e32 v1, vcc, 0, v6
	s_waitcnt lgkmcnt(0)
	v_addc_co_u32_e32 v2, vcc, v7, v2, vcc
.LBB972_198:
	s_or_b64 exec, exec, s[0:1]
	s_waitcnt lgkmcnt(0)
	v_lshlrev_b32_e32 v7, 2, v3
	v_or_b32_e32 v8, 0x80, v7
	ds_bpermute_b32 v6, v8, v6
	ds_bpermute_b32 v8, v8, v2
	v_add_u32_e32 v4, 32, v4
	s_waitcnt lgkmcnt(1)
	v_add_co_u32_e32 v6, vcc, v1, v6
	v_addc_co_u32_e32 v9, vcc, 0, v2, vcc
	v_add_co_u32_e32 v6, vcc, 0, v6
	s_waitcnt lgkmcnt(0)
	v_addc_co_u32_e32 v8, vcc, v9, v8, vcc
	v_cmp_lt_u32_e32 vcc, v4, v5
	v_cndmask_b32_e32 v2, v2, v8, vcc
	v_cndmask_b32_e32 v1, v1, v6, vcc
	v_cmp_eq_u32_e32 vcc, 0, v3
	s_and_saveexec_b64 s[0:1], vcc
; %bb.199:
	v_lshrrev_b32_e32 v4, 3, v0
	v_and_b32_e32 v4, 24, v4
	ds_write_b64 v4, v[1:2] offset:160
; %bb.200:
	s_or_b64 exec, exec, s[0:1]
	v_cmp_gt_u32_e32 vcc, 4, v0
	s_waitcnt lgkmcnt(0)
	s_barrier
	s_and_saveexec_b64 s[0:1], vcc
	s_cbranch_execz .LBB972_204
; %bb.201:
	v_lshlrev_b32_e32 v1, 3, v3
	ds_read_b64 v[1:2], v1 offset:160
	v_and_b32_e32 v4, 3, v3
	v_cmp_ne_u32_e32 vcc, 3, v4
	v_addc_co_u32_e32 v3, vcc, 0, v3, vcc
	v_lshlrev_b32_e32 v3, 2, v3
	s_waitcnt lgkmcnt(0)
	ds_bpermute_b32 v6, v3, v1
	ds_bpermute_b32 v5, v3, v2
	s_add_i32 s2, s2, 63
	s_lshr_b32 s8, s2, 6
	v_add_u32_e32 v3, 1, v4
	v_cmp_gt_u32_e32 vcc, s8, v3
	v_mov_b32_e32 v3, v1
	s_and_saveexec_b64 s[2:3], vcc
	s_cbranch_execz .LBB972_203
; %bb.202:
	s_waitcnt lgkmcnt(1)
	v_add_co_u32_e32 v3, vcc, v1, v6
	v_addc_co_u32_e32 v2, vcc, 0, v2, vcc
	v_add_co_u32_e32 v1, vcc, 0, v3
	s_waitcnt lgkmcnt(0)
	v_addc_co_u32_e32 v2, vcc, v5, v2, vcc
.LBB972_203:
	s_or_b64 exec, exec, s[2:3]
	s_waitcnt lgkmcnt(0)
	v_or_b32_e32 v5, 8, v7
	ds_bpermute_b32 v3, v5, v3
	ds_bpermute_b32 v5, v5, v2
	v_add_u32_e32 v4, 2, v4
	s_waitcnt lgkmcnt(1)
	v_add_co_u32_e32 v3, vcc, v1, v3
	v_addc_co_u32_e32 v6, vcc, 0, v2, vcc
	v_add_co_u32_e32 v3, vcc, 0, v3
	s_waitcnt lgkmcnt(0)
	v_addc_co_u32_e32 v5, vcc, v6, v5, vcc
	v_cmp_gt_u32_e32 vcc, s8, v4
	v_cndmask_b32_e32 v2, v2, v5, vcc
	v_cndmask_b32_e32 v1, v1, v3, vcc
.LBB972_204:
	s_or_b64 exec, exec, s[0:1]
.LBB972_205:
	v_mov_b32_e32 v3, s6
	v_cmp_eq_u32_e64 s[0:1], 0, v0
	v_mov_b32_e32 v4, s7
.LBB972_206:
	s_and_saveexec_b64 s[2:3], s[0:1]
	s_cbranch_execz .LBB972_208
; %bb.207:
	v_lshlrev_b64 v[3:4], 3, v[3:4]
	s_load_dwordx2 s[0:1], s[4:5], 0x30
	v_mov_b32_e32 v0, s23
	v_add_co_u32_e32 v3, vcc, s22, v3
	v_addc_co_u32_e32 v4, vcc, v0, v4, vcc
	s_cmp_lg_u64 s[20:21], 0
	s_cselect_b64 vcc, -1, 0
	v_cndmask_b32_e32 v0, 0, v1, vcc
	v_cndmask_b32_e32 v2, 0, v2, vcc
	s_waitcnt lgkmcnt(0)
	v_mov_b32_e32 v1, s1
	v_add_co_u32_e32 v0, vcc, s0, v0
	v_addc_co_u32_e32 v1, vcc, v2, v1, vcc
	global_store_dwordx2 v[3:4], v[0:1], off
.LBB972_208:
	s_endpgm
	.section	.rodata,"a",@progbits
	.p2align	6, 0x0
	.amdhsa_kernel _ZN7rocprim17ROCPRIM_400000_NS6detail17trampoline_kernelINS0_14default_configENS1_22reduce_config_selectorIlEEZNS1_11reduce_implILb1ES3_N6thrust23THRUST_200600_302600_NS11hip_rocprim26transform_input_iterator_tIlNS8_12zip_iteratorINS8_5tupleINS8_6detail15normal_iteratorINS8_10device_ptrIiEEEESH_NS8_9null_typeESI_SI_SI_SI_SI_SI_SI_EEEENS9_21zip_adj_not_predicateINS8_8equal_toIiEEEEEEPllNS8_4plusIlEEEE10hipError_tPvRmT1_T2_T3_mT4_P12ihipStream_tbEUlT_E1_NS1_11comp_targetILNS1_3genE2ELNS1_11target_archE906ELNS1_3gpuE6ELNS1_3repE0EEENS1_30default_config_static_selectorELNS0_4arch9wavefront6targetE1EEEvSW_
		.amdhsa_group_segment_fixed_size 192
		.amdhsa_private_segment_fixed_size 0
		.amdhsa_kernarg_size 64
		.amdhsa_user_sgpr_count 6
		.amdhsa_user_sgpr_private_segment_buffer 1
		.amdhsa_user_sgpr_dispatch_ptr 0
		.amdhsa_user_sgpr_queue_ptr 0
		.amdhsa_user_sgpr_kernarg_segment_ptr 1
		.amdhsa_user_sgpr_dispatch_id 0
		.amdhsa_user_sgpr_flat_scratch_init 0
		.amdhsa_user_sgpr_private_segment_size 0
		.amdhsa_uses_dynamic_stack 0
		.amdhsa_system_sgpr_private_segment_wavefront_offset 0
		.amdhsa_system_sgpr_workgroup_id_x 1
		.amdhsa_system_sgpr_workgroup_id_y 0
		.amdhsa_system_sgpr_workgroup_id_z 0
		.amdhsa_system_sgpr_workgroup_info 0
		.amdhsa_system_vgpr_workitem_id 0
		.amdhsa_next_free_vgpr 34
		.amdhsa_next_free_sgpr 34
		.amdhsa_reserve_vcc 1
		.amdhsa_reserve_flat_scratch 0
		.amdhsa_float_round_mode_32 0
		.amdhsa_float_round_mode_16_64 0
		.amdhsa_float_denorm_mode_32 3
		.amdhsa_float_denorm_mode_16_64 3
		.amdhsa_dx10_clamp 1
		.amdhsa_ieee_mode 1
		.amdhsa_fp16_overflow 0
		.amdhsa_exception_fp_ieee_invalid_op 0
		.amdhsa_exception_fp_denorm_src 0
		.amdhsa_exception_fp_ieee_div_zero 0
		.amdhsa_exception_fp_ieee_overflow 0
		.amdhsa_exception_fp_ieee_underflow 0
		.amdhsa_exception_fp_ieee_inexact 0
		.amdhsa_exception_int_div_zero 0
	.end_amdhsa_kernel
	.section	.text._ZN7rocprim17ROCPRIM_400000_NS6detail17trampoline_kernelINS0_14default_configENS1_22reduce_config_selectorIlEEZNS1_11reduce_implILb1ES3_N6thrust23THRUST_200600_302600_NS11hip_rocprim26transform_input_iterator_tIlNS8_12zip_iteratorINS8_5tupleINS8_6detail15normal_iteratorINS8_10device_ptrIiEEEESH_NS8_9null_typeESI_SI_SI_SI_SI_SI_SI_EEEENS9_21zip_adj_not_predicateINS8_8equal_toIiEEEEEEPllNS8_4plusIlEEEE10hipError_tPvRmT1_T2_T3_mT4_P12ihipStream_tbEUlT_E1_NS1_11comp_targetILNS1_3genE2ELNS1_11target_archE906ELNS1_3gpuE6ELNS1_3repE0EEENS1_30default_config_static_selectorELNS0_4arch9wavefront6targetE1EEEvSW_,"axG",@progbits,_ZN7rocprim17ROCPRIM_400000_NS6detail17trampoline_kernelINS0_14default_configENS1_22reduce_config_selectorIlEEZNS1_11reduce_implILb1ES3_N6thrust23THRUST_200600_302600_NS11hip_rocprim26transform_input_iterator_tIlNS8_12zip_iteratorINS8_5tupleINS8_6detail15normal_iteratorINS8_10device_ptrIiEEEESH_NS8_9null_typeESI_SI_SI_SI_SI_SI_SI_EEEENS9_21zip_adj_not_predicateINS8_8equal_toIiEEEEEEPllNS8_4plusIlEEEE10hipError_tPvRmT1_T2_T3_mT4_P12ihipStream_tbEUlT_E1_NS1_11comp_targetILNS1_3genE2ELNS1_11target_archE906ELNS1_3gpuE6ELNS1_3repE0EEENS1_30default_config_static_selectorELNS0_4arch9wavefront6targetE1EEEvSW_,comdat
.Lfunc_end972:
	.size	_ZN7rocprim17ROCPRIM_400000_NS6detail17trampoline_kernelINS0_14default_configENS1_22reduce_config_selectorIlEEZNS1_11reduce_implILb1ES3_N6thrust23THRUST_200600_302600_NS11hip_rocprim26transform_input_iterator_tIlNS8_12zip_iteratorINS8_5tupleINS8_6detail15normal_iteratorINS8_10device_ptrIiEEEESH_NS8_9null_typeESI_SI_SI_SI_SI_SI_SI_EEEENS9_21zip_adj_not_predicateINS8_8equal_toIiEEEEEEPllNS8_4plusIlEEEE10hipError_tPvRmT1_T2_T3_mT4_P12ihipStream_tbEUlT_E1_NS1_11comp_targetILNS1_3genE2ELNS1_11target_archE906ELNS1_3gpuE6ELNS1_3repE0EEENS1_30default_config_static_selectorELNS0_4arch9wavefront6targetE1EEEvSW_, .Lfunc_end972-_ZN7rocprim17ROCPRIM_400000_NS6detail17trampoline_kernelINS0_14default_configENS1_22reduce_config_selectorIlEEZNS1_11reduce_implILb1ES3_N6thrust23THRUST_200600_302600_NS11hip_rocprim26transform_input_iterator_tIlNS8_12zip_iteratorINS8_5tupleINS8_6detail15normal_iteratorINS8_10device_ptrIiEEEESH_NS8_9null_typeESI_SI_SI_SI_SI_SI_SI_EEEENS9_21zip_adj_not_predicateINS8_8equal_toIiEEEEEEPllNS8_4plusIlEEEE10hipError_tPvRmT1_T2_T3_mT4_P12ihipStream_tbEUlT_E1_NS1_11comp_targetILNS1_3genE2ELNS1_11target_archE906ELNS1_3gpuE6ELNS1_3repE0EEENS1_30default_config_static_selectorELNS0_4arch9wavefront6targetE1EEEvSW_
                                        ; -- End function
	.set _ZN7rocprim17ROCPRIM_400000_NS6detail17trampoline_kernelINS0_14default_configENS1_22reduce_config_selectorIlEEZNS1_11reduce_implILb1ES3_N6thrust23THRUST_200600_302600_NS11hip_rocprim26transform_input_iterator_tIlNS8_12zip_iteratorINS8_5tupleINS8_6detail15normal_iteratorINS8_10device_ptrIiEEEESH_NS8_9null_typeESI_SI_SI_SI_SI_SI_SI_EEEENS9_21zip_adj_not_predicateINS8_8equal_toIiEEEEEEPllNS8_4plusIlEEEE10hipError_tPvRmT1_T2_T3_mT4_P12ihipStream_tbEUlT_E1_NS1_11comp_targetILNS1_3genE2ELNS1_11target_archE906ELNS1_3gpuE6ELNS1_3repE0EEENS1_30default_config_static_selectorELNS0_4arch9wavefront6targetE1EEEvSW_.num_vgpr, 34
	.set _ZN7rocprim17ROCPRIM_400000_NS6detail17trampoline_kernelINS0_14default_configENS1_22reduce_config_selectorIlEEZNS1_11reduce_implILb1ES3_N6thrust23THRUST_200600_302600_NS11hip_rocprim26transform_input_iterator_tIlNS8_12zip_iteratorINS8_5tupleINS8_6detail15normal_iteratorINS8_10device_ptrIiEEEESH_NS8_9null_typeESI_SI_SI_SI_SI_SI_SI_EEEENS9_21zip_adj_not_predicateINS8_8equal_toIiEEEEEEPllNS8_4plusIlEEEE10hipError_tPvRmT1_T2_T3_mT4_P12ihipStream_tbEUlT_E1_NS1_11comp_targetILNS1_3genE2ELNS1_11target_archE906ELNS1_3gpuE6ELNS1_3repE0EEENS1_30default_config_static_selectorELNS0_4arch9wavefront6targetE1EEEvSW_.num_agpr, 0
	.set _ZN7rocprim17ROCPRIM_400000_NS6detail17trampoline_kernelINS0_14default_configENS1_22reduce_config_selectorIlEEZNS1_11reduce_implILb1ES3_N6thrust23THRUST_200600_302600_NS11hip_rocprim26transform_input_iterator_tIlNS8_12zip_iteratorINS8_5tupleINS8_6detail15normal_iteratorINS8_10device_ptrIiEEEESH_NS8_9null_typeESI_SI_SI_SI_SI_SI_SI_EEEENS9_21zip_adj_not_predicateINS8_8equal_toIiEEEEEEPllNS8_4plusIlEEEE10hipError_tPvRmT1_T2_T3_mT4_P12ihipStream_tbEUlT_E1_NS1_11comp_targetILNS1_3genE2ELNS1_11target_archE906ELNS1_3gpuE6ELNS1_3repE0EEENS1_30default_config_static_selectorELNS0_4arch9wavefront6targetE1EEEvSW_.numbered_sgpr, 34
	.set _ZN7rocprim17ROCPRIM_400000_NS6detail17trampoline_kernelINS0_14default_configENS1_22reduce_config_selectorIlEEZNS1_11reduce_implILb1ES3_N6thrust23THRUST_200600_302600_NS11hip_rocprim26transform_input_iterator_tIlNS8_12zip_iteratorINS8_5tupleINS8_6detail15normal_iteratorINS8_10device_ptrIiEEEESH_NS8_9null_typeESI_SI_SI_SI_SI_SI_SI_EEEENS9_21zip_adj_not_predicateINS8_8equal_toIiEEEEEEPllNS8_4plusIlEEEE10hipError_tPvRmT1_T2_T3_mT4_P12ihipStream_tbEUlT_E1_NS1_11comp_targetILNS1_3genE2ELNS1_11target_archE906ELNS1_3gpuE6ELNS1_3repE0EEENS1_30default_config_static_selectorELNS0_4arch9wavefront6targetE1EEEvSW_.num_named_barrier, 0
	.set _ZN7rocprim17ROCPRIM_400000_NS6detail17trampoline_kernelINS0_14default_configENS1_22reduce_config_selectorIlEEZNS1_11reduce_implILb1ES3_N6thrust23THRUST_200600_302600_NS11hip_rocprim26transform_input_iterator_tIlNS8_12zip_iteratorINS8_5tupleINS8_6detail15normal_iteratorINS8_10device_ptrIiEEEESH_NS8_9null_typeESI_SI_SI_SI_SI_SI_SI_EEEENS9_21zip_adj_not_predicateINS8_8equal_toIiEEEEEEPllNS8_4plusIlEEEE10hipError_tPvRmT1_T2_T3_mT4_P12ihipStream_tbEUlT_E1_NS1_11comp_targetILNS1_3genE2ELNS1_11target_archE906ELNS1_3gpuE6ELNS1_3repE0EEENS1_30default_config_static_selectorELNS0_4arch9wavefront6targetE1EEEvSW_.private_seg_size, 0
	.set _ZN7rocprim17ROCPRIM_400000_NS6detail17trampoline_kernelINS0_14default_configENS1_22reduce_config_selectorIlEEZNS1_11reduce_implILb1ES3_N6thrust23THRUST_200600_302600_NS11hip_rocprim26transform_input_iterator_tIlNS8_12zip_iteratorINS8_5tupleINS8_6detail15normal_iteratorINS8_10device_ptrIiEEEESH_NS8_9null_typeESI_SI_SI_SI_SI_SI_SI_EEEENS9_21zip_adj_not_predicateINS8_8equal_toIiEEEEEEPllNS8_4plusIlEEEE10hipError_tPvRmT1_T2_T3_mT4_P12ihipStream_tbEUlT_E1_NS1_11comp_targetILNS1_3genE2ELNS1_11target_archE906ELNS1_3gpuE6ELNS1_3repE0EEENS1_30default_config_static_selectorELNS0_4arch9wavefront6targetE1EEEvSW_.uses_vcc, 1
	.set _ZN7rocprim17ROCPRIM_400000_NS6detail17trampoline_kernelINS0_14default_configENS1_22reduce_config_selectorIlEEZNS1_11reduce_implILb1ES3_N6thrust23THRUST_200600_302600_NS11hip_rocprim26transform_input_iterator_tIlNS8_12zip_iteratorINS8_5tupleINS8_6detail15normal_iteratorINS8_10device_ptrIiEEEESH_NS8_9null_typeESI_SI_SI_SI_SI_SI_SI_EEEENS9_21zip_adj_not_predicateINS8_8equal_toIiEEEEEEPllNS8_4plusIlEEEE10hipError_tPvRmT1_T2_T3_mT4_P12ihipStream_tbEUlT_E1_NS1_11comp_targetILNS1_3genE2ELNS1_11target_archE906ELNS1_3gpuE6ELNS1_3repE0EEENS1_30default_config_static_selectorELNS0_4arch9wavefront6targetE1EEEvSW_.uses_flat_scratch, 0
	.set _ZN7rocprim17ROCPRIM_400000_NS6detail17trampoline_kernelINS0_14default_configENS1_22reduce_config_selectorIlEEZNS1_11reduce_implILb1ES3_N6thrust23THRUST_200600_302600_NS11hip_rocprim26transform_input_iterator_tIlNS8_12zip_iteratorINS8_5tupleINS8_6detail15normal_iteratorINS8_10device_ptrIiEEEESH_NS8_9null_typeESI_SI_SI_SI_SI_SI_SI_EEEENS9_21zip_adj_not_predicateINS8_8equal_toIiEEEEEEPllNS8_4plusIlEEEE10hipError_tPvRmT1_T2_T3_mT4_P12ihipStream_tbEUlT_E1_NS1_11comp_targetILNS1_3genE2ELNS1_11target_archE906ELNS1_3gpuE6ELNS1_3repE0EEENS1_30default_config_static_selectorELNS0_4arch9wavefront6targetE1EEEvSW_.has_dyn_sized_stack, 0
	.set _ZN7rocprim17ROCPRIM_400000_NS6detail17trampoline_kernelINS0_14default_configENS1_22reduce_config_selectorIlEEZNS1_11reduce_implILb1ES3_N6thrust23THRUST_200600_302600_NS11hip_rocprim26transform_input_iterator_tIlNS8_12zip_iteratorINS8_5tupleINS8_6detail15normal_iteratorINS8_10device_ptrIiEEEESH_NS8_9null_typeESI_SI_SI_SI_SI_SI_SI_EEEENS9_21zip_adj_not_predicateINS8_8equal_toIiEEEEEEPllNS8_4plusIlEEEE10hipError_tPvRmT1_T2_T3_mT4_P12ihipStream_tbEUlT_E1_NS1_11comp_targetILNS1_3genE2ELNS1_11target_archE906ELNS1_3gpuE6ELNS1_3repE0EEENS1_30default_config_static_selectorELNS0_4arch9wavefront6targetE1EEEvSW_.has_recursion, 0
	.set _ZN7rocprim17ROCPRIM_400000_NS6detail17trampoline_kernelINS0_14default_configENS1_22reduce_config_selectorIlEEZNS1_11reduce_implILb1ES3_N6thrust23THRUST_200600_302600_NS11hip_rocprim26transform_input_iterator_tIlNS8_12zip_iteratorINS8_5tupleINS8_6detail15normal_iteratorINS8_10device_ptrIiEEEESH_NS8_9null_typeESI_SI_SI_SI_SI_SI_SI_EEEENS9_21zip_adj_not_predicateINS8_8equal_toIiEEEEEEPllNS8_4plusIlEEEE10hipError_tPvRmT1_T2_T3_mT4_P12ihipStream_tbEUlT_E1_NS1_11comp_targetILNS1_3genE2ELNS1_11target_archE906ELNS1_3gpuE6ELNS1_3repE0EEENS1_30default_config_static_selectorELNS0_4arch9wavefront6targetE1EEEvSW_.has_indirect_call, 0
	.section	.AMDGPU.csdata,"",@progbits
; Kernel info:
; codeLenInByte = 10652
; TotalNumSgprs: 38
; NumVgprs: 34
; ScratchSize: 0
; MemoryBound: 0
; FloatMode: 240
; IeeeMode: 1
; LDSByteSize: 192 bytes/workgroup (compile time only)
; SGPRBlocks: 4
; VGPRBlocks: 8
; NumSGPRsForWavesPerEU: 38
; NumVGPRsForWavesPerEU: 34
; Occupancy: 7
; WaveLimiterHint : 0
; COMPUTE_PGM_RSRC2:SCRATCH_EN: 0
; COMPUTE_PGM_RSRC2:USER_SGPR: 6
; COMPUTE_PGM_RSRC2:TRAP_HANDLER: 0
; COMPUTE_PGM_RSRC2:TGID_X_EN: 1
; COMPUTE_PGM_RSRC2:TGID_Y_EN: 0
; COMPUTE_PGM_RSRC2:TGID_Z_EN: 0
; COMPUTE_PGM_RSRC2:TIDIG_COMP_CNT: 0
	.section	.text._ZN7rocprim17ROCPRIM_400000_NS6detail17trampoline_kernelINS0_14default_configENS1_22reduce_config_selectorIlEEZNS1_11reduce_implILb1ES3_N6thrust23THRUST_200600_302600_NS11hip_rocprim26transform_input_iterator_tIlNS8_12zip_iteratorINS8_5tupleINS8_6detail15normal_iteratorINS8_10device_ptrIiEEEESH_NS8_9null_typeESI_SI_SI_SI_SI_SI_SI_EEEENS9_21zip_adj_not_predicateINS8_8equal_toIiEEEEEEPllNS8_4plusIlEEEE10hipError_tPvRmT1_T2_T3_mT4_P12ihipStream_tbEUlT_E1_NS1_11comp_targetILNS1_3genE10ELNS1_11target_archE1201ELNS1_3gpuE5ELNS1_3repE0EEENS1_30default_config_static_selectorELNS0_4arch9wavefront6targetE1EEEvSW_,"axG",@progbits,_ZN7rocprim17ROCPRIM_400000_NS6detail17trampoline_kernelINS0_14default_configENS1_22reduce_config_selectorIlEEZNS1_11reduce_implILb1ES3_N6thrust23THRUST_200600_302600_NS11hip_rocprim26transform_input_iterator_tIlNS8_12zip_iteratorINS8_5tupleINS8_6detail15normal_iteratorINS8_10device_ptrIiEEEESH_NS8_9null_typeESI_SI_SI_SI_SI_SI_SI_EEEENS9_21zip_adj_not_predicateINS8_8equal_toIiEEEEEEPllNS8_4plusIlEEEE10hipError_tPvRmT1_T2_T3_mT4_P12ihipStream_tbEUlT_E1_NS1_11comp_targetILNS1_3genE10ELNS1_11target_archE1201ELNS1_3gpuE5ELNS1_3repE0EEENS1_30default_config_static_selectorELNS0_4arch9wavefront6targetE1EEEvSW_,comdat
	.protected	_ZN7rocprim17ROCPRIM_400000_NS6detail17trampoline_kernelINS0_14default_configENS1_22reduce_config_selectorIlEEZNS1_11reduce_implILb1ES3_N6thrust23THRUST_200600_302600_NS11hip_rocprim26transform_input_iterator_tIlNS8_12zip_iteratorINS8_5tupleINS8_6detail15normal_iteratorINS8_10device_ptrIiEEEESH_NS8_9null_typeESI_SI_SI_SI_SI_SI_SI_EEEENS9_21zip_adj_not_predicateINS8_8equal_toIiEEEEEEPllNS8_4plusIlEEEE10hipError_tPvRmT1_T2_T3_mT4_P12ihipStream_tbEUlT_E1_NS1_11comp_targetILNS1_3genE10ELNS1_11target_archE1201ELNS1_3gpuE5ELNS1_3repE0EEENS1_30default_config_static_selectorELNS0_4arch9wavefront6targetE1EEEvSW_ ; -- Begin function _ZN7rocprim17ROCPRIM_400000_NS6detail17trampoline_kernelINS0_14default_configENS1_22reduce_config_selectorIlEEZNS1_11reduce_implILb1ES3_N6thrust23THRUST_200600_302600_NS11hip_rocprim26transform_input_iterator_tIlNS8_12zip_iteratorINS8_5tupleINS8_6detail15normal_iteratorINS8_10device_ptrIiEEEESH_NS8_9null_typeESI_SI_SI_SI_SI_SI_SI_EEEENS9_21zip_adj_not_predicateINS8_8equal_toIiEEEEEEPllNS8_4plusIlEEEE10hipError_tPvRmT1_T2_T3_mT4_P12ihipStream_tbEUlT_E1_NS1_11comp_targetILNS1_3genE10ELNS1_11target_archE1201ELNS1_3gpuE5ELNS1_3repE0EEENS1_30default_config_static_selectorELNS0_4arch9wavefront6targetE1EEEvSW_
	.globl	_ZN7rocprim17ROCPRIM_400000_NS6detail17trampoline_kernelINS0_14default_configENS1_22reduce_config_selectorIlEEZNS1_11reduce_implILb1ES3_N6thrust23THRUST_200600_302600_NS11hip_rocprim26transform_input_iterator_tIlNS8_12zip_iteratorINS8_5tupleINS8_6detail15normal_iteratorINS8_10device_ptrIiEEEESH_NS8_9null_typeESI_SI_SI_SI_SI_SI_SI_EEEENS9_21zip_adj_not_predicateINS8_8equal_toIiEEEEEEPllNS8_4plusIlEEEE10hipError_tPvRmT1_T2_T3_mT4_P12ihipStream_tbEUlT_E1_NS1_11comp_targetILNS1_3genE10ELNS1_11target_archE1201ELNS1_3gpuE5ELNS1_3repE0EEENS1_30default_config_static_selectorELNS0_4arch9wavefront6targetE1EEEvSW_
	.p2align	8
	.type	_ZN7rocprim17ROCPRIM_400000_NS6detail17trampoline_kernelINS0_14default_configENS1_22reduce_config_selectorIlEEZNS1_11reduce_implILb1ES3_N6thrust23THRUST_200600_302600_NS11hip_rocprim26transform_input_iterator_tIlNS8_12zip_iteratorINS8_5tupleINS8_6detail15normal_iteratorINS8_10device_ptrIiEEEESH_NS8_9null_typeESI_SI_SI_SI_SI_SI_SI_EEEENS9_21zip_adj_not_predicateINS8_8equal_toIiEEEEEEPllNS8_4plusIlEEEE10hipError_tPvRmT1_T2_T3_mT4_P12ihipStream_tbEUlT_E1_NS1_11comp_targetILNS1_3genE10ELNS1_11target_archE1201ELNS1_3gpuE5ELNS1_3repE0EEENS1_30default_config_static_selectorELNS0_4arch9wavefront6targetE1EEEvSW_,@function
_ZN7rocprim17ROCPRIM_400000_NS6detail17trampoline_kernelINS0_14default_configENS1_22reduce_config_selectorIlEEZNS1_11reduce_implILb1ES3_N6thrust23THRUST_200600_302600_NS11hip_rocprim26transform_input_iterator_tIlNS8_12zip_iteratorINS8_5tupleINS8_6detail15normal_iteratorINS8_10device_ptrIiEEEESH_NS8_9null_typeESI_SI_SI_SI_SI_SI_SI_EEEENS9_21zip_adj_not_predicateINS8_8equal_toIiEEEEEEPllNS8_4plusIlEEEE10hipError_tPvRmT1_T2_T3_mT4_P12ihipStream_tbEUlT_E1_NS1_11comp_targetILNS1_3genE10ELNS1_11target_archE1201ELNS1_3gpuE5ELNS1_3repE0EEENS1_30default_config_static_selectorELNS0_4arch9wavefront6targetE1EEEvSW_: ; @_ZN7rocprim17ROCPRIM_400000_NS6detail17trampoline_kernelINS0_14default_configENS1_22reduce_config_selectorIlEEZNS1_11reduce_implILb1ES3_N6thrust23THRUST_200600_302600_NS11hip_rocprim26transform_input_iterator_tIlNS8_12zip_iteratorINS8_5tupleINS8_6detail15normal_iteratorINS8_10device_ptrIiEEEESH_NS8_9null_typeESI_SI_SI_SI_SI_SI_SI_EEEENS9_21zip_adj_not_predicateINS8_8equal_toIiEEEEEEPllNS8_4plusIlEEEE10hipError_tPvRmT1_T2_T3_mT4_P12ihipStream_tbEUlT_E1_NS1_11comp_targetILNS1_3genE10ELNS1_11target_archE1201ELNS1_3gpuE5ELNS1_3repE0EEENS1_30default_config_static_selectorELNS0_4arch9wavefront6targetE1EEEvSW_
; %bb.0:
	.section	.rodata,"a",@progbits
	.p2align	6, 0x0
	.amdhsa_kernel _ZN7rocprim17ROCPRIM_400000_NS6detail17trampoline_kernelINS0_14default_configENS1_22reduce_config_selectorIlEEZNS1_11reduce_implILb1ES3_N6thrust23THRUST_200600_302600_NS11hip_rocprim26transform_input_iterator_tIlNS8_12zip_iteratorINS8_5tupleINS8_6detail15normal_iteratorINS8_10device_ptrIiEEEESH_NS8_9null_typeESI_SI_SI_SI_SI_SI_SI_EEEENS9_21zip_adj_not_predicateINS8_8equal_toIiEEEEEEPllNS8_4plusIlEEEE10hipError_tPvRmT1_T2_T3_mT4_P12ihipStream_tbEUlT_E1_NS1_11comp_targetILNS1_3genE10ELNS1_11target_archE1201ELNS1_3gpuE5ELNS1_3repE0EEENS1_30default_config_static_selectorELNS0_4arch9wavefront6targetE1EEEvSW_
		.amdhsa_group_segment_fixed_size 0
		.amdhsa_private_segment_fixed_size 0
		.amdhsa_kernarg_size 64
		.amdhsa_user_sgpr_count 6
		.amdhsa_user_sgpr_private_segment_buffer 1
		.amdhsa_user_sgpr_dispatch_ptr 0
		.amdhsa_user_sgpr_queue_ptr 0
		.amdhsa_user_sgpr_kernarg_segment_ptr 1
		.amdhsa_user_sgpr_dispatch_id 0
		.amdhsa_user_sgpr_flat_scratch_init 0
		.amdhsa_user_sgpr_private_segment_size 0
		.amdhsa_uses_dynamic_stack 0
		.amdhsa_system_sgpr_private_segment_wavefront_offset 0
		.amdhsa_system_sgpr_workgroup_id_x 1
		.amdhsa_system_sgpr_workgroup_id_y 0
		.amdhsa_system_sgpr_workgroup_id_z 0
		.amdhsa_system_sgpr_workgroup_info 0
		.amdhsa_system_vgpr_workitem_id 0
		.amdhsa_next_free_vgpr 1
		.amdhsa_next_free_sgpr 0
		.amdhsa_reserve_vcc 0
		.amdhsa_reserve_flat_scratch 0
		.amdhsa_float_round_mode_32 0
		.amdhsa_float_round_mode_16_64 0
		.amdhsa_float_denorm_mode_32 3
		.amdhsa_float_denorm_mode_16_64 3
		.amdhsa_dx10_clamp 1
		.amdhsa_ieee_mode 1
		.amdhsa_fp16_overflow 0
		.amdhsa_exception_fp_ieee_invalid_op 0
		.amdhsa_exception_fp_denorm_src 0
		.amdhsa_exception_fp_ieee_div_zero 0
		.amdhsa_exception_fp_ieee_overflow 0
		.amdhsa_exception_fp_ieee_underflow 0
		.amdhsa_exception_fp_ieee_inexact 0
		.amdhsa_exception_int_div_zero 0
	.end_amdhsa_kernel
	.section	.text._ZN7rocprim17ROCPRIM_400000_NS6detail17trampoline_kernelINS0_14default_configENS1_22reduce_config_selectorIlEEZNS1_11reduce_implILb1ES3_N6thrust23THRUST_200600_302600_NS11hip_rocprim26transform_input_iterator_tIlNS8_12zip_iteratorINS8_5tupleINS8_6detail15normal_iteratorINS8_10device_ptrIiEEEESH_NS8_9null_typeESI_SI_SI_SI_SI_SI_SI_EEEENS9_21zip_adj_not_predicateINS8_8equal_toIiEEEEEEPllNS8_4plusIlEEEE10hipError_tPvRmT1_T2_T3_mT4_P12ihipStream_tbEUlT_E1_NS1_11comp_targetILNS1_3genE10ELNS1_11target_archE1201ELNS1_3gpuE5ELNS1_3repE0EEENS1_30default_config_static_selectorELNS0_4arch9wavefront6targetE1EEEvSW_,"axG",@progbits,_ZN7rocprim17ROCPRIM_400000_NS6detail17trampoline_kernelINS0_14default_configENS1_22reduce_config_selectorIlEEZNS1_11reduce_implILb1ES3_N6thrust23THRUST_200600_302600_NS11hip_rocprim26transform_input_iterator_tIlNS8_12zip_iteratorINS8_5tupleINS8_6detail15normal_iteratorINS8_10device_ptrIiEEEESH_NS8_9null_typeESI_SI_SI_SI_SI_SI_SI_EEEENS9_21zip_adj_not_predicateINS8_8equal_toIiEEEEEEPllNS8_4plusIlEEEE10hipError_tPvRmT1_T2_T3_mT4_P12ihipStream_tbEUlT_E1_NS1_11comp_targetILNS1_3genE10ELNS1_11target_archE1201ELNS1_3gpuE5ELNS1_3repE0EEENS1_30default_config_static_selectorELNS0_4arch9wavefront6targetE1EEEvSW_,comdat
.Lfunc_end973:
	.size	_ZN7rocprim17ROCPRIM_400000_NS6detail17trampoline_kernelINS0_14default_configENS1_22reduce_config_selectorIlEEZNS1_11reduce_implILb1ES3_N6thrust23THRUST_200600_302600_NS11hip_rocprim26transform_input_iterator_tIlNS8_12zip_iteratorINS8_5tupleINS8_6detail15normal_iteratorINS8_10device_ptrIiEEEESH_NS8_9null_typeESI_SI_SI_SI_SI_SI_SI_EEEENS9_21zip_adj_not_predicateINS8_8equal_toIiEEEEEEPllNS8_4plusIlEEEE10hipError_tPvRmT1_T2_T3_mT4_P12ihipStream_tbEUlT_E1_NS1_11comp_targetILNS1_3genE10ELNS1_11target_archE1201ELNS1_3gpuE5ELNS1_3repE0EEENS1_30default_config_static_selectorELNS0_4arch9wavefront6targetE1EEEvSW_, .Lfunc_end973-_ZN7rocprim17ROCPRIM_400000_NS6detail17trampoline_kernelINS0_14default_configENS1_22reduce_config_selectorIlEEZNS1_11reduce_implILb1ES3_N6thrust23THRUST_200600_302600_NS11hip_rocprim26transform_input_iterator_tIlNS8_12zip_iteratorINS8_5tupleINS8_6detail15normal_iteratorINS8_10device_ptrIiEEEESH_NS8_9null_typeESI_SI_SI_SI_SI_SI_SI_EEEENS9_21zip_adj_not_predicateINS8_8equal_toIiEEEEEEPllNS8_4plusIlEEEE10hipError_tPvRmT1_T2_T3_mT4_P12ihipStream_tbEUlT_E1_NS1_11comp_targetILNS1_3genE10ELNS1_11target_archE1201ELNS1_3gpuE5ELNS1_3repE0EEENS1_30default_config_static_selectorELNS0_4arch9wavefront6targetE1EEEvSW_
                                        ; -- End function
	.set _ZN7rocprim17ROCPRIM_400000_NS6detail17trampoline_kernelINS0_14default_configENS1_22reduce_config_selectorIlEEZNS1_11reduce_implILb1ES3_N6thrust23THRUST_200600_302600_NS11hip_rocprim26transform_input_iterator_tIlNS8_12zip_iteratorINS8_5tupleINS8_6detail15normal_iteratorINS8_10device_ptrIiEEEESH_NS8_9null_typeESI_SI_SI_SI_SI_SI_SI_EEEENS9_21zip_adj_not_predicateINS8_8equal_toIiEEEEEEPllNS8_4plusIlEEEE10hipError_tPvRmT1_T2_T3_mT4_P12ihipStream_tbEUlT_E1_NS1_11comp_targetILNS1_3genE10ELNS1_11target_archE1201ELNS1_3gpuE5ELNS1_3repE0EEENS1_30default_config_static_selectorELNS0_4arch9wavefront6targetE1EEEvSW_.num_vgpr, 0
	.set _ZN7rocprim17ROCPRIM_400000_NS6detail17trampoline_kernelINS0_14default_configENS1_22reduce_config_selectorIlEEZNS1_11reduce_implILb1ES3_N6thrust23THRUST_200600_302600_NS11hip_rocprim26transform_input_iterator_tIlNS8_12zip_iteratorINS8_5tupleINS8_6detail15normal_iteratorINS8_10device_ptrIiEEEESH_NS8_9null_typeESI_SI_SI_SI_SI_SI_SI_EEEENS9_21zip_adj_not_predicateINS8_8equal_toIiEEEEEEPllNS8_4plusIlEEEE10hipError_tPvRmT1_T2_T3_mT4_P12ihipStream_tbEUlT_E1_NS1_11comp_targetILNS1_3genE10ELNS1_11target_archE1201ELNS1_3gpuE5ELNS1_3repE0EEENS1_30default_config_static_selectorELNS0_4arch9wavefront6targetE1EEEvSW_.num_agpr, 0
	.set _ZN7rocprim17ROCPRIM_400000_NS6detail17trampoline_kernelINS0_14default_configENS1_22reduce_config_selectorIlEEZNS1_11reduce_implILb1ES3_N6thrust23THRUST_200600_302600_NS11hip_rocprim26transform_input_iterator_tIlNS8_12zip_iteratorINS8_5tupleINS8_6detail15normal_iteratorINS8_10device_ptrIiEEEESH_NS8_9null_typeESI_SI_SI_SI_SI_SI_SI_EEEENS9_21zip_adj_not_predicateINS8_8equal_toIiEEEEEEPllNS8_4plusIlEEEE10hipError_tPvRmT1_T2_T3_mT4_P12ihipStream_tbEUlT_E1_NS1_11comp_targetILNS1_3genE10ELNS1_11target_archE1201ELNS1_3gpuE5ELNS1_3repE0EEENS1_30default_config_static_selectorELNS0_4arch9wavefront6targetE1EEEvSW_.numbered_sgpr, 0
	.set _ZN7rocprim17ROCPRIM_400000_NS6detail17trampoline_kernelINS0_14default_configENS1_22reduce_config_selectorIlEEZNS1_11reduce_implILb1ES3_N6thrust23THRUST_200600_302600_NS11hip_rocprim26transform_input_iterator_tIlNS8_12zip_iteratorINS8_5tupleINS8_6detail15normal_iteratorINS8_10device_ptrIiEEEESH_NS8_9null_typeESI_SI_SI_SI_SI_SI_SI_EEEENS9_21zip_adj_not_predicateINS8_8equal_toIiEEEEEEPllNS8_4plusIlEEEE10hipError_tPvRmT1_T2_T3_mT4_P12ihipStream_tbEUlT_E1_NS1_11comp_targetILNS1_3genE10ELNS1_11target_archE1201ELNS1_3gpuE5ELNS1_3repE0EEENS1_30default_config_static_selectorELNS0_4arch9wavefront6targetE1EEEvSW_.num_named_barrier, 0
	.set _ZN7rocprim17ROCPRIM_400000_NS6detail17trampoline_kernelINS0_14default_configENS1_22reduce_config_selectorIlEEZNS1_11reduce_implILb1ES3_N6thrust23THRUST_200600_302600_NS11hip_rocprim26transform_input_iterator_tIlNS8_12zip_iteratorINS8_5tupleINS8_6detail15normal_iteratorINS8_10device_ptrIiEEEESH_NS8_9null_typeESI_SI_SI_SI_SI_SI_SI_EEEENS9_21zip_adj_not_predicateINS8_8equal_toIiEEEEEEPllNS8_4plusIlEEEE10hipError_tPvRmT1_T2_T3_mT4_P12ihipStream_tbEUlT_E1_NS1_11comp_targetILNS1_3genE10ELNS1_11target_archE1201ELNS1_3gpuE5ELNS1_3repE0EEENS1_30default_config_static_selectorELNS0_4arch9wavefront6targetE1EEEvSW_.private_seg_size, 0
	.set _ZN7rocprim17ROCPRIM_400000_NS6detail17trampoline_kernelINS0_14default_configENS1_22reduce_config_selectorIlEEZNS1_11reduce_implILb1ES3_N6thrust23THRUST_200600_302600_NS11hip_rocprim26transform_input_iterator_tIlNS8_12zip_iteratorINS8_5tupleINS8_6detail15normal_iteratorINS8_10device_ptrIiEEEESH_NS8_9null_typeESI_SI_SI_SI_SI_SI_SI_EEEENS9_21zip_adj_not_predicateINS8_8equal_toIiEEEEEEPllNS8_4plusIlEEEE10hipError_tPvRmT1_T2_T3_mT4_P12ihipStream_tbEUlT_E1_NS1_11comp_targetILNS1_3genE10ELNS1_11target_archE1201ELNS1_3gpuE5ELNS1_3repE0EEENS1_30default_config_static_selectorELNS0_4arch9wavefront6targetE1EEEvSW_.uses_vcc, 0
	.set _ZN7rocprim17ROCPRIM_400000_NS6detail17trampoline_kernelINS0_14default_configENS1_22reduce_config_selectorIlEEZNS1_11reduce_implILb1ES3_N6thrust23THRUST_200600_302600_NS11hip_rocprim26transform_input_iterator_tIlNS8_12zip_iteratorINS8_5tupleINS8_6detail15normal_iteratorINS8_10device_ptrIiEEEESH_NS8_9null_typeESI_SI_SI_SI_SI_SI_SI_EEEENS9_21zip_adj_not_predicateINS8_8equal_toIiEEEEEEPllNS8_4plusIlEEEE10hipError_tPvRmT1_T2_T3_mT4_P12ihipStream_tbEUlT_E1_NS1_11comp_targetILNS1_3genE10ELNS1_11target_archE1201ELNS1_3gpuE5ELNS1_3repE0EEENS1_30default_config_static_selectorELNS0_4arch9wavefront6targetE1EEEvSW_.uses_flat_scratch, 0
	.set _ZN7rocprim17ROCPRIM_400000_NS6detail17trampoline_kernelINS0_14default_configENS1_22reduce_config_selectorIlEEZNS1_11reduce_implILb1ES3_N6thrust23THRUST_200600_302600_NS11hip_rocprim26transform_input_iterator_tIlNS8_12zip_iteratorINS8_5tupleINS8_6detail15normal_iteratorINS8_10device_ptrIiEEEESH_NS8_9null_typeESI_SI_SI_SI_SI_SI_SI_EEEENS9_21zip_adj_not_predicateINS8_8equal_toIiEEEEEEPllNS8_4plusIlEEEE10hipError_tPvRmT1_T2_T3_mT4_P12ihipStream_tbEUlT_E1_NS1_11comp_targetILNS1_3genE10ELNS1_11target_archE1201ELNS1_3gpuE5ELNS1_3repE0EEENS1_30default_config_static_selectorELNS0_4arch9wavefront6targetE1EEEvSW_.has_dyn_sized_stack, 0
	.set _ZN7rocprim17ROCPRIM_400000_NS6detail17trampoline_kernelINS0_14default_configENS1_22reduce_config_selectorIlEEZNS1_11reduce_implILb1ES3_N6thrust23THRUST_200600_302600_NS11hip_rocprim26transform_input_iterator_tIlNS8_12zip_iteratorINS8_5tupleINS8_6detail15normal_iteratorINS8_10device_ptrIiEEEESH_NS8_9null_typeESI_SI_SI_SI_SI_SI_SI_EEEENS9_21zip_adj_not_predicateINS8_8equal_toIiEEEEEEPllNS8_4plusIlEEEE10hipError_tPvRmT1_T2_T3_mT4_P12ihipStream_tbEUlT_E1_NS1_11comp_targetILNS1_3genE10ELNS1_11target_archE1201ELNS1_3gpuE5ELNS1_3repE0EEENS1_30default_config_static_selectorELNS0_4arch9wavefront6targetE1EEEvSW_.has_recursion, 0
	.set _ZN7rocprim17ROCPRIM_400000_NS6detail17trampoline_kernelINS0_14default_configENS1_22reduce_config_selectorIlEEZNS1_11reduce_implILb1ES3_N6thrust23THRUST_200600_302600_NS11hip_rocprim26transform_input_iterator_tIlNS8_12zip_iteratorINS8_5tupleINS8_6detail15normal_iteratorINS8_10device_ptrIiEEEESH_NS8_9null_typeESI_SI_SI_SI_SI_SI_SI_EEEENS9_21zip_adj_not_predicateINS8_8equal_toIiEEEEEEPllNS8_4plusIlEEEE10hipError_tPvRmT1_T2_T3_mT4_P12ihipStream_tbEUlT_E1_NS1_11comp_targetILNS1_3genE10ELNS1_11target_archE1201ELNS1_3gpuE5ELNS1_3repE0EEENS1_30default_config_static_selectorELNS0_4arch9wavefront6targetE1EEEvSW_.has_indirect_call, 0
	.section	.AMDGPU.csdata,"",@progbits
; Kernel info:
; codeLenInByte = 0
; TotalNumSgprs: 4
; NumVgprs: 0
; ScratchSize: 0
; MemoryBound: 0
; FloatMode: 240
; IeeeMode: 1
; LDSByteSize: 0 bytes/workgroup (compile time only)
; SGPRBlocks: 0
; VGPRBlocks: 0
; NumSGPRsForWavesPerEU: 4
; NumVGPRsForWavesPerEU: 1
; Occupancy: 10
; WaveLimiterHint : 0
; COMPUTE_PGM_RSRC2:SCRATCH_EN: 0
; COMPUTE_PGM_RSRC2:USER_SGPR: 6
; COMPUTE_PGM_RSRC2:TRAP_HANDLER: 0
; COMPUTE_PGM_RSRC2:TGID_X_EN: 1
; COMPUTE_PGM_RSRC2:TGID_Y_EN: 0
; COMPUTE_PGM_RSRC2:TGID_Z_EN: 0
; COMPUTE_PGM_RSRC2:TIDIG_COMP_CNT: 0
	.section	.text._ZN7rocprim17ROCPRIM_400000_NS6detail17trampoline_kernelINS0_14default_configENS1_22reduce_config_selectorIlEEZNS1_11reduce_implILb1ES3_N6thrust23THRUST_200600_302600_NS11hip_rocprim26transform_input_iterator_tIlNS8_12zip_iteratorINS8_5tupleINS8_6detail15normal_iteratorINS8_10device_ptrIiEEEESH_NS8_9null_typeESI_SI_SI_SI_SI_SI_SI_EEEENS9_21zip_adj_not_predicateINS8_8equal_toIiEEEEEEPllNS8_4plusIlEEEE10hipError_tPvRmT1_T2_T3_mT4_P12ihipStream_tbEUlT_E1_NS1_11comp_targetILNS1_3genE10ELNS1_11target_archE1200ELNS1_3gpuE4ELNS1_3repE0EEENS1_30default_config_static_selectorELNS0_4arch9wavefront6targetE1EEEvSW_,"axG",@progbits,_ZN7rocprim17ROCPRIM_400000_NS6detail17trampoline_kernelINS0_14default_configENS1_22reduce_config_selectorIlEEZNS1_11reduce_implILb1ES3_N6thrust23THRUST_200600_302600_NS11hip_rocprim26transform_input_iterator_tIlNS8_12zip_iteratorINS8_5tupleINS8_6detail15normal_iteratorINS8_10device_ptrIiEEEESH_NS8_9null_typeESI_SI_SI_SI_SI_SI_SI_EEEENS9_21zip_adj_not_predicateINS8_8equal_toIiEEEEEEPllNS8_4plusIlEEEE10hipError_tPvRmT1_T2_T3_mT4_P12ihipStream_tbEUlT_E1_NS1_11comp_targetILNS1_3genE10ELNS1_11target_archE1200ELNS1_3gpuE4ELNS1_3repE0EEENS1_30default_config_static_selectorELNS0_4arch9wavefront6targetE1EEEvSW_,comdat
	.protected	_ZN7rocprim17ROCPRIM_400000_NS6detail17trampoline_kernelINS0_14default_configENS1_22reduce_config_selectorIlEEZNS1_11reduce_implILb1ES3_N6thrust23THRUST_200600_302600_NS11hip_rocprim26transform_input_iterator_tIlNS8_12zip_iteratorINS8_5tupleINS8_6detail15normal_iteratorINS8_10device_ptrIiEEEESH_NS8_9null_typeESI_SI_SI_SI_SI_SI_SI_EEEENS9_21zip_adj_not_predicateINS8_8equal_toIiEEEEEEPllNS8_4plusIlEEEE10hipError_tPvRmT1_T2_T3_mT4_P12ihipStream_tbEUlT_E1_NS1_11comp_targetILNS1_3genE10ELNS1_11target_archE1200ELNS1_3gpuE4ELNS1_3repE0EEENS1_30default_config_static_selectorELNS0_4arch9wavefront6targetE1EEEvSW_ ; -- Begin function _ZN7rocprim17ROCPRIM_400000_NS6detail17trampoline_kernelINS0_14default_configENS1_22reduce_config_selectorIlEEZNS1_11reduce_implILb1ES3_N6thrust23THRUST_200600_302600_NS11hip_rocprim26transform_input_iterator_tIlNS8_12zip_iteratorINS8_5tupleINS8_6detail15normal_iteratorINS8_10device_ptrIiEEEESH_NS8_9null_typeESI_SI_SI_SI_SI_SI_SI_EEEENS9_21zip_adj_not_predicateINS8_8equal_toIiEEEEEEPllNS8_4plusIlEEEE10hipError_tPvRmT1_T2_T3_mT4_P12ihipStream_tbEUlT_E1_NS1_11comp_targetILNS1_3genE10ELNS1_11target_archE1200ELNS1_3gpuE4ELNS1_3repE0EEENS1_30default_config_static_selectorELNS0_4arch9wavefront6targetE1EEEvSW_
	.globl	_ZN7rocprim17ROCPRIM_400000_NS6detail17trampoline_kernelINS0_14default_configENS1_22reduce_config_selectorIlEEZNS1_11reduce_implILb1ES3_N6thrust23THRUST_200600_302600_NS11hip_rocprim26transform_input_iterator_tIlNS8_12zip_iteratorINS8_5tupleINS8_6detail15normal_iteratorINS8_10device_ptrIiEEEESH_NS8_9null_typeESI_SI_SI_SI_SI_SI_SI_EEEENS9_21zip_adj_not_predicateINS8_8equal_toIiEEEEEEPllNS8_4plusIlEEEE10hipError_tPvRmT1_T2_T3_mT4_P12ihipStream_tbEUlT_E1_NS1_11comp_targetILNS1_3genE10ELNS1_11target_archE1200ELNS1_3gpuE4ELNS1_3repE0EEENS1_30default_config_static_selectorELNS0_4arch9wavefront6targetE1EEEvSW_
	.p2align	8
	.type	_ZN7rocprim17ROCPRIM_400000_NS6detail17trampoline_kernelINS0_14default_configENS1_22reduce_config_selectorIlEEZNS1_11reduce_implILb1ES3_N6thrust23THRUST_200600_302600_NS11hip_rocprim26transform_input_iterator_tIlNS8_12zip_iteratorINS8_5tupleINS8_6detail15normal_iteratorINS8_10device_ptrIiEEEESH_NS8_9null_typeESI_SI_SI_SI_SI_SI_SI_EEEENS9_21zip_adj_not_predicateINS8_8equal_toIiEEEEEEPllNS8_4plusIlEEEE10hipError_tPvRmT1_T2_T3_mT4_P12ihipStream_tbEUlT_E1_NS1_11comp_targetILNS1_3genE10ELNS1_11target_archE1200ELNS1_3gpuE4ELNS1_3repE0EEENS1_30default_config_static_selectorELNS0_4arch9wavefront6targetE1EEEvSW_,@function
_ZN7rocprim17ROCPRIM_400000_NS6detail17trampoline_kernelINS0_14default_configENS1_22reduce_config_selectorIlEEZNS1_11reduce_implILb1ES3_N6thrust23THRUST_200600_302600_NS11hip_rocprim26transform_input_iterator_tIlNS8_12zip_iteratorINS8_5tupleINS8_6detail15normal_iteratorINS8_10device_ptrIiEEEESH_NS8_9null_typeESI_SI_SI_SI_SI_SI_SI_EEEENS9_21zip_adj_not_predicateINS8_8equal_toIiEEEEEEPllNS8_4plusIlEEEE10hipError_tPvRmT1_T2_T3_mT4_P12ihipStream_tbEUlT_E1_NS1_11comp_targetILNS1_3genE10ELNS1_11target_archE1200ELNS1_3gpuE4ELNS1_3repE0EEENS1_30default_config_static_selectorELNS0_4arch9wavefront6targetE1EEEvSW_: ; @_ZN7rocprim17ROCPRIM_400000_NS6detail17trampoline_kernelINS0_14default_configENS1_22reduce_config_selectorIlEEZNS1_11reduce_implILb1ES3_N6thrust23THRUST_200600_302600_NS11hip_rocprim26transform_input_iterator_tIlNS8_12zip_iteratorINS8_5tupleINS8_6detail15normal_iteratorINS8_10device_ptrIiEEEESH_NS8_9null_typeESI_SI_SI_SI_SI_SI_SI_EEEENS9_21zip_adj_not_predicateINS8_8equal_toIiEEEEEEPllNS8_4plusIlEEEE10hipError_tPvRmT1_T2_T3_mT4_P12ihipStream_tbEUlT_E1_NS1_11comp_targetILNS1_3genE10ELNS1_11target_archE1200ELNS1_3gpuE4ELNS1_3repE0EEENS1_30default_config_static_selectorELNS0_4arch9wavefront6targetE1EEEvSW_
; %bb.0:
	.section	.rodata,"a",@progbits
	.p2align	6, 0x0
	.amdhsa_kernel _ZN7rocprim17ROCPRIM_400000_NS6detail17trampoline_kernelINS0_14default_configENS1_22reduce_config_selectorIlEEZNS1_11reduce_implILb1ES3_N6thrust23THRUST_200600_302600_NS11hip_rocprim26transform_input_iterator_tIlNS8_12zip_iteratorINS8_5tupleINS8_6detail15normal_iteratorINS8_10device_ptrIiEEEESH_NS8_9null_typeESI_SI_SI_SI_SI_SI_SI_EEEENS9_21zip_adj_not_predicateINS8_8equal_toIiEEEEEEPllNS8_4plusIlEEEE10hipError_tPvRmT1_T2_T3_mT4_P12ihipStream_tbEUlT_E1_NS1_11comp_targetILNS1_3genE10ELNS1_11target_archE1200ELNS1_3gpuE4ELNS1_3repE0EEENS1_30default_config_static_selectorELNS0_4arch9wavefront6targetE1EEEvSW_
		.amdhsa_group_segment_fixed_size 0
		.amdhsa_private_segment_fixed_size 0
		.amdhsa_kernarg_size 64
		.amdhsa_user_sgpr_count 6
		.amdhsa_user_sgpr_private_segment_buffer 1
		.amdhsa_user_sgpr_dispatch_ptr 0
		.amdhsa_user_sgpr_queue_ptr 0
		.amdhsa_user_sgpr_kernarg_segment_ptr 1
		.amdhsa_user_sgpr_dispatch_id 0
		.amdhsa_user_sgpr_flat_scratch_init 0
		.amdhsa_user_sgpr_private_segment_size 0
		.amdhsa_uses_dynamic_stack 0
		.amdhsa_system_sgpr_private_segment_wavefront_offset 0
		.amdhsa_system_sgpr_workgroup_id_x 1
		.amdhsa_system_sgpr_workgroup_id_y 0
		.amdhsa_system_sgpr_workgroup_id_z 0
		.amdhsa_system_sgpr_workgroup_info 0
		.amdhsa_system_vgpr_workitem_id 0
		.amdhsa_next_free_vgpr 1
		.amdhsa_next_free_sgpr 0
		.amdhsa_reserve_vcc 0
		.amdhsa_reserve_flat_scratch 0
		.amdhsa_float_round_mode_32 0
		.amdhsa_float_round_mode_16_64 0
		.amdhsa_float_denorm_mode_32 3
		.amdhsa_float_denorm_mode_16_64 3
		.amdhsa_dx10_clamp 1
		.amdhsa_ieee_mode 1
		.amdhsa_fp16_overflow 0
		.amdhsa_exception_fp_ieee_invalid_op 0
		.amdhsa_exception_fp_denorm_src 0
		.amdhsa_exception_fp_ieee_div_zero 0
		.amdhsa_exception_fp_ieee_overflow 0
		.amdhsa_exception_fp_ieee_underflow 0
		.amdhsa_exception_fp_ieee_inexact 0
		.amdhsa_exception_int_div_zero 0
	.end_amdhsa_kernel
	.section	.text._ZN7rocprim17ROCPRIM_400000_NS6detail17trampoline_kernelINS0_14default_configENS1_22reduce_config_selectorIlEEZNS1_11reduce_implILb1ES3_N6thrust23THRUST_200600_302600_NS11hip_rocprim26transform_input_iterator_tIlNS8_12zip_iteratorINS8_5tupleINS8_6detail15normal_iteratorINS8_10device_ptrIiEEEESH_NS8_9null_typeESI_SI_SI_SI_SI_SI_SI_EEEENS9_21zip_adj_not_predicateINS8_8equal_toIiEEEEEEPllNS8_4plusIlEEEE10hipError_tPvRmT1_T2_T3_mT4_P12ihipStream_tbEUlT_E1_NS1_11comp_targetILNS1_3genE10ELNS1_11target_archE1200ELNS1_3gpuE4ELNS1_3repE0EEENS1_30default_config_static_selectorELNS0_4arch9wavefront6targetE1EEEvSW_,"axG",@progbits,_ZN7rocprim17ROCPRIM_400000_NS6detail17trampoline_kernelINS0_14default_configENS1_22reduce_config_selectorIlEEZNS1_11reduce_implILb1ES3_N6thrust23THRUST_200600_302600_NS11hip_rocprim26transform_input_iterator_tIlNS8_12zip_iteratorINS8_5tupleINS8_6detail15normal_iteratorINS8_10device_ptrIiEEEESH_NS8_9null_typeESI_SI_SI_SI_SI_SI_SI_EEEENS9_21zip_adj_not_predicateINS8_8equal_toIiEEEEEEPllNS8_4plusIlEEEE10hipError_tPvRmT1_T2_T3_mT4_P12ihipStream_tbEUlT_E1_NS1_11comp_targetILNS1_3genE10ELNS1_11target_archE1200ELNS1_3gpuE4ELNS1_3repE0EEENS1_30default_config_static_selectorELNS0_4arch9wavefront6targetE1EEEvSW_,comdat
.Lfunc_end974:
	.size	_ZN7rocprim17ROCPRIM_400000_NS6detail17trampoline_kernelINS0_14default_configENS1_22reduce_config_selectorIlEEZNS1_11reduce_implILb1ES3_N6thrust23THRUST_200600_302600_NS11hip_rocprim26transform_input_iterator_tIlNS8_12zip_iteratorINS8_5tupleINS8_6detail15normal_iteratorINS8_10device_ptrIiEEEESH_NS8_9null_typeESI_SI_SI_SI_SI_SI_SI_EEEENS9_21zip_adj_not_predicateINS8_8equal_toIiEEEEEEPllNS8_4plusIlEEEE10hipError_tPvRmT1_T2_T3_mT4_P12ihipStream_tbEUlT_E1_NS1_11comp_targetILNS1_3genE10ELNS1_11target_archE1200ELNS1_3gpuE4ELNS1_3repE0EEENS1_30default_config_static_selectorELNS0_4arch9wavefront6targetE1EEEvSW_, .Lfunc_end974-_ZN7rocprim17ROCPRIM_400000_NS6detail17trampoline_kernelINS0_14default_configENS1_22reduce_config_selectorIlEEZNS1_11reduce_implILb1ES3_N6thrust23THRUST_200600_302600_NS11hip_rocprim26transform_input_iterator_tIlNS8_12zip_iteratorINS8_5tupleINS8_6detail15normal_iteratorINS8_10device_ptrIiEEEESH_NS8_9null_typeESI_SI_SI_SI_SI_SI_SI_EEEENS9_21zip_adj_not_predicateINS8_8equal_toIiEEEEEEPllNS8_4plusIlEEEE10hipError_tPvRmT1_T2_T3_mT4_P12ihipStream_tbEUlT_E1_NS1_11comp_targetILNS1_3genE10ELNS1_11target_archE1200ELNS1_3gpuE4ELNS1_3repE0EEENS1_30default_config_static_selectorELNS0_4arch9wavefront6targetE1EEEvSW_
                                        ; -- End function
	.set _ZN7rocprim17ROCPRIM_400000_NS6detail17trampoline_kernelINS0_14default_configENS1_22reduce_config_selectorIlEEZNS1_11reduce_implILb1ES3_N6thrust23THRUST_200600_302600_NS11hip_rocprim26transform_input_iterator_tIlNS8_12zip_iteratorINS8_5tupleINS8_6detail15normal_iteratorINS8_10device_ptrIiEEEESH_NS8_9null_typeESI_SI_SI_SI_SI_SI_SI_EEEENS9_21zip_adj_not_predicateINS8_8equal_toIiEEEEEEPllNS8_4plusIlEEEE10hipError_tPvRmT1_T2_T3_mT4_P12ihipStream_tbEUlT_E1_NS1_11comp_targetILNS1_3genE10ELNS1_11target_archE1200ELNS1_3gpuE4ELNS1_3repE0EEENS1_30default_config_static_selectorELNS0_4arch9wavefront6targetE1EEEvSW_.num_vgpr, 0
	.set _ZN7rocprim17ROCPRIM_400000_NS6detail17trampoline_kernelINS0_14default_configENS1_22reduce_config_selectorIlEEZNS1_11reduce_implILb1ES3_N6thrust23THRUST_200600_302600_NS11hip_rocprim26transform_input_iterator_tIlNS8_12zip_iteratorINS8_5tupleINS8_6detail15normal_iteratorINS8_10device_ptrIiEEEESH_NS8_9null_typeESI_SI_SI_SI_SI_SI_SI_EEEENS9_21zip_adj_not_predicateINS8_8equal_toIiEEEEEEPllNS8_4plusIlEEEE10hipError_tPvRmT1_T2_T3_mT4_P12ihipStream_tbEUlT_E1_NS1_11comp_targetILNS1_3genE10ELNS1_11target_archE1200ELNS1_3gpuE4ELNS1_3repE0EEENS1_30default_config_static_selectorELNS0_4arch9wavefront6targetE1EEEvSW_.num_agpr, 0
	.set _ZN7rocprim17ROCPRIM_400000_NS6detail17trampoline_kernelINS0_14default_configENS1_22reduce_config_selectorIlEEZNS1_11reduce_implILb1ES3_N6thrust23THRUST_200600_302600_NS11hip_rocprim26transform_input_iterator_tIlNS8_12zip_iteratorINS8_5tupleINS8_6detail15normal_iteratorINS8_10device_ptrIiEEEESH_NS8_9null_typeESI_SI_SI_SI_SI_SI_SI_EEEENS9_21zip_adj_not_predicateINS8_8equal_toIiEEEEEEPllNS8_4plusIlEEEE10hipError_tPvRmT1_T2_T3_mT4_P12ihipStream_tbEUlT_E1_NS1_11comp_targetILNS1_3genE10ELNS1_11target_archE1200ELNS1_3gpuE4ELNS1_3repE0EEENS1_30default_config_static_selectorELNS0_4arch9wavefront6targetE1EEEvSW_.numbered_sgpr, 0
	.set _ZN7rocprim17ROCPRIM_400000_NS6detail17trampoline_kernelINS0_14default_configENS1_22reduce_config_selectorIlEEZNS1_11reduce_implILb1ES3_N6thrust23THRUST_200600_302600_NS11hip_rocprim26transform_input_iterator_tIlNS8_12zip_iteratorINS8_5tupleINS8_6detail15normal_iteratorINS8_10device_ptrIiEEEESH_NS8_9null_typeESI_SI_SI_SI_SI_SI_SI_EEEENS9_21zip_adj_not_predicateINS8_8equal_toIiEEEEEEPllNS8_4plusIlEEEE10hipError_tPvRmT1_T2_T3_mT4_P12ihipStream_tbEUlT_E1_NS1_11comp_targetILNS1_3genE10ELNS1_11target_archE1200ELNS1_3gpuE4ELNS1_3repE0EEENS1_30default_config_static_selectorELNS0_4arch9wavefront6targetE1EEEvSW_.num_named_barrier, 0
	.set _ZN7rocprim17ROCPRIM_400000_NS6detail17trampoline_kernelINS0_14default_configENS1_22reduce_config_selectorIlEEZNS1_11reduce_implILb1ES3_N6thrust23THRUST_200600_302600_NS11hip_rocprim26transform_input_iterator_tIlNS8_12zip_iteratorINS8_5tupleINS8_6detail15normal_iteratorINS8_10device_ptrIiEEEESH_NS8_9null_typeESI_SI_SI_SI_SI_SI_SI_EEEENS9_21zip_adj_not_predicateINS8_8equal_toIiEEEEEEPllNS8_4plusIlEEEE10hipError_tPvRmT1_T2_T3_mT4_P12ihipStream_tbEUlT_E1_NS1_11comp_targetILNS1_3genE10ELNS1_11target_archE1200ELNS1_3gpuE4ELNS1_3repE0EEENS1_30default_config_static_selectorELNS0_4arch9wavefront6targetE1EEEvSW_.private_seg_size, 0
	.set _ZN7rocprim17ROCPRIM_400000_NS6detail17trampoline_kernelINS0_14default_configENS1_22reduce_config_selectorIlEEZNS1_11reduce_implILb1ES3_N6thrust23THRUST_200600_302600_NS11hip_rocprim26transform_input_iterator_tIlNS8_12zip_iteratorINS8_5tupleINS8_6detail15normal_iteratorINS8_10device_ptrIiEEEESH_NS8_9null_typeESI_SI_SI_SI_SI_SI_SI_EEEENS9_21zip_adj_not_predicateINS8_8equal_toIiEEEEEEPllNS8_4plusIlEEEE10hipError_tPvRmT1_T2_T3_mT4_P12ihipStream_tbEUlT_E1_NS1_11comp_targetILNS1_3genE10ELNS1_11target_archE1200ELNS1_3gpuE4ELNS1_3repE0EEENS1_30default_config_static_selectorELNS0_4arch9wavefront6targetE1EEEvSW_.uses_vcc, 0
	.set _ZN7rocprim17ROCPRIM_400000_NS6detail17trampoline_kernelINS0_14default_configENS1_22reduce_config_selectorIlEEZNS1_11reduce_implILb1ES3_N6thrust23THRUST_200600_302600_NS11hip_rocprim26transform_input_iterator_tIlNS8_12zip_iteratorINS8_5tupleINS8_6detail15normal_iteratorINS8_10device_ptrIiEEEESH_NS8_9null_typeESI_SI_SI_SI_SI_SI_SI_EEEENS9_21zip_adj_not_predicateINS8_8equal_toIiEEEEEEPllNS8_4plusIlEEEE10hipError_tPvRmT1_T2_T3_mT4_P12ihipStream_tbEUlT_E1_NS1_11comp_targetILNS1_3genE10ELNS1_11target_archE1200ELNS1_3gpuE4ELNS1_3repE0EEENS1_30default_config_static_selectorELNS0_4arch9wavefront6targetE1EEEvSW_.uses_flat_scratch, 0
	.set _ZN7rocprim17ROCPRIM_400000_NS6detail17trampoline_kernelINS0_14default_configENS1_22reduce_config_selectorIlEEZNS1_11reduce_implILb1ES3_N6thrust23THRUST_200600_302600_NS11hip_rocprim26transform_input_iterator_tIlNS8_12zip_iteratorINS8_5tupleINS8_6detail15normal_iteratorINS8_10device_ptrIiEEEESH_NS8_9null_typeESI_SI_SI_SI_SI_SI_SI_EEEENS9_21zip_adj_not_predicateINS8_8equal_toIiEEEEEEPllNS8_4plusIlEEEE10hipError_tPvRmT1_T2_T3_mT4_P12ihipStream_tbEUlT_E1_NS1_11comp_targetILNS1_3genE10ELNS1_11target_archE1200ELNS1_3gpuE4ELNS1_3repE0EEENS1_30default_config_static_selectorELNS0_4arch9wavefront6targetE1EEEvSW_.has_dyn_sized_stack, 0
	.set _ZN7rocprim17ROCPRIM_400000_NS6detail17trampoline_kernelINS0_14default_configENS1_22reduce_config_selectorIlEEZNS1_11reduce_implILb1ES3_N6thrust23THRUST_200600_302600_NS11hip_rocprim26transform_input_iterator_tIlNS8_12zip_iteratorINS8_5tupleINS8_6detail15normal_iteratorINS8_10device_ptrIiEEEESH_NS8_9null_typeESI_SI_SI_SI_SI_SI_SI_EEEENS9_21zip_adj_not_predicateINS8_8equal_toIiEEEEEEPllNS8_4plusIlEEEE10hipError_tPvRmT1_T2_T3_mT4_P12ihipStream_tbEUlT_E1_NS1_11comp_targetILNS1_3genE10ELNS1_11target_archE1200ELNS1_3gpuE4ELNS1_3repE0EEENS1_30default_config_static_selectorELNS0_4arch9wavefront6targetE1EEEvSW_.has_recursion, 0
	.set _ZN7rocprim17ROCPRIM_400000_NS6detail17trampoline_kernelINS0_14default_configENS1_22reduce_config_selectorIlEEZNS1_11reduce_implILb1ES3_N6thrust23THRUST_200600_302600_NS11hip_rocprim26transform_input_iterator_tIlNS8_12zip_iteratorINS8_5tupleINS8_6detail15normal_iteratorINS8_10device_ptrIiEEEESH_NS8_9null_typeESI_SI_SI_SI_SI_SI_SI_EEEENS9_21zip_adj_not_predicateINS8_8equal_toIiEEEEEEPllNS8_4plusIlEEEE10hipError_tPvRmT1_T2_T3_mT4_P12ihipStream_tbEUlT_E1_NS1_11comp_targetILNS1_3genE10ELNS1_11target_archE1200ELNS1_3gpuE4ELNS1_3repE0EEENS1_30default_config_static_selectorELNS0_4arch9wavefront6targetE1EEEvSW_.has_indirect_call, 0
	.section	.AMDGPU.csdata,"",@progbits
; Kernel info:
; codeLenInByte = 0
; TotalNumSgprs: 4
; NumVgprs: 0
; ScratchSize: 0
; MemoryBound: 0
; FloatMode: 240
; IeeeMode: 1
; LDSByteSize: 0 bytes/workgroup (compile time only)
; SGPRBlocks: 0
; VGPRBlocks: 0
; NumSGPRsForWavesPerEU: 4
; NumVGPRsForWavesPerEU: 1
; Occupancy: 10
; WaveLimiterHint : 0
; COMPUTE_PGM_RSRC2:SCRATCH_EN: 0
; COMPUTE_PGM_RSRC2:USER_SGPR: 6
; COMPUTE_PGM_RSRC2:TRAP_HANDLER: 0
; COMPUTE_PGM_RSRC2:TGID_X_EN: 1
; COMPUTE_PGM_RSRC2:TGID_Y_EN: 0
; COMPUTE_PGM_RSRC2:TGID_Z_EN: 0
; COMPUTE_PGM_RSRC2:TIDIG_COMP_CNT: 0
	.section	.text._ZN7rocprim17ROCPRIM_400000_NS6detail17trampoline_kernelINS0_14default_configENS1_22reduce_config_selectorIlEEZNS1_11reduce_implILb1ES3_N6thrust23THRUST_200600_302600_NS11hip_rocprim26transform_input_iterator_tIlNS8_12zip_iteratorINS8_5tupleINS8_6detail15normal_iteratorINS8_10device_ptrIiEEEESH_NS8_9null_typeESI_SI_SI_SI_SI_SI_SI_EEEENS9_21zip_adj_not_predicateINS8_8equal_toIiEEEEEEPllNS8_4plusIlEEEE10hipError_tPvRmT1_T2_T3_mT4_P12ihipStream_tbEUlT_E1_NS1_11comp_targetILNS1_3genE9ELNS1_11target_archE1100ELNS1_3gpuE3ELNS1_3repE0EEENS1_30default_config_static_selectorELNS0_4arch9wavefront6targetE1EEEvSW_,"axG",@progbits,_ZN7rocprim17ROCPRIM_400000_NS6detail17trampoline_kernelINS0_14default_configENS1_22reduce_config_selectorIlEEZNS1_11reduce_implILb1ES3_N6thrust23THRUST_200600_302600_NS11hip_rocprim26transform_input_iterator_tIlNS8_12zip_iteratorINS8_5tupleINS8_6detail15normal_iteratorINS8_10device_ptrIiEEEESH_NS8_9null_typeESI_SI_SI_SI_SI_SI_SI_EEEENS9_21zip_adj_not_predicateINS8_8equal_toIiEEEEEEPllNS8_4plusIlEEEE10hipError_tPvRmT1_T2_T3_mT4_P12ihipStream_tbEUlT_E1_NS1_11comp_targetILNS1_3genE9ELNS1_11target_archE1100ELNS1_3gpuE3ELNS1_3repE0EEENS1_30default_config_static_selectorELNS0_4arch9wavefront6targetE1EEEvSW_,comdat
	.protected	_ZN7rocprim17ROCPRIM_400000_NS6detail17trampoline_kernelINS0_14default_configENS1_22reduce_config_selectorIlEEZNS1_11reduce_implILb1ES3_N6thrust23THRUST_200600_302600_NS11hip_rocprim26transform_input_iterator_tIlNS8_12zip_iteratorINS8_5tupleINS8_6detail15normal_iteratorINS8_10device_ptrIiEEEESH_NS8_9null_typeESI_SI_SI_SI_SI_SI_SI_EEEENS9_21zip_adj_not_predicateINS8_8equal_toIiEEEEEEPllNS8_4plusIlEEEE10hipError_tPvRmT1_T2_T3_mT4_P12ihipStream_tbEUlT_E1_NS1_11comp_targetILNS1_3genE9ELNS1_11target_archE1100ELNS1_3gpuE3ELNS1_3repE0EEENS1_30default_config_static_selectorELNS0_4arch9wavefront6targetE1EEEvSW_ ; -- Begin function _ZN7rocprim17ROCPRIM_400000_NS6detail17trampoline_kernelINS0_14default_configENS1_22reduce_config_selectorIlEEZNS1_11reduce_implILb1ES3_N6thrust23THRUST_200600_302600_NS11hip_rocprim26transform_input_iterator_tIlNS8_12zip_iteratorINS8_5tupleINS8_6detail15normal_iteratorINS8_10device_ptrIiEEEESH_NS8_9null_typeESI_SI_SI_SI_SI_SI_SI_EEEENS9_21zip_adj_not_predicateINS8_8equal_toIiEEEEEEPllNS8_4plusIlEEEE10hipError_tPvRmT1_T2_T3_mT4_P12ihipStream_tbEUlT_E1_NS1_11comp_targetILNS1_3genE9ELNS1_11target_archE1100ELNS1_3gpuE3ELNS1_3repE0EEENS1_30default_config_static_selectorELNS0_4arch9wavefront6targetE1EEEvSW_
	.globl	_ZN7rocprim17ROCPRIM_400000_NS6detail17trampoline_kernelINS0_14default_configENS1_22reduce_config_selectorIlEEZNS1_11reduce_implILb1ES3_N6thrust23THRUST_200600_302600_NS11hip_rocprim26transform_input_iterator_tIlNS8_12zip_iteratorINS8_5tupleINS8_6detail15normal_iteratorINS8_10device_ptrIiEEEESH_NS8_9null_typeESI_SI_SI_SI_SI_SI_SI_EEEENS9_21zip_adj_not_predicateINS8_8equal_toIiEEEEEEPllNS8_4plusIlEEEE10hipError_tPvRmT1_T2_T3_mT4_P12ihipStream_tbEUlT_E1_NS1_11comp_targetILNS1_3genE9ELNS1_11target_archE1100ELNS1_3gpuE3ELNS1_3repE0EEENS1_30default_config_static_selectorELNS0_4arch9wavefront6targetE1EEEvSW_
	.p2align	8
	.type	_ZN7rocprim17ROCPRIM_400000_NS6detail17trampoline_kernelINS0_14default_configENS1_22reduce_config_selectorIlEEZNS1_11reduce_implILb1ES3_N6thrust23THRUST_200600_302600_NS11hip_rocprim26transform_input_iterator_tIlNS8_12zip_iteratorINS8_5tupleINS8_6detail15normal_iteratorINS8_10device_ptrIiEEEESH_NS8_9null_typeESI_SI_SI_SI_SI_SI_SI_EEEENS9_21zip_adj_not_predicateINS8_8equal_toIiEEEEEEPllNS8_4plusIlEEEE10hipError_tPvRmT1_T2_T3_mT4_P12ihipStream_tbEUlT_E1_NS1_11comp_targetILNS1_3genE9ELNS1_11target_archE1100ELNS1_3gpuE3ELNS1_3repE0EEENS1_30default_config_static_selectorELNS0_4arch9wavefront6targetE1EEEvSW_,@function
_ZN7rocprim17ROCPRIM_400000_NS6detail17trampoline_kernelINS0_14default_configENS1_22reduce_config_selectorIlEEZNS1_11reduce_implILb1ES3_N6thrust23THRUST_200600_302600_NS11hip_rocprim26transform_input_iterator_tIlNS8_12zip_iteratorINS8_5tupleINS8_6detail15normal_iteratorINS8_10device_ptrIiEEEESH_NS8_9null_typeESI_SI_SI_SI_SI_SI_SI_EEEENS9_21zip_adj_not_predicateINS8_8equal_toIiEEEEEEPllNS8_4plusIlEEEE10hipError_tPvRmT1_T2_T3_mT4_P12ihipStream_tbEUlT_E1_NS1_11comp_targetILNS1_3genE9ELNS1_11target_archE1100ELNS1_3gpuE3ELNS1_3repE0EEENS1_30default_config_static_selectorELNS0_4arch9wavefront6targetE1EEEvSW_: ; @_ZN7rocprim17ROCPRIM_400000_NS6detail17trampoline_kernelINS0_14default_configENS1_22reduce_config_selectorIlEEZNS1_11reduce_implILb1ES3_N6thrust23THRUST_200600_302600_NS11hip_rocprim26transform_input_iterator_tIlNS8_12zip_iteratorINS8_5tupleINS8_6detail15normal_iteratorINS8_10device_ptrIiEEEESH_NS8_9null_typeESI_SI_SI_SI_SI_SI_SI_EEEENS9_21zip_adj_not_predicateINS8_8equal_toIiEEEEEEPllNS8_4plusIlEEEE10hipError_tPvRmT1_T2_T3_mT4_P12ihipStream_tbEUlT_E1_NS1_11comp_targetILNS1_3genE9ELNS1_11target_archE1100ELNS1_3gpuE3ELNS1_3repE0EEENS1_30default_config_static_selectorELNS0_4arch9wavefront6targetE1EEEvSW_
; %bb.0:
	.section	.rodata,"a",@progbits
	.p2align	6, 0x0
	.amdhsa_kernel _ZN7rocprim17ROCPRIM_400000_NS6detail17trampoline_kernelINS0_14default_configENS1_22reduce_config_selectorIlEEZNS1_11reduce_implILb1ES3_N6thrust23THRUST_200600_302600_NS11hip_rocprim26transform_input_iterator_tIlNS8_12zip_iteratorINS8_5tupleINS8_6detail15normal_iteratorINS8_10device_ptrIiEEEESH_NS8_9null_typeESI_SI_SI_SI_SI_SI_SI_EEEENS9_21zip_adj_not_predicateINS8_8equal_toIiEEEEEEPllNS8_4plusIlEEEE10hipError_tPvRmT1_T2_T3_mT4_P12ihipStream_tbEUlT_E1_NS1_11comp_targetILNS1_3genE9ELNS1_11target_archE1100ELNS1_3gpuE3ELNS1_3repE0EEENS1_30default_config_static_selectorELNS0_4arch9wavefront6targetE1EEEvSW_
		.amdhsa_group_segment_fixed_size 0
		.amdhsa_private_segment_fixed_size 0
		.amdhsa_kernarg_size 64
		.amdhsa_user_sgpr_count 6
		.amdhsa_user_sgpr_private_segment_buffer 1
		.amdhsa_user_sgpr_dispatch_ptr 0
		.amdhsa_user_sgpr_queue_ptr 0
		.amdhsa_user_sgpr_kernarg_segment_ptr 1
		.amdhsa_user_sgpr_dispatch_id 0
		.amdhsa_user_sgpr_flat_scratch_init 0
		.amdhsa_user_sgpr_private_segment_size 0
		.amdhsa_uses_dynamic_stack 0
		.amdhsa_system_sgpr_private_segment_wavefront_offset 0
		.amdhsa_system_sgpr_workgroup_id_x 1
		.amdhsa_system_sgpr_workgroup_id_y 0
		.amdhsa_system_sgpr_workgroup_id_z 0
		.amdhsa_system_sgpr_workgroup_info 0
		.amdhsa_system_vgpr_workitem_id 0
		.amdhsa_next_free_vgpr 1
		.amdhsa_next_free_sgpr 0
		.amdhsa_reserve_vcc 0
		.amdhsa_reserve_flat_scratch 0
		.amdhsa_float_round_mode_32 0
		.amdhsa_float_round_mode_16_64 0
		.amdhsa_float_denorm_mode_32 3
		.amdhsa_float_denorm_mode_16_64 3
		.amdhsa_dx10_clamp 1
		.amdhsa_ieee_mode 1
		.amdhsa_fp16_overflow 0
		.amdhsa_exception_fp_ieee_invalid_op 0
		.amdhsa_exception_fp_denorm_src 0
		.amdhsa_exception_fp_ieee_div_zero 0
		.amdhsa_exception_fp_ieee_overflow 0
		.amdhsa_exception_fp_ieee_underflow 0
		.amdhsa_exception_fp_ieee_inexact 0
		.amdhsa_exception_int_div_zero 0
	.end_amdhsa_kernel
	.section	.text._ZN7rocprim17ROCPRIM_400000_NS6detail17trampoline_kernelINS0_14default_configENS1_22reduce_config_selectorIlEEZNS1_11reduce_implILb1ES3_N6thrust23THRUST_200600_302600_NS11hip_rocprim26transform_input_iterator_tIlNS8_12zip_iteratorINS8_5tupleINS8_6detail15normal_iteratorINS8_10device_ptrIiEEEESH_NS8_9null_typeESI_SI_SI_SI_SI_SI_SI_EEEENS9_21zip_adj_not_predicateINS8_8equal_toIiEEEEEEPllNS8_4plusIlEEEE10hipError_tPvRmT1_T2_T3_mT4_P12ihipStream_tbEUlT_E1_NS1_11comp_targetILNS1_3genE9ELNS1_11target_archE1100ELNS1_3gpuE3ELNS1_3repE0EEENS1_30default_config_static_selectorELNS0_4arch9wavefront6targetE1EEEvSW_,"axG",@progbits,_ZN7rocprim17ROCPRIM_400000_NS6detail17trampoline_kernelINS0_14default_configENS1_22reduce_config_selectorIlEEZNS1_11reduce_implILb1ES3_N6thrust23THRUST_200600_302600_NS11hip_rocprim26transform_input_iterator_tIlNS8_12zip_iteratorINS8_5tupleINS8_6detail15normal_iteratorINS8_10device_ptrIiEEEESH_NS8_9null_typeESI_SI_SI_SI_SI_SI_SI_EEEENS9_21zip_adj_not_predicateINS8_8equal_toIiEEEEEEPllNS8_4plusIlEEEE10hipError_tPvRmT1_T2_T3_mT4_P12ihipStream_tbEUlT_E1_NS1_11comp_targetILNS1_3genE9ELNS1_11target_archE1100ELNS1_3gpuE3ELNS1_3repE0EEENS1_30default_config_static_selectorELNS0_4arch9wavefront6targetE1EEEvSW_,comdat
.Lfunc_end975:
	.size	_ZN7rocprim17ROCPRIM_400000_NS6detail17trampoline_kernelINS0_14default_configENS1_22reduce_config_selectorIlEEZNS1_11reduce_implILb1ES3_N6thrust23THRUST_200600_302600_NS11hip_rocprim26transform_input_iterator_tIlNS8_12zip_iteratorINS8_5tupleINS8_6detail15normal_iteratorINS8_10device_ptrIiEEEESH_NS8_9null_typeESI_SI_SI_SI_SI_SI_SI_EEEENS9_21zip_adj_not_predicateINS8_8equal_toIiEEEEEEPllNS8_4plusIlEEEE10hipError_tPvRmT1_T2_T3_mT4_P12ihipStream_tbEUlT_E1_NS1_11comp_targetILNS1_3genE9ELNS1_11target_archE1100ELNS1_3gpuE3ELNS1_3repE0EEENS1_30default_config_static_selectorELNS0_4arch9wavefront6targetE1EEEvSW_, .Lfunc_end975-_ZN7rocprim17ROCPRIM_400000_NS6detail17trampoline_kernelINS0_14default_configENS1_22reduce_config_selectorIlEEZNS1_11reduce_implILb1ES3_N6thrust23THRUST_200600_302600_NS11hip_rocprim26transform_input_iterator_tIlNS8_12zip_iteratorINS8_5tupleINS8_6detail15normal_iteratorINS8_10device_ptrIiEEEESH_NS8_9null_typeESI_SI_SI_SI_SI_SI_SI_EEEENS9_21zip_adj_not_predicateINS8_8equal_toIiEEEEEEPllNS8_4plusIlEEEE10hipError_tPvRmT1_T2_T3_mT4_P12ihipStream_tbEUlT_E1_NS1_11comp_targetILNS1_3genE9ELNS1_11target_archE1100ELNS1_3gpuE3ELNS1_3repE0EEENS1_30default_config_static_selectorELNS0_4arch9wavefront6targetE1EEEvSW_
                                        ; -- End function
	.set _ZN7rocprim17ROCPRIM_400000_NS6detail17trampoline_kernelINS0_14default_configENS1_22reduce_config_selectorIlEEZNS1_11reduce_implILb1ES3_N6thrust23THRUST_200600_302600_NS11hip_rocprim26transform_input_iterator_tIlNS8_12zip_iteratorINS8_5tupleINS8_6detail15normal_iteratorINS8_10device_ptrIiEEEESH_NS8_9null_typeESI_SI_SI_SI_SI_SI_SI_EEEENS9_21zip_adj_not_predicateINS8_8equal_toIiEEEEEEPllNS8_4plusIlEEEE10hipError_tPvRmT1_T2_T3_mT4_P12ihipStream_tbEUlT_E1_NS1_11comp_targetILNS1_3genE9ELNS1_11target_archE1100ELNS1_3gpuE3ELNS1_3repE0EEENS1_30default_config_static_selectorELNS0_4arch9wavefront6targetE1EEEvSW_.num_vgpr, 0
	.set _ZN7rocprim17ROCPRIM_400000_NS6detail17trampoline_kernelINS0_14default_configENS1_22reduce_config_selectorIlEEZNS1_11reduce_implILb1ES3_N6thrust23THRUST_200600_302600_NS11hip_rocprim26transform_input_iterator_tIlNS8_12zip_iteratorINS8_5tupleINS8_6detail15normal_iteratorINS8_10device_ptrIiEEEESH_NS8_9null_typeESI_SI_SI_SI_SI_SI_SI_EEEENS9_21zip_adj_not_predicateINS8_8equal_toIiEEEEEEPllNS8_4plusIlEEEE10hipError_tPvRmT1_T2_T3_mT4_P12ihipStream_tbEUlT_E1_NS1_11comp_targetILNS1_3genE9ELNS1_11target_archE1100ELNS1_3gpuE3ELNS1_3repE0EEENS1_30default_config_static_selectorELNS0_4arch9wavefront6targetE1EEEvSW_.num_agpr, 0
	.set _ZN7rocprim17ROCPRIM_400000_NS6detail17trampoline_kernelINS0_14default_configENS1_22reduce_config_selectorIlEEZNS1_11reduce_implILb1ES3_N6thrust23THRUST_200600_302600_NS11hip_rocprim26transform_input_iterator_tIlNS8_12zip_iteratorINS8_5tupleINS8_6detail15normal_iteratorINS8_10device_ptrIiEEEESH_NS8_9null_typeESI_SI_SI_SI_SI_SI_SI_EEEENS9_21zip_adj_not_predicateINS8_8equal_toIiEEEEEEPllNS8_4plusIlEEEE10hipError_tPvRmT1_T2_T3_mT4_P12ihipStream_tbEUlT_E1_NS1_11comp_targetILNS1_3genE9ELNS1_11target_archE1100ELNS1_3gpuE3ELNS1_3repE0EEENS1_30default_config_static_selectorELNS0_4arch9wavefront6targetE1EEEvSW_.numbered_sgpr, 0
	.set _ZN7rocprim17ROCPRIM_400000_NS6detail17trampoline_kernelINS0_14default_configENS1_22reduce_config_selectorIlEEZNS1_11reduce_implILb1ES3_N6thrust23THRUST_200600_302600_NS11hip_rocprim26transform_input_iterator_tIlNS8_12zip_iteratorINS8_5tupleINS8_6detail15normal_iteratorINS8_10device_ptrIiEEEESH_NS8_9null_typeESI_SI_SI_SI_SI_SI_SI_EEEENS9_21zip_adj_not_predicateINS8_8equal_toIiEEEEEEPllNS8_4plusIlEEEE10hipError_tPvRmT1_T2_T3_mT4_P12ihipStream_tbEUlT_E1_NS1_11comp_targetILNS1_3genE9ELNS1_11target_archE1100ELNS1_3gpuE3ELNS1_3repE0EEENS1_30default_config_static_selectorELNS0_4arch9wavefront6targetE1EEEvSW_.num_named_barrier, 0
	.set _ZN7rocprim17ROCPRIM_400000_NS6detail17trampoline_kernelINS0_14default_configENS1_22reduce_config_selectorIlEEZNS1_11reduce_implILb1ES3_N6thrust23THRUST_200600_302600_NS11hip_rocprim26transform_input_iterator_tIlNS8_12zip_iteratorINS8_5tupleINS8_6detail15normal_iteratorINS8_10device_ptrIiEEEESH_NS8_9null_typeESI_SI_SI_SI_SI_SI_SI_EEEENS9_21zip_adj_not_predicateINS8_8equal_toIiEEEEEEPllNS8_4plusIlEEEE10hipError_tPvRmT1_T2_T3_mT4_P12ihipStream_tbEUlT_E1_NS1_11comp_targetILNS1_3genE9ELNS1_11target_archE1100ELNS1_3gpuE3ELNS1_3repE0EEENS1_30default_config_static_selectorELNS0_4arch9wavefront6targetE1EEEvSW_.private_seg_size, 0
	.set _ZN7rocprim17ROCPRIM_400000_NS6detail17trampoline_kernelINS0_14default_configENS1_22reduce_config_selectorIlEEZNS1_11reduce_implILb1ES3_N6thrust23THRUST_200600_302600_NS11hip_rocprim26transform_input_iterator_tIlNS8_12zip_iteratorINS8_5tupleINS8_6detail15normal_iteratorINS8_10device_ptrIiEEEESH_NS8_9null_typeESI_SI_SI_SI_SI_SI_SI_EEEENS9_21zip_adj_not_predicateINS8_8equal_toIiEEEEEEPllNS8_4plusIlEEEE10hipError_tPvRmT1_T2_T3_mT4_P12ihipStream_tbEUlT_E1_NS1_11comp_targetILNS1_3genE9ELNS1_11target_archE1100ELNS1_3gpuE3ELNS1_3repE0EEENS1_30default_config_static_selectorELNS0_4arch9wavefront6targetE1EEEvSW_.uses_vcc, 0
	.set _ZN7rocprim17ROCPRIM_400000_NS6detail17trampoline_kernelINS0_14default_configENS1_22reduce_config_selectorIlEEZNS1_11reduce_implILb1ES3_N6thrust23THRUST_200600_302600_NS11hip_rocprim26transform_input_iterator_tIlNS8_12zip_iteratorINS8_5tupleINS8_6detail15normal_iteratorINS8_10device_ptrIiEEEESH_NS8_9null_typeESI_SI_SI_SI_SI_SI_SI_EEEENS9_21zip_adj_not_predicateINS8_8equal_toIiEEEEEEPllNS8_4plusIlEEEE10hipError_tPvRmT1_T2_T3_mT4_P12ihipStream_tbEUlT_E1_NS1_11comp_targetILNS1_3genE9ELNS1_11target_archE1100ELNS1_3gpuE3ELNS1_3repE0EEENS1_30default_config_static_selectorELNS0_4arch9wavefront6targetE1EEEvSW_.uses_flat_scratch, 0
	.set _ZN7rocprim17ROCPRIM_400000_NS6detail17trampoline_kernelINS0_14default_configENS1_22reduce_config_selectorIlEEZNS1_11reduce_implILb1ES3_N6thrust23THRUST_200600_302600_NS11hip_rocprim26transform_input_iterator_tIlNS8_12zip_iteratorINS8_5tupleINS8_6detail15normal_iteratorINS8_10device_ptrIiEEEESH_NS8_9null_typeESI_SI_SI_SI_SI_SI_SI_EEEENS9_21zip_adj_not_predicateINS8_8equal_toIiEEEEEEPllNS8_4plusIlEEEE10hipError_tPvRmT1_T2_T3_mT4_P12ihipStream_tbEUlT_E1_NS1_11comp_targetILNS1_3genE9ELNS1_11target_archE1100ELNS1_3gpuE3ELNS1_3repE0EEENS1_30default_config_static_selectorELNS0_4arch9wavefront6targetE1EEEvSW_.has_dyn_sized_stack, 0
	.set _ZN7rocprim17ROCPRIM_400000_NS6detail17trampoline_kernelINS0_14default_configENS1_22reduce_config_selectorIlEEZNS1_11reduce_implILb1ES3_N6thrust23THRUST_200600_302600_NS11hip_rocprim26transform_input_iterator_tIlNS8_12zip_iteratorINS8_5tupleINS8_6detail15normal_iteratorINS8_10device_ptrIiEEEESH_NS8_9null_typeESI_SI_SI_SI_SI_SI_SI_EEEENS9_21zip_adj_not_predicateINS8_8equal_toIiEEEEEEPllNS8_4plusIlEEEE10hipError_tPvRmT1_T2_T3_mT4_P12ihipStream_tbEUlT_E1_NS1_11comp_targetILNS1_3genE9ELNS1_11target_archE1100ELNS1_3gpuE3ELNS1_3repE0EEENS1_30default_config_static_selectorELNS0_4arch9wavefront6targetE1EEEvSW_.has_recursion, 0
	.set _ZN7rocprim17ROCPRIM_400000_NS6detail17trampoline_kernelINS0_14default_configENS1_22reduce_config_selectorIlEEZNS1_11reduce_implILb1ES3_N6thrust23THRUST_200600_302600_NS11hip_rocprim26transform_input_iterator_tIlNS8_12zip_iteratorINS8_5tupleINS8_6detail15normal_iteratorINS8_10device_ptrIiEEEESH_NS8_9null_typeESI_SI_SI_SI_SI_SI_SI_EEEENS9_21zip_adj_not_predicateINS8_8equal_toIiEEEEEEPllNS8_4plusIlEEEE10hipError_tPvRmT1_T2_T3_mT4_P12ihipStream_tbEUlT_E1_NS1_11comp_targetILNS1_3genE9ELNS1_11target_archE1100ELNS1_3gpuE3ELNS1_3repE0EEENS1_30default_config_static_selectorELNS0_4arch9wavefront6targetE1EEEvSW_.has_indirect_call, 0
	.section	.AMDGPU.csdata,"",@progbits
; Kernel info:
; codeLenInByte = 0
; TotalNumSgprs: 4
; NumVgprs: 0
; ScratchSize: 0
; MemoryBound: 0
; FloatMode: 240
; IeeeMode: 1
; LDSByteSize: 0 bytes/workgroup (compile time only)
; SGPRBlocks: 0
; VGPRBlocks: 0
; NumSGPRsForWavesPerEU: 4
; NumVGPRsForWavesPerEU: 1
; Occupancy: 10
; WaveLimiterHint : 0
; COMPUTE_PGM_RSRC2:SCRATCH_EN: 0
; COMPUTE_PGM_RSRC2:USER_SGPR: 6
; COMPUTE_PGM_RSRC2:TRAP_HANDLER: 0
; COMPUTE_PGM_RSRC2:TGID_X_EN: 1
; COMPUTE_PGM_RSRC2:TGID_Y_EN: 0
; COMPUTE_PGM_RSRC2:TGID_Z_EN: 0
; COMPUTE_PGM_RSRC2:TIDIG_COMP_CNT: 0
	.section	.text._ZN7rocprim17ROCPRIM_400000_NS6detail17trampoline_kernelINS0_14default_configENS1_22reduce_config_selectorIlEEZNS1_11reduce_implILb1ES3_N6thrust23THRUST_200600_302600_NS11hip_rocprim26transform_input_iterator_tIlNS8_12zip_iteratorINS8_5tupleINS8_6detail15normal_iteratorINS8_10device_ptrIiEEEESH_NS8_9null_typeESI_SI_SI_SI_SI_SI_SI_EEEENS9_21zip_adj_not_predicateINS8_8equal_toIiEEEEEEPllNS8_4plusIlEEEE10hipError_tPvRmT1_T2_T3_mT4_P12ihipStream_tbEUlT_E1_NS1_11comp_targetILNS1_3genE8ELNS1_11target_archE1030ELNS1_3gpuE2ELNS1_3repE0EEENS1_30default_config_static_selectorELNS0_4arch9wavefront6targetE1EEEvSW_,"axG",@progbits,_ZN7rocprim17ROCPRIM_400000_NS6detail17trampoline_kernelINS0_14default_configENS1_22reduce_config_selectorIlEEZNS1_11reduce_implILb1ES3_N6thrust23THRUST_200600_302600_NS11hip_rocprim26transform_input_iterator_tIlNS8_12zip_iteratorINS8_5tupleINS8_6detail15normal_iteratorINS8_10device_ptrIiEEEESH_NS8_9null_typeESI_SI_SI_SI_SI_SI_SI_EEEENS9_21zip_adj_not_predicateINS8_8equal_toIiEEEEEEPllNS8_4plusIlEEEE10hipError_tPvRmT1_T2_T3_mT4_P12ihipStream_tbEUlT_E1_NS1_11comp_targetILNS1_3genE8ELNS1_11target_archE1030ELNS1_3gpuE2ELNS1_3repE0EEENS1_30default_config_static_selectorELNS0_4arch9wavefront6targetE1EEEvSW_,comdat
	.protected	_ZN7rocprim17ROCPRIM_400000_NS6detail17trampoline_kernelINS0_14default_configENS1_22reduce_config_selectorIlEEZNS1_11reduce_implILb1ES3_N6thrust23THRUST_200600_302600_NS11hip_rocprim26transform_input_iterator_tIlNS8_12zip_iteratorINS8_5tupleINS8_6detail15normal_iteratorINS8_10device_ptrIiEEEESH_NS8_9null_typeESI_SI_SI_SI_SI_SI_SI_EEEENS9_21zip_adj_not_predicateINS8_8equal_toIiEEEEEEPllNS8_4plusIlEEEE10hipError_tPvRmT1_T2_T3_mT4_P12ihipStream_tbEUlT_E1_NS1_11comp_targetILNS1_3genE8ELNS1_11target_archE1030ELNS1_3gpuE2ELNS1_3repE0EEENS1_30default_config_static_selectorELNS0_4arch9wavefront6targetE1EEEvSW_ ; -- Begin function _ZN7rocprim17ROCPRIM_400000_NS6detail17trampoline_kernelINS0_14default_configENS1_22reduce_config_selectorIlEEZNS1_11reduce_implILb1ES3_N6thrust23THRUST_200600_302600_NS11hip_rocprim26transform_input_iterator_tIlNS8_12zip_iteratorINS8_5tupleINS8_6detail15normal_iteratorINS8_10device_ptrIiEEEESH_NS8_9null_typeESI_SI_SI_SI_SI_SI_SI_EEEENS9_21zip_adj_not_predicateINS8_8equal_toIiEEEEEEPllNS8_4plusIlEEEE10hipError_tPvRmT1_T2_T3_mT4_P12ihipStream_tbEUlT_E1_NS1_11comp_targetILNS1_3genE8ELNS1_11target_archE1030ELNS1_3gpuE2ELNS1_3repE0EEENS1_30default_config_static_selectorELNS0_4arch9wavefront6targetE1EEEvSW_
	.globl	_ZN7rocprim17ROCPRIM_400000_NS6detail17trampoline_kernelINS0_14default_configENS1_22reduce_config_selectorIlEEZNS1_11reduce_implILb1ES3_N6thrust23THRUST_200600_302600_NS11hip_rocprim26transform_input_iterator_tIlNS8_12zip_iteratorINS8_5tupleINS8_6detail15normal_iteratorINS8_10device_ptrIiEEEESH_NS8_9null_typeESI_SI_SI_SI_SI_SI_SI_EEEENS9_21zip_adj_not_predicateINS8_8equal_toIiEEEEEEPllNS8_4plusIlEEEE10hipError_tPvRmT1_T2_T3_mT4_P12ihipStream_tbEUlT_E1_NS1_11comp_targetILNS1_3genE8ELNS1_11target_archE1030ELNS1_3gpuE2ELNS1_3repE0EEENS1_30default_config_static_selectorELNS0_4arch9wavefront6targetE1EEEvSW_
	.p2align	8
	.type	_ZN7rocprim17ROCPRIM_400000_NS6detail17trampoline_kernelINS0_14default_configENS1_22reduce_config_selectorIlEEZNS1_11reduce_implILb1ES3_N6thrust23THRUST_200600_302600_NS11hip_rocprim26transform_input_iterator_tIlNS8_12zip_iteratorINS8_5tupleINS8_6detail15normal_iteratorINS8_10device_ptrIiEEEESH_NS8_9null_typeESI_SI_SI_SI_SI_SI_SI_EEEENS9_21zip_adj_not_predicateINS8_8equal_toIiEEEEEEPllNS8_4plusIlEEEE10hipError_tPvRmT1_T2_T3_mT4_P12ihipStream_tbEUlT_E1_NS1_11comp_targetILNS1_3genE8ELNS1_11target_archE1030ELNS1_3gpuE2ELNS1_3repE0EEENS1_30default_config_static_selectorELNS0_4arch9wavefront6targetE1EEEvSW_,@function
_ZN7rocprim17ROCPRIM_400000_NS6detail17trampoline_kernelINS0_14default_configENS1_22reduce_config_selectorIlEEZNS1_11reduce_implILb1ES3_N6thrust23THRUST_200600_302600_NS11hip_rocprim26transform_input_iterator_tIlNS8_12zip_iteratorINS8_5tupleINS8_6detail15normal_iteratorINS8_10device_ptrIiEEEESH_NS8_9null_typeESI_SI_SI_SI_SI_SI_SI_EEEENS9_21zip_adj_not_predicateINS8_8equal_toIiEEEEEEPllNS8_4plusIlEEEE10hipError_tPvRmT1_T2_T3_mT4_P12ihipStream_tbEUlT_E1_NS1_11comp_targetILNS1_3genE8ELNS1_11target_archE1030ELNS1_3gpuE2ELNS1_3repE0EEENS1_30default_config_static_selectorELNS0_4arch9wavefront6targetE1EEEvSW_: ; @_ZN7rocprim17ROCPRIM_400000_NS6detail17trampoline_kernelINS0_14default_configENS1_22reduce_config_selectorIlEEZNS1_11reduce_implILb1ES3_N6thrust23THRUST_200600_302600_NS11hip_rocprim26transform_input_iterator_tIlNS8_12zip_iteratorINS8_5tupleINS8_6detail15normal_iteratorINS8_10device_ptrIiEEEESH_NS8_9null_typeESI_SI_SI_SI_SI_SI_SI_EEEENS9_21zip_adj_not_predicateINS8_8equal_toIiEEEEEEPllNS8_4plusIlEEEE10hipError_tPvRmT1_T2_T3_mT4_P12ihipStream_tbEUlT_E1_NS1_11comp_targetILNS1_3genE8ELNS1_11target_archE1030ELNS1_3gpuE2ELNS1_3repE0EEENS1_30default_config_static_selectorELNS0_4arch9wavefront6targetE1EEEvSW_
; %bb.0:
	.section	.rodata,"a",@progbits
	.p2align	6, 0x0
	.amdhsa_kernel _ZN7rocprim17ROCPRIM_400000_NS6detail17trampoline_kernelINS0_14default_configENS1_22reduce_config_selectorIlEEZNS1_11reduce_implILb1ES3_N6thrust23THRUST_200600_302600_NS11hip_rocprim26transform_input_iterator_tIlNS8_12zip_iteratorINS8_5tupleINS8_6detail15normal_iteratorINS8_10device_ptrIiEEEESH_NS8_9null_typeESI_SI_SI_SI_SI_SI_SI_EEEENS9_21zip_adj_not_predicateINS8_8equal_toIiEEEEEEPllNS8_4plusIlEEEE10hipError_tPvRmT1_T2_T3_mT4_P12ihipStream_tbEUlT_E1_NS1_11comp_targetILNS1_3genE8ELNS1_11target_archE1030ELNS1_3gpuE2ELNS1_3repE0EEENS1_30default_config_static_selectorELNS0_4arch9wavefront6targetE1EEEvSW_
		.amdhsa_group_segment_fixed_size 0
		.amdhsa_private_segment_fixed_size 0
		.amdhsa_kernarg_size 64
		.amdhsa_user_sgpr_count 6
		.amdhsa_user_sgpr_private_segment_buffer 1
		.amdhsa_user_sgpr_dispatch_ptr 0
		.amdhsa_user_sgpr_queue_ptr 0
		.amdhsa_user_sgpr_kernarg_segment_ptr 1
		.amdhsa_user_sgpr_dispatch_id 0
		.amdhsa_user_sgpr_flat_scratch_init 0
		.amdhsa_user_sgpr_private_segment_size 0
		.amdhsa_uses_dynamic_stack 0
		.amdhsa_system_sgpr_private_segment_wavefront_offset 0
		.amdhsa_system_sgpr_workgroup_id_x 1
		.amdhsa_system_sgpr_workgroup_id_y 0
		.amdhsa_system_sgpr_workgroup_id_z 0
		.amdhsa_system_sgpr_workgroup_info 0
		.amdhsa_system_vgpr_workitem_id 0
		.amdhsa_next_free_vgpr 1
		.amdhsa_next_free_sgpr 0
		.amdhsa_reserve_vcc 0
		.amdhsa_reserve_flat_scratch 0
		.amdhsa_float_round_mode_32 0
		.amdhsa_float_round_mode_16_64 0
		.amdhsa_float_denorm_mode_32 3
		.amdhsa_float_denorm_mode_16_64 3
		.amdhsa_dx10_clamp 1
		.amdhsa_ieee_mode 1
		.amdhsa_fp16_overflow 0
		.amdhsa_exception_fp_ieee_invalid_op 0
		.amdhsa_exception_fp_denorm_src 0
		.amdhsa_exception_fp_ieee_div_zero 0
		.amdhsa_exception_fp_ieee_overflow 0
		.amdhsa_exception_fp_ieee_underflow 0
		.amdhsa_exception_fp_ieee_inexact 0
		.amdhsa_exception_int_div_zero 0
	.end_amdhsa_kernel
	.section	.text._ZN7rocprim17ROCPRIM_400000_NS6detail17trampoline_kernelINS0_14default_configENS1_22reduce_config_selectorIlEEZNS1_11reduce_implILb1ES3_N6thrust23THRUST_200600_302600_NS11hip_rocprim26transform_input_iterator_tIlNS8_12zip_iteratorINS8_5tupleINS8_6detail15normal_iteratorINS8_10device_ptrIiEEEESH_NS8_9null_typeESI_SI_SI_SI_SI_SI_SI_EEEENS9_21zip_adj_not_predicateINS8_8equal_toIiEEEEEEPllNS8_4plusIlEEEE10hipError_tPvRmT1_T2_T3_mT4_P12ihipStream_tbEUlT_E1_NS1_11comp_targetILNS1_3genE8ELNS1_11target_archE1030ELNS1_3gpuE2ELNS1_3repE0EEENS1_30default_config_static_selectorELNS0_4arch9wavefront6targetE1EEEvSW_,"axG",@progbits,_ZN7rocprim17ROCPRIM_400000_NS6detail17trampoline_kernelINS0_14default_configENS1_22reduce_config_selectorIlEEZNS1_11reduce_implILb1ES3_N6thrust23THRUST_200600_302600_NS11hip_rocprim26transform_input_iterator_tIlNS8_12zip_iteratorINS8_5tupleINS8_6detail15normal_iteratorINS8_10device_ptrIiEEEESH_NS8_9null_typeESI_SI_SI_SI_SI_SI_SI_EEEENS9_21zip_adj_not_predicateINS8_8equal_toIiEEEEEEPllNS8_4plusIlEEEE10hipError_tPvRmT1_T2_T3_mT4_P12ihipStream_tbEUlT_E1_NS1_11comp_targetILNS1_3genE8ELNS1_11target_archE1030ELNS1_3gpuE2ELNS1_3repE0EEENS1_30default_config_static_selectorELNS0_4arch9wavefront6targetE1EEEvSW_,comdat
.Lfunc_end976:
	.size	_ZN7rocprim17ROCPRIM_400000_NS6detail17trampoline_kernelINS0_14default_configENS1_22reduce_config_selectorIlEEZNS1_11reduce_implILb1ES3_N6thrust23THRUST_200600_302600_NS11hip_rocprim26transform_input_iterator_tIlNS8_12zip_iteratorINS8_5tupleINS8_6detail15normal_iteratorINS8_10device_ptrIiEEEESH_NS8_9null_typeESI_SI_SI_SI_SI_SI_SI_EEEENS9_21zip_adj_not_predicateINS8_8equal_toIiEEEEEEPllNS8_4plusIlEEEE10hipError_tPvRmT1_T2_T3_mT4_P12ihipStream_tbEUlT_E1_NS1_11comp_targetILNS1_3genE8ELNS1_11target_archE1030ELNS1_3gpuE2ELNS1_3repE0EEENS1_30default_config_static_selectorELNS0_4arch9wavefront6targetE1EEEvSW_, .Lfunc_end976-_ZN7rocprim17ROCPRIM_400000_NS6detail17trampoline_kernelINS0_14default_configENS1_22reduce_config_selectorIlEEZNS1_11reduce_implILb1ES3_N6thrust23THRUST_200600_302600_NS11hip_rocprim26transform_input_iterator_tIlNS8_12zip_iteratorINS8_5tupleINS8_6detail15normal_iteratorINS8_10device_ptrIiEEEESH_NS8_9null_typeESI_SI_SI_SI_SI_SI_SI_EEEENS9_21zip_adj_not_predicateINS8_8equal_toIiEEEEEEPllNS8_4plusIlEEEE10hipError_tPvRmT1_T2_T3_mT4_P12ihipStream_tbEUlT_E1_NS1_11comp_targetILNS1_3genE8ELNS1_11target_archE1030ELNS1_3gpuE2ELNS1_3repE0EEENS1_30default_config_static_selectorELNS0_4arch9wavefront6targetE1EEEvSW_
                                        ; -- End function
	.set _ZN7rocprim17ROCPRIM_400000_NS6detail17trampoline_kernelINS0_14default_configENS1_22reduce_config_selectorIlEEZNS1_11reduce_implILb1ES3_N6thrust23THRUST_200600_302600_NS11hip_rocprim26transform_input_iterator_tIlNS8_12zip_iteratorINS8_5tupleINS8_6detail15normal_iteratorINS8_10device_ptrIiEEEESH_NS8_9null_typeESI_SI_SI_SI_SI_SI_SI_EEEENS9_21zip_adj_not_predicateINS8_8equal_toIiEEEEEEPllNS8_4plusIlEEEE10hipError_tPvRmT1_T2_T3_mT4_P12ihipStream_tbEUlT_E1_NS1_11comp_targetILNS1_3genE8ELNS1_11target_archE1030ELNS1_3gpuE2ELNS1_3repE0EEENS1_30default_config_static_selectorELNS0_4arch9wavefront6targetE1EEEvSW_.num_vgpr, 0
	.set _ZN7rocprim17ROCPRIM_400000_NS6detail17trampoline_kernelINS0_14default_configENS1_22reduce_config_selectorIlEEZNS1_11reduce_implILb1ES3_N6thrust23THRUST_200600_302600_NS11hip_rocprim26transform_input_iterator_tIlNS8_12zip_iteratorINS8_5tupleINS8_6detail15normal_iteratorINS8_10device_ptrIiEEEESH_NS8_9null_typeESI_SI_SI_SI_SI_SI_SI_EEEENS9_21zip_adj_not_predicateINS8_8equal_toIiEEEEEEPllNS8_4plusIlEEEE10hipError_tPvRmT1_T2_T3_mT4_P12ihipStream_tbEUlT_E1_NS1_11comp_targetILNS1_3genE8ELNS1_11target_archE1030ELNS1_3gpuE2ELNS1_3repE0EEENS1_30default_config_static_selectorELNS0_4arch9wavefront6targetE1EEEvSW_.num_agpr, 0
	.set _ZN7rocprim17ROCPRIM_400000_NS6detail17trampoline_kernelINS0_14default_configENS1_22reduce_config_selectorIlEEZNS1_11reduce_implILb1ES3_N6thrust23THRUST_200600_302600_NS11hip_rocprim26transform_input_iterator_tIlNS8_12zip_iteratorINS8_5tupleINS8_6detail15normal_iteratorINS8_10device_ptrIiEEEESH_NS8_9null_typeESI_SI_SI_SI_SI_SI_SI_EEEENS9_21zip_adj_not_predicateINS8_8equal_toIiEEEEEEPllNS8_4plusIlEEEE10hipError_tPvRmT1_T2_T3_mT4_P12ihipStream_tbEUlT_E1_NS1_11comp_targetILNS1_3genE8ELNS1_11target_archE1030ELNS1_3gpuE2ELNS1_3repE0EEENS1_30default_config_static_selectorELNS0_4arch9wavefront6targetE1EEEvSW_.numbered_sgpr, 0
	.set _ZN7rocprim17ROCPRIM_400000_NS6detail17trampoline_kernelINS0_14default_configENS1_22reduce_config_selectorIlEEZNS1_11reduce_implILb1ES3_N6thrust23THRUST_200600_302600_NS11hip_rocprim26transform_input_iterator_tIlNS8_12zip_iteratorINS8_5tupleINS8_6detail15normal_iteratorINS8_10device_ptrIiEEEESH_NS8_9null_typeESI_SI_SI_SI_SI_SI_SI_EEEENS9_21zip_adj_not_predicateINS8_8equal_toIiEEEEEEPllNS8_4plusIlEEEE10hipError_tPvRmT1_T2_T3_mT4_P12ihipStream_tbEUlT_E1_NS1_11comp_targetILNS1_3genE8ELNS1_11target_archE1030ELNS1_3gpuE2ELNS1_3repE0EEENS1_30default_config_static_selectorELNS0_4arch9wavefront6targetE1EEEvSW_.num_named_barrier, 0
	.set _ZN7rocprim17ROCPRIM_400000_NS6detail17trampoline_kernelINS0_14default_configENS1_22reduce_config_selectorIlEEZNS1_11reduce_implILb1ES3_N6thrust23THRUST_200600_302600_NS11hip_rocprim26transform_input_iterator_tIlNS8_12zip_iteratorINS8_5tupleINS8_6detail15normal_iteratorINS8_10device_ptrIiEEEESH_NS8_9null_typeESI_SI_SI_SI_SI_SI_SI_EEEENS9_21zip_adj_not_predicateINS8_8equal_toIiEEEEEEPllNS8_4plusIlEEEE10hipError_tPvRmT1_T2_T3_mT4_P12ihipStream_tbEUlT_E1_NS1_11comp_targetILNS1_3genE8ELNS1_11target_archE1030ELNS1_3gpuE2ELNS1_3repE0EEENS1_30default_config_static_selectorELNS0_4arch9wavefront6targetE1EEEvSW_.private_seg_size, 0
	.set _ZN7rocprim17ROCPRIM_400000_NS6detail17trampoline_kernelINS0_14default_configENS1_22reduce_config_selectorIlEEZNS1_11reduce_implILb1ES3_N6thrust23THRUST_200600_302600_NS11hip_rocprim26transform_input_iterator_tIlNS8_12zip_iteratorINS8_5tupleINS8_6detail15normal_iteratorINS8_10device_ptrIiEEEESH_NS8_9null_typeESI_SI_SI_SI_SI_SI_SI_EEEENS9_21zip_adj_not_predicateINS8_8equal_toIiEEEEEEPllNS8_4plusIlEEEE10hipError_tPvRmT1_T2_T3_mT4_P12ihipStream_tbEUlT_E1_NS1_11comp_targetILNS1_3genE8ELNS1_11target_archE1030ELNS1_3gpuE2ELNS1_3repE0EEENS1_30default_config_static_selectorELNS0_4arch9wavefront6targetE1EEEvSW_.uses_vcc, 0
	.set _ZN7rocprim17ROCPRIM_400000_NS6detail17trampoline_kernelINS0_14default_configENS1_22reduce_config_selectorIlEEZNS1_11reduce_implILb1ES3_N6thrust23THRUST_200600_302600_NS11hip_rocprim26transform_input_iterator_tIlNS8_12zip_iteratorINS8_5tupleINS8_6detail15normal_iteratorINS8_10device_ptrIiEEEESH_NS8_9null_typeESI_SI_SI_SI_SI_SI_SI_EEEENS9_21zip_adj_not_predicateINS8_8equal_toIiEEEEEEPllNS8_4plusIlEEEE10hipError_tPvRmT1_T2_T3_mT4_P12ihipStream_tbEUlT_E1_NS1_11comp_targetILNS1_3genE8ELNS1_11target_archE1030ELNS1_3gpuE2ELNS1_3repE0EEENS1_30default_config_static_selectorELNS0_4arch9wavefront6targetE1EEEvSW_.uses_flat_scratch, 0
	.set _ZN7rocprim17ROCPRIM_400000_NS6detail17trampoline_kernelINS0_14default_configENS1_22reduce_config_selectorIlEEZNS1_11reduce_implILb1ES3_N6thrust23THRUST_200600_302600_NS11hip_rocprim26transform_input_iterator_tIlNS8_12zip_iteratorINS8_5tupleINS8_6detail15normal_iteratorINS8_10device_ptrIiEEEESH_NS8_9null_typeESI_SI_SI_SI_SI_SI_SI_EEEENS9_21zip_adj_not_predicateINS8_8equal_toIiEEEEEEPllNS8_4plusIlEEEE10hipError_tPvRmT1_T2_T3_mT4_P12ihipStream_tbEUlT_E1_NS1_11comp_targetILNS1_3genE8ELNS1_11target_archE1030ELNS1_3gpuE2ELNS1_3repE0EEENS1_30default_config_static_selectorELNS0_4arch9wavefront6targetE1EEEvSW_.has_dyn_sized_stack, 0
	.set _ZN7rocprim17ROCPRIM_400000_NS6detail17trampoline_kernelINS0_14default_configENS1_22reduce_config_selectorIlEEZNS1_11reduce_implILb1ES3_N6thrust23THRUST_200600_302600_NS11hip_rocprim26transform_input_iterator_tIlNS8_12zip_iteratorINS8_5tupleINS8_6detail15normal_iteratorINS8_10device_ptrIiEEEESH_NS8_9null_typeESI_SI_SI_SI_SI_SI_SI_EEEENS9_21zip_adj_not_predicateINS8_8equal_toIiEEEEEEPllNS8_4plusIlEEEE10hipError_tPvRmT1_T2_T3_mT4_P12ihipStream_tbEUlT_E1_NS1_11comp_targetILNS1_3genE8ELNS1_11target_archE1030ELNS1_3gpuE2ELNS1_3repE0EEENS1_30default_config_static_selectorELNS0_4arch9wavefront6targetE1EEEvSW_.has_recursion, 0
	.set _ZN7rocprim17ROCPRIM_400000_NS6detail17trampoline_kernelINS0_14default_configENS1_22reduce_config_selectorIlEEZNS1_11reduce_implILb1ES3_N6thrust23THRUST_200600_302600_NS11hip_rocprim26transform_input_iterator_tIlNS8_12zip_iteratorINS8_5tupleINS8_6detail15normal_iteratorINS8_10device_ptrIiEEEESH_NS8_9null_typeESI_SI_SI_SI_SI_SI_SI_EEEENS9_21zip_adj_not_predicateINS8_8equal_toIiEEEEEEPllNS8_4plusIlEEEE10hipError_tPvRmT1_T2_T3_mT4_P12ihipStream_tbEUlT_E1_NS1_11comp_targetILNS1_3genE8ELNS1_11target_archE1030ELNS1_3gpuE2ELNS1_3repE0EEENS1_30default_config_static_selectorELNS0_4arch9wavefront6targetE1EEEvSW_.has_indirect_call, 0
	.section	.AMDGPU.csdata,"",@progbits
; Kernel info:
; codeLenInByte = 0
; TotalNumSgprs: 4
; NumVgprs: 0
; ScratchSize: 0
; MemoryBound: 0
; FloatMode: 240
; IeeeMode: 1
; LDSByteSize: 0 bytes/workgroup (compile time only)
; SGPRBlocks: 0
; VGPRBlocks: 0
; NumSGPRsForWavesPerEU: 4
; NumVGPRsForWavesPerEU: 1
; Occupancy: 10
; WaveLimiterHint : 0
; COMPUTE_PGM_RSRC2:SCRATCH_EN: 0
; COMPUTE_PGM_RSRC2:USER_SGPR: 6
; COMPUTE_PGM_RSRC2:TRAP_HANDLER: 0
; COMPUTE_PGM_RSRC2:TGID_X_EN: 1
; COMPUTE_PGM_RSRC2:TGID_Y_EN: 0
; COMPUTE_PGM_RSRC2:TGID_Z_EN: 0
; COMPUTE_PGM_RSRC2:TIDIG_COMP_CNT: 0
	.section	.text._ZN7rocprim17ROCPRIM_400000_NS6detail17trampoline_kernelINS0_14default_configENS1_22reduce_config_selectorIlEEZNS1_11reduce_implILb1ES3_N6thrust23THRUST_200600_302600_NS11hip_rocprim26transform_input_iterator_tIlNS8_12zip_iteratorINS8_5tupleINS8_6detail15normal_iteratorINS8_10device_ptrIiEEEESH_NS8_9null_typeESI_SI_SI_SI_SI_SI_SI_EEEENS9_21zip_adj_not_predicateI22is_equal_div_10_uniqueIiEEEEEPllNS8_4plusIlEEEE10hipError_tPvRmT1_T2_T3_mT4_P12ihipStream_tbEUlT_E0_NS1_11comp_targetILNS1_3genE0ELNS1_11target_archE4294967295ELNS1_3gpuE0ELNS1_3repE0EEENS1_30default_config_static_selectorELNS0_4arch9wavefront6targetE1EEEvSW_,"axG",@progbits,_ZN7rocprim17ROCPRIM_400000_NS6detail17trampoline_kernelINS0_14default_configENS1_22reduce_config_selectorIlEEZNS1_11reduce_implILb1ES3_N6thrust23THRUST_200600_302600_NS11hip_rocprim26transform_input_iterator_tIlNS8_12zip_iteratorINS8_5tupleINS8_6detail15normal_iteratorINS8_10device_ptrIiEEEESH_NS8_9null_typeESI_SI_SI_SI_SI_SI_SI_EEEENS9_21zip_adj_not_predicateI22is_equal_div_10_uniqueIiEEEEEPllNS8_4plusIlEEEE10hipError_tPvRmT1_T2_T3_mT4_P12ihipStream_tbEUlT_E0_NS1_11comp_targetILNS1_3genE0ELNS1_11target_archE4294967295ELNS1_3gpuE0ELNS1_3repE0EEENS1_30default_config_static_selectorELNS0_4arch9wavefront6targetE1EEEvSW_,comdat
	.protected	_ZN7rocprim17ROCPRIM_400000_NS6detail17trampoline_kernelINS0_14default_configENS1_22reduce_config_selectorIlEEZNS1_11reduce_implILb1ES3_N6thrust23THRUST_200600_302600_NS11hip_rocprim26transform_input_iterator_tIlNS8_12zip_iteratorINS8_5tupleINS8_6detail15normal_iteratorINS8_10device_ptrIiEEEESH_NS8_9null_typeESI_SI_SI_SI_SI_SI_SI_EEEENS9_21zip_adj_not_predicateI22is_equal_div_10_uniqueIiEEEEEPllNS8_4plusIlEEEE10hipError_tPvRmT1_T2_T3_mT4_P12ihipStream_tbEUlT_E0_NS1_11comp_targetILNS1_3genE0ELNS1_11target_archE4294967295ELNS1_3gpuE0ELNS1_3repE0EEENS1_30default_config_static_selectorELNS0_4arch9wavefront6targetE1EEEvSW_ ; -- Begin function _ZN7rocprim17ROCPRIM_400000_NS6detail17trampoline_kernelINS0_14default_configENS1_22reduce_config_selectorIlEEZNS1_11reduce_implILb1ES3_N6thrust23THRUST_200600_302600_NS11hip_rocprim26transform_input_iterator_tIlNS8_12zip_iteratorINS8_5tupleINS8_6detail15normal_iteratorINS8_10device_ptrIiEEEESH_NS8_9null_typeESI_SI_SI_SI_SI_SI_SI_EEEENS9_21zip_adj_not_predicateI22is_equal_div_10_uniqueIiEEEEEPllNS8_4plusIlEEEE10hipError_tPvRmT1_T2_T3_mT4_P12ihipStream_tbEUlT_E0_NS1_11comp_targetILNS1_3genE0ELNS1_11target_archE4294967295ELNS1_3gpuE0ELNS1_3repE0EEENS1_30default_config_static_selectorELNS0_4arch9wavefront6targetE1EEEvSW_
	.globl	_ZN7rocprim17ROCPRIM_400000_NS6detail17trampoline_kernelINS0_14default_configENS1_22reduce_config_selectorIlEEZNS1_11reduce_implILb1ES3_N6thrust23THRUST_200600_302600_NS11hip_rocprim26transform_input_iterator_tIlNS8_12zip_iteratorINS8_5tupleINS8_6detail15normal_iteratorINS8_10device_ptrIiEEEESH_NS8_9null_typeESI_SI_SI_SI_SI_SI_SI_EEEENS9_21zip_adj_not_predicateI22is_equal_div_10_uniqueIiEEEEEPllNS8_4plusIlEEEE10hipError_tPvRmT1_T2_T3_mT4_P12ihipStream_tbEUlT_E0_NS1_11comp_targetILNS1_3genE0ELNS1_11target_archE4294967295ELNS1_3gpuE0ELNS1_3repE0EEENS1_30default_config_static_selectorELNS0_4arch9wavefront6targetE1EEEvSW_
	.p2align	8
	.type	_ZN7rocprim17ROCPRIM_400000_NS6detail17trampoline_kernelINS0_14default_configENS1_22reduce_config_selectorIlEEZNS1_11reduce_implILb1ES3_N6thrust23THRUST_200600_302600_NS11hip_rocprim26transform_input_iterator_tIlNS8_12zip_iteratorINS8_5tupleINS8_6detail15normal_iteratorINS8_10device_ptrIiEEEESH_NS8_9null_typeESI_SI_SI_SI_SI_SI_SI_EEEENS9_21zip_adj_not_predicateI22is_equal_div_10_uniqueIiEEEEEPllNS8_4plusIlEEEE10hipError_tPvRmT1_T2_T3_mT4_P12ihipStream_tbEUlT_E0_NS1_11comp_targetILNS1_3genE0ELNS1_11target_archE4294967295ELNS1_3gpuE0ELNS1_3repE0EEENS1_30default_config_static_selectorELNS0_4arch9wavefront6targetE1EEEvSW_,@function
_ZN7rocprim17ROCPRIM_400000_NS6detail17trampoline_kernelINS0_14default_configENS1_22reduce_config_selectorIlEEZNS1_11reduce_implILb1ES3_N6thrust23THRUST_200600_302600_NS11hip_rocprim26transform_input_iterator_tIlNS8_12zip_iteratorINS8_5tupleINS8_6detail15normal_iteratorINS8_10device_ptrIiEEEESH_NS8_9null_typeESI_SI_SI_SI_SI_SI_SI_EEEENS9_21zip_adj_not_predicateI22is_equal_div_10_uniqueIiEEEEEPllNS8_4plusIlEEEE10hipError_tPvRmT1_T2_T3_mT4_P12ihipStream_tbEUlT_E0_NS1_11comp_targetILNS1_3genE0ELNS1_11target_archE4294967295ELNS1_3gpuE0ELNS1_3repE0EEENS1_30default_config_static_selectorELNS0_4arch9wavefront6targetE1EEEvSW_: ; @_ZN7rocprim17ROCPRIM_400000_NS6detail17trampoline_kernelINS0_14default_configENS1_22reduce_config_selectorIlEEZNS1_11reduce_implILb1ES3_N6thrust23THRUST_200600_302600_NS11hip_rocprim26transform_input_iterator_tIlNS8_12zip_iteratorINS8_5tupleINS8_6detail15normal_iteratorINS8_10device_ptrIiEEEESH_NS8_9null_typeESI_SI_SI_SI_SI_SI_SI_EEEENS9_21zip_adj_not_predicateI22is_equal_div_10_uniqueIiEEEEEPllNS8_4plusIlEEEE10hipError_tPvRmT1_T2_T3_mT4_P12ihipStream_tbEUlT_E0_NS1_11comp_targetILNS1_3genE0ELNS1_11target_archE4294967295ELNS1_3gpuE0ELNS1_3repE0EEENS1_30default_config_static_selectorELNS0_4arch9wavefront6targetE1EEEvSW_
; %bb.0:
	.section	.rodata,"a",@progbits
	.p2align	6, 0x0
	.amdhsa_kernel _ZN7rocprim17ROCPRIM_400000_NS6detail17trampoline_kernelINS0_14default_configENS1_22reduce_config_selectorIlEEZNS1_11reduce_implILb1ES3_N6thrust23THRUST_200600_302600_NS11hip_rocprim26transform_input_iterator_tIlNS8_12zip_iteratorINS8_5tupleINS8_6detail15normal_iteratorINS8_10device_ptrIiEEEESH_NS8_9null_typeESI_SI_SI_SI_SI_SI_SI_EEEENS9_21zip_adj_not_predicateI22is_equal_div_10_uniqueIiEEEEEPllNS8_4plusIlEEEE10hipError_tPvRmT1_T2_T3_mT4_P12ihipStream_tbEUlT_E0_NS1_11comp_targetILNS1_3genE0ELNS1_11target_archE4294967295ELNS1_3gpuE0ELNS1_3repE0EEENS1_30default_config_static_selectorELNS0_4arch9wavefront6targetE1EEEvSW_
		.amdhsa_group_segment_fixed_size 0
		.amdhsa_private_segment_fixed_size 0
		.amdhsa_kernarg_size 80
		.amdhsa_user_sgpr_count 6
		.amdhsa_user_sgpr_private_segment_buffer 1
		.amdhsa_user_sgpr_dispatch_ptr 0
		.amdhsa_user_sgpr_queue_ptr 0
		.amdhsa_user_sgpr_kernarg_segment_ptr 1
		.amdhsa_user_sgpr_dispatch_id 0
		.amdhsa_user_sgpr_flat_scratch_init 0
		.amdhsa_user_sgpr_private_segment_size 0
		.amdhsa_uses_dynamic_stack 0
		.amdhsa_system_sgpr_private_segment_wavefront_offset 0
		.amdhsa_system_sgpr_workgroup_id_x 1
		.amdhsa_system_sgpr_workgroup_id_y 0
		.amdhsa_system_sgpr_workgroup_id_z 0
		.amdhsa_system_sgpr_workgroup_info 0
		.amdhsa_system_vgpr_workitem_id 0
		.amdhsa_next_free_vgpr 1
		.amdhsa_next_free_sgpr 0
		.amdhsa_reserve_vcc 0
		.amdhsa_reserve_flat_scratch 0
		.amdhsa_float_round_mode_32 0
		.amdhsa_float_round_mode_16_64 0
		.amdhsa_float_denorm_mode_32 3
		.amdhsa_float_denorm_mode_16_64 3
		.amdhsa_dx10_clamp 1
		.amdhsa_ieee_mode 1
		.amdhsa_fp16_overflow 0
		.amdhsa_exception_fp_ieee_invalid_op 0
		.amdhsa_exception_fp_denorm_src 0
		.amdhsa_exception_fp_ieee_div_zero 0
		.amdhsa_exception_fp_ieee_overflow 0
		.amdhsa_exception_fp_ieee_underflow 0
		.amdhsa_exception_fp_ieee_inexact 0
		.amdhsa_exception_int_div_zero 0
	.end_amdhsa_kernel
	.section	.text._ZN7rocprim17ROCPRIM_400000_NS6detail17trampoline_kernelINS0_14default_configENS1_22reduce_config_selectorIlEEZNS1_11reduce_implILb1ES3_N6thrust23THRUST_200600_302600_NS11hip_rocprim26transform_input_iterator_tIlNS8_12zip_iteratorINS8_5tupleINS8_6detail15normal_iteratorINS8_10device_ptrIiEEEESH_NS8_9null_typeESI_SI_SI_SI_SI_SI_SI_EEEENS9_21zip_adj_not_predicateI22is_equal_div_10_uniqueIiEEEEEPllNS8_4plusIlEEEE10hipError_tPvRmT1_T2_T3_mT4_P12ihipStream_tbEUlT_E0_NS1_11comp_targetILNS1_3genE0ELNS1_11target_archE4294967295ELNS1_3gpuE0ELNS1_3repE0EEENS1_30default_config_static_selectorELNS0_4arch9wavefront6targetE1EEEvSW_,"axG",@progbits,_ZN7rocprim17ROCPRIM_400000_NS6detail17trampoline_kernelINS0_14default_configENS1_22reduce_config_selectorIlEEZNS1_11reduce_implILb1ES3_N6thrust23THRUST_200600_302600_NS11hip_rocprim26transform_input_iterator_tIlNS8_12zip_iteratorINS8_5tupleINS8_6detail15normal_iteratorINS8_10device_ptrIiEEEESH_NS8_9null_typeESI_SI_SI_SI_SI_SI_SI_EEEENS9_21zip_adj_not_predicateI22is_equal_div_10_uniqueIiEEEEEPllNS8_4plusIlEEEE10hipError_tPvRmT1_T2_T3_mT4_P12ihipStream_tbEUlT_E0_NS1_11comp_targetILNS1_3genE0ELNS1_11target_archE4294967295ELNS1_3gpuE0ELNS1_3repE0EEENS1_30default_config_static_selectorELNS0_4arch9wavefront6targetE1EEEvSW_,comdat
.Lfunc_end977:
	.size	_ZN7rocprim17ROCPRIM_400000_NS6detail17trampoline_kernelINS0_14default_configENS1_22reduce_config_selectorIlEEZNS1_11reduce_implILb1ES3_N6thrust23THRUST_200600_302600_NS11hip_rocprim26transform_input_iterator_tIlNS8_12zip_iteratorINS8_5tupleINS8_6detail15normal_iteratorINS8_10device_ptrIiEEEESH_NS8_9null_typeESI_SI_SI_SI_SI_SI_SI_EEEENS9_21zip_adj_not_predicateI22is_equal_div_10_uniqueIiEEEEEPllNS8_4plusIlEEEE10hipError_tPvRmT1_T2_T3_mT4_P12ihipStream_tbEUlT_E0_NS1_11comp_targetILNS1_3genE0ELNS1_11target_archE4294967295ELNS1_3gpuE0ELNS1_3repE0EEENS1_30default_config_static_selectorELNS0_4arch9wavefront6targetE1EEEvSW_, .Lfunc_end977-_ZN7rocprim17ROCPRIM_400000_NS6detail17trampoline_kernelINS0_14default_configENS1_22reduce_config_selectorIlEEZNS1_11reduce_implILb1ES3_N6thrust23THRUST_200600_302600_NS11hip_rocprim26transform_input_iterator_tIlNS8_12zip_iteratorINS8_5tupleINS8_6detail15normal_iteratorINS8_10device_ptrIiEEEESH_NS8_9null_typeESI_SI_SI_SI_SI_SI_SI_EEEENS9_21zip_adj_not_predicateI22is_equal_div_10_uniqueIiEEEEEPllNS8_4plusIlEEEE10hipError_tPvRmT1_T2_T3_mT4_P12ihipStream_tbEUlT_E0_NS1_11comp_targetILNS1_3genE0ELNS1_11target_archE4294967295ELNS1_3gpuE0ELNS1_3repE0EEENS1_30default_config_static_selectorELNS0_4arch9wavefront6targetE1EEEvSW_
                                        ; -- End function
	.set _ZN7rocprim17ROCPRIM_400000_NS6detail17trampoline_kernelINS0_14default_configENS1_22reduce_config_selectorIlEEZNS1_11reduce_implILb1ES3_N6thrust23THRUST_200600_302600_NS11hip_rocprim26transform_input_iterator_tIlNS8_12zip_iteratorINS8_5tupleINS8_6detail15normal_iteratorINS8_10device_ptrIiEEEESH_NS8_9null_typeESI_SI_SI_SI_SI_SI_SI_EEEENS9_21zip_adj_not_predicateI22is_equal_div_10_uniqueIiEEEEEPllNS8_4plusIlEEEE10hipError_tPvRmT1_T2_T3_mT4_P12ihipStream_tbEUlT_E0_NS1_11comp_targetILNS1_3genE0ELNS1_11target_archE4294967295ELNS1_3gpuE0ELNS1_3repE0EEENS1_30default_config_static_selectorELNS0_4arch9wavefront6targetE1EEEvSW_.num_vgpr, 0
	.set _ZN7rocprim17ROCPRIM_400000_NS6detail17trampoline_kernelINS0_14default_configENS1_22reduce_config_selectorIlEEZNS1_11reduce_implILb1ES3_N6thrust23THRUST_200600_302600_NS11hip_rocprim26transform_input_iterator_tIlNS8_12zip_iteratorINS8_5tupleINS8_6detail15normal_iteratorINS8_10device_ptrIiEEEESH_NS8_9null_typeESI_SI_SI_SI_SI_SI_SI_EEEENS9_21zip_adj_not_predicateI22is_equal_div_10_uniqueIiEEEEEPllNS8_4plusIlEEEE10hipError_tPvRmT1_T2_T3_mT4_P12ihipStream_tbEUlT_E0_NS1_11comp_targetILNS1_3genE0ELNS1_11target_archE4294967295ELNS1_3gpuE0ELNS1_3repE0EEENS1_30default_config_static_selectorELNS0_4arch9wavefront6targetE1EEEvSW_.num_agpr, 0
	.set _ZN7rocprim17ROCPRIM_400000_NS6detail17trampoline_kernelINS0_14default_configENS1_22reduce_config_selectorIlEEZNS1_11reduce_implILb1ES3_N6thrust23THRUST_200600_302600_NS11hip_rocprim26transform_input_iterator_tIlNS8_12zip_iteratorINS8_5tupleINS8_6detail15normal_iteratorINS8_10device_ptrIiEEEESH_NS8_9null_typeESI_SI_SI_SI_SI_SI_SI_EEEENS9_21zip_adj_not_predicateI22is_equal_div_10_uniqueIiEEEEEPllNS8_4plusIlEEEE10hipError_tPvRmT1_T2_T3_mT4_P12ihipStream_tbEUlT_E0_NS1_11comp_targetILNS1_3genE0ELNS1_11target_archE4294967295ELNS1_3gpuE0ELNS1_3repE0EEENS1_30default_config_static_selectorELNS0_4arch9wavefront6targetE1EEEvSW_.numbered_sgpr, 0
	.set _ZN7rocprim17ROCPRIM_400000_NS6detail17trampoline_kernelINS0_14default_configENS1_22reduce_config_selectorIlEEZNS1_11reduce_implILb1ES3_N6thrust23THRUST_200600_302600_NS11hip_rocprim26transform_input_iterator_tIlNS8_12zip_iteratorINS8_5tupleINS8_6detail15normal_iteratorINS8_10device_ptrIiEEEESH_NS8_9null_typeESI_SI_SI_SI_SI_SI_SI_EEEENS9_21zip_adj_not_predicateI22is_equal_div_10_uniqueIiEEEEEPllNS8_4plusIlEEEE10hipError_tPvRmT1_T2_T3_mT4_P12ihipStream_tbEUlT_E0_NS1_11comp_targetILNS1_3genE0ELNS1_11target_archE4294967295ELNS1_3gpuE0ELNS1_3repE0EEENS1_30default_config_static_selectorELNS0_4arch9wavefront6targetE1EEEvSW_.num_named_barrier, 0
	.set _ZN7rocprim17ROCPRIM_400000_NS6detail17trampoline_kernelINS0_14default_configENS1_22reduce_config_selectorIlEEZNS1_11reduce_implILb1ES3_N6thrust23THRUST_200600_302600_NS11hip_rocprim26transform_input_iterator_tIlNS8_12zip_iteratorINS8_5tupleINS8_6detail15normal_iteratorINS8_10device_ptrIiEEEESH_NS8_9null_typeESI_SI_SI_SI_SI_SI_SI_EEEENS9_21zip_adj_not_predicateI22is_equal_div_10_uniqueIiEEEEEPllNS8_4plusIlEEEE10hipError_tPvRmT1_T2_T3_mT4_P12ihipStream_tbEUlT_E0_NS1_11comp_targetILNS1_3genE0ELNS1_11target_archE4294967295ELNS1_3gpuE0ELNS1_3repE0EEENS1_30default_config_static_selectorELNS0_4arch9wavefront6targetE1EEEvSW_.private_seg_size, 0
	.set _ZN7rocprim17ROCPRIM_400000_NS6detail17trampoline_kernelINS0_14default_configENS1_22reduce_config_selectorIlEEZNS1_11reduce_implILb1ES3_N6thrust23THRUST_200600_302600_NS11hip_rocprim26transform_input_iterator_tIlNS8_12zip_iteratorINS8_5tupleINS8_6detail15normal_iteratorINS8_10device_ptrIiEEEESH_NS8_9null_typeESI_SI_SI_SI_SI_SI_SI_EEEENS9_21zip_adj_not_predicateI22is_equal_div_10_uniqueIiEEEEEPllNS8_4plusIlEEEE10hipError_tPvRmT1_T2_T3_mT4_P12ihipStream_tbEUlT_E0_NS1_11comp_targetILNS1_3genE0ELNS1_11target_archE4294967295ELNS1_3gpuE0ELNS1_3repE0EEENS1_30default_config_static_selectorELNS0_4arch9wavefront6targetE1EEEvSW_.uses_vcc, 0
	.set _ZN7rocprim17ROCPRIM_400000_NS6detail17trampoline_kernelINS0_14default_configENS1_22reduce_config_selectorIlEEZNS1_11reduce_implILb1ES3_N6thrust23THRUST_200600_302600_NS11hip_rocprim26transform_input_iterator_tIlNS8_12zip_iteratorINS8_5tupleINS8_6detail15normal_iteratorINS8_10device_ptrIiEEEESH_NS8_9null_typeESI_SI_SI_SI_SI_SI_SI_EEEENS9_21zip_adj_not_predicateI22is_equal_div_10_uniqueIiEEEEEPllNS8_4plusIlEEEE10hipError_tPvRmT1_T2_T3_mT4_P12ihipStream_tbEUlT_E0_NS1_11comp_targetILNS1_3genE0ELNS1_11target_archE4294967295ELNS1_3gpuE0ELNS1_3repE0EEENS1_30default_config_static_selectorELNS0_4arch9wavefront6targetE1EEEvSW_.uses_flat_scratch, 0
	.set _ZN7rocprim17ROCPRIM_400000_NS6detail17trampoline_kernelINS0_14default_configENS1_22reduce_config_selectorIlEEZNS1_11reduce_implILb1ES3_N6thrust23THRUST_200600_302600_NS11hip_rocprim26transform_input_iterator_tIlNS8_12zip_iteratorINS8_5tupleINS8_6detail15normal_iteratorINS8_10device_ptrIiEEEESH_NS8_9null_typeESI_SI_SI_SI_SI_SI_SI_EEEENS9_21zip_adj_not_predicateI22is_equal_div_10_uniqueIiEEEEEPllNS8_4plusIlEEEE10hipError_tPvRmT1_T2_T3_mT4_P12ihipStream_tbEUlT_E0_NS1_11comp_targetILNS1_3genE0ELNS1_11target_archE4294967295ELNS1_3gpuE0ELNS1_3repE0EEENS1_30default_config_static_selectorELNS0_4arch9wavefront6targetE1EEEvSW_.has_dyn_sized_stack, 0
	.set _ZN7rocprim17ROCPRIM_400000_NS6detail17trampoline_kernelINS0_14default_configENS1_22reduce_config_selectorIlEEZNS1_11reduce_implILb1ES3_N6thrust23THRUST_200600_302600_NS11hip_rocprim26transform_input_iterator_tIlNS8_12zip_iteratorINS8_5tupleINS8_6detail15normal_iteratorINS8_10device_ptrIiEEEESH_NS8_9null_typeESI_SI_SI_SI_SI_SI_SI_EEEENS9_21zip_adj_not_predicateI22is_equal_div_10_uniqueIiEEEEEPllNS8_4plusIlEEEE10hipError_tPvRmT1_T2_T3_mT4_P12ihipStream_tbEUlT_E0_NS1_11comp_targetILNS1_3genE0ELNS1_11target_archE4294967295ELNS1_3gpuE0ELNS1_3repE0EEENS1_30default_config_static_selectorELNS0_4arch9wavefront6targetE1EEEvSW_.has_recursion, 0
	.set _ZN7rocprim17ROCPRIM_400000_NS6detail17trampoline_kernelINS0_14default_configENS1_22reduce_config_selectorIlEEZNS1_11reduce_implILb1ES3_N6thrust23THRUST_200600_302600_NS11hip_rocprim26transform_input_iterator_tIlNS8_12zip_iteratorINS8_5tupleINS8_6detail15normal_iteratorINS8_10device_ptrIiEEEESH_NS8_9null_typeESI_SI_SI_SI_SI_SI_SI_EEEENS9_21zip_adj_not_predicateI22is_equal_div_10_uniqueIiEEEEEPllNS8_4plusIlEEEE10hipError_tPvRmT1_T2_T3_mT4_P12ihipStream_tbEUlT_E0_NS1_11comp_targetILNS1_3genE0ELNS1_11target_archE4294967295ELNS1_3gpuE0ELNS1_3repE0EEENS1_30default_config_static_selectorELNS0_4arch9wavefront6targetE1EEEvSW_.has_indirect_call, 0
	.section	.AMDGPU.csdata,"",@progbits
; Kernel info:
; codeLenInByte = 0
; TotalNumSgprs: 4
; NumVgprs: 0
; ScratchSize: 0
; MemoryBound: 0
; FloatMode: 240
; IeeeMode: 1
; LDSByteSize: 0 bytes/workgroup (compile time only)
; SGPRBlocks: 0
; VGPRBlocks: 0
; NumSGPRsForWavesPerEU: 4
; NumVGPRsForWavesPerEU: 1
; Occupancy: 10
; WaveLimiterHint : 0
; COMPUTE_PGM_RSRC2:SCRATCH_EN: 0
; COMPUTE_PGM_RSRC2:USER_SGPR: 6
; COMPUTE_PGM_RSRC2:TRAP_HANDLER: 0
; COMPUTE_PGM_RSRC2:TGID_X_EN: 1
; COMPUTE_PGM_RSRC2:TGID_Y_EN: 0
; COMPUTE_PGM_RSRC2:TGID_Z_EN: 0
; COMPUTE_PGM_RSRC2:TIDIG_COMP_CNT: 0
	.section	.text._ZN7rocprim17ROCPRIM_400000_NS6detail17trampoline_kernelINS0_14default_configENS1_22reduce_config_selectorIlEEZNS1_11reduce_implILb1ES3_N6thrust23THRUST_200600_302600_NS11hip_rocprim26transform_input_iterator_tIlNS8_12zip_iteratorINS8_5tupleINS8_6detail15normal_iteratorINS8_10device_ptrIiEEEESH_NS8_9null_typeESI_SI_SI_SI_SI_SI_SI_EEEENS9_21zip_adj_not_predicateI22is_equal_div_10_uniqueIiEEEEEPllNS8_4plusIlEEEE10hipError_tPvRmT1_T2_T3_mT4_P12ihipStream_tbEUlT_E0_NS1_11comp_targetILNS1_3genE5ELNS1_11target_archE942ELNS1_3gpuE9ELNS1_3repE0EEENS1_30default_config_static_selectorELNS0_4arch9wavefront6targetE1EEEvSW_,"axG",@progbits,_ZN7rocprim17ROCPRIM_400000_NS6detail17trampoline_kernelINS0_14default_configENS1_22reduce_config_selectorIlEEZNS1_11reduce_implILb1ES3_N6thrust23THRUST_200600_302600_NS11hip_rocprim26transform_input_iterator_tIlNS8_12zip_iteratorINS8_5tupleINS8_6detail15normal_iteratorINS8_10device_ptrIiEEEESH_NS8_9null_typeESI_SI_SI_SI_SI_SI_SI_EEEENS9_21zip_adj_not_predicateI22is_equal_div_10_uniqueIiEEEEEPllNS8_4plusIlEEEE10hipError_tPvRmT1_T2_T3_mT4_P12ihipStream_tbEUlT_E0_NS1_11comp_targetILNS1_3genE5ELNS1_11target_archE942ELNS1_3gpuE9ELNS1_3repE0EEENS1_30default_config_static_selectorELNS0_4arch9wavefront6targetE1EEEvSW_,comdat
	.protected	_ZN7rocprim17ROCPRIM_400000_NS6detail17trampoline_kernelINS0_14default_configENS1_22reduce_config_selectorIlEEZNS1_11reduce_implILb1ES3_N6thrust23THRUST_200600_302600_NS11hip_rocprim26transform_input_iterator_tIlNS8_12zip_iteratorINS8_5tupleINS8_6detail15normal_iteratorINS8_10device_ptrIiEEEESH_NS8_9null_typeESI_SI_SI_SI_SI_SI_SI_EEEENS9_21zip_adj_not_predicateI22is_equal_div_10_uniqueIiEEEEEPllNS8_4plusIlEEEE10hipError_tPvRmT1_T2_T3_mT4_P12ihipStream_tbEUlT_E0_NS1_11comp_targetILNS1_3genE5ELNS1_11target_archE942ELNS1_3gpuE9ELNS1_3repE0EEENS1_30default_config_static_selectorELNS0_4arch9wavefront6targetE1EEEvSW_ ; -- Begin function _ZN7rocprim17ROCPRIM_400000_NS6detail17trampoline_kernelINS0_14default_configENS1_22reduce_config_selectorIlEEZNS1_11reduce_implILb1ES3_N6thrust23THRUST_200600_302600_NS11hip_rocprim26transform_input_iterator_tIlNS8_12zip_iteratorINS8_5tupleINS8_6detail15normal_iteratorINS8_10device_ptrIiEEEESH_NS8_9null_typeESI_SI_SI_SI_SI_SI_SI_EEEENS9_21zip_adj_not_predicateI22is_equal_div_10_uniqueIiEEEEEPllNS8_4plusIlEEEE10hipError_tPvRmT1_T2_T3_mT4_P12ihipStream_tbEUlT_E0_NS1_11comp_targetILNS1_3genE5ELNS1_11target_archE942ELNS1_3gpuE9ELNS1_3repE0EEENS1_30default_config_static_selectorELNS0_4arch9wavefront6targetE1EEEvSW_
	.globl	_ZN7rocprim17ROCPRIM_400000_NS6detail17trampoline_kernelINS0_14default_configENS1_22reduce_config_selectorIlEEZNS1_11reduce_implILb1ES3_N6thrust23THRUST_200600_302600_NS11hip_rocprim26transform_input_iterator_tIlNS8_12zip_iteratorINS8_5tupleINS8_6detail15normal_iteratorINS8_10device_ptrIiEEEESH_NS8_9null_typeESI_SI_SI_SI_SI_SI_SI_EEEENS9_21zip_adj_not_predicateI22is_equal_div_10_uniqueIiEEEEEPllNS8_4plusIlEEEE10hipError_tPvRmT1_T2_T3_mT4_P12ihipStream_tbEUlT_E0_NS1_11comp_targetILNS1_3genE5ELNS1_11target_archE942ELNS1_3gpuE9ELNS1_3repE0EEENS1_30default_config_static_selectorELNS0_4arch9wavefront6targetE1EEEvSW_
	.p2align	8
	.type	_ZN7rocprim17ROCPRIM_400000_NS6detail17trampoline_kernelINS0_14default_configENS1_22reduce_config_selectorIlEEZNS1_11reduce_implILb1ES3_N6thrust23THRUST_200600_302600_NS11hip_rocprim26transform_input_iterator_tIlNS8_12zip_iteratorINS8_5tupleINS8_6detail15normal_iteratorINS8_10device_ptrIiEEEESH_NS8_9null_typeESI_SI_SI_SI_SI_SI_SI_EEEENS9_21zip_adj_not_predicateI22is_equal_div_10_uniqueIiEEEEEPllNS8_4plusIlEEEE10hipError_tPvRmT1_T2_T3_mT4_P12ihipStream_tbEUlT_E0_NS1_11comp_targetILNS1_3genE5ELNS1_11target_archE942ELNS1_3gpuE9ELNS1_3repE0EEENS1_30default_config_static_selectorELNS0_4arch9wavefront6targetE1EEEvSW_,@function
_ZN7rocprim17ROCPRIM_400000_NS6detail17trampoline_kernelINS0_14default_configENS1_22reduce_config_selectorIlEEZNS1_11reduce_implILb1ES3_N6thrust23THRUST_200600_302600_NS11hip_rocprim26transform_input_iterator_tIlNS8_12zip_iteratorINS8_5tupleINS8_6detail15normal_iteratorINS8_10device_ptrIiEEEESH_NS8_9null_typeESI_SI_SI_SI_SI_SI_SI_EEEENS9_21zip_adj_not_predicateI22is_equal_div_10_uniqueIiEEEEEPllNS8_4plusIlEEEE10hipError_tPvRmT1_T2_T3_mT4_P12ihipStream_tbEUlT_E0_NS1_11comp_targetILNS1_3genE5ELNS1_11target_archE942ELNS1_3gpuE9ELNS1_3repE0EEENS1_30default_config_static_selectorELNS0_4arch9wavefront6targetE1EEEvSW_: ; @_ZN7rocprim17ROCPRIM_400000_NS6detail17trampoline_kernelINS0_14default_configENS1_22reduce_config_selectorIlEEZNS1_11reduce_implILb1ES3_N6thrust23THRUST_200600_302600_NS11hip_rocprim26transform_input_iterator_tIlNS8_12zip_iteratorINS8_5tupleINS8_6detail15normal_iteratorINS8_10device_ptrIiEEEESH_NS8_9null_typeESI_SI_SI_SI_SI_SI_SI_EEEENS9_21zip_adj_not_predicateI22is_equal_div_10_uniqueIiEEEEEPllNS8_4plusIlEEEE10hipError_tPvRmT1_T2_T3_mT4_P12ihipStream_tbEUlT_E0_NS1_11comp_targetILNS1_3genE5ELNS1_11target_archE942ELNS1_3gpuE9ELNS1_3repE0EEENS1_30default_config_static_selectorELNS0_4arch9wavefront6targetE1EEEvSW_
; %bb.0:
	.section	.rodata,"a",@progbits
	.p2align	6, 0x0
	.amdhsa_kernel _ZN7rocprim17ROCPRIM_400000_NS6detail17trampoline_kernelINS0_14default_configENS1_22reduce_config_selectorIlEEZNS1_11reduce_implILb1ES3_N6thrust23THRUST_200600_302600_NS11hip_rocprim26transform_input_iterator_tIlNS8_12zip_iteratorINS8_5tupleINS8_6detail15normal_iteratorINS8_10device_ptrIiEEEESH_NS8_9null_typeESI_SI_SI_SI_SI_SI_SI_EEEENS9_21zip_adj_not_predicateI22is_equal_div_10_uniqueIiEEEEEPllNS8_4plusIlEEEE10hipError_tPvRmT1_T2_T3_mT4_P12ihipStream_tbEUlT_E0_NS1_11comp_targetILNS1_3genE5ELNS1_11target_archE942ELNS1_3gpuE9ELNS1_3repE0EEENS1_30default_config_static_selectorELNS0_4arch9wavefront6targetE1EEEvSW_
		.amdhsa_group_segment_fixed_size 0
		.amdhsa_private_segment_fixed_size 0
		.amdhsa_kernarg_size 80
		.amdhsa_user_sgpr_count 6
		.amdhsa_user_sgpr_private_segment_buffer 1
		.amdhsa_user_sgpr_dispatch_ptr 0
		.amdhsa_user_sgpr_queue_ptr 0
		.amdhsa_user_sgpr_kernarg_segment_ptr 1
		.amdhsa_user_sgpr_dispatch_id 0
		.amdhsa_user_sgpr_flat_scratch_init 0
		.amdhsa_user_sgpr_private_segment_size 0
		.amdhsa_uses_dynamic_stack 0
		.amdhsa_system_sgpr_private_segment_wavefront_offset 0
		.amdhsa_system_sgpr_workgroup_id_x 1
		.amdhsa_system_sgpr_workgroup_id_y 0
		.amdhsa_system_sgpr_workgroup_id_z 0
		.amdhsa_system_sgpr_workgroup_info 0
		.amdhsa_system_vgpr_workitem_id 0
		.amdhsa_next_free_vgpr 1
		.amdhsa_next_free_sgpr 0
		.amdhsa_reserve_vcc 0
		.amdhsa_reserve_flat_scratch 0
		.amdhsa_float_round_mode_32 0
		.amdhsa_float_round_mode_16_64 0
		.amdhsa_float_denorm_mode_32 3
		.amdhsa_float_denorm_mode_16_64 3
		.amdhsa_dx10_clamp 1
		.amdhsa_ieee_mode 1
		.amdhsa_fp16_overflow 0
		.amdhsa_exception_fp_ieee_invalid_op 0
		.amdhsa_exception_fp_denorm_src 0
		.amdhsa_exception_fp_ieee_div_zero 0
		.amdhsa_exception_fp_ieee_overflow 0
		.amdhsa_exception_fp_ieee_underflow 0
		.amdhsa_exception_fp_ieee_inexact 0
		.amdhsa_exception_int_div_zero 0
	.end_amdhsa_kernel
	.section	.text._ZN7rocprim17ROCPRIM_400000_NS6detail17trampoline_kernelINS0_14default_configENS1_22reduce_config_selectorIlEEZNS1_11reduce_implILb1ES3_N6thrust23THRUST_200600_302600_NS11hip_rocprim26transform_input_iterator_tIlNS8_12zip_iteratorINS8_5tupleINS8_6detail15normal_iteratorINS8_10device_ptrIiEEEESH_NS8_9null_typeESI_SI_SI_SI_SI_SI_SI_EEEENS9_21zip_adj_not_predicateI22is_equal_div_10_uniqueIiEEEEEPllNS8_4plusIlEEEE10hipError_tPvRmT1_T2_T3_mT4_P12ihipStream_tbEUlT_E0_NS1_11comp_targetILNS1_3genE5ELNS1_11target_archE942ELNS1_3gpuE9ELNS1_3repE0EEENS1_30default_config_static_selectorELNS0_4arch9wavefront6targetE1EEEvSW_,"axG",@progbits,_ZN7rocprim17ROCPRIM_400000_NS6detail17trampoline_kernelINS0_14default_configENS1_22reduce_config_selectorIlEEZNS1_11reduce_implILb1ES3_N6thrust23THRUST_200600_302600_NS11hip_rocprim26transform_input_iterator_tIlNS8_12zip_iteratorINS8_5tupleINS8_6detail15normal_iteratorINS8_10device_ptrIiEEEESH_NS8_9null_typeESI_SI_SI_SI_SI_SI_SI_EEEENS9_21zip_adj_not_predicateI22is_equal_div_10_uniqueIiEEEEEPllNS8_4plusIlEEEE10hipError_tPvRmT1_T2_T3_mT4_P12ihipStream_tbEUlT_E0_NS1_11comp_targetILNS1_3genE5ELNS1_11target_archE942ELNS1_3gpuE9ELNS1_3repE0EEENS1_30default_config_static_selectorELNS0_4arch9wavefront6targetE1EEEvSW_,comdat
.Lfunc_end978:
	.size	_ZN7rocprim17ROCPRIM_400000_NS6detail17trampoline_kernelINS0_14default_configENS1_22reduce_config_selectorIlEEZNS1_11reduce_implILb1ES3_N6thrust23THRUST_200600_302600_NS11hip_rocprim26transform_input_iterator_tIlNS8_12zip_iteratorINS8_5tupleINS8_6detail15normal_iteratorINS8_10device_ptrIiEEEESH_NS8_9null_typeESI_SI_SI_SI_SI_SI_SI_EEEENS9_21zip_adj_not_predicateI22is_equal_div_10_uniqueIiEEEEEPllNS8_4plusIlEEEE10hipError_tPvRmT1_T2_T3_mT4_P12ihipStream_tbEUlT_E0_NS1_11comp_targetILNS1_3genE5ELNS1_11target_archE942ELNS1_3gpuE9ELNS1_3repE0EEENS1_30default_config_static_selectorELNS0_4arch9wavefront6targetE1EEEvSW_, .Lfunc_end978-_ZN7rocprim17ROCPRIM_400000_NS6detail17trampoline_kernelINS0_14default_configENS1_22reduce_config_selectorIlEEZNS1_11reduce_implILb1ES3_N6thrust23THRUST_200600_302600_NS11hip_rocprim26transform_input_iterator_tIlNS8_12zip_iteratorINS8_5tupleINS8_6detail15normal_iteratorINS8_10device_ptrIiEEEESH_NS8_9null_typeESI_SI_SI_SI_SI_SI_SI_EEEENS9_21zip_adj_not_predicateI22is_equal_div_10_uniqueIiEEEEEPllNS8_4plusIlEEEE10hipError_tPvRmT1_T2_T3_mT4_P12ihipStream_tbEUlT_E0_NS1_11comp_targetILNS1_3genE5ELNS1_11target_archE942ELNS1_3gpuE9ELNS1_3repE0EEENS1_30default_config_static_selectorELNS0_4arch9wavefront6targetE1EEEvSW_
                                        ; -- End function
	.set _ZN7rocprim17ROCPRIM_400000_NS6detail17trampoline_kernelINS0_14default_configENS1_22reduce_config_selectorIlEEZNS1_11reduce_implILb1ES3_N6thrust23THRUST_200600_302600_NS11hip_rocprim26transform_input_iterator_tIlNS8_12zip_iteratorINS8_5tupleINS8_6detail15normal_iteratorINS8_10device_ptrIiEEEESH_NS8_9null_typeESI_SI_SI_SI_SI_SI_SI_EEEENS9_21zip_adj_not_predicateI22is_equal_div_10_uniqueIiEEEEEPllNS8_4plusIlEEEE10hipError_tPvRmT1_T2_T3_mT4_P12ihipStream_tbEUlT_E0_NS1_11comp_targetILNS1_3genE5ELNS1_11target_archE942ELNS1_3gpuE9ELNS1_3repE0EEENS1_30default_config_static_selectorELNS0_4arch9wavefront6targetE1EEEvSW_.num_vgpr, 0
	.set _ZN7rocprim17ROCPRIM_400000_NS6detail17trampoline_kernelINS0_14default_configENS1_22reduce_config_selectorIlEEZNS1_11reduce_implILb1ES3_N6thrust23THRUST_200600_302600_NS11hip_rocprim26transform_input_iterator_tIlNS8_12zip_iteratorINS8_5tupleINS8_6detail15normal_iteratorINS8_10device_ptrIiEEEESH_NS8_9null_typeESI_SI_SI_SI_SI_SI_SI_EEEENS9_21zip_adj_not_predicateI22is_equal_div_10_uniqueIiEEEEEPllNS8_4plusIlEEEE10hipError_tPvRmT1_T2_T3_mT4_P12ihipStream_tbEUlT_E0_NS1_11comp_targetILNS1_3genE5ELNS1_11target_archE942ELNS1_3gpuE9ELNS1_3repE0EEENS1_30default_config_static_selectorELNS0_4arch9wavefront6targetE1EEEvSW_.num_agpr, 0
	.set _ZN7rocprim17ROCPRIM_400000_NS6detail17trampoline_kernelINS0_14default_configENS1_22reduce_config_selectorIlEEZNS1_11reduce_implILb1ES3_N6thrust23THRUST_200600_302600_NS11hip_rocprim26transform_input_iterator_tIlNS8_12zip_iteratorINS8_5tupleINS8_6detail15normal_iteratorINS8_10device_ptrIiEEEESH_NS8_9null_typeESI_SI_SI_SI_SI_SI_SI_EEEENS9_21zip_adj_not_predicateI22is_equal_div_10_uniqueIiEEEEEPllNS8_4plusIlEEEE10hipError_tPvRmT1_T2_T3_mT4_P12ihipStream_tbEUlT_E0_NS1_11comp_targetILNS1_3genE5ELNS1_11target_archE942ELNS1_3gpuE9ELNS1_3repE0EEENS1_30default_config_static_selectorELNS0_4arch9wavefront6targetE1EEEvSW_.numbered_sgpr, 0
	.set _ZN7rocprim17ROCPRIM_400000_NS6detail17trampoline_kernelINS0_14default_configENS1_22reduce_config_selectorIlEEZNS1_11reduce_implILb1ES3_N6thrust23THRUST_200600_302600_NS11hip_rocprim26transform_input_iterator_tIlNS8_12zip_iteratorINS8_5tupleINS8_6detail15normal_iteratorINS8_10device_ptrIiEEEESH_NS8_9null_typeESI_SI_SI_SI_SI_SI_SI_EEEENS9_21zip_adj_not_predicateI22is_equal_div_10_uniqueIiEEEEEPllNS8_4plusIlEEEE10hipError_tPvRmT1_T2_T3_mT4_P12ihipStream_tbEUlT_E0_NS1_11comp_targetILNS1_3genE5ELNS1_11target_archE942ELNS1_3gpuE9ELNS1_3repE0EEENS1_30default_config_static_selectorELNS0_4arch9wavefront6targetE1EEEvSW_.num_named_barrier, 0
	.set _ZN7rocprim17ROCPRIM_400000_NS6detail17trampoline_kernelINS0_14default_configENS1_22reduce_config_selectorIlEEZNS1_11reduce_implILb1ES3_N6thrust23THRUST_200600_302600_NS11hip_rocprim26transform_input_iterator_tIlNS8_12zip_iteratorINS8_5tupleINS8_6detail15normal_iteratorINS8_10device_ptrIiEEEESH_NS8_9null_typeESI_SI_SI_SI_SI_SI_SI_EEEENS9_21zip_adj_not_predicateI22is_equal_div_10_uniqueIiEEEEEPllNS8_4plusIlEEEE10hipError_tPvRmT1_T2_T3_mT4_P12ihipStream_tbEUlT_E0_NS1_11comp_targetILNS1_3genE5ELNS1_11target_archE942ELNS1_3gpuE9ELNS1_3repE0EEENS1_30default_config_static_selectorELNS0_4arch9wavefront6targetE1EEEvSW_.private_seg_size, 0
	.set _ZN7rocprim17ROCPRIM_400000_NS6detail17trampoline_kernelINS0_14default_configENS1_22reduce_config_selectorIlEEZNS1_11reduce_implILb1ES3_N6thrust23THRUST_200600_302600_NS11hip_rocprim26transform_input_iterator_tIlNS8_12zip_iteratorINS8_5tupleINS8_6detail15normal_iteratorINS8_10device_ptrIiEEEESH_NS8_9null_typeESI_SI_SI_SI_SI_SI_SI_EEEENS9_21zip_adj_not_predicateI22is_equal_div_10_uniqueIiEEEEEPllNS8_4plusIlEEEE10hipError_tPvRmT1_T2_T3_mT4_P12ihipStream_tbEUlT_E0_NS1_11comp_targetILNS1_3genE5ELNS1_11target_archE942ELNS1_3gpuE9ELNS1_3repE0EEENS1_30default_config_static_selectorELNS0_4arch9wavefront6targetE1EEEvSW_.uses_vcc, 0
	.set _ZN7rocprim17ROCPRIM_400000_NS6detail17trampoline_kernelINS0_14default_configENS1_22reduce_config_selectorIlEEZNS1_11reduce_implILb1ES3_N6thrust23THRUST_200600_302600_NS11hip_rocprim26transform_input_iterator_tIlNS8_12zip_iteratorINS8_5tupleINS8_6detail15normal_iteratorINS8_10device_ptrIiEEEESH_NS8_9null_typeESI_SI_SI_SI_SI_SI_SI_EEEENS9_21zip_adj_not_predicateI22is_equal_div_10_uniqueIiEEEEEPllNS8_4plusIlEEEE10hipError_tPvRmT1_T2_T3_mT4_P12ihipStream_tbEUlT_E0_NS1_11comp_targetILNS1_3genE5ELNS1_11target_archE942ELNS1_3gpuE9ELNS1_3repE0EEENS1_30default_config_static_selectorELNS0_4arch9wavefront6targetE1EEEvSW_.uses_flat_scratch, 0
	.set _ZN7rocprim17ROCPRIM_400000_NS6detail17trampoline_kernelINS0_14default_configENS1_22reduce_config_selectorIlEEZNS1_11reduce_implILb1ES3_N6thrust23THRUST_200600_302600_NS11hip_rocprim26transform_input_iterator_tIlNS8_12zip_iteratorINS8_5tupleINS8_6detail15normal_iteratorINS8_10device_ptrIiEEEESH_NS8_9null_typeESI_SI_SI_SI_SI_SI_SI_EEEENS9_21zip_adj_not_predicateI22is_equal_div_10_uniqueIiEEEEEPllNS8_4plusIlEEEE10hipError_tPvRmT1_T2_T3_mT4_P12ihipStream_tbEUlT_E0_NS1_11comp_targetILNS1_3genE5ELNS1_11target_archE942ELNS1_3gpuE9ELNS1_3repE0EEENS1_30default_config_static_selectorELNS0_4arch9wavefront6targetE1EEEvSW_.has_dyn_sized_stack, 0
	.set _ZN7rocprim17ROCPRIM_400000_NS6detail17trampoline_kernelINS0_14default_configENS1_22reduce_config_selectorIlEEZNS1_11reduce_implILb1ES3_N6thrust23THRUST_200600_302600_NS11hip_rocprim26transform_input_iterator_tIlNS8_12zip_iteratorINS8_5tupleINS8_6detail15normal_iteratorINS8_10device_ptrIiEEEESH_NS8_9null_typeESI_SI_SI_SI_SI_SI_SI_EEEENS9_21zip_adj_not_predicateI22is_equal_div_10_uniqueIiEEEEEPllNS8_4plusIlEEEE10hipError_tPvRmT1_T2_T3_mT4_P12ihipStream_tbEUlT_E0_NS1_11comp_targetILNS1_3genE5ELNS1_11target_archE942ELNS1_3gpuE9ELNS1_3repE0EEENS1_30default_config_static_selectorELNS0_4arch9wavefront6targetE1EEEvSW_.has_recursion, 0
	.set _ZN7rocprim17ROCPRIM_400000_NS6detail17trampoline_kernelINS0_14default_configENS1_22reduce_config_selectorIlEEZNS1_11reduce_implILb1ES3_N6thrust23THRUST_200600_302600_NS11hip_rocprim26transform_input_iterator_tIlNS8_12zip_iteratorINS8_5tupleINS8_6detail15normal_iteratorINS8_10device_ptrIiEEEESH_NS8_9null_typeESI_SI_SI_SI_SI_SI_SI_EEEENS9_21zip_adj_not_predicateI22is_equal_div_10_uniqueIiEEEEEPllNS8_4plusIlEEEE10hipError_tPvRmT1_T2_T3_mT4_P12ihipStream_tbEUlT_E0_NS1_11comp_targetILNS1_3genE5ELNS1_11target_archE942ELNS1_3gpuE9ELNS1_3repE0EEENS1_30default_config_static_selectorELNS0_4arch9wavefront6targetE1EEEvSW_.has_indirect_call, 0
	.section	.AMDGPU.csdata,"",@progbits
; Kernel info:
; codeLenInByte = 0
; TotalNumSgprs: 4
; NumVgprs: 0
; ScratchSize: 0
; MemoryBound: 0
; FloatMode: 240
; IeeeMode: 1
; LDSByteSize: 0 bytes/workgroup (compile time only)
; SGPRBlocks: 0
; VGPRBlocks: 0
; NumSGPRsForWavesPerEU: 4
; NumVGPRsForWavesPerEU: 1
; Occupancy: 10
; WaveLimiterHint : 0
; COMPUTE_PGM_RSRC2:SCRATCH_EN: 0
; COMPUTE_PGM_RSRC2:USER_SGPR: 6
; COMPUTE_PGM_RSRC2:TRAP_HANDLER: 0
; COMPUTE_PGM_RSRC2:TGID_X_EN: 1
; COMPUTE_PGM_RSRC2:TGID_Y_EN: 0
; COMPUTE_PGM_RSRC2:TGID_Z_EN: 0
; COMPUTE_PGM_RSRC2:TIDIG_COMP_CNT: 0
	.section	.text._ZN7rocprim17ROCPRIM_400000_NS6detail17trampoline_kernelINS0_14default_configENS1_22reduce_config_selectorIlEEZNS1_11reduce_implILb1ES3_N6thrust23THRUST_200600_302600_NS11hip_rocprim26transform_input_iterator_tIlNS8_12zip_iteratorINS8_5tupleINS8_6detail15normal_iteratorINS8_10device_ptrIiEEEESH_NS8_9null_typeESI_SI_SI_SI_SI_SI_SI_EEEENS9_21zip_adj_not_predicateI22is_equal_div_10_uniqueIiEEEEEPllNS8_4plusIlEEEE10hipError_tPvRmT1_T2_T3_mT4_P12ihipStream_tbEUlT_E0_NS1_11comp_targetILNS1_3genE4ELNS1_11target_archE910ELNS1_3gpuE8ELNS1_3repE0EEENS1_30default_config_static_selectorELNS0_4arch9wavefront6targetE1EEEvSW_,"axG",@progbits,_ZN7rocprim17ROCPRIM_400000_NS6detail17trampoline_kernelINS0_14default_configENS1_22reduce_config_selectorIlEEZNS1_11reduce_implILb1ES3_N6thrust23THRUST_200600_302600_NS11hip_rocprim26transform_input_iterator_tIlNS8_12zip_iteratorINS8_5tupleINS8_6detail15normal_iteratorINS8_10device_ptrIiEEEESH_NS8_9null_typeESI_SI_SI_SI_SI_SI_SI_EEEENS9_21zip_adj_not_predicateI22is_equal_div_10_uniqueIiEEEEEPllNS8_4plusIlEEEE10hipError_tPvRmT1_T2_T3_mT4_P12ihipStream_tbEUlT_E0_NS1_11comp_targetILNS1_3genE4ELNS1_11target_archE910ELNS1_3gpuE8ELNS1_3repE0EEENS1_30default_config_static_selectorELNS0_4arch9wavefront6targetE1EEEvSW_,comdat
	.protected	_ZN7rocprim17ROCPRIM_400000_NS6detail17trampoline_kernelINS0_14default_configENS1_22reduce_config_selectorIlEEZNS1_11reduce_implILb1ES3_N6thrust23THRUST_200600_302600_NS11hip_rocprim26transform_input_iterator_tIlNS8_12zip_iteratorINS8_5tupleINS8_6detail15normal_iteratorINS8_10device_ptrIiEEEESH_NS8_9null_typeESI_SI_SI_SI_SI_SI_SI_EEEENS9_21zip_adj_not_predicateI22is_equal_div_10_uniqueIiEEEEEPllNS8_4plusIlEEEE10hipError_tPvRmT1_T2_T3_mT4_P12ihipStream_tbEUlT_E0_NS1_11comp_targetILNS1_3genE4ELNS1_11target_archE910ELNS1_3gpuE8ELNS1_3repE0EEENS1_30default_config_static_selectorELNS0_4arch9wavefront6targetE1EEEvSW_ ; -- Begin function _ZN7rocprim17ROCPRIM_400000_NS6detail17trampoline_kernelINS0_14default_configENS1_22reduce_config_selectorIlEEZNS1_11reduce_implILb1ES3_N6thrust23THRUST_200600_302600_NS11hip_rocprim26transform_input_iterator_tIlNS8_12zip_iteratorINS8_5tupleINS8_6detail15normal_iteratorINS8_10device_ptrIiEEEESH_NS8_9null_typeESI_SI_SI_SI_SI_SI_SI_EEEENS9_21zip_adj_not_predicateI22is_equal_div_10_uniqueIiEEEEEPllNS8_4plusIlEEEE10hipError_tPvRmT1_T2_T3_mT4_P12ihipStream_tbEUlT_E0_NS1_11comp_targetILNS1_3genE4ELNS1_11target_archE910ELNS1_3gpuE8ELNS1_3repE0EEENS1_30default_config_static_selectorELNS0_4arch9wavefront6targetE1EEEvSW_
	.globl	_ZN7rocprim17ROCPRIM_400000_NS6detail17trampoline_kernelINS0_14default_configENS1_22reduce_config_selectorIlEEZNS1_11reduce_implILb1ES3_N6thrust23THRUST_200600_302600_NS11hip_rocprim26transform_input_iterator_tIlNS8_12zip_iteratorINS8_5tupleINS8_6detail15normal_iteratorINS8_10device_ptrIiEEEESH_NS8_9null_typeESI_SI_SI_SI_SI_SI_SI_EEEENS9_21zip_adj_not_predicateI22is_equal_div_10_uniqueIiEEEEEPllNS8_4plusIlEEEE10hipError_tPvRmT1_T2_T3_mT4_P12ihipStream_tbEUlT_E0_NS1_11comp_targetILNS1_3genE4ELNS1_11target_archE910ELNS1_3gpuE8ELNS1_3repE0EEENS1_30default_config_static_selectorELNS0_4arch9wavefront6targetE1EEEvSW_
	.p2align	8
	.type	_ZN7rocprim17ROCPRIM_400000_NS6detail17trampoline_kernelINS0_14default_configENS1_22reduce_config_selectorIlEEZNS1_11reduce_implILb1ES3_N6thrust23THRUST_200600_302600_NS11hip_rocprim26transform_input_iterator_tIlNS8_12zip_iteratorINS8_5tupleINS8_6detail15normal_iteratorINS8_10device_ptrIiEEEESH_NS8_9null_typeESI_SI_SI_SI_SI_SI_SI_EEEENS9_21zip_adj_not_predicateI22is_equal_div_10_uniqueIiEEEEEPllNS8_4plusIlEEEE10hipError_tPvRmT1_T2_T3_mT4_P12ihipStream_tbEUlT_E0_NS1_11comp_targetILNS1_3genE4ELNS1_11target_archE910ELNS1_3gpuE8ELNS1_3repE0EEENS1_30default_config_static_selectorELNS0_4arch9wavefront6targetE1EEEvSW_,@function
_ZN7rocprim17ROCPRIM_400000_NS6detail17trampoline_kernelINS0_14default_configENS1_22reduce_config_selectorIlEEZNS1_11reduce_implILb1ES3_N6thrust23THRUST_200600_302600_NS11hip_rocprim26transform_input_iterator_tIlNS8_12zip_iteratorINS8_5tupleINS8_6detail15normal_iteratorINS8_10device_ptrIiEEEESH_NS8_9null_typeESI_SI_SI_SI_SI_SI_SI_EEEENS9_21zip_adj_not_predicateI22is_equal_div_10_uniqueIiEEEEEPllNS8_4plusIlEEEE10hipError_tPvRmT1_T2_T3_mT4_P12ihipStream_tbEUlT_E0_NS1_11comp_targetILNS1_3genE4ELNS1_11target_archE910ELNS1_3gpuE8ELNS1_3repE0EEENS1_30default_config_static_selectorELNS0_4arch9wavefront6targetE1EEEvSW_: ; @_ZN7rocprim17ROCPRIM_400000_NS6detail17trampoline_kernelINS0_14default_configENS1_22reduce_config_selectorIlEEZNS1_11reduce_implILb1ES3_N6thrust23THRUST_200600_302600_NS11hip_rocprim26transform_input_iterator_tIlNS8_12zip_iteratorINS8_5tupleINS8_6detail15normal_iteratorINS8_10device_ptrIiEEEESH_NS8_9null_typeESI_SI_SI_SI_SI_SI_SI_EEEENS9_21zip_adj_not_predicateI22is_equal_div_10_uniqueIiEEEEEPllNS8_4plusIlEEEE10hipError_tPvRmT1_T2_T3_mT4_P12ihipStream_tbEUlT_E0_NS1_11comp_targetILNS1_3genE4ELNS1_11target_archE910ELNS1_3gpuE8ELNS1_3repE0EEENS1_30default_config_static_selectorELNS0_4arch9wavefront6targetE1EEEvSW_
; %bb.0:
	.section	.rodata,"a",@progbits
	.p2align	6, 0x0
	.amdhsa_kernel _ZN7rocprim17ROCPRIM_400000_NS6detail17trampoline_kernelINS0_14default_configENS1_22reduce_config_selectorIlEEZNS1_11reduce_implILb1ES3_N6thrust23THRUST_200600_302600_NS11hip_rocprim26transform_input_iterator_tIlNS8_12zip_iteratorINS8_5tupleINS8_6detail15normal_iteratorINS8_10device_ptrIiEEEESH_NS8_9null_typeESI_SI_SI_SI_SI_SI_SI_EEEENS9_21zip_adj_not_predicateI22is_equal_div_10_uniqueIiEEEEEPllNS8_4plusIlEEEE10hipError_tPvRmT1_T2_T3_mT4_P12ihipStream_tbEUlT_E0_NS1_11comp_targetILNS1_3genE4ELNS1_11target_archE910ELNS1_3gpuE8ELNS1_3repE0EEENS1_30default_config_static_selectorELNS0_4arch9wavefront6targetE1EEEvSW_
		.amdhsa_group_segment_fixed_size 0
		.amdhsa_private_segment_fixed_size 0
		.amdhsa_kernarg_size 80
		.amdhsa_user_sgpr_count 6
		.amdhsa_user_sgpr_private_segment_buffer 1
		.amdhsa_user_sgpr_dispatch_ptr 0
		.amdhsa_user_sgpr_queue_ptr 0
		.amdhsa_user_sgpr_kernarg_segment_ptr 1
		.amdhsa_user_sgpr_dispatch_id 0
		.amdhsa_user_sgpr_flat_scratch_init 0
		.amdhsa_user_sgpr_private_segment_size 0
		.amdhsa_uses_dynamic_stack 0
		.amdhsa_system_sgpr_private_segment_wavefront_offset 0
		.amdhsa_system_sgpr_workgroup_id_x 1
		.amdhsa_system_sgpr_workgroup_id_y 0
		.amdhsa_system_sgpr_workgroup_id_z 0
		.amdhsa_system_sgpr_workgroup_info 0
		.amdhsa_system_vgpr_workitem_id 0
		.amdhsa_next_free_vgpr 1
		.amdhsa_next_free_sgpr 0
		.amdhsa_reserve_vcc 0
		.amdhsa_reserve_flat_scratch 0
		.amdhsa_float_round_mode_32 0
		.amdhsa_float_round_mode_16_64 0
		.amdhsa_float_denorm_mode_32 3
		.amdhsa_float_denorm_mode_16_64 3
		.amdhsa_dx10_clamp 1
		.amdhsa_ieee_mode 1
		.amdhsa_fp16_overflow 0
		.amdhsa_exception_fp_ieee_invalid_op 0
		.amdhsa_exception_fp_denorm_src 0
		.amdhsa_exception_fp_ieee_div_zero 0
		.amdhsa_exception_fp_ieee_overflow 0
		.amdhsa_exception_fp_ieee_underflow 0
		.amdhsa_exception_fp_ieee_inexact 0
		.amdhsa_exception_int_div_zero 0
	.end_amdhsa_kernel
	.section	.text._ZN7rocprim17ROCPRIM_400000_NS6detail17trampoline_kernelINS0_14default_configENS1_22reduce_config_selectorIlEEZNS1_11reduce_implILb1ES3_N6thrust23THRUST_200600_302600_NS11hip_rocprim26transform_input_iterator_tIlNS8_12zip_iteratorINS8_5tupleINS8_6detail15normal_iteratorINS8_10device_ptrIiEEEESH_NS8_9null_typeESI_SI_SI_SI_SI_SI_SI_EEEENS9_21zip_adj_not_predicateI22is_equal_div_10_uniqueIiEEEEEPllNS8_4plusIlEEEE10hipError_tPvRmT1_T2_T3_mT4_P12ihipStream_tbEUlT_E0_NS1_11comp_targetILNS1_3genE4ELNS1_11target_archE910ELNS1_3gpuE8ELNS1_3repE0EEENS1_30default_config_static_selectorELNS0_4arch9wavefront6targetE1EEEvSW_,"axG",@progbits,_ZN7rocprim17ROCPRIM_400000_NS6detail17trampoline_kernelINS0_14default_configENS1_22reduce_config_selectorIlEEZNS1_11reduce_implILb1ES3_N6thrust23THRUST_200600_302600_NS11hip_rocprim26transform_input_iterator_tIlNS8_12zip_iteratorINS8_5tupleINS8_6detail15normal_iteratorINS8_10device_ptrIiEEEESH_NS8_9null_typeESI_SI_SI_SI_SI_SI_SI_EEEENS9_21zip_adj_not_predicateI22is_equal_div_10_uniqueIiEEEEEPllNS8_4plusIlEEEE10hipError_tPvRmT1_T2_T3_mT4_P12ihipStream_tbEUlT_E0_NS1_11comp_targetILNS1_3genE4ELNS1_11target_archE910ELNS1_3gpuE8ELNS1_3repE0EEENS1_30default_config_static_selectorELNS0_4arch9wavefront6targetE1EEEvSW_,comdat
.Lfunc_end979:
	.size	_ZN7rocprim17ROCPRIM_400000_NS6detail17trampoline_kernelINS0_14default_configENS1_22reduce_config_selectorIlEEZNS1_11reduce_implILb1ES3_N6thrust23THRUST_200600_302600_NS11hip_rocprim26transform_input_iterator_tIlNS8_12zip_iteratorINS8_5tupleINS8_6detail15normal_iteratorINS8_10device_ptrIiEEEESH_NS8_9null_typeESI_SI_SI_SI_SI_SI_SI_EEEENS9_21zip_adj_not_predicateI22is_equal_div_10_uniqueIiEEEEEPllNS8_4plusIlEEEE10hipError_tPvRmT1_T2_T3_mT4_P12ihipStream_tbEUlT_E0_NS1_11comp_targetILNS1_3genE4ELNS1_11target_archE910ELNS1_3gpuE8ELNS1_3repE0EEENS1_30default_config_static_selectorELNS0_4arch9wavefront6targetE1EEEvSW_, .Lfunc_end979-_ZN7rocprim17ROCPRIM_400000_NS6detail17trampoline_kernelINS0_14default_configENS1_22reduce_config_selectorIlEEZNS1_11reduce_implILb1ES3_N6thrust23THRUST_200600_302600_NS11hip_rocprim26transform_input_iterator_tIlNS8_12zip_iteratorINS8_5tupleINS8_6detail15normal_iteratorINS8_10device_ptrIiEEEESH_NS8_9null_typeESI_SI_SI_SI_SI_SI_SI_EEEENS9_21zip_adj_not_predicateI22is_equal_div_10_uniqueIiEEEEEPllNS8_4plusIlEEEE10hipError_tPvRmT1_T2_T3_mT4_P12ihipStream_tbEUlT_E0_NS1_11comp_targetILNS1_3genE4ELNS1_11target_archE910ELNS1_3gpuE8ELNS1_3repE0EEENS1_30default_config_static_selectorELNS0_4arch9wavefront6targetE1EEEvSW_
                                        ; -- End function
	.set _ZN7rocprim17ROCPRIM_400000_NS6detail17trampoline_kernelINS0_14default_configENS1_22reduce_config_selectorIlEEZNS1_11reduce_implILb1ES3_N6thrust23THRUST_200600_302600_NS11hip_rocprim26transform_input_iterator_tIlNS8_12zip_iteratorINS8_5tupleINS8_6detail15normal_iteratorINS8_10device_ptrIiEEEESH_NS8_9null_typeESI_SI_SI_SI_SI_SI_SI_EEEENS9_21zip_adj_not_predicateI22is_equal_div_10_uniqueIiEEEEEPllNS8_4plusIlEEEE10hipError_tPvRmT1_T2_T3_mT4_P12ihipStream_tbEUlT_E0_NS1_11comp_targetILNS1_3genE4ELNS1_11target_archE910ELNS1_3gpuE8ELNS1_3repE0EEENS1_30default_config_static_selectorELNS0_4arch9wavefront6targetE1EEEvSW_.num_vgpr, 0
	.set _ZN7rocprim17ROCPRIM_400000_NS6detail17trampoline_kernelINS0_14default_configENS1_22reduce_config_selectorIlEEZNS1_11reduce_implILb1ES3_N6thrust23THRUST_200600_302600_NS11hip_rocprim26transform_input_iterator_tIlNS8_12zip_iteratorINS8_5tupleINS8_6detail15normal_iteratorINS8_10device_ptrIiEEEESH_NS8_9null_typeESI_SI_SI_SI_SI_SI_SI_EEEENS9_21zip_adj_not_predicateI22is_equal_div_10_uniqueIiEEEEEPllNS8_4plusIlEEEE10hipError_tPvRmT1_T2_T3_mT4_P12ihipStream_tbEUlT_E0_NS1_11comp_targetILNS1_3genE4ELNS1_11target_archE910ELNS1_3gpuE8ELNS1_3repE0EEENS1_30default_config_static_selectorELNS0_4arch9wavefront6targetE1EEEvSW_.num_agpr, 0
	.set _ZN7rocprim17ROCPRIM_400000_NS6detail17trampoline_kernelINS0_14default_configENS1_22reduce_config_selectorIlEEZNS1_11reduce_implILb1ES3_N6thrust23THRUST_200600_302600_NS11hip_rocprim26transform_input_iterator_tIlNS8_12zip_iteratorINS8_5tupleINS8_6detail15normal_iteratorINS8_10device_ptrIiEEEESH_NS8_9null_typeESI_SI_SI_SI_SI_SI_SI_EEEENS9_21zip_adj_not_predicateI22is_equal_div_10_uniqueIiEEEEEPllNS8_4plusIlEEEE10hipError_tPvRmT1_T2_T3_mT4_P12ihipStream_tbEUlT_E0_NS1_11comp_targetILNS1_3genE4ELNS1_11target_archE910ELNS1_3gpuE8ELNS1_3repE0EEENS1_30default_config_static_selectorELNS0_4arch9wavefront6targetE1EEEvSW_.numbered_sgpr, 0
	.set _ZN7rocprim17ROCPRIM_400000_NS6detail17trampoline_kernelINS0_14default_configENS1_22reduce_config_selectorIlEEZNS1_11reduce_implILb1ES3_N6thrust23THRUST_200600_302600_NS11hip_rocprim26transform_input_iterator_tIlNS8_12zip_iteratorINS8_5tupleINS8_6detail15normal_iteratorINS8_10device_ptrIiEEEESH_NS8_9null_typeESI_SI_SI_SI_SI_SI_SI_EEEENS9_21zip_adj_not_predicateI22is_equal_div_10_uniqueIiEEEEEPllNS8_4plusIlEEEE10hipError_tPvRmT1_T2_T3_mT4_P12ihipStream_tbEUlT_E0_NS1_11comp_targetILNS1_3genE4ELNS1_11target_archE910ELNS1_3gpuE8ELNS1_3repE0EEENS1_30default_config_static_selectorELNS0_4arch9wavefront6targetE1EEEvSW_.num_named_barrier, 0
	.set _ZN7rocprim17ROCPRIM_400000_NS6detail17trampoline_kernelINS0_14default_configENS1_22reduce_config_selectorIlEEZNS1_11reduce_implILb1ES3_N6thrust23THRUST_200600_302600_NS11hip_rocprim26transform_input_iterator_tIlNS8_12zip_iteratorINS8_5tupleINS8_6detail15normal_iteratorINS8_10device_ptrIiEEEESH_NS8_9null_typeESI_SI_SI_SI_SI_SI_SI_EEEENS9_21zip_adj_not_predicateI22is_equal_div_10_uniqueIiEEEEEPllNS8_4plusIlEEEE10hipError_tPvRmT1_T2_T3_mT4_P12ihipStream_tbEUlT_E0_NS1_11comp_targetILNS1_3genE4ELNS1_11target_archE910ELNS1_3gpuE8ELNS1_3repE0EEENS1_30default_config_static_selectorELNS0_4arch9wavefront6targetE1EEEvSW_.private_seg_size, 0
	.set _ZN7rocprim17ROCPRIM_400000_NS6detail17trampoline_kernelINS0_14default_configENS1_22reduce_config_selectorIlEEZNS1_11reduce_implILb1ES3_N6thrust23THRUST_200600_302600_NS11hip_rocprim26transform_input_iterator_tIlNS8_12zip_iteratorINS8_5tupleINS8_6detail15normal_iteratorINS8_10device_ptrIiEEEESH_NS8_9null_typeESI_SI_SI_SI_SI_SI_SI_EEEENS9_21zip_adj_not_predicateI22is_equal_div_10_uniqueIiEEEEEPllNS8_4plusIlEEEE10hipError_tPvRmT1_T2_T3_mT4_P12ihipStream_tbEUlT_E0_NS1_11comp_targetILNS1_3genE4ELNS1_11target_archE910ELNS1_3gpuE8ELNS1_3repE0EEENS1_30default_config_static_selectorELNS0_4arch9wavefront6targetE1EEEvSW_.uses_vcc, 0
	.set _ZN7rocprim17ROCPRIM_400000_NS6detail17trampoline_kernelINS0_14default_configENS1_22reduce_config_selectorIlEEZNS1_11reduce_implILb1ES3_N6thrust23THRUST_200600_302600_NS11hip_rocprim26transform_input_iterator_tIlNS8_12zip_iteratorINS8_5tupleINS8_6detail15normal_iteratorINS8_10device_ptrIiEEEESH_NS8_9null_typeESI_SI_SI_SI_SI_SI_SI_EEEENS9_21zip_adj_not_predicateI22is_equal_div_10_uniqueIiEEEEEPllNS8_4plusIlEEEE10hipError_tPvRmT1_T2_T3_mT4_P12ihipStream_tbEUlT_E0_NS1_11comp_targetILNS1_3genE4ELNS1_11target_archE910ELNS1_3gpuE8ELNS1_3repE0EEENS1_30default_config_static_selectorELNS0_4arch9wavefront6targetE1EEEvSW_.uses_flat_scratch, 0
	.set _ZN7rocprim17ROCPRIM_400000_NS6detail17trampoline_kernelINS0_14default_configENS1_22reduce_config_selectorIlEEZNS1_11reduce_implILb1ES3_N6thrust23THRUST_200600_302600_NS11hip_rocprim26transform_input_iterator_tIlNS8_12zip_iteratorINS8_5tupleINS8_6detail15normal_iteratorINS8_10device_ptrIiEEEESH_NS8_9null_typeESI_SI_SI_SI_SI_SI_SI_EEEENS9_21zip_adj_not_predicateI22is_equal_div_10_uniqueIiEEEEEPllNS8_4plusIlEEEE10hipError_tPvRmT1_T2_T3_mT4_P12ihipStream_tbEUlT_E0_NS1_11comp_targetILNS1_3genE4ELNS1_11target_archE910ELNS1_3gpuE8ELNS1_3repE0EEENS1_30default_config_static_selectorELNS0_4arch9wavefront6targetE1EEEvSW_.has_dyn_sized_stack, 0
	.set _ZN7rocprim17ROCPRIM_400000_NS6detail17trampoline_kernelINS0_14default_configENS1_22reduce_config_selectorIlEEZNS1_11reduce_implILb1ES3_N6thrust23THRUST_200600_302600_NS11hip_rocprim26transform_input_iterator_tIlNS8_12zip_iteratorINS8_5tupleINS8_6detail15normal_iteratorINS8_10device_ptrIiEEEESH_NS8_9null_typeESI_SI_SI_SI_SI_SI_SI_EEEENS9_21zip_adj_not_predicateI22is_equal_div_10_uniqueIiEEEEEPllNS8_4plusIlEEEE10hipError_tPvRmT1_T2_T3_mT4_P12ihipStream_tbEUlT_E0_NS1_11comp_targetILNS1_3genE4ELNS1_11target_archE910ELNS1_3gpuE8ELNS1_3repE0EEENS1_30default_config_static_selectorELNS0_4arch9wavefront6targetE1EEEvSW_.has_recursion, 0
	.set _ZN7rocprim17ROCPRIM_400000_NS6detail17trampoline_kernelINS0_14default_configENS1_22reduce_config_selectorIlEEZNS1_11reduce_implILb1ES3_N6thrust23THRUST_200600_302600_NS11hip_rocprim26transform_input_iterator_tIlNS8_12zip_iteratorINS8_5tupleINS8_6detail15normal_iteratorINS8_10device_ptrIiEEEESH_NS8_9null_typeESI_SI_SI_SI_SI_SI_SI_EEEENS9_21zip_adj_not_predicateI22is_equal_div_10_uniqueIiEEEEEPllNS8_4plusIlEEEE10hipError_tPvRmT1_T2_T3_mT4_P12ihipStream_tbEUlT_E0_NS1_11comp_targetILNS1_3genE4ELNS1_11target_archE910ELNS1_3gpuE8ELNS1_3repE0EEENS1_30default_config_static_selectorELNS0_4arch9wavefront6targetE1EEEvSW_.has_indirect_call, 0
	.section	.AMDGPU.csdata,"",@progbits
; Kernel info:
; codeLenInByte = 0
; TotalNumSgprs: 4
; NumVgprs: 0
; ScratchSize: 0
; MemoryBound: 0
; FloatMode: 240
; IeeeMode: 1
; LDSByteSize: 0 bytes/workgroup (compile time only)
; SGPRBlocks: 0
; VGPRBlocks: 0
; NumSGPRsForWavesPerEU: 4
; NumVGPRsForWavesPerEU: 1
; Occupancy: 10
; WaveLimiterHint : 0
; COMPUTE_PGM_RSRC2:SCRATCH_EN: 0
; COMPUTE_PGM_RSRC2:USER_SGPR: 6
; COMPUTE_PGM_RSRC2:TRAP_HANDLER: 0
; COMPUTE_PGM_RSRC2:TGID_X_EN: 1
; COMPUTE_PGM_RSRC2:TGID_Y_EN: 0
; COMPUTE_PGM_RSRC2:TGID_Z_EN: 0
; COMPUTE_PGM_RSRC2:TIDIG_COMP_CNT: 0
	.section	.text._ZN7rocprim17ROCPRIM_400000_NS6detail17trampoline_kernelINS0_14default_configENS1_22reduce_config_selectorIlEEZNS1_11reduce_implILb1ES3_N6thrust23THRUST_200600_302600_NS11hip_rocprim26transform_input_iterator_tIlNS8_12zip_iteratorINS8_5tupleINS8_6detail15normal_iteratorINS8_10device_ptrIiEEEESH_NS8_9null_typeESI_SI_SI_SI_SI_SI_SI_EEEENS9_21zip_adj_not_predicateI22is_equal_div_10_uniqueIiEEEEEPllNS8_4plusIlEEEE10hipError_tPvRmT1_T2_T3_mT4_P12ihipStream_tbEUlT_E0_NS1_11comp_targetILNS1_3genE3ELNS1_11target_archE908ELNS1_3gpuE7ELNS1_3repE0EEENS1_30default_config_static_selectorELNS0_4arch9wavefront6targetE1EEEvSW_,"axG",@progbits,_ZN7rocprim17ROCPRIM_400000_NS6detail17trampoline_kernelINS0_14default_configENS1_22reduce_config_selectorIlEEZNS1_11reduce_implILb1ES3_N6thrust23THRUST_200600_302600_NS11hip_rocprim26transform_input_iterator_tIlNS8_12zip_iteratorINS8_5tupleINS8_6detail15normal_iteratorINS8_10device_ptrIiEEEESH_NS8_9null_typeESI_SI_SI_SI_SI_SI_SI_EEEENS9_21zip_adj_not_predicateI22is_equal_div_10_uniqueIiEEEEEPllNS8_4plusIlEEEE10hipError_tPvRmT1_T2_T3_mT4_P12ihipStream_tbEUlT_E0_NS1_11comp_targetILNS1_3genE3ELNS1_11target_archE908ELNS1_3gpuE7ELNS1_3repE0EEENS1_30default_config_static_selectorELNS0_4arch9wavefront6targetE1EEEvSW_,comdat
	.protected	_ZN7rocprim17ROCPRIM_400000_NS6detail17trampoline_kernelINS0_14default_configENS1_22reduce_config_selectorIlEEZNS1_11reduce_implILb1ES3_N6thrust23THRUST_200600_302600_NS11hip_rocprim26transform_input_iterator_tIlNS8_12zip_iteratorINS8_5tupleINS8_6detail15normal_iteratorINS8_10device_ptrIiEEEESH_NS8_9null_typeESI_SI_SI_SI_SI_SI_SI_EEEENS9_21zip_adj_not_predicateI22is_equal_div_10_uniqueIiEEEEEPllNS8_4plusIlEEEE10hipError_tPvRmT1_T2_T3_mT4_P12ihipStream_tbEUlT_E0_NS1_11comp_targetILNS1_3genE3ELNS1_11target_archE908ELNS1_3gpuE7ELNS1_3repE0EEENS1_30default_config_static_selectorELNS0_4arch9wavefront6targetE1EEEvSW_ ; -- Begin function _ZN7rocprim17ROCPRIM_400000_NS6detail17trampoline_kernelINS0_14default_configENS1_22reduce_config_selectorIlEEZNS1_11reduce_implILb1ES3_N6thrust23THRUST_200600_302600_NS11hip_rocprim26transform_input_iterator_tIlNS8_12zip_iteratorINS8_5tupleINS8_6detail15normal_iteratorINS8_10device_ptrIiEEEESH_NS8_9null_typeESI_SI_SI_SI_SI_SI_SI_EEEENS9_21zip_adj_not_predicateI22is_equal_div_10_uniqueIiEEEEEPllNS8_4plusIlEEEE10hipError_tPvRmT1_T2_T3_mT4_P12ihipStream_tbEUlT_E0_NS1_11comp_targetILNS1_3genE3ELNS1_11target_archE908ELNS1_3gpuE7ELNS1_3repE0EEENS1_30default_config_static_selectorELNS0_4arch9wavefront6targetE1EEEvSW_
	.globl	_ZN7rocprim17ROCPRIM_400000_NS6detail17trampoline_kernelINS0_14default_configENS1_22reduce_config_selectorIlEEZNS1_11reduce_implILb1ES3_N6thrust23THRUST_200600_302600_NS11hip_rocprim26transform_input_iterator_tIlNS8_12zip_iteratorINS8_5tupleINS8_6detail15normal_iteratorINS8_10device_ptrIiEEEESH_NS8_9null_typeESI_SI_SI_SI_SI_SI_SI_EEEENS9_21zip_adj_not_predicateI22is_equal_div_10_uniqueIiEEEEEPllNS8_4plusIlEEEE10hipError_tPvRmT1_T2_T3_mT4_P12ihipStream_tbEUlT_E0_NS1_11comp_targetILNS1_3genE3ELNS1_11target_archE908ELNS1_3gpuE7ELNS1_3repE0EEENS1_30default_config_static_selectorELNS0_4arch9wavefront6targetE1EEEvSW_
	.p2align	8
	.type	_ZN7rocprim17ROCPRIM_400000_NS6detail17trampoline_kernelINS0_14default_configENS1_22reduce_config_selectorIlEEZNS1_11reduce_implILb1ES3_N6thrust23THRUST_200600_302600_NS11hip_rocprim26transform_input_iterator_tIlNS8_12zip_iteratorINS8_5tupleINS8_6detail15normal_iteratorINS8_10device_ptrIiEEEESH_NS8_9null_typeESI_SI_SI_SI_SI_SI_SI_EEEENS9_21zip_adj_not_predicateI22is_equal_div_10_uniqueIiEEEEEPllNS8_4plusIlEEEE10hipError_tPvRmT1_T2_T3_mT4_P12ihipStream_tbEUlT_E0_NS1_11comp_targetILNS1_3genE3ELNS1_11target_archE908ELNS1_3gpuE7ELNS1_3repE0EEENS1_30default_config_static_selectorELNS0_4arch9wavefront6targetE1EEEvSW_,@function
_ZN7rocprim17ROCPRIM_400000_NS6detail17trampoline_kernelINS0_14default_configENS1_22reduce_config_selectorIlEEZNS1_11reduce_implILb1ES3_N6thrust23THRUST_200600_302600_NS11hip_rocprim26transform_input_iterator_tIlNS8_12zip_iteratorINS8_5tupleINS8_6detail15normal_iteratorINS8_10device_ptrIiEEEESH_NS8_9null_typeESI_SI_SI_SI_SI_SI_SI_EEEENS9_21zip_adj_not_predicateI22is_equal_div_10_uniqueIiEEEEEPllNS8_4plusIlEEEE10hipError_tPvRmT1_T2_T3_mT4_P12ihipStream_tbEUlT_E0_NS1_11comp_targetILNS1_3genE3ELNS1_11target_archE908ELNS1_3gpuE7ELNS1_3repE0EEENS1_30default_config_static_selectorELNS0_4arch9wavefront6targetE1EEEvSW_: ; @_ZN7rocprim17ROCPRIM_400000_NS6detail17trampoline_kernelINS0_14default_configENS1_22reduce_config_selectorIlEEZNS1_11reduce_implILb1ES3_N6thrust23THRUST_200600_302600_NS11hip_rocprim26transform_input_iterator_tIlNS8_12zip_iteratorINS8_5tupleINS8_6detail15normal_iteratorINS8_10device_ptrIiEEEESH_NS8_9null_typeESI_SI_SI_SI_SI_SI_SI_EEEENS9_21zip_adj_not_predicateI22is_equal_div_10_uniqueIiEEEEEPllNS8_4plusIlEEEE10hipError_tPvRmT1_T2_T3_mT4_P12ihipStream_tbEUlT_E0_NS1_11comp_targetILNS1_3genE3ELNS1_11target_archE908ELNS1_3gpuE7ELNS1_3repE0EEENS1_30default_config_static_selectorELNS0_4arch9wavefront6targetE1EEEvSW_
; %bb.0:
	.section	.rodata,"a",@progbits
	.p2align	6, 0x0
	.amdhsa_kernel _ZN7rocprim17ROCPRIM_400000_NS6detail17trampoline_kernelINS0_14default_configENS1_22reduce_config_selectorIlEEZNS1_11reduce_implILb1ES3_N6thrust23THRUST_200600_302600_NS11hip_rocprim26transform_input_iterator_tIlNS8_12zip_iteratorINS8_5tupleINS8_6detail15normal_iteratorINS8_10device_ptrIiEEEESH_NS8_9null_typeESI_SI_SI_SI_SI_SI_SI_EEEENS9_21zip_adj_not_predicateI22is_equal_div_10_uniqueIiEEEEEPllNS8_4plusIlEEEE10hipError_tPvRmT1_T2_T3_mT4_P12ihipStream_tbEUlT_E0_NS1_11comp_targetILNS1_3genE3ELNS1_11target_archE908ELNS1_3gpuE7ELNS1_3repE0EEENS1_30default_config_static_selectorELNS0_4arch9wavefront6targetE1EEEvSW_
		.amdhsa_group_segment_fixed_size 0
		.amdhsa_private_segment_fixed_size 0
		.amdhsa_kernarg_size 80
		.amdhsa_user_sgpr_count 6
		.amdhsa_user_sgpr_private_segment_buffer 1
		.amdhsa_user_sgpr_dispatch_ptr 0
		.amdhsa_user_sgpr_queue_ptr 0
		.amdhsa_user_sgpr_kernarg_segment_ptr 1
		.amdhsa_user_sgpr_dispatch_id 0
		.amdhsa_user_sgpr_flat_scratch_init 0
		.amdhsa_user_sgpr_private_segment_size 0
		.amdhsa_uses_dynamic_stack 0
		.amdhsa_system_sgpr_private_segment_wavefront_offset 0
		.amdhsa_system_sgpr_workgroup_id_x 1
		.amdhsa_system_sgpr_workgroup_id_y 0
		.amdhsa_system_sgpr_workgroup_id_z 0
		.amdhsa_system_sgpr_workgroup_info 0
		.amdhsa_system_vgpr_workitem_id 0
		.amdhsa_next_free_vgpr 1
		.amdhsa_next_free_sgpr 0
		.amdhsa_reserve_vcc 0
		.amdhsa_reserve_flat_scratch 0
		.amdhsa_float_round_mode_32 0
		.amdhsa_float_round_mode_16_64 0
		.amdhsa_float_denorm_mode_32 3
		.amdhsa_float_denorm_mode_16_64 3
		.amdhsa_dx10_clamp 1
		.amdhsa_ieee_mode 1
		.amdhsa_fp16_overflow 0
		.amdhsa_exception_fp_ieee_invalid_op 0
		.amdhsa_exception_fp_denorm_src 0
		.amdhsa_exception_fp_ieee_div_zero 0
		.amdhsa_exception_fp_ieee_overflow 0
		.amdhsa_exception_fp_ieee_underflow 0
		.amdhsa_exception_fp_ieee_inexact 0
		.amdhsa_exception_int_div_zero 0
	.end_amdhsa_kernel
	.section	.text._ZN7rocprim17ROCPRIM_400000_NS6detail17trampoline_kernelINS0_14default_configENS1_22reduce_config_selectorIlEEZNS1_11reduce_implILb1ES3_N6thrust23THRUST_200600_302600_NS11hip_rocprim26transform_input_iterator_tIlNS8_12zip_iteratorINS8_5tupleINS8_6detail15normal_iteratorINS8_10device_ptrIiEEEESH_NS8_9null_typeESI_SI_SI_SI_SI_SI_SI_EEEENS9_21zip_adj_not_predicateI22is_equal_div_10_uniqueIiEEEEEPllNS8_4plusIlEEEE10hipError_tPvRmT1_T2_T3_mT4_P12ihipStream_tbEUlT_E0_NS1_11comp_targetILNS1_3genE3ELNS1_11target_archE908ELNS1_3gpuE7ELNS1_3repE0EEENS1_30default_config_static_selectorELNS0_4arch9wavefront6targetE1EEEvSW_,"axG",@progbits,_ZN7rocprim17ROCPRIM_400000_NS6detail17trampoline_kernelINS0_14default_configENS1_22reduce_config_selectorIlEEZNS1_11reduce_implILb1ES3_N6thrust23THRUST_200600_302600_NS11hip_rocprim26transform_input_iterator_tIlNS8_12zip_iteratorINS8_5tupleINS8_6detail15normal_iteratorINS8_10device_ptrIiEEEESH_NS8_9null_typeESI_SI_SI_SI_SI_SI_SI_EEEENS9_21zip_adj_not_predicateI22is_equal_div_10_uniqueIiEEEEEPllNS8_4plusIlEEEE10hipError_tPvRmT1_T2_T3_mT4_P12ihipStream_tbEUlT_E0_NS1_11comp_targetILNS1_3genE3ELNS1_11target_archE908ELNS1_3gpuE7ELNS1_3repE0EEENS1_30default_config_static_selectorELNS0_4arch9wavefront6targetE1EEEvSW_,comdat
.Lfunc_end980:
	.size	_ZN7rocprim17ROCPRIM_400000_NS6detail17trampoline_kernelINS0_14default_configENS1_22reduce_config_selectorIlEEZNS1_11reduce_implILb1ES3_N6thrust23THRUST_200600_302600_NS11hip_rocprim26transform_input_iterator_tIlNS8_12zip_iteratorINS8_5tupleINS8_6detail15normal_iteratorINS8_10device_ptrIiEEEESH_NS8_9null_typeESI_SI_SI_SI_SI_SI_SI_EEEENS9_21zip_adj_not_predicateI22is_equal_div_10_uniqueIiEEEEEPllNS8_4plusIlEEEE10hipError_tPvRmT1_T2_T3_mT4_P12ihipStream_tbEUlT_E0_NS1_11comp_targetILNS1_3genE3ELNS1_11target_archE908ELNS1_3gpuE7ELNS1_3repE0EEENS1_30default_config_static_selectorELNS0_4arch9wavefront6targetE1EEEvSW_, .Lfunc_end980-_ZN7rocprim17ROCPRIM_400000_NS6detail17trampoline_kernelINS0_14default_configENS1_22reduce_config_selectorIlEEZNS1_11reduce_implILb1ES3_N6thrust23THRUST_200600_302600_NS11hip_rocprim26transform_input_iterator_tIlNS8_12zip_iteratorINS8_5tupleINS8_6detail15normal_iteratorINS8_10device_ptrIiEEEESH_NS8_9null_typeESI_SI_SI_SI_SI_SI_SI_EEEENS9_21zip_adj_not_predicateI22is_equal_div_10_uniqueIiEEEEEPllNS8_4plusIlEEEE10hipError_tPvRmT1_T2_T3_mT4_P12ihipStream_tbEUlT_E0_NS1_11comp_targetILNS1_3genE3ELNS1_11target_archE908ELNS1_3gpuE7ELNS1_3repE0EEENS1_30default_config_static_selectorELNS0_4arch9wavefront6targetE1EEEvSW_
                                        ; -- End function
	.set _ZN7rocprim17ROCPRIM_400000_NS6detail17trampoline_kernelINS0_14default_configENS1_22reduce_config_selectorIlEEZNS1_11reduce_implILb1ES3_N6thrust23THRUST_200600_302600_NS11hip_rocprim26transform_input_iterator_tIlNS8_12zip_iteratorINS8_5tupleINS8_6detail15normal_iteratorINS8_10device_ptrIiEEEESH_NS8_9null_typeESI_SI_SI_SI_SI_SI_SI_EEEENS9_21zip_adj_not_predicateI22is_equal_div_10_uniqueIiEEEEEPllNS8_4plusIlEEEE10hipError_tPvRmT1_T2_T3_mT4_P12ihipStream_tbEUlT_E0_NS1_11comp_targetILNS1_3genE3ELNS1_11target_archE908ELNS1_3gpuE7ELNS1_3repE0EEENS1_30default_config_static_selectorELNS0_4arch9wavefront6targetE1EEEvSW_.num_vgpr, 0
	.set _ZN7rocprim17ROCPRIM_400000_NS6detail17trampoline_kernelINS0_14default_configENS1_22reduce_config_selectorIlEEZNS1_11reduce_implILb1ES3_N6thrust23THRUST_200600_302600_NS11hip_rocprim26transform_input_iterator_tIlNS8_12zip_iteratorINS8_5tupleINS8_6detail15normal_iteratorINS8_10device_ptrIiEEEESH_NS8_9null_typeESI_SI_SI_SI_SI_SI_SI_EEEENS9_21zip_adj_not_predicateI22is_equal_div_10_uniqueIiEEEEEPllNS8_4plusIlEEEE10hipError_tPvRmT1_T2_T3_mT4_P12ihipStream_tbEUlT_E0_NS1_11comp_targetILNS1_3genE3ELNS1_11target_archE908ELNS1_3gpuE7ELNS1_3repE0EEENS1_30default_config_static_selectorELNS0_4arch9wavefront6targetE1EEEvSW_.num_agpr, 0
	.set _ZN7rocprim17ROCPRIM_400000_NS6detail17trampoline_kernelINS0_14default_configENS1_22reduce_config_selectorIlEEZNS1_11reduce_implILb1ES3_N6thrust23THRUST_200600_302600_NS11hip_rocprim26transform_input_iterator_tIlNS8_12zip_iteratorINS8_5tupleINS8_6detail15normal_iteratorINS8_10device_ptrIiEEEESH_NS8_9null_typeESI_SI_SI_SI_SI_SI_SI_EEEENS9_21zip_adj_not_predicateI22is_equal_div_10_uniqueIiEEEEEPllNS8_4plusIlEEEE10hipError_tPvRmT1_T2_T3_mT4_P12ihipStream_tbEUlT_E0_NS1_11comp_targetILNS1_3genE3ELNS1_11target_archE908ELNS1_3gpuE7ELNS1_3repE0EEENS1_30default_config_static_selectorELNS0_4arch9wavefront6targetE1EEEvSW_.numbered_sgpr, 0
	.set _ZN7rocprim17ROCPRIM_400000_NS6detail17trampoline_kernelINS0_14default_configENS1_22reduce_config_selectorIlEEZNS1_11reduce_implILb1ES3_N6thrust23THRUST_200600_302600_NS11hip_rocprim26transform_input_iterator_tIlNS8_12zip_iteratorINS8_5tupleINS8_6detail15normal_iteratorINS8_10device_ptrIiEEEESH_NS8_9null_typeESI_SI_SI_SI_SI_SI_SI_EEEENS9_21zip_adj_not_predicateI22is_equal_div_10_uniqueIiEEEEEPllNS8_4plusIlEEEE10hipError_tPvRmT1_T2_T3_mT4_P12ihipStream_tbEUlT_E0_NS1_11comp_targetILNS1_3genE3ELNS1_11target_archE908ELNS1_3gpuE7ELNS1_3repE0EEENS1_30default_config_static_selectorELNS0_4arch9wavefront6targetE1EEEvSW_.num_named_barrier, 0
	.set _ZN7rocprim17ROCPRIM_400000_NS6detail17trampoline_kernelINS0_14default_configENS1_22reduce_config_selectorIlEEZNS1_11reduce_implILb1ES3_N6thrust23THRUST_200600_302600_NS11hip_rocprim26transform_input_iterator_tIlNS8_12zip_iteratorINS8_5tupleINS8_6detail15normal_iteratorINS8_10device_ptrIiEEEESH_NS8_9null_typeESI_SI_SI_SI_SI_SI_SI_EEEENS9_21zip_adj_not_predicateI22is_equal_div_10_uniqueIiEEEEEPllNS8_4plusIlEEEE10hipError_tPvRmT1_T2_T3_mT4_P12ihipStream_tbEUlT_E0_NS1_11comp_targetILNS1_3genE3ELNS1_11target_archE908ELNS1_3gpuE7ELNS1_3repE0EEENS1_30default_config_static_selectorELNS0_4arch9wavefront6targetE1EEEvSW_.private_seg_size, 0
	.set _ZN7rocprim17ROCPRIM_400000_NS6detail17trampoline_kernelINS0_14default_configENS1_22reduce_config_selectorIlEEZNS1_11reduce_implILb1ES3_N6thrust23THRUST_200600_302600_NS11hip_rocprim26transform_input_iterator_tIlNS8_12zip_iteratorINS8_5tupleINS8_6detail15normal_iteratorINS8_10device_ptrIiEEEESH_NS8_9null_typeESI_SI_SI_SI_SI_SI_SI_EEEENS9_21zip_adj_not_predicateI22is_equal_div_10_uniqueIiEEEEEPllNS8_4plusIlEEEE10hipError_tPvRmT1_T2_T3_mT4_P12ihipStream_tbEUlT_E0_NS1_11comp_targetILNS1_3genE3ELNS1_11target_archE908ELNS1_3gpuE7ELNS1_3repE0EEENS1_30default_config_static_selectorELNS0_4arch9wavefront6targetE1EEEvSW_.uses_vcc, 0
	.set _ZN7rocprim17ROCPRIM_400000_NS6detail17trampoline_kernelINS0_14default_configENS1_22reduce_config_selectorIlEEZNS1_11reduce_implILb1ES3_N6thrust23THRUST_200600_302600_NS11hip_rocprim26transform_input_iterator_tIlNS8_12zip_iteratorINS8_5tupleINS8_6detail15normal_iteratorINS8_10device_ptrIiEEEESH_NS8_9null_typeESI_SI_SI_SI_SI_SI_SI_EEEENS9_21zip_adj_not_predicateI22is_equal_div_10_uniqueIiEEEEEPllNS8_4plusIlEEEE10hipError_tPvRmT1_T2_T3_mT4_P12ihipStream_tbEUlT_E0_NS1_11comp_targetILNS1_3genE3ELNS1_11target_archE908ELNS1_3gpuE7ELNS1_3repE0EEENS1_30default_config_static_selectorELNS0_4arch9wavefront6targetE1EEEvSW_.uses_flat_scratch, 0
	.set _ZN7rocprim17ROCPRIM_400000_NS6detail17trampoline_kernelINS0_14default_configENS1_22reduce_config_selectorIlEEZNS1_11reduce_implILb1ES3_N6thrust23THRUST_200600_302600_NS11hip_rocprim26transform_input_iterator_tIlNS8_12zip_iteratorINS8_5tupleINS8_6detail15normal_iteratorINS8_10device_ptrIiEEEESH_NS8_9null_typeESI_SI_SI_SI_SI_SI_SI_EEEENS9_21zip_adj_not_predicateI22is_equal_div_10_uniqueIiEEEEEPllNS8_4plusIlEEEE10hipError_tPvRmT1_T2_T3_mT4_P12ihipStream_tbEUlT_E0_NS1_11comp_targetILNS1_3genE3ELNS1_11target_archE908ELNS1_3gpuE7ELNS1_3repE0EEENS1_30default_config_static_selectorELNS0_4arch9wavefront6targetE1EEEvSW_.has_dyn_sized_stack, 0
	.set _ZN7rocprim17ROCPRIM_400000_NS6detail17trampoline_kernelINS0_14default_configENS1_22reduce_config_selectorIlEEZNS1_11reduce_implILb1ES3_N6thrust23THRUST_200600_302600_NS11hip_rocprim26transform_input_iterator_tIlNS8_12zip_iteratorINS8_5tupleINS8_6detail15normal_iteratorINS8_10device_ptrIiEEEESH_NS8_9null_typeESI_SI_SI_SI_SI_SI_SI_EEEENS9_21zip_adj_not_predicateI22is_equal_div_10_uniqueIiEEEEEPllNS8_4plusIlEEEE10hipError_tPvRmT1_T2_T3_mT4_P12ihipStream_tbEUlT_E0_NS1_11comp_targetILNS1_3genE3ELNS1_11target_archE908ELNS1_3gpuE7ELNS1_3repE0EEENS1_30default_config_static_selectorELNS0_4arch9wavefront6targetE1EEEvSW_.has_recursion, 0
	.set _ZN7rocprim17ROCPRIM_400000_NS6detail17trampoline_kernelINS0_14default_configENS1_22reduce_config_selectorIlEEZNS1_11reduce_implILb1ES3_N6thrust23THRUST_200600_302600_NS11hip_rocprim26transform_input_iterator_tIlNS8_12zip_iteratorINS8_5tupleINS8_6detail15normal_iteratorINS8_10device_ptrIiEEEESH_NS8_9null_typeESI_SI_SI_SI_SI_SI_SI_EEEENS9_21zip_adj_not_predicateI22is_equal_div_10_uniqueIiEEEEEPllNS8_4plusIlEEEE10hipError_tPvRmT1_T2_T3_mT4_P12ihipStream_tbEUlT_E0_NS1_11comp_targetILNS1_3genE3ELNS1_11target_archE908ELNS1_3gpuE7ELNS1_3repE0EEENS1_30default_config_static_selectorELNS0_4arch9wavefront6targetE1EEEvSW_.has_indirect_call, 0
	.section	.AMDGPU.csdata,"",@progbits
; Kernel info:
; codeLenInByte = 0
; TotalNumSgprs: 4
; NumVgprs: 0
; ScratchSize: 0
; MemoryBound: 0
; FloatMode: 240
; IeeeMode: 1
; LDSByteSize: 0 bytes/workgroup (compile time only)
; SGPRBlocks: 0
; VGPRBlocks: 0
; NumSGPRsForWavesPerEU: 4
; NumVGPRsForWavesPerEU: 1
; Occupancy: 10
; WaveLimiterHint : 0
; COMPUTE_PGM_RSRC2:SCRATCH_EN: 0
; COMPUTE_PGM_RSRC2:USER_SGPR: 6
; COMPUTE_PGM_RSRC2:TRAP_HANDLER: 0
; COMPUTE_PGM_RSRC2:TGID_X_EN: 1
; COMPUTE_PGM_RSRC2:TGID_Y_EN: 0
; COMPUTE_PGM_RSRC2:TGID_Z_EN: 0
; COMPUTE_PGM_RSRC2:TIDIG_COMP_CNT: 0
	.section	.text._ZN7rocprim17ROCPRIM_400000_NS6detail17trampoline_kernelINS0_14default_configENS1_22reduce_config_selectorIlEEZNS1_11reduce_implILb1ES3_N6thrust23THRUST_200600_302600_NS11hip_rocprim26transform_input_iterator_tIlNS8_12zip_iteratorINS8_5tupleINS8_6detail15normal_iteratorINS8_10device_ptrIiEEEESH_NS8_9null_typeESI_SI_SI_SI_SI_SI_SI_EEEENS9_21zip_adj_not_predicateI22is_equal_div_10_uniqueIiEEEEEPllNS8_4plusIlEEEE10hipError_tPvRmT1_T2_T3_mT4_P12ihipStream_tbEUlT_E0_NS1_11comp_targetILNS1_3genE2ELNS1_11target_archE906ELNS1_3gpuE6ELNS1_3repE0EEENS1_30default_config_static_selectorELNS0_4arch9wavefront6targetE1EEEvSW_,"axG",@progbits,_ZN7rocprim17ROCPRIM_400000_NS6detail17trampoline_kernelINS0_14default_configENS1_22reduce_config_selectorIlEEZNS1_11reduce_implILb1ES3_N6thrust23THRUST_200600_302600_NS11hip_rocprim26transform_input_iterator_tIlNS8_12zip_iteratorINS8_5tupleINS8_6detail15normal_iteratorINS8_10device_ptrIiEEEESH_NS8_9null_typeESI_SI_SI_SI_SI_SI_SI_EEEENS9_21zip_adj_not_predicateI22is_equal_div_10_uniqueIiEEEEEPllNS8_4plusIlEEEE10hipError_tPvRmT1_T2_T3_mT4_P12ihipStream_tbEUlT_E0_NS1_11comp_targetILNS1_3genE2ELNS1_11target_archE906ELNS1_3gpuE6ELNS1_3repE0EEENS1_30default_config_static_selectorELNS0_4arch9wavefront6targetE1EEEvSW_,comdat
	.protected	_ZN7rocprim17ROCPRIM_400000_NS6detail17trampoline_kernelINS0_14default_configENS1_22reduce_config_selectorIlEEZNS1_11reduce_implILb1ES3_N6thrust23THRUST_200600_302600_NS11hip_rocprim26transform_input_iterator_tIlNS8_12zip_iteratorINS8_5tupleINS8_6detail15normal_iteratorINS8_10device_ptrIiEEEESH_NS8_9null_typeESI_SI_SI_SI_SI_SI_SI_EEEENS9_21zip_adj_not_predicateI22is_equal_div_10_uniqueIiEEEEEPllNS8_4plusIlEEEE10hipError_tPvRmT1_T2_T3_mT4_P12ihipStream_tbEUlT_E0_NS1_11comp_targetILNS1_3genE2ELNS1_11target_archE906ELNS1_3gpuE6ELNS1_3repE0EEENS1_30default_config_static_selectorELNS0_4arch9wavefront6targetE1EEEvSW_ ; -- Begin function _ZN7rocprim17ROCPRIM_400000_NS6detail17trampoline_kernelINS0_14default_configENS1_22reduce_config_selectorIlEEZNS1_11reduce_implILb1ES3_N6thrust23THRUST_200600_302600_NS11hip_rocprim26transform_input_iterator_tIlNS8_12zip_iteratorINS8_5tupleINS8_6detail15normal_iteratorINS8_10device_ptrIiEEEESH_NS8_9null_typeESI_SI_SI_SI_SI_SI_SI_EEEENS9_21zip_adj_not_predicateI22is_equal_div_10_uniqueIiEEEEEPllNS8_4plusIlEEEE10hipError_tPvRmT1_T2_T3_mT4_P12ihipStream_tbEUlT_E0_NS1_11comp_targetILNS1_3genE2ELNS1_11target_archE906ELNS1_3gpuE6ELNS1_3repE0EEENS1_30default_config_static_selectorELNS0_4arch9wavefront6targetE1EEEvSW_
	.globl	_ZN7rocprim17ROCPRIM_400000_NS6detail17trampoline_kernelINS0_14default_configENS1_22reduce_config_selectorIlEEZNS1_11reduce_implILb1ES3_N6thrust23THRUST_200600_302600_NS11hip_rocprim26transform_input_iterator_tIlNS8_12zip_iteratorINS8_5tupleINS8_6detail15normal_iteratorINS8_10device_ptrIiEEEESH_NS8_9null_typeESI_SI_SI_SI_SI_SI_SI_EEEENS9_21zip_adj_not_predicateI22is_equal_div_10_uniqueIiEEEEEPllNS8_4plusIlEEEE10hipError_tPvRmT1_T2_T3_mT4_P12ihipStream_tbEUlT_E0_NS1_11comp_targetILNS1_3genE2ELNS1_11target_archE906ELNS1_3gpuE6ELNS1_3repE0EEENS1_30default_config_static_selectorELNS0_4arch9wavefront6targetE1EEEvSW_
	.p2align	8
	.type	_ZN7rocprim17ROCPRIM_400000_NS6detail17trampoline_kernelINS0_14default_configENS1_22reduce_config_selectorIlEEZNS1_11reduce_implILb1ES3_N6thrust23THRUST_200600_302600_NS11hip_rocprim26transform_input_iterator_tIlNS8_12zip_iteratorINS8_5tupleINS8_6detail15normal_iteratorINS8_10device_ptrIiEEEESH_NS8_9null_typeESI_SI_SI_SI_SI_SI_SI_EEEENS9_21zip_adj_not_predicateI22is_equal_div_10_uniqueIiEEEEEPllNS8_4plusIlEEEE10hipError_tPvRmT1_T2_T3_mT4_P12ihipStream_tbEUlT_E0_NS1_11comp_targetILNS1_3genE2ELNS1_11target_archE906ELNS1_3gpuE6ELNS1_3repE0EEENS1_30default_config_static_selectorELNS0_4arch9wavefront6targetE1EEEvSW_,@function
_ZN7rocprim17ROCPRIM_400000_NS6detail17trampoline_kernelINS0_14default_configENS1_22reduce_config_selectorIlEEZNS1_11reduce_implILb1ES3_N6thrust23THRUST_200600_302600_NS11hip_rocprim26transform_input_iterator_tIlNS8_12zip_iteratorINS8_5tupleINS8_6detail15normal_iteratorINS8_10device_ptrIiEEEESH_NS8_9null_typeESI_SI_SI_SI_SI_SI_SI_EEEENS9_21zip_adj_not_predicateI22is_equal_div_10_uniqueIiEEEEEPllNS8_4plusIlEEEE10hipError_tPvRmT1_T2_T3_mT4_P12ihipStream_tbEUlT_E0_NS1_11comp_targetILNS1_3genE2ELNS1_11target_archE906ELNS1_3gpuE6ELNS1_3repE0EEENS1_30default_config_static_selectorELNS0_4arch9wavefront6targetE1EEEvSW_: ; @_ZN7rocprim17ROCPRIM_400000_NS6detail17trampoline_kernelINS0_14default_configENS1_22reduce_config_selectorIlEEZNS1_11reduce_implILb1ES3_N6thrust23THRUST_200600_302600_NS11hip_rocprim26transform_input_iterator_tIlNS8_12zip_iteratorINS8_5tupleINS8_6detail15normal_iteratorINS8_10device_ptrIiEEEESH_NS8_9null_typeESI_SI_SI_SI_SI_SI_SI_EEEENS9_21zip_adj_not_predicateI22is_equal_div_10_uniqueIiEEEEEPllNS8_4plusIlEEEE10hipError_tPvRmT1_T2_T3_mT4_P12ihipStream_tbEUlT_E0_NS1_11comp_targetILNS1_3genE2ELNS1_11target_archE906ELNS1_3gpuE6ELNS1_3repE0EEENS1_30default_config_static_selectorELNS0_4arch9wavefront6targetE1EEEvSW_
; %bb.0:
	s_load_dwordx8 s[8:15], s[4:5], 0x18
	s_load_dwordx4 s[0:3], s[4:5], 0x0
	s_load_dwordx4 s[16:19], s[4:5], 0x38
	v_lshlrev_b32_e32 v6, 2, v0
	v_mbcnt_lo_u32_b32 v5, -1, 0
	s_waitcnt lgkmcnt(0)
	s_lshl_b64 s[4:5], s[8:9], 2
	s_add_u32 s0, s0, s4
	s_addc_u32 s1, s1, s5
	s_add_u32 s20, s2, s4
	s_addc_u32 s21, s3, s5
	s_lshl_b32 s4, s6, 9
	s_mov_b32 s5, 0
	s_lshr_b64 s[8:9], s[10:11], 9
	s_lshl_b64 s[2:3], s[4:5], 2
	s_add_u32 s0, s0, s2
	s_addc_u32 s1, s1, s3
	s_add_u32 s2, s20, s2
	s_mov_b32 s7, s5
	s_addc_u32 s3, s21, s3
	s_cmp_lg_u64 s[8:9], s[6:7]
	s_cbranch_scc0 .LBB981_6
; %bb.1:
	global_load_dword v1, v6, s[0:1]
	global_load_dword v2, v6, s[2:3]
	global_load_dword v7, v6, s[2:3] offset:1024
	global_load_dword v8, v6, s[0:1] offset:1024
	s_mov_b32 s5, 0x66666667
	v_mov_b32_e32 v4, 0
	v_mbcnt_hi_u32_b32 v3, -1, v5
	s_waitcnt vmcnt(3)
	v_mul_hi_i32 v1, v1, s5
	s_waitcnt vmcnt(2)
	v_mul_hi_i32 v2, v2, s5
	;; [unrolled: 2-line block ×4, first 2 shown]
	v_lshrrev_b32_e32 v11, 31, v1
	v_ashrrev_i32_e32 v1, 2, v1
	v_lshrrev_b32_e32 v12, 31, v2
	v_ashrrev_i32_e32 v2, 2, v2
	;; [unrolled: 2-line block ×4, first 2 shown]
	v_add_u32_e32 v1, v1, v11
	v_add_u32_e32 v2, v2, v12
	;; [unrolled: 1-line block ×4, first 2 shown]
	v_cmp_ne_u32_e32 vcc, v1, v2
	v_cndmask_b32_e64 v1, 0, 1, vcc
	v_cmp_ne_u32_e32 vcc, v8, v7
	v_addc_co_u32_e32 v1, vcc, 0, v1, vcc
	v_mov_b32_dpp v9, v4 quad_perm:[1,0,3,2] row_mask:0xf bank_mask:0xf bound_ctrl:1
	s_nop 0
	v_mov_b32_dpp v2, v1 quad_perm:[1,0,3,2] row_mask:0xf bank_mask:0xf bound_ctrl:1
	v_add_co_u32_e32 v1, vcc, v1, v2
	v_addc_co_u32_e64 v2, s[8:9], 0, 0, vcc
	v_add_co_u32_e32 v7, vcc, 0, v1
	v_addc_co_u32_e32 v2, vcc, v9, v2, vcc
	v_mov_b32_dpp v1, v1 quad_perm:[2,3,0,1] row_mask:0xf bank_mask:0xf bound_ctrl:1
	v_add_co_u32_e32 v1, vcc, v7, v1
	v_mov_b32_dpp v8, v2 quad_perm:[2,3,0,1] row_mask:0xf bank_mask:0xf bound_ctrl:1
	v_addc_co_u32_e32 v2, vcc, 0, v2, vcc
	v_add_co_u32_e32 v7, vcc, 0, v1
	v_addc_co_u32_e32 v2, vcc, v2, v8, vcc
	v_mov_b32_dpp v1, v1 row_ror:4 row_mask:0xf bank_mask:0xf bound_ctrl:1
	v_add_co_u32_e32 v1, vcc, v7, v1
	v_mov_b32_dpp v8, v2 row_ror:4 row_mask:0xf bank_mask:0xf bound_ctrl:1
	v_addc_co_u32_e32 v2, vcc, 0, v2, vcc
	v_add_co_u32_e32 v7, vcc, 0, v1
	v_addc_co_u32_e32 v2, vcc, v2, v8, vcc
	v_mov_b32_dpp v1, v1 row_ror:8 row_mask:0xf bank_mask:0xf bound_ctrl:1
	v_add_co_u32_e32 v1, vcc, v7, v1
	v_mov_b32_dpp v8, v2 row_ror:8 row_mask:0xf bank_mask:0xf bound_ctrl:1
	v_addc_co_u32_e32 v2, vcc, 0, v2, vcc
	v_add_co_u32_e32 v7, vcc, 0, v1
	v_addc_co_u32_e32 v2, vcc, v2, v8, vcc
	v_mov_b32_dpp v1, v1 row_bcast:15 row_mask:0xf bank_mask:0xf bound_ctrl:1
	v_add_co_u32_e32 v1, vcc, v7, v1
	v_mov_b32_dpp v8, v2 row_bcast:15 row_mask:0xf bank_mask:0xf bound_ctrl:1
	v_addc_co_u32_e32 v2, vcc, 0, v2, vcc
	v_add_co_u32_e32 v7, vcc, 0, v1
	v_addc_co_u32_e32 v2, vcc, v2, v8, vcc
	v_mov_b32_dpp v1, v1 row_bcast:31 row_mask:0xf bank_mask:0xf bound_ctrl:1
	v_add_co_u32_e32 v1, vcc, v7, v1
	v_lshlrev_b32_e32 v4, 2, v3
	v_addc_co_u32_e32 v7, vcc, 0, v2, vcc
	v_or_b32_e32 v10, 0xfc, v4
	s_nop 0
	v_add_u32_dpp v2, v2, v7 row_bcast:31 row_mask:0xf bank_mask:0xf bound_ctrl:1
	ds_bpermute_b32 v1, v10, v1
	ds_bpermute_b32 v2, v10, v2
	v_cmp_eq_u32_e32 vcc, 0, v3
	s_and_saveexec_b64 s[8:9], vcc
	s_cbranch_execz .LBB981_3
; %bb.2:
	v_lshrrev_b32_e32 v7, 3, v0
	v_and_b32_e32 v7, 24, v7
	s_waitcnt lgkmcnt(0)
	ds_write_b64 v7, v[1:2]
.LBB981_3:
	s_or_b64 exec, exec, s[8:9]
	v_cmp_gt_u32_e32 vcc, 64, v0
	s_waitcnt lgkmcnt(0)
	s_barrier
	s_and_saveexec_b64 s[8:9], vcc
	s_cbranch_execz .LBB981_5
; %bb.4:
	v_and_b32_e32 v7, 3, v3
	v_lshlrev_b32_e32 v1, 3, v7
	ds_read_b64 v[1:2], v1
	v_cmp_ne_u32_e32 vcc, 3, v7
	v_addc_co_u32_e32 v3, vcc, 0, v3, vcc
	v_lshlrev_b32_e32 v3, 2, v3
	s_waitcnt lgkmcnt(0)
	ds_bpermute_b32 v7, v3, v1
	ds_bpermute_b32 v3, v3, v2
	v_or_b32_e32 v4, 8, v4
	s_waitcnt lgkmcnt(1)
	v_add_co_u32_e32 v1, vcc, v1, v7
	v_addc_co_u32_e32 v2, vcc, 0, v2, vcc
	ds_bpermute_b32 v7, v4, v1
	v_add_co_u32_e32 v1, vcc, 0, v1
	s_waitcnt lgkmcnt(1)
	v_addc_co_u32_e32 v2, vcc, v3, v2, vcc
	ds_bpermute_b32 v3, v4, v2
	s_waitcnt lgkmcnt(1)
	v_add_co_u32_e32 v1, vcc, v1, v7
	v_addc_co_u32_e32 v2, vcc, 0, v2, vcc
	v_add_co_u32_e32 v1, vcc, 0, v1
	s_waitcnt lgkmcnt(0)
	v_addc_co_u32_e32 v2, vcc, v2, v3, vcc
.LBB981_5:
	s_or_b64 exec, exec, s[8:9]
	s_branch .LBB981_28
.LBB981_6:
                                        ; implicit-def: $vgpr1_vgpr2
	s_cbranch_execz .LBB981_28
; %bb.7:
	s_sub_i32 s8, s10, s4
	v_mov_b32_e32 v1, 0
	v_cmp_gt_u32_e32 vcc, s8, v0
	v_mov_b32_e32 v2, v1
	v_mov_b32_e32 v3, v1
	;; [unrolled: 1-line block ×3, first 2 shown]
	s_and_saveexec_b64 s[4:5], vcc
	s_cbranch_execz .LBB981_9
; %bb.8:
	global_load_dword v2, v6, s[0:1]
	global_load_dword v3, v6, s[2:3]
	s_mov_b32 s9, 0x66666667
	v_mov_b32_e32 v8, v1
	v_mov_b32_e32 v9, v1
	;; [unrolled: 1-line block ×3, first 2 shown]
	s_waitcnt vmcnt(1)
	v_mul_hi_i32 v2, v2, s9
	s_waitcnt vmcnt(0)
	v_mul_hi_i32 v3, v3, s9
	v_lshrrev_b32_e32 v4, 31, v2
	v_ashrrev_i32_e32 v2, 2, v2
	v_lshrrev_b32_e32 v7, 31, v3
	v_ashrrev_i32_e32 v3, 2, v3
	v_add_u32_e32 v2, v2, v4
	v_add_u32_e32 v3, v3, v7
	v_cmp_ne_u32_e32 vcc, v2, v3
	v_cndmask_b32_e64 v2, 0, 1, vcc
	v_and_b32_e32 v7, 0xffff, v2
	v_mov_b32_e32 v1, v7
	v_mov_b32_e32 v2, v8
	;; [unrolled: 1-line block ×4, first 2 shown]
.LBB981_9:
	s_or_b64 exec, exec, s[4:5]
	v_or_b32_e32 v7, 0x100, v0
	v_cmp_gt_u32_e32 vcc, s8, v7
	s_and_saveexec_b64 s[4:5], vcc
	s_cbranch_execz .LBB981_11
; %bb.10:
	global_load_dword v3, v6, s[0:1] offset:1024
	global_load_dword v4, v6, s[2:3] offset:1024
	s_mov_b32 s0, 0x66666667
	s_mov_b32 s2, 0
	s_waitcnt vmcnt(1)
	v_mul_hi_i32 v3, v3, s0
	s_waitcnt vmcnt(0)
	v_mul_hi_i32 v4, v4, s0
	v_lshrrev_b32_e32 v6, 31, v3
	v_ashrrev_i32_e32 v3, 2, v3
	v_lshrrev_b32_e32 v7, 31, v4
	v_ashrrev_i32_e32 v4, 2, v4
	v_add_u32_e32 v3, v3, v6
	v_add_u32_e32 v4, v4, v7
	v_cmp_ne_u32_e64 s[0:1], v3, v4
	v_cndmask_b32_e64 v3, 0, 1, s[0:1]
	v_mov_b32_e32 v4, s2
.LBB981_11:
	s_or_b64 exec, exec, s[4:5]
	v_cndmask_b32_e32 v3, 0, v3, vcc
	v_cndmask_b32_e32 v4, 0, v4, vcc
	v_add_co_u32_e32 v1, vcc, v3, v1
	v_mbcnt_hi_u32_b32 v3, -1, v5
	v_addc_co_u32_e32 v2, vcc, v4, v2, vcc
	v_and_b32_e32 v4, 63, v3
	v_cmp_ne_u32_e32 vcc, 63, v4
	v_addc_co_u32_e32 v6, vcc, 0, v3, vcc
	v_lshlrev_b32_e32 v6, 2, v6
	ds_bpermute_b32 v8, v6, v1
	ds_bpermute_b32 v7, v6, v2
	s_min_u32 s2, s8, 0x100
	v_and_b32_e32 v5, 0xc0, v0
	v_sub_u32_e64 v5, s2, v5 clamp
	v_add_u32_e32 v6, 1, v4
	v_cmp_lt_u32_e32 vcc, v6, v5
	v_mov_b32_e32 v6, v1
	s_and_saveexec_b64 s[0:1], vcc
	s_cbranch_execz .LBB981_13
; %bb.12:
	s_waitcnt lgkmcnt(1)
	v_add_co_u32_e32 v6, vcc, v1, v8
	v_addc_co_u32_e32 v2, vcc, 0, v2, vcc
	v_add_co_u32_e32 v1, vcc, 0, v6
	s_waitcnt lgkmcnt(0)
	v_addc_co_u32_e32 v2, vcc, v7, v2, vcc
.LBB981_13:
	s_or_b64 exec, exec, s[0:1]
	v_cmp_gt_u32_e32 vcc, 62, v4
	s_waitcnt lgkmcnt(0)
	v_cndmask_b32_e64 v7, 0, 2, vcc
	v_add_lshl_u32 v7, v7, v3, 2
	ds_bpermute_b32 v8, v7, v6
	ds_bpermute_b32 v7, v7, v2
	v_add_u32_e32 v9, 2, v4
	v_cmp_lt_u32_e32 vcc, v9, v5
	s_and_saveexec_b64 s[0:1], vcc
	s_cbranch_execz .LBB981_15
; %bb.14:
	s_waitcnt lgkmcnt(1)
	v_add_co_u32_e32 v6, vcc, v1, v8
	v_addc_co_u32_e32 v2, vcc, 0, v2, vcc
	v_add_co_u32_e32 v1, vcc, 0, v6
	s_waitcnt lgkmcnt(0)
	v_addc_co_u32_e32 v2, vcc, v7, v2, vcc
.LBB981_15:
	s_or_b64 exec, exec, s[0:1]
	v_cmp_gt_u32_e32 vcc, 60, v4
	s_waitcnt lgkmcnt(0)
	v_cndmask_b32_e64 v7, 0, 4, vcc
	v_add_lshl_u32 v7, v7, v3, 2
	ds_bpermute_b32 v8, v7, v6
	ds_bpermute_b32 v7, v7, v2
	v_add_u32_e32 v9, 4, v4
	v_cmp_lt_u32_e32 vcc, v9, v5
	;; [unrolled: 19-line block ×4, first 2 shown]
	s_and_saveexec_b64 s[0:1], vcc
	s_cbranch_execz .LBB981_21
; %bb.20:
	s_waitcnt lgkmcnt(1)
	v_add_co_u32_e32 v6, vcc, v1, v8
	v_addc_co_u32_e32 v2, vcc, 0, v2, vcc
	v_add_co_u32_e32 v1, vcc, 0, v6
	s_waitcnt lgkmcnt(0)
	v_addc_co_u32_e32 v2, vcc, v7, v2, vcc
.LBB981_21:
	s_or_b64 exec, exec, s[0:1]
	s_waitcnt lgkmcnt(0)
	v_lshlrev_b32_e32 v7, 2, v3
	v_or_b32_e32 v8, 0x80, v7
	ds_bpermute_b32 v6, v8, v6
	ds_bpermute_b32 v8, v8, v2
	v_add_u32_e32 v4, 32, v4
	s_waitcnt lgkmcnt(1)
	v_add_co_u32_e32 v6, vcc, v1, v6
	v_addc_co_u32_e32 v9, vcc, 0, v2, vcc
	v_add_co_u32_e32 v6, vcc, 0, v6
	s_waitcnt lgkmcnt(0)
	v_addc_co_u32_e32 v8, vcc, v9, v8, vcc
	v_cmp_lt_u32_e32 vcc, v4, v5
	v_cndmask_b32_e32 v2, v2, v8, vcc
	v_cndmask_b32_e32 v1, v1, v6, vcc
	v_cmp_eq_u32_e32 vcc, 0, v3
	s_and_saveexec_b64 s[0:1], vcc
; %bb.22:
	v_lshrrev_b32_e32 v4, 3, v0
	v_and_b32_e32 v4, 24, v4
	ds_write_b64 v4, v[1:2] offset:32
; %bb.23:
	s_or_b64 exec, exec, s[0:1]
	v_cmp_gt_u32_e32 vcc, 4, v0
	s_waitcnt lgkmcnt(0)
	s_barrier
	s_and_saveexec_b64 s[0:1], vcc
	s_cbranch_execz .LBB981_27
; %bb.24:
	v_lshlrev_b32_e32 v1, 3, v3
	ds_read_b64 v[1:2], v1 offset:32
	v_and_b32_e32 v4, 3, v3
	v_cmp_ne_u32_e32 vcc, 3, v4
	v_addc_co_u32_e32 v3, vcc, 0, v3, vcc
	v_lshlrev_b32_e32 v3, 2, v3
	s_waitcnt lgkmcnt(0)
	ds_bpermute_b32 v6, v3, v1
	ds_bpermute_b32 v5, v3, v2
	s_add_i32 s2, s2, 63
	s_lshr_b32 s4, s2, 6
	v_add_u32_e32 v3, 1, v4
	v_cmp_gt_u32_e32 vcc, s4, v3
	v_mov_b32_e32 v3, v1
	s_and_saveexec_b64 s[2:3], vcc
	s_cbranch_execz .LBB981_26
; %bb.25:
	s_waitcnt lgkmcnt(1)
	v_add_co_u32_e32 v3, vcc, v1, v6
	v_addc_co_u32_e32 v2, vcc, 0, v2, vcc
	v_add_co_u32_e32 v1, vcc, 0, v3
	s_waitcnt lgkmcnt(0)
	v_addc_co_u32_e32 v2, vcc, v5, v2, vcc
.LBB981_26:
	s_or_b64 exec, exec, s[2:3]
	s_waitcnt lgkmcnt(0)
	v_or_b32_e32 v5, 8, v7
	ds_bpermute_b32 v3, v5, v3
	ds_bpermute_b32 v5, v5, v2
	v_add_u32_e32 v4, 2, v4
	s_waitcnt lgkmcnt(1)
	v_add_co_u32_e32 v3, vcc, v1, v3
	v_addc_co_u32_e32 v6, vcc, 0, v2, vcc
	v_add_co_u32_e32 v3, vcc, 0, v3
	s_waitcnt lgkmcnt(0)
	v_addc_co_u32_e32 v5, vcc, v6, v5, vcc
	v_cmp_gt_u32_e32 vcc, s4, v4
	v_cndmask_b32_e32 v2, v2, v5, vcc
	v_cndmask_b32_e32 v1, v1, v3, vcc
.LBB981_27:
	s_or_b64 exec, exec, s[0:1]
.LBB981_28:
	v_cmp_eq_u32_e32 vcc, 0, v0
	s_and_saveexec_b64 s[0:1], vcc
	s_cbranch_execnz .LBB981_30
; %bb.29:
	s_endpgm
.LBB981_30:
	s_mul_i32 s0, s16, s15
	s_mul_hi_u32 s1, s16, s14
	s_add_i32 s0, s1, s0
	s_mul_i32 s1, s17, s14
	s_add_i32 s1, s0, s1
	s_mul_i32 s0, s16, s14
	s_lshl_b64 s[0:1], s[0:1], 3
	s_add_u32 s2, s12, s0
	s_addc_u32 s3, s13, s1
	s_cmp_eq_u64 s[10:11], 0
	v_mov_b32_e32 v0, s19
	s_cselect_b64 vcc, -1, 0
	s_lshl_b64 s[0:1], s[6:7], 3
	v_cndmask_b32_e32 v2, v2, v0, vcc
	v_mov_b32_e32 v0, s18
	s_add_u32 s0, s2, s0
	v_cndmask_b32_e32 v1, v1, v0, vcc
	s_addc_u32 s1, s3, s1
	v_mov_b32_e32 v0, 0
	global_store_dwordx2 v0, v[1:2], s[0:1]
	s_endpgm
	.section	.rodata,"a",@progbits
	.p2align	6, 0x0
	.amdhsa_kernel _ZN7rocprim17ROCPRIM_400000_NS6detail17trampoline_kernelINS0_14default_configENS1_22reduce_config_selectorIlEEZNS1_11reduce_implILb1ES3_N6thrust23THRUST_200600_302600_NS11hip_rocprim26transform_input_iterator_tIlNS8_12zip_iteratorINS8_5tupleINS8_6detail15normal_iteratorINS8_10device_ptrIiEEEESH_NS8_9null_typeESI_SI_SI_SI_SI_SI_SI_EEEENS9_21zip_adj_not_predicateI22is_equal_div_10_uniqueIiEEEEEPllNS8_4plusIlEEEE10hipError_tPvRmT1_T2_T3_mT4_P12ihipStream_tbEUlT_E0_NS1_11comp_targetILNS1_3genE2ELNS1_11target_archE906ELNS1_3gpuE6ELNS1_3repE0EEENS1_30default_config_static_selectorELNS0_4arch9wavefront6targetE1EEEvSW_
		.amdhsa_group_segment_fixed_size 64
		.amdhsa_private_segment_fixed_size 0
		.amdhsa_kernarg_size 80
		.amdhsa_user_sgpr_count 6
		.amdhsa_user_sgpr_private_segment_buffer 1
		.amdhsa_user_sgpr_dispatch_ptr 0
		.amdhsa_user_sgpr_queue_ptr 0
		.amdhsa_user_sgpr_kernarg_segment_ptr 1
		.amdhsa_user_sgpr_dispatch_id 0
		.amdhsa_user_sgpr_flat_scratch_init 0
		.amdhsa_user_sgpr_private_segment_size 0
		.amdhsa_uses_dynamic_stack 0
		.amdhsa_system_sgpr_private_segment_wavefront_offset 0
		.amdhsa_system_sgpr_workgroup_id_x 1
		.amdhsa_system_sgpr_workgroup_id_y 0
		.amdhsa_system_sgpr_workgroup_id_z 0
		.amdhsa_system_sgpr_workgroup_info 0
		.amdhsa_system_vgpr_workitem_id 0
		.amdhsa_next_free_vgpr 15
		.amdhsa_next_free_sgpr 22
		.amdhsa_reserve_vcc 1
		.amdhsa_reserve_flat_scratch 0
		.amdhsa_float_round_mode_32 0
		.amdhsa_float_round_mode_16_64 0
		.amdhsa_float_denorm_mode_32 3
		.amdhsa_float_denorm_mode_16_64 3
		.amdhsa_dx10_clamp 1
		.amdhsa_ieee_mode 1
		.amdhsa_fp16_overflow 0
		.amdhsa_exception_fp_ieee_invalid_op 0
		.amdhsa_exception_fp_denorm_src 0
		.amdhsa_exception_fp_ieee_div_zero 0
		.amdhsa_exception_fp_ieee_overflow 0
		.amdhsa_exception_fp_ieee_underflow 0
		.amdhsa_exception_fp_ieee_inexact 0
		.amdhsa_exception_int_div_zero 0
	.end_amdhsa_kernel
	.section	.text._ZN7rocprim17ROCPRIM_400000_NS6detail17trampoline_kernelINS0_14default_configENS1_22reduce_config_selectorIlEEZNS1_11reduce_implILb1ES3_N6thrust23THRUST_200600_302600_NS11hip_rocprim26transform_input_iterator_tIlNS8_12zip_iteratorINS8_5tupleINS8_6detail15normal_iteratorINS8_10device_ptrIiEEEESH_NS8_9null_typeESI_SI_SI_SI_SI_SI_SI_EEEENS9_21zip_adj_not_predicateI22is_equal_div_10_uniqueIiEEEEEPllNS8_4plusIlEEEE10hipError_tPvRmT1_T2_T3_mT4_P12ihipStream_tbEUlT_E0_NS1_11comp_targetILNS1_3genE2ELNS1_11target_archE906ELNS1_3gpuE6ELNS1_3repE0EEENS1_30default_config_static_selectorELNS0_4arch9wavefront6targetE1EEEvSW_,"axG",@progbits,_ZN7rocprim17ROCPRIM_400000_NS6detail17trampoline_kernelINS0_14default_configENS1_22reduce_config_selectorIlEEZNS1_11reduce_implILb1ES3_N6thrust23THRUST_200600_302600_NS11hip_rocprim26transform_input_iterator_tIlNS8_12zip_iteratorINS8_5tupleINS8_6detail15normal_iteratorINS8_10device_ptrIiEEEESH_NS8_9null_typeESI_SI_SI_SI_SI_SI_SI_EEEENS9_21zip_adj_not_predicateI22is_equal_div_10_uniqueIiEEEEEPllNS8_4plusIlEEEE10hipError_tPvRmT1_T2_T3_mT4_P12ihipStream_tbEUlT_E0_NS1_11comp_targetILNS1_3genE2ELNS1_11target_archE906ELNS1_3gpuE6ELNS1_3repE0EEENS1_30default_config_static_selectorELNS0_4arch9wavefront6targetE1EEEvSW_,comdat
.Lfunc_end981:
	.size	_ZN7rocprim17ROCPRIM_400000_NS6detail17trampoline_kernelINS0_14default_configENS1_22reduce_config_selectorIlEEZNS1_11reduce_implILb1ES3_N6thrust23THRUST_200600_302600_NS11hip_rocprim26transform_input_iterator_tIlNS8_12zip_iteratorINS8_5tupleINS8_6detail15normal_iteratorINS8_10device_ptrIiEEEESH_NS8_9null_typeESI_SI_SI_SI_SI_SI_SI_EEEENS9_21zip_adj_not_predicateI22is_equal_div_10_uniqueIiEEEEEPllNS8_4plusIlEEEE10hipError_tPvRmT1_T2_T3_mT4_P12ihipStream_tbEUlT_E0_NS1_11comp_targetILNS1_3genE2ELNS1_11target_archE906ELNS1_3gpuE6ELNS1_3repE0EEENS1_30default_config_static_selectorELNS0_4arch9wavefront6targetE1EEEvSW_, .Lfunc_end981-_ZN7rocprim17ROCPRIM_400000_NS6detail17trampoline_kernelINS0_14default_configENS1_22reduce_config_selectorIlEEZNS1_11reduce_implILb1ES3_N6thrust23THRUST_200600_302600_NS11hip_rocprim26transform_input_iterator_tIlNS8_12zip_iteratorINS8_5tupleINS8_6detail15normal_iteratorINS8_10device_ptrIiEEEESH_NS8_9null_typeESI_SI_SI_SI_SI_SI_SI_EEEENS9_21zip_adj_not_predicateI22is_equal_div_10_uniqueIiEEEEEPllNS8_4plusIlEEEE10hipError_tPvRmT1_T2_T3_mT4_P12ihipStream_tbEUlT_E0_NS1_11comp_targetILNS1_3genE2ELNS1_11target_archE906ELNS1_3gpuE6ELNS1_3repE0EEENS1_30default_config_static_selectorELNS0_4arch9wavefront6targetE1EEEvSW_
                                        ; -- End function
	.set _ZN7rocprim17ROCPRIM_400000_NS6detail17trampoline_kernelINS0_14default_configENS1_22reduce_config_selectorIlEEZNS1_11reduce_implILb1ES3_N6thrust23THRUST_200600_302600_NS11hip_rocprim26transform_input_iterator_tIlNS8_12zip_iteratorINS8_5tupleINS8_6detail15normal_iteratorINS8_10device_ptrIiEEEESH_NS8_9null_typeESI_SI_SI_SI_SI_SI_SI_EEEENS9_21zip_adj_not_predicateI22is_equal_div_10_uniqueIiEEEEEPllNS8_4plusIlEEEE10hipError_tPvRmT1_T2_T3_mT4_P12ihipStream_tbEUlT_E0_NS1_11comp_targetILNS1_3genE2ELNS1_11target_archE906ELNS1_3gpuE6ELNS1_3repE0EEENS1_30default_config_static_selectorELNS0_4arch9wavefront6targetE1EEEvSW_.num_vgpr, 15
	.set _ZN7rocprim17ROCPRIM_400000_NS6detail17trampoline_kernelINS0_14default_configENS1_22reduce_config_selectorIlEEZNS1_11reduce_implILb1ES3_N6thrust23THRUST_200600_302600_NS11hip_rocprim26transform_input_iterator_tIlNS8_12zip_iteratorINS8_5tupleINS8_6detail15normal_iteratorINS8_10device_ptrIiEEEESH_NS8_9null_typeESI_SI_SI_SI_SI_SI_SI_EEEENS9_21zip_adj_not_predicateI22is_equal_div_10_uniqueIiEEEEEPllNS8_4plusIlEEEE10hipError_tPvRmT1_T2_T3_mT4_P12ihipStream_tbEUlT_E0_NS1_11comp_targetILNS1_3genE2ELNS1_11target_archE906ELNS1_3gpuE6ELNS1_3repE0EEENS1_30default_config_static_selectorELNS0_4arch9wavefront6targetE1EEEvSW_.num_agpr, 0
	.set _ZN7rocprim17ROCPRIM_400000_NS6detail17trampoline_kernelINS0_14default_configENS1_22reduce_config_selectorIlEEZNS1_11reduce_implILb1ES3_N6thrust23THRUST_200600_302600_NS11hip_rocprim26transform_input_iterator_tIlNS8_12zip_iteratorINS8_5tupleINS8_6detail15normal_iteratorINS8_10device_ptrIiEEEESH_NS8_9null_typeESI_SI_SI_SI_SI_SI_SI_EEEENS9_21zip_adj_not_predicateI22is_equal_div_10_uniqueIiEEEEEPllNS8_4plusIlEEEE10hipError_tPvRmT1_T2_T3_mT4_P12ihipStream_tbEUlT_E0_NS1_11comp_targetILNS1_3genE2ELNS1_11target_archE906ELNS1_3gpuE6ELNS1_3repE0EEENS1_30default_config_static_selectorELNS0_4arch9wavefront6targetE1EEEvSW_.numbered_sgpr, 22
	.set _ZN7rocprim17ROCPRIM_400000_NS6detail17trampoline_kernelINS0_14default_configENS1_22reduce_config_selectorIlEEZNS1_11reduce_implILb1ES3_N6thrust23THRUST_200600_302600_NS11hip_rocprim26transform_input_iterator_tIlNS8_12zip_iteratorINS8_5tupleINS8_6detail15normal_iteratorINS8_10device_ptrIiEEEESH_NS8_9null_typeESI_SI_SI_SI_SI_SI_SI_EEEENS9_21zip_adj_not_predicateI22is_equal_div_10_uniqueIiEEEEEPllNS8_4plusIlEEEE10hipError_tPvRmT1_T2_T3_mT4_P12ihipStream_tbEUlT_E0_NS1_11comp_targetILNS1_3genE2ELNS1_11target_archE906ELNS1_3gpuE6ELNS1_3repE0EEENS1_30default_config_static_selectorELNS0_4arch9wavefront6targetE1EEEvSW_.num_named_barrier, 0
	.set _ZN7rocprim17ROCPRIM_400000_NS6detail17trampoline_kernelINS0_14default_configENS1_22reduce_config_selectorIlEEZNS1_11reduce_implILb1ES3_N6thrust23THRUST_200600_302600_NS11hip_rocprim26transform_input_iterator_tIlNS8_12zip_iteratorINS8_5tupleINS8_6detail15normal_iteratorINS8_10device_ptrIiEEEESH_NS8_9null_typeESI_SI_SI_SI_SI_SI_SI_EEEENS9_21zip_adj_not_predicateI22is_equal_div_10_uniqueIiEEEEEPllNS8_4plusIlEEEE10hipError_tPvRmT1_T2_T3_mT4_P12ihipStream_tbEUlT_E0_NS1_11comp_targetILNS1_3genE2ELNS1_11target_archE906ELNS1_3gpuE6ELNS1_3repE0EEENS1_30default_config_static_selectorELNS0_4arch9wavefront6targetE1EEEvSW_.private_seg_size, 0
	.set _ZN7rocprim17ROCPRIM_400000_NS6detail17trampoline_kernelINS0_14default_configENS1_22reduce_config_selectorIlEEZNS1_11reduce_implILb1ES3_N6thrust23THRUST_200600_302600_NS11hip_rocprim26transform_input_iterator_tIlNS8_12zip_iteratorINS8_5tupleINS8_6detail15normal_iteratorINS8_10device_ptrIiEEEESH_NS8_9null_typeESI_SI_SI_SI_SI_SI_SI_EEEENS9_21zip_adj_not_predicateI22is_equal_div_10_uniqueIiEEEEEPllNS8_4plusIlEEEE10hipError_tPvRmT1_T2_T3_mT4_P12ihipStream_tbEUlT_E0_NS1_11comp_targetILNS1_3genE2ELNS1_11target_archE906ELNS1_3gpuE6ELNS1_3repE0EEENS1_30default_config_static_selectorELNS0_4arch9wavefront6targetE1EEEvSW_.uses_vcc, 1
	.set _ZN7rocprim17ROCPRIM_400000_NS6detail17trampoline_kernelINS0_14default_configENS1_22reduce_config_selectorIlEEZNS1_11reduce_implILb1ES3_N6thrust23THRUST_200600_302600_NS11hip_rocprim26transform_input_iterator_tIlNS8_12zip_iteratorINS8_5tupleINS8_6detail15normal_iteratorINS8_10device_ptrIiEEEESH_NS8_9null_typeESI_SI_SI_SI_SI_SI_SI_EEEENS9_21zip_adj_not_predicateI22is_equal_div_10_uniqueIiEEEEEPllNS8_4plusIlEEEE10hipError_tPvRmT1_T2_T3_mT4_P12ihipStream_tbEUlT_E0_NS1_11comp_targetILNS1_3genE2ELNS1_11target_archE906ELNS1_3gpuE6ELNS1_3repE0EEENS1_30default_config_static_selectorELNS0_4arch9wavefront6targetE1EEEvSW_.uses_flat_scratch, 0
	.set _ZN7rocprim17ROCPRIM_400000_NS6detail17trampoline_kernelINS0_14default_configENS1_22reduce_config_selectorIlEEZNS1_11reduce_implILb1ES3_N6thrust23THRUST_200600_302600_NS11hip_rocprim26transform_input_iterator_tIlNS8_12zip_iteratorINS8_5tupleINS8_6detail15normal_iteratorINS8_10device_ptrIiEEEESH_NS8_9null_typeESI_SI_SI_SI_SI_SI_SI_EEEENS9_21zip_adj_not_predicateI22is_equal_div_10_uniqueIiEEEEEPllNS8_4plusIlEEEE10hipError_tPvRmT1_T2_T3_mT4_P12ihipStream_tbEUlT_E0_NS1_11comp_targetILNS1_3genE2ELNS1_11target_archE906ELNS1_3gpuE6ELNS1_3repE0EEENS1_30default_config_static_selectorELNS0_4arch9wavefront6targetE1EEEvSW_.has_dyn_sized_stack, 0
	.set _ZN7rocprim17ROCPRIM_400000_NS6detail17trampoline_kernelINS0_14default_configENS1_22reduce_config_selectorIlEEZNS1_11reduce_implILb1ES3_N6thrust23THRUST_200600_302600_NS11hip_rocprim26transform_input_iterator_tIlNS8_12zip_iteratorINS8_5tupleINS8_6detail15normal_iteratorINS8_10device_ptrIiEEEESH_NS8_9null_typeESI_SI_SI_SI_SI_SI_SI_EEEENS9_21zip_adj_not_predicateI22is_equal_div_10_uniqueIiEEEEEPllNS8_4plusIlEEEE10hipError_tPvRmT1_T2_T3_mT4_P12ihipStream_tbEUlT_E0_NS1_11comp_targetILNS1_3genE2ELNS1_11target_archE906ELNS1_3gpuE6ELNS1_3repE0EEENS1_30default_config_static_selectorELNS0_4arch9wavefront6targetE1EEEvSW_.has_recursion, 0
	.set _ZN7rocprim17ROCPRIM_400000_NS6detail17trampoline_kernelINS0_14default_configENS1_22reduce_config_selectorIlEEZNS1_11reduce_implILb1ES3_N6thrust23THRUST_200600_302600_NS11hip_rocprim26transform_input_iterator_tIlNS8_12zip_iteratorINS8_5tupleINS8_6detail15normal_iteratorINS8_10device_ptrIiEEEESH_NS8_9null_typeESI_SI_SI_SI_SI_SI_SI_EEEENS9_21zip_adj_not_predicateI22is_equal_div_10_uniqueIiEEEEEPllNS8_4plusIlEEEE10hipError_tPvRmT1_T2_T3_mT4_P12ihipStream_tbEUlT_E0_NS1_11comp_targetILNS1_3genE2ELNS1_11target_archE906ELNS1_3gpuE6ELNS1_3repE0EEENS1_30default_config_static_selectorELNS0_4arch9wavefront6targetE1EEEvSW_.has_indirect_call, 0
	.section	.AMDGPU.csdata,"",@progbits
; Kernel info:
; codeLenInByte = 1816
; TotalNumSgprs: 26
; NumVgprs: 15
; ScratchSize: 0
; MemoryBound: 0
; FloatMode: 240
; IeeeMode: 1
; LDSByteSize: 64 bytes/workgroup (compile time only)
; SGPRBlocks: 3
; VGPRBlocks: 3
; NumSGPRsForWavesPerEU: 26
; NumVGPRsForWavesPerEU: 15
; Occupancy: 10
; WaveLimiterHint : 0
; COMPUTE_PGM_RSRC2:SCRATCH_EN: 0
; COMPUTE_PGM_RSRC2:USER_SGPR: 6
; COMPUTE_PGM_RSRC2:TRAP_HANDLER: 0
; COMPUTE_PGM_RSRC2:TGID_X_EN: 1
; COMPUTE_PGM_RSRC2:TGID_Y_EN: 0
; COMPUTE_PGM_RSRC2:TGID_Z_EN: 0
; COMPUTE_PGM_RSRC2:TIDIG_COMP_CNT: 0
	.section	.text._ZN7rocprim17ROCPRIM_400000_NS6detail17trampoline_kernelINS0_14default_configENS1_22reduce_config_selectorIlEEZNS1_11reduce_implILb1ES3_N6thrust23THRUST_200600_302600_NS11hip_rocprim26transform_input_iterator_tIlNS8_12zip_iteratorINS8_5tupleINS8_6detail15normal_iteratorINS8_10device_ptrIiEEEESH_NS8_9null_typeESI_SI_SI_SI_SI_SI_SI_EEEENS9_21zip_adj_not_predicateI22is_equal_div_10_uniqueIiEEEEEPllNS8_4plusIlEEEE10hipError_tPvRmT1_T2_T3_mT4_P12ihipStream_tbEUlT_E0_NS1_11comp_targetILNS1_3genE10ELNS1_11target_archE1201ELNS1_3gpuE5ELNS1_3repE0EEENS1_30default_config_static_selectorELNS0_4arch9wavefront6targetE1EEEvSW_,"axG",@progbits,_ZN7rocprim17ROCPRIM_400000_NS6detail17trampoline_kernelINS0_14default_configENS1_22reduce_config_selectorIlEEZNS1_11reduce_implILb1ES3_N6thrust23THRUST_200600_302600_NS11hip_rocprim26transform_input_iterator_tIlNS8_12zip_iteratorINS8_5tupleINS8_6detail15normal_iteratorINS8_10device_ptrIiEEEESH_NS8_9null_typeESI_SI_SI_SI_SI_SI_SI_EEEENS9_21zip_adj_not_predicateI22is_equal_div_10_uniqueIiEEEEEPllNS8_4plusIlEEEE10hipError_tPvRmT1_T2_T3_mT4_P12ihipStream_tbEUlT_E0_NS1_11comp_targetILNS1_3genE10ELNS1_11target_archE1201ELNS1_3gpuE5ELNS1_3repE0EEENS1_30default_config_static_selectorELNS0_4arch9wavefront6targetE1EEEvSW_,comdat
	.protected	_ZN7rocprim17ROCPRIM_400000_NS6detail17trampoline_kernelINS0_14default_configENS1_22reduce_config_selectorIlEEZNS1_11reduce_implILb1ES3_N6thrust23THRUST_200600_302600_NS11hip_rocprim26transform_input_iterator_tIlNS8_12zip_iteratorINS8_5tupleINS8_6detail15normal_iteratorINS8_10device_ptrIiEEEESH_NS8_9null_typeESI_SI_SI_SI_SI_SI_SI_EEEENS9_21zip_adj_not_predicateI22is_equal_div_10_uniqueIiEEEEEPllNS8_4plusIlEEEE10hipError_tPvRmT1_T2_T3_mT4_P12ihipStream_tbEUlT_E0_NS1_11comp_targetILNS1_3genE10ELNS1_11target_archE1201ELNS1_3gpuE5ELNS1_3repE0EEENS1_30default_config_static_selectorELNS0_4arch9wavefront6targetE1EEEvSW_ ; -- Begin function _ZN7rocprim17ROCPRIM_400000_NS6detail17trampoline_kernelINS0_14default_configENS1_22reduce_config_selectorIlEEZNS1_11reduce_implILb1ES3_N6thrust23THRUST_200600_302600_NS11hip_rocprim26transform_input_iterator_tIlNS8_12zip_iteratorINS8_5tupleINS8_6detail15normal_iteratorINS8_10device_ptrIiEEEESH_NS8_9null_typeESI_SI_SI_SI_SI_SI_SI_EEEENS9_21zip_adj_not_predicateI22is_equal_div_10_uniqueIiEEEEEPllNS8_4plusIlEEEE10hipError_tPvRmT1_T2_T3_mT4_P12ihipStream_tbEUlT_E0_NS1_11comp_targetILNS1_3genE10ELNS1_11target_archE1201ELNS1_3gpuE5ELNS1_3repE0EEENS1_30default_config_static_selectorELNS0_4arch9wavefront6targetE1EEEvSW_
	.globl	_ZN7rocprim17ROCPRIM_400000_NS6detail17trampoline_kernelINS0_14default_configENS1_22reduce_config_selectorIlEEZNS1_11reduce_implILb1ES3_N6thrust23THRUST_200600_302600_NS11hip_rocprim26transform_input_iterator_tIlNS8_12zip_iteratorINS8_5tupleINS8_6detail15normal_iteratorINS8_10device_ptrIiEEEESH_NS8_9null_typeESI_SI_SI_SI_SI_SI_SI_EEEENS9_21zip_adj_not_predicateI22is_equal_div_10_uniqueIiEEEEEPllNS8_4plusIlEEEE10hipError_tPvRmT1_T2_T3_mT4_P12ihipStream_tbEUlT_E0_NS1_11comp_targetILNS1_3genE10ELNS1_11target_archE1201ELNS1_3gpuE5ELNS1_3repE0EEENS1_30default_config_static_selectorELNS0_4arch9wavefront6targetE1EEEvSW_
	.p2align	8
	.type	_ZN7rocprim17ROCPRIM_400000_NS6detail17trampoline_kernelINS0_14default_configENS1_22reduce_config_selectorIlEEZNS1_11reduce_implILb1ES3_N6thrust23THRUST_200600_302600_NS11hip_rocprim26transform_input_iterator_tIlNS8_12zip_iteratorINS8_5tupleINS8_6detail15normal_iteratorINS8_10device_ptrIiEEEESH_NS8_9null_typeESI_SI_SI_SI_SI_SI_SI_EEEENS9_21zip_adj_not_predicateI22is_equal_div_10_uniqueIiEEEEEPllNS8_4plusIlEEEE10hipError_tPvRmT1_T2_T3_mT4_P12ihipStream_tbEUlT_E0_NS1_11comp_targetILNS1_3genE10ELNS1_11target_archE1201ELNS1_3gpuE5ELNS1_3repE0EEENS1_30default_config_static_selectorELNS0_4arch9wavefront6targetE1EEEvSW_,@function
_ZN7rocprim17ROCPRIM_400000_NS6detail17trampoline_kernelINS0_14default_configENS1_22reduce_config_selectorIlEEZNS1_11reduce_implILb1ES3_N6thrust23THRUST_200600_302600_NS11hip_rocprim26transform_input_iterator_tIlNS8_12zip_iteratorINS8_5tupleINS8_6detail15normal_iteratorINS8_10device_ptrIiEEEESH_NS8_9null_typeESI_SI_SI_SI_SI_SI_SI_EEEENS9_21zip_adj_not_predicateI22is_equal_div_10_uniqueIiEEEEEPllNS8_4plusIlEEEE10hipError_tPvRmT1_T2_T3_mT4_P12ihipStream_tbEUlT_E0_NS1_11comp_targetILNS1_3genE10ELNS1_11target_archE1201ELNS1_3gpuE5ELNS1_3repE0EEENS1_30default_config_static_selectorELNS0_4arch9wavefront6targetE1EEEvSW_: ; @_ZN7rocprim17ROCPRIM_400000_NS6detail17trampoline_kernelINS0_14default_configENS1_22reduce_config_selectorIlEEZNS1_11reduce_implILb1ES3_N6thrust23THRUST_200600_302600_NS11hip_rocprim26transform_input_iterator_tIlNS8_12zip_iteratorINS8_5tupleINS8_6detail15normal_iteratorINS8_10device_ptrIiEEEESH_NS8_9null_typeESI_SI_SI_SI_SI_SI_SI_EEEENS9_21zip_adj_not_predicateI22is_equal_div_10_uniqueIiEEEEEPllNS8_4plusIlEEEE10hipError_tPvRmT1_T2_T3_mT4_P12ihipStream_tbEUlT_E0_NS1_11comp_targetILNS1_3genE10ELNS1_11target_archE1201ELNS1_3gpuE5ELNS1_3repE0EEENS1_30default_config_static_selectorELNS0_4arch9wavefront6targetE1EEEvSW_
; %bb.0:
	.section	.rodata,"a",@progbits
	.p2align	6, 0x0
	.amdhsa_kernel _ZN7rocprim17ROCPRIM_400000_NS6detail17trampoline_kernelINS0_14default_configENS1_22reduce_config_selectorIlEEZNS1_11reduce_implILb1ES3_N6thrust23THRUST_200600_302600_NS11hip_rocprim26transform_input_iterator_tIlNS8_12zip_iteratorINS8_5tupleINS8_6detail15normal_iteratorINS8_10device_ptrIiEEEESH_NS8_9null_typeESI_SI_SI_SI_SI_SI_SI_EEEENS9_21zip_adj_not_predicateI22is_equal_div_10_uniqueIiEEEEEPllNS8_4plusIlEEEE10hipError_tPvRmT1_T2_T3_mT4_P12ihipStream_tbEUlT_E0_NS1_11comp_targetILNS1_3genE10ELNS1_11target_archE1201ELNS1_3gpuE5ELNS1_3repE0EEENS1_30default_config_static_selectorELNS0_4arch9wavefront6targetE1EEEvSW_
		.amdhsa_group_segment_fixed_size 0
		.amdhsa_private_segment_fixed_size 0
		.amdhsa_kernarg_size 80
		.amdhsa_user_sgpr_count 6
		.amdhsa_user_sgpr_private_segment_buffer 1
		.amdhsa_user_sgpr_dispatch_ptr 0
		.amdhsa_user_sgpr_queue_ptr 0
		.amdhsa_user_sgpr_kernarg_segment_ptr 1
		.amdhsa_user_sgpr_dispatch_id 0
		.amdhsa_user_sgpr_flat_scratch_init 0
		.amdhsa_user_sgpr_private_segment_size 0
		.amdhsa_uses_dynamic_stack 0
		.amdhsa_system_sgpr_private_segment_wavefront_offset 0
		.amdhsa_system_sgpr_workgroup_id_x 1
		.amdhsa_system_sgpr_workgroup_id_y 0
		.amdhsa_system_sgpr_workgroup_id_z 0
		.amdhsa_system_sgpr_workgroup_info 0
		.amdhsa_system_vgpr_workitem_id 0
		.amdhsa_next_free_vgpr 1
		.amdhsa_next_free_sgpr 0
		.amdhsa_reserve_vcc 0
		.amdhsa_reserve_flat_scratch 0
		.amdhsa_float_round_mode_32 0
		.amdhsa_float_round_mode_16_64 0
		.amdhsa_float_denorm_mode_32 3
		.amdhsa_float_denorm_mode_16_64 3
		.amdhsa_dx10_clamp 1
		.amdhsa_ieee_mode 1
		.amdhsa_fp16_overflow 0
		.amdhsa_exception_fp_ieee_invalid_op 0
		.amdhsa_exception_fp_denorm_src 0
		.amdhsa_exception_fp_ieee_div_zero 0
		.amdhsa_exception_fp_ieee_overflow 0
		.amdhsa_exception_fp_ieee_underflow 0
		.amdhsa_exception_fp_ieee_inexact 0
		.amdhsa_exception_int_div_zero 0
	.end_amdhsa_kernel
	.section	.text._ZN7rocprim17ROCPRIM_400000_NS6detail17trampoline_kernelINS0_14default_configENS1_22reduce_config_selectorIlEEZNS1_11reduce_implILb1ES3_N6thrust23THRUST_200600_302600_NS11hip_rocprim26transform_input_iterator_tIlNS8_12zip_iteratorINS8_5tupleINS8_6detail15normal_iteratorINS8_10device_ptrIiEEEESH_NS8_9null_typeESI_SI_SI_SI_SI_SI_SI_EEEENS9_21zip_adj_not_predicateI22is_equal_div_10_uniqueIiEEEEEPllNS8_4plusIlEEEE10hipError_tPvRmT1_T2_T3_mT4_P12ihipStream_tbEUlT_E0_NS1_11comp_targetILNS1_3genE10ELNS1_11target_archE1201ELNS1_3gpuE5ELNS1_3repE0EEENS1_30default_config_static_selectorELNS0_4arch9wavefront6targetE1EEEvSW_,"axG",@progbits,_ZN7rocprim17ROCPRIM_400000_NS6detail17trampoline_kernelINS0_14default_configENS1_22reduce_config_selectorIlEEZNS1_11reduce_implILb1ES3_N6thrust23THRUST_200600_302600_NS11hip_rocprim26transform_input_iterator_tIlNS8_12zip_iteratorINS8_5tupleINS8_6detail15normal_iteratorINS8_10device_ptrIiEEEESH_NS8_9null_typeESI_SI_SI_SI_SI_SI_SI_EEEENS9_21zip_adj_not_predicateI22is_equal_div_10_uniqueIiEEEEEPllNS8_4plusIlEEEE10hipError_tPvRmT1_T2_T3_mT4_P12ihipStream_tbEUlT_E0_NS1_11comp_targetILNS1_3genE10ELNS1_11target_archE1201ELNS1_3gpuE5ELNS1_3repE0EEENS1_30default_config_static_selectorELNS0_4arch9wavefront6targetE1EEEvSW_,comdat
.Lfunc_end982:
	.size	_ZN7rocprim17ROCPRIM_400000_NS6detail17trampoline_kernelINS0_14default_configENS1_22reduce_config_selectorIlEEZNS1_11reduce_implILb1ES3_N6thrust23THRUST_200600_302600_NS11hip_rocprim26transform_input_iterator_tIlNS8_12zip_iteratorINS8_5tupleINS8_6detail15normal_iteratorINS8_10device_ptrIiEEEESH_NS8_9null_typeESI_SI_SI_SI_SI_SI_SI_EEEENS9_21zip_adj_not_predicateI22is_equal_div_10_uniqueIiEEEEEPllNS8_4plusIlEEEE10hipError_tPvRmT1_T2_T3_mT4_P12ihipStream_tbEUlT_E0_NS1_11comp_targetILNS1_3genE10ELNS1_11target_archE1201ELNS1_3gpuE5ELNS1_3repE0EEENS1_30default_config_static_selectorELNS0_4arch9wavefront6targetE1EEEvSW_, .Lfunc_end982-_ZN7rocprim17ROCPRIM_400000_NS6detail17trampoline_kernelINS0_14default_configENS1_22reduce_config_selectorIlEEZNS1_11reduce_implILb1ES3_N6thrust23THRUST_200600_302600_NS11hip_rocprim26transform_input_iterator_tIlNS8_12zip_iteratorINS8_5tupleINS8_6detail15normal_iteratorINS8_10device_ptrIiEEEESH_NS8_9null_typeESI_SI_SI_SI_SI_SI_SI_EEEENS9_21zip_adj_not_predicateI22is_equal_div_10_uniqueIiEEEEEPllNS8_4plusIlEEEE10hipError_tPvRmT1_T2_T3_mT4_P12ihipStream_tbEUlT_E0_NS1_11comp_targetILNS1_3genE10ELNS1_11target_archE1201ELNS1_3gpuE5ELNS1_3repE0EEENS1_30default_config_static_selectorELNS0_4arch9wavefront6targetE1EEEvSW_
                                        ; -- End function
	.set _ZN7rocprim17ROCPRIM_400000_NS6detail17trampoline_kernelINS0_14default_configENS1_22reduce_config_selectorIlEEZNS1_11reduce_implILb1ES3_N6thrust23THRUST_200600_302600_NS11hip_rocprim26transform_input_iterator_tIlNS8_12zip_iteratorINS8_5tupleINS8_6detail15normal_iteratorINS8_10device_ptrIiEEEESH_NS8_9null_typeESI_SI_SI_SI_SI_SI_SI_EEEENS9_21zip_adj_not_predicateI22is_equal_div_10_uniqueIiEEEEEPllNS8_4plusIlEEEE10hipError_tPvRmT1_T2_T3_mT4_P12ihipStream_tbEUlT_E0_NS1_11comp_targetILNS1_3genE10ELNS1_11target_archE1201ELNS1_3gpuE5ELNS1_3repE0EEENS1_30default_config_static_selectorELNS0_4arch9wavefront6targetE1EEEvSW_.num_vgpr, 0
	.set _ZN7rocprim17ROCPRIM_400000_NS6detail17trampoline_kernelINS0_14default_configENS1_22reduce_config_selectorIlEEZNS1_11reduce_implILb1ES3_N6thrust23THRUST_200600_302600_NS11hip_rocprim26transform_input_iterator_tIlNS8_12zip_iteratorINS8_5tupleINS8_6detail15normal_iteratorINS8_10device_ptrIiEEEESH_NS8_9null_typeESI_SI_SI_SI_SI_SI_SI_EEEENS9_21zip_adj_not_predicateI22is_equal_div_10_uniqueIiEEEEEPllNS8_4plusIlEEEE10hipError_tPvRmT1_T2_T3_mT4_P12ihipStream_tbEUlT_E0_NS1_11comp_targetILNS1_3genE10ELNS1_11target_archE1201ELNS1_3gpuE5ELNS1_3repE0EEENS1_30default_config_static_selectorELNS0_4arch9wavefront6targetE1EEEvSW_.num_agpr, 0
	.set _ZN7rocprim17ROCPRIM_400000_NS6detail17trampoline_kernelINS0_14default_configENS1_22reduce_config_selectorIlEEZNS1_11reduce_implILb1ES3_N6thrust23THRUST_200600_302600_NS11hip_rocprim26transform_input_iterator_tIlNS8_12zip_iteratorINS8_5tupleINS8_6detail15normal_iteratorINS8_10device_ptrIiEEEESH_NS8_9null_typeESI_SI_SI_SI_SI_SI_SI_EEEENS9_21zip_adj_not_predicateI22is_equal_div_10_uniqueIiEEEEEPllNS8_4plusIlEEEE10hipError_tPvRmT1_T2_T3_mT4_P12ihipStream_tbEUlT_E0_NS1_11comp_targetILNS1_3genE10ELNS1_11target_archE1201ELNS1_3gpuE5ELNS1_3repE0EEENS1_30default_config_static_selectorELNS0_4arch9wavefront6targetE1EEEvSW_.numbered_sgpr, 0
	.set _ZN7rocprim17ROCPRIM_400000_NS6detail17trampoline_kernelINS0_14default_configENS1_22reduce_config_selectorIlEEZNS1_11reduce_implILb1ES3_N6thrust23THRUST_200600_302600_NS11hip_rocprim26transform_input_iterator_tIlNS8_12zip_iteratorINS8_5tupleINS8_6detail15normal_iteratorINS8_10device_ptrIiEEEESH_NS8_9null_typeESI_SI_SI_SI_SI_SI_SI_EEEENS9_21zip_adj_not_predicateI22is_equal_div_10_uniqueIiEEEEEPllNS8_4plusIlEEEE10hipError_tPvRmT1_T2_T3_mT4_P12ihipStream_tbEUlT_E0_NS1_11comp_targetILNS1_3genE10ELNS1_11target_archE1201ELNS1_3gpuE5ELNS1_3repE0EEENS1_30default_config_static_selectorELNS0_4arch9wavefront6targetE1EEEvSW_.num_named_barrier, 0
	.set _ZN7rocprim17ROCPRIM_400000_NS6detail17trampoline_kernelINS0_14default_configENS1_22reduce_config_selectorIlEEZNS1_11reduce_implILb1ES3_N6thrust23THRUST_200600_302600_NS11hip_rocprim26transform_input_iterator_tIlNS8_12zip_iteratorINS8_5tupleINS8_6detail15normal_iteratorINS8_10device_ptrIiEEEESH_NS8_9null_typeESI_SI_SI_SI_SI_SI_SI_EEEENS9_21zip_adj_not_predicateI22is_equal_div_10_uniqueIiEEEEEPllNS8_4plusIlEEEE10hipError_tPvRmT1_T2_T3_mT4_P12ihipStream_tbEUlT_E0_NS1_11comp_targetILNS1_3genE10ELNS1_11target_archE1201ELNS1_3gpuE5ELNS1_3repE0EEENS1_30default_config_static_selectorELNS0_4arch9wavefront6targetE1EEEvSW_.private_seg_size, 0
	.set _ZN7rocprim17ROCPRIM_400000_NS6detail17trampoline_kernelINS0_14default_configENS1_22reduce_config_selectorIlEEZNS1_11reduce_implILb1ES3_N6thrust23THRUST_200600_302600_NS11hip_rocprim26transform_input_iterator_tIlNS8_12zip_iteratorINS8_5tupleINS8_6detail15normal_iteratorINS8_10device_ptrIiEEEESH_NS8_9null_typeESI_SI_SI_SI_SI_SI_SI_EEEENS9_21zip_adj_not_predicateI22is_equal_div_10_uniqueIiEEEEEPllNS8_4plusIlEEEE10hipError_tPvRmT1_T2_T3_mT4_P12ihipStream_tbEUlT_E0_NS1_11comp_targetILNS1_3genE10ELNS1_11target_archE1201ELNS1_3gpuE5ELNS1_3repE0EEENS1_30default_config_static_selectorELNS0_4arch9wavefront6targetE1EEEvSW_.uses_vcc, 0
	.set _ZN7rocprim17ROCPRIM_400000_NS6detail17trampoline_kernelINS0_14default_configENS1_22reduce_config_selectorIlEEZNS1_11reduce_implILb1ES3_N6thrust23THRUST_200600_302600_NS11hip_rocprim26transform_input_iterator_tIlNS8_12zip_iteratorINS8_5tupleINS8_6detail15normal_iteratorINS8_10device_ptrIiEEEESH_NS8_9null_typeESI_SI_SI_SI_SI_SI_SI_EEEENS9_21zip_adj_not_predicateI22is_equal_div_10_uniqueIiEEEEEPllNS8_4plusIlEEEE10hipError_tPvRmT1_T2_T3_mT4_P12ihipStream_tbEUlT_E0_NS1_11comp_targetILNS1_3genE10ELNS1_11target_archE1201ELNS1_3gpuE5ELNS1_3repE0EEENS1_30default_config_static_selectorELNS0_4arch9wavefront6targetE1EEEvSW_.uses_flat_scratch, 0
	.set _ZN7rocprim17ROCPRIM_400000_NS6detail17trampoline_kernelINS0_14default_configENS1_22reduce_config_selectorIlEEZNS1_11reduce_implILb1ES3_N6thrust23THRUST_200600_302600_NS11hip_rocprim26transform_input_iterator_tIlNS8_12zip_iteratorINS8_5tupleINS8_6detail15normal_iteratorINS8_10device_ptrIiEEEESH_NS8_9null_typeESI_SI_SI_SI_SI_SI_SI_EEEENS9_21zip_adj_not_predicateI22is_equal_div_10_uniqueIiEEEEEPllNS8_4plusIlEEEE10hipError_tPvRmT1_T2_T3_mT4_P12ihipStream_tbEUlT_E0_NS1_11comp_targetILNS1_3genE10ELNS1_11target_archE1201ELNS1_3gpuE5ELNS1_3repE0EEENS1_30default_config_static_selectorELNS0_4arch9wavefront6targetE1EEEvSW_.has_dyn_sized_stack, 0
	.set _ZN7rocprim17ROCPRIM_400000_NS6detail17trampoline_kernelINS0_14default_configENS1_22reduce_config_selectorIlEEZNS1_11reduce_implILb1ES3_N6thrust23THRUST_200600_302600_NS11hip_rocprim26transform_input_iterator_tIlNS8_12zip_iteratorINS8_5tupleINS8_6detail15normal_iteratorINS8_10device_ptrIiEEEESH_NS8_9null_typeESI_SI_SI_SI_SI_SI_SI_EEEENS9_21zip_adj_not_predicateI22is_equal_div_10_uniqueIiEEEEEPllNS8_4plusIlEEEE10hipError_tPvRmT1_T2_T3_mT4_P12ihipStream_tbEUlT_E0_NS1_11comp_targetILNS1_3genE10ELNS1_11target_archE1201ELNS1_3gpuE5ELNS1_3repE0EEENS1_30default_config_static_selectorELNS0_4arch9wavefront6targetE1EEEvSW_.has_recursion, 0
	.set _ZN7rocprim17ROCPRIM_400000_NS6detail17trampoline_kernelINS0_14default_configENS1_22reduce_config_selectorIlEEZNS1_11reduce_implILb1ES3_N6thrust23THRUST_200600_302600_NS11hip_rocprim26transform_input_iterator_tIlNS8_12zip_iteratorINS8_5tupleINS8_6detail15normal_iteratorINS8_10device_ptrIiEEEESH_NS8_9null_typeESI_SI_SI_SI_SI_SI_SI_EEEENS9_21zip_adj_not_predicateI22is_equal_div_10_uniqueIiEEEEEPllNS8_4plusIlEEEE10hipError_tPvRmT1_T2_T3_mT4_P12ihipStream_tbEUlT_E0_NS1_11comp_targetILNS1_3genE10ELNS1_11target_archE1201ELNS1_3gpuE5ELNS1_3repE0EEENS1_30default_config_static_selectorELNS0_4arch9wavefront6targetE1EEEvSW_.has_indirect_call, 0
	.section	.AMDGPU.csdata,"",@progbits
; Kernel info:
; codeLenInByte = 0
; TotalNumSgprs: 4
; NumVgprs: 0
; ScratchSize: 0
; MemoryBound: 0
; FloatMode: 240
; IeeeMode: 1
; LDSByteSize: 0 bytes/workgroup (compile time only)
; SGPRBlocks: 0
; VGPRBlocks: 0
; NumSGPRsForWavesPerEU: 4
; NumVGPRsForWavesPerEU: 1
; Occupancy: 10
; WaveLimiterHint : 0
; COMPUTE_PGM_RSRC2:SCRATCH_EN: 0
; COMPUTE_PGM_RSRC2:USER_SGPR: 6
; COMPUTE_PGM_RSRC2:TRAP_HANDLER: 0
; COMPUTE_PGM_RSRC2:TGID_X_EN: 1
; COMPUTE_PGM_RSRC2:TGID_Y_EN: 0
; COMPUTE_PGM_RSRC2:TGID_Z_EN: 0
; COMPUTE_PGM_RSRC2:TIDIG_COMP_CNT: 0
	.section	.text._ZN7rocprim17ROCPRIM_400000_NS6detail17trampoline_kernelINS0_14default_configENS1_22reduce_config_selectorIlEEZNS1_11reduce_implILb1ES3_N6thrust23THRUST_200600_302600_NS11hip_rocprim26transform_input_iterator_tIlNS8_12zip_iteratorINS8_5tupleINS8_6detail15normal_iteratorINS8_10device_ptrIiEEEESH_NS8_9null_typeESI_SI_SI_SI_SI_SI_SI_EEEENS9_21zip_adj_not_predicateI22is_equal_div_10_uniqueIiEEEEEPllNS8_4plusIlEEEE10hipError_tPvRmT1_T2_T3_mT4_P12ihipStream_tbEUlT_E0_NS1_11comp_targetILNS1_3genE10ELNS1_11target_archE1200ELNS1_3gpuE4ELNS1_3repE0EEENS1_30default_config_static_selectorELNS0_4arch9wavefront6targetE1EEEvSW_,"axG",@progbits,_ZN7rocprim17ROCPRIM_400000_NS6detail17trampoline_kernelINS0_14default_configENS1_22reduce_config_selectorIlEEZNS1_11reduce_implILb1ES3_N6thrust23THRUST_200600_302600_NS11hip_rocprim26transform_input_iterator_tIlNS8_12zip_iteratorINS8_5tupleINS8_6detail15normal_iteratorINS8_10device_ptrIiEEEESH_NS8_9null_typeESI_SI_SI_SI_SI_SI_SI_EEEENS9_21zip_adj_not_predicateI22is_equal_div_10_uniqueIiEEEEEPllNS8_4plusIlEEEE10hipError_tPvRmT1_T2_T3_mT4_P12ihipStream_tbEUlT_E0_NS1_11comp_targetILNS1_3genE10ELNS1_11target_archE1200ELNS1_3gpuE4ELNS1_3repE0EEENS1_30default_config_static_selectorELNS0_4arch9wavefront6targetE1EEEvSW_,comdat
	.protected	_ZN7rocprim17ROCPRIM_400000_NS6detail17trampoline_kernelINS0_14default_configENS1_22reduce_config_selectorIlEEZNS1_11reduce_implILb1ES3_N6thrust23THRUST_200600_302600_NS11hip_rocprim26transform_input_iterator_tIlNS8_12zip_iteratorINS8_5tupleINS8_6detail15normal_iteratorINS8_10device_ptrIiEEEESH_NS8_9null_typeESI_SI_SI_SI_SI_SI_SI_EEEENS9_21zip_adj_not_predicateI22is_equal_div_10_uniqueIiEEEEEPllNS8_4plusIlEEEE10hipError_tPvRmT1_T2_T3_mT4_P12ihipStream_tbEUlT_E0_NS1_11comp_targetILNS1_3genE10ELNS1_11target_archE1200ELNS1_3gpuE4ELNS1_3repE0EEENS1_30default_config_static_selectorELNS0_4arch9wavefront6targetE1EEEvSW_ ; -- Begin function _ZN7rocprim17ROCPRIM_400000_NS6detail17trampoline_kernelINS0_14default_configENS1_22reduce_config_selectorIlEEZNS1_11reduce_implILb1ES3_N6thrust23THRUST_200600_302600_NS11hip_rocprim26transform_input_iterator_tIlNS8_12zip_iteratorINS8_5tupleINS8_6detail15normal_iteratorINS8_10device_ptrIiEEEESH_NS8_9null_typeESI_SI_SI_SI_SI_SI_SI_EEEENS9_21zip_adj_not_predicateI22is_equal_div_10_uniqueIiEEEEEPllNS8_4plusIlEEEE10hipError_tPvRmT1_T2_T3_mT4_P12ihipStream_tbEUlT_E0_NS1_11comp_targetILNS1_3genE10ELNS1_11target_archE1200ELNS1_3gpuE4ELNS1_3repE0EEENS1_30default_config_static_selectorELNS0_4arch9wavefront6targetE1EEEvSW_
	.globl	_ZN7rocprim17ROCPRIM_400000_NS6detail17trampoline_kernelINS0_14default_configENS1_22reduce_config_selectorIlEEZNS1_11reduce_implILb1ES3_N6thrust23THRUST_200600_302600_NS11hip_rocprim26transform_input_iterator_tIlNS8_12zip_iteratorINS8_5tupleINS8_6detail15normal_iteratorINS8_10device_ptrIiEEEESH_NS8_9null_typeESI_SI_SI_SI_SI_SI_SI_EEEENS9_21zip_adj_not_predicateI22is_equal_div_10_uniqueIiEEEEEPllNS8_4plusIlEEEE10hipError_tPvRmT1_T2_T3_mT4_P12ihipStream_tbEUlT_E0_NS1_11comp_targetILNS1_3genE10ELNS1_11target_archE1200ELNS1_3gpuE4ELNS1_3repE0EEENS1_30default_config_static_selectorELNS0_4arch9wavefront6targetE1EEEvSW_
	.p2align	8
	.type	_ZN7rocprim17ROCPRIM_400000_NS6detail17trampoline_kernelINS0_14default_configENS1_22reduce_config_selectorIlEEZNS1_11reduce_implILb1ES3_N6thrust23THRUST_200600_302600_NS11hip_rocprim26transform_input_iterator_tIlNS8_12zip_iteratorINS8_5tupleINS8_6detail15normal_iteratorINS8_10device_ptrIiEEEESH_NS8_9null_typeESI_SI_SI_SI_SI_SI_SI_EEEENS9_21zip_adj_not_predicateI22is_equal_div_10_uniqueIiEEEEEPllNS8_4plusIlEEEE10hipError_tPvRmT1_T2_T3_mT4_P12ihipStream_tbEUlT_E0_NS1_11comp_targetILNS1_3genE10ELNS1_11target_archE1200ELNS1_3gpuE4ELNS1_3repE0EEENS1_30default_config_static_selectorELNS0_4arch9wavefront6targetE1EEEvSW_,@function
_ZN7rocprim17ROCPRIM_400000_NS6detail17trampoline_kernelINS0_14default_configENS1_22reduce_config_selectorIlEEZNS1_11reduce_implILb1ES3_N6thrust23THRUST_200600_302600_NS11hip_rocprim26transform_input_iterator_tIlNS8_12zip_iteratorINS8_5tupleINS8_6detail15normal_iteratorINS8_10device_ptrIiEEEESH_NS8_9null_typeESI_SI_SI_SI_SI_SI_SI_EEEENS9_21zip_adj_not_predicateI22is_equal_div_10_uniqueIiEEEEEPllNS8_4plusIlEEEE10hipError_tPvRmT1_T2_T3_mT4_P12ihipStream_tbEUlT_E0_NS1_11comp_targetILNS1_3genE10ELNS1_11target_archE1200ELNS1_3gpuE4ELNS1_3repE0EEENS1_30default_config_static_selectorELNS0_4arch9wavefront6targetE1EEEvSW_: ; @_ZN7rocprim17ROCPRIM_400000_NS6detail17trampoline_kernelINS0_14default_configENS1_22reduce_config_selectorIlEEZNS1_11reduce_implILb1ES3_N6thrust23THRUST_200600_302600_NS11hip_rocprim26transform_input_iterator_tIlNS8_12zip_iteratorINS8_5tupleINS8_6detail15normal_iteratorINS8_10device_ptrIiEEEESH_NS8_9null_typeESI_SI_SI_SI_SI_SI_SI_EEEENS9_21zip_adj_not_predicateI22is_equal_div_10_uniqueIiEEEEEPllNS8_4plusIlEEEE10hipError_tPvRmT1_T2_T3_mT4_P12ihipStream_tbEUlT_E0_NS1_11comp_targetILNS1_3genE10ELNS1_11target_archE1200ELNS1_3gpuE4ELNS1_3repE0EEENS1_30default_config_static_selectorELNS0_4arch9wavefront6targetE1EEEvSW_
; %bb.0:
	.section	.rodata,"a",@progbits
	.p2align	6, 0x0
	.amdhsa_kernel _ZN7rocprim17ROCPRIM_400000_NS6detail17trampoline_kernelINS0_14default_configENS1_22reduce_config_selectorIlEEZNS1_11reduce_implILb1ES3_N6thrust23THRUST_200600_302600_NS11hip_rocprim26transform_input_iterator_tIlNS8_12zip_iteratorINS8_5tupleINS8_6detail15normal_iteratorINS8_10device_ptrIiEEEESH_NS8_9null_typeESI_SI_SI_SI_SI_SI_SI_EEEENS9_21zip_adj_not_predicateI22is_equal_div_10_uniqueIiEEEEEPllNS8_4plusIlEEEE10hipError_tPvRmT1_T2_T3_mT4_P12ihipStream_tbEUlT_E0_NS1_11comp_targetILNS1_3genE10ELNS1_11target_archE1200ELNS1_3gpuE4ELNS1_3repE0EEENS1_30default_config_static_selectorELNS0_4arch9wavefront6targetE1EEEvSW_
		.amdhsa_group_segment_fixed_size 0
		.amdhsa_private_segment_fixed_size 0
		.amdhsa_kernarg_size 80
		.amdhsa_user_sgpr_count 6
		.amdhsa_user_sgpr_private_segment_buffer 1
		.amdhsa_user_sgpr_dispatch_ptr 0
		.amdhsa_user_sgpr_queue_ptr 0
		.amdhsa_user_sgpr_kernarg_segment_ptr 1
		.amdhsa_user_sgpr_dispatch_id 0
		.amdhsa_user_sgpr_flat_scratch_init 0
		.amdhsa_user_sgpr_private_segment_size 0
		.amdhsa_uses_dynamic_stack 0
		.amdhsa_system_sgpr_private_segment_wavefront_offset 0
		.amdhsa_system_sgpr_workgroup_id_x 1
		.amdhsa_system_sgpr_workgroup_id_y 0
		.amdhsa_system_sgpr_workgroup_id_z 0
		.amdhsa_system_sgpr_workgroup_info 0
		.amdhsa_system_vgpr_workitem_id 0
		.amdhsa_next_free_vgpr 1
		.amdhsa_next_free_sgpr 0
		.amdhsa_reserve_vcc 0
		.amdhsa_reserve_flat_scratch 0
		.amdhsa_float_round_mode_32 0
		.amdhsa_float_round_mode_16_64 0
		.amdhsa_float_denorm_mode_32 3
		.amdhsa_float_denorm_mode_16_64 3
		.amdhsa_dx10_clamp 1
		.amdhsa_ieee_mode 1
		.amdhsa_fp16_overflow 0
		.amdhsa_exception_fp_ieee_invalid_op 0
		.amdhsa_exception_fp_denorm_src 0
		.amdhsa_exception_fp_ieee_div_zero 0
		.amdhsa_exception_fp_ieee_overflow 0
		.amdhsa_exception_fp_ieee_underflow 0
		.amdhsa_exception_fp_ieee_inexact 0
		.amdhsa_exception_int_div_zero 0
	.end_amdhsa_kernel
	.section	.text._ZN7rocprim17ROCPRIM_400000_NS6detail17trampoline_kernelINS0_14default_configENS1_22reduce_config_selectorIlEEZNS1_11reduce_implILb1ES3_N6thrust23THRUST_200600_302600_NS11hip_rocprim26transform_input_iterator_tIlNS8_12zip_iteratorINS8_5tupleINS8_6detail15normal_iteratorINS8_10device_ptrIiEEEESH_NS8_9null_typeESI_SI_SI_SI_SI_SI_SI_EEEENS9_21zip_adj_not_predicateI22is_equal_div_10_uniqueIiEEEEEPllNS8_4plusIlEEEE10hipError_tPvRmT1_T2_T3_mT4_P12ihipStream_tbEUlT_E0_NS1_11comp_targetILNS1_3genE10ELNS1_11target_archE1200ELNS1_3gpuE4ELNS1_3repE0EEENS1_30default_config_static_selectorELNS0_4arch9wavefront6targetE1EEEvSW_,"axG",@progbits,_ZN7rocprim17ROCPRIM_400000_NS6detail17trampoline_kernelINS0_14default_configENS1_22reduce_config_selectorIlEEZNS1_11reduce_implILb1ES3_N6thrust23THRUST_200600_302600_NS11hip_rocprim26transform_input_iterator_tIlNS8_12zip_iteratorINS8_5tupleINS8_6detail15normal_iteratorINS8_10device_ptrIiEEEESH_NS8_9null_typeESI_SI_SI_SI_SI_SI_SI_EEEENS9_21zip_adj_not_predicateI22is_equal_div_10_uniqueIiEEEEEPllNS8_4plusIlEEEE10hipError_tPvRmT1_T2_T3_mT4_P12ihipStream_tbEUlT_E0_NS1_11comp_targetILNS1_3genE10ELNS1_11target_archE1200ELNS1_3gpuE4ELNS1_3repE0EEENS1_30default_config_static_selectorELNS0_4arch9wavefront6targetE1EEEvSW_,comdat
.Lfunc_end983:
	.size	_ZN7rocprim17ROCPRIM_400000_NS6detail17trampoline_kernelINS0_14default_configENS1_22reduce_config_selectorIlEEZNS1_11reduce_implILb1ES3_N6thrust23THRUST_200600_302600_NS11hip_rocprim26transform_input_iterator_tIlNS8_12zip_iteratorINS8_5tupleINS8_6detail15normal_iteratorINS8_10device_ptrIiEEEESH_NS8_9null_typeESI_SI_SI_SI_SI_SI_SI_EEEENS9_21zip_adj_not_predicateI22is_equal_div_10_uniqueIiEEEEEPllNS8_4plusIlEEEE10hipError_tPvRmT1_T2_T3_mT4_P12ihipStream_tbEUlT_E0_NS1_11comp_targetILNS1_3genE10ELNS1_11target_archE1200ELNS1_3gpuE4ELNS1_3repE0EEENS1_30default_config_static_selectorELNS0_4arch9wavefront6targetE1EEEvSW_, .Lfunc_end983-_ZN7rocprim17ROCPRIM_400000_NS6detail17trampoline_kernelINS0_14default_configENS1_22reduce_config_selectorIlEEZNS1_11reduce_implILb1ES3_N6thrust23THRUST_200600_302600_NS11hip_rocprim26transform_input_iterator_tIlNS8_12zip_iteratorINS8_5tupleINS8_6detail15normal_iteratorINS8_10device_ptrIiEEEESH_NS8_9null_typeESI_SI_SI_SI_SI_SI_SI_EEEENS9_21zip_adj_not_predicateI22is_equal_div_10_uniqueIiEEEEEPllNS8_4plusIlEEEE10hipError_tPvRmT1_T2_T3_mT4_P12ihipStream_tbEUlT_E0_NS1_11comp_targetILNS1_3genE10ELNS1_11target_archE1200ELNS1_3gpuE4ELNS1_3repE0EEENS1_30default_config_static_selectorELNS0_4arch9wavefront6targetE1EEEvSW_
                                        ; -- End function
	.set _ZN7rocprim17ROCPRIM_400000_NS6detail17trampoline_kernelINS0_14default_configENS1_22reduce_config_selectorIlEEZNS1_11reduce_implILb1ES3_N6thrust23THRUST_200600_302600_NS11hip_rocprim26transform_input_iterator_tIlNS8_12zip_iteratorINS8_5tupleINS8_6detail15normal_iteratorINS8_10device_ptrIiEEEESH_NS8_9null_typeESI_SI_SI_SI_SI_SI_SI_EEEENS9_21zip_adj_not_predicateI22is_equal_div_10_uniqueIiEEEEEPllNS8_4plusIlEEEE10hipError_tPvRmT1_T2_T3_mT4_P12ihipStream_tbEUlT_E0_NS1_11comp_targetILNS1_3genE10ELNS1_11target_archE1200ELNS1_3gpuE4ELNS1_3repE0EEENS1_30default_config_static_selectorELNS0_4arch9wavefront6targetE1EEEvSW_.num_vgpr, 0
	.set _ZN7rocprim17ROCPRIM_400000_NS6detail17trampoline_kernelINS0_14default_configENS1_22reduce_config_selectorIlEEZNS1_11reduce_implILb1ES3_N6thrust23THRUST_200600_302600_NS11hip_rocprim26transform_input_iterator_tIlNS8_12zip_iteratorINS8_5tupleINS8_6detail15normal_iteratorINS8_10device_ptrIiEEEESH_NS8_9null_typeESI_SI_SI_SI_SI_SI_SI_EEEENS9_21zip_adj_not_predicateI22is_equal_div_10_uniqueIiEEEEEPllNS8_4plusIlEEEE10hipError_tPvRmT1_T2_T3_mT4_P12ihipStream_tbEUlT_E0_NS1_11comp_targetILNS1_3genE10ELNS1_11target_archE1200ELNS1_3gpuE4ELNS1_3repE0EEENS1_30default_config_static_selectorELNS0_4arch9wavefront6targetE1EEEvSW_.num_agpr, 0
	.set _ZN7rocprim17ROCPRIM_400000_NS6detail17trampoline_kernelINS0_14default_configENS1_22reduce_config_selectorIlEEZNS1_11reduce_implILb1ES3_N6thrust23THRUST_200600_302600_NS11hip_rocprim26transform_input_iterator_tIlNS8_12zip_iteratorINS8_5tupleINS8_6detail15normal_iteratorINS8_10device_ptrIiEEEESH_NS8_9null_typeESI_SI_SI_SI_SI_SI_SI_EEEENS9_21zip_adj_not_predicateI22is_equal_div_10_uniqueIiEEEEEPllNS8_4plusIlEEEE10hipError_tPvRmT1_T2_T3_mT4_P12ihipStream_tbEUlT_E0_NS1_11comp_targetILNS1_3genE10ELNS1_11target_archE1200ELNS1_3gpuE4ELNS1_3repE0EEENS1_30default_config_static_selectorELNS0_4arch9wavefront6targetE1EEEvSW_.numbered_sgpr, 0
	.set _ZN7rocprim17ROCPRIM_400000_NS6detail17trampoline_kernelINS0_14default_configENS1_22reduce_config_selectorIlEEZNS1_11reduce_implILb1ES3_N6thrust23THRUST_200600_302600_NS11hip_rocprim26transform_input_iterator_tIlNS8_12zip_iteratorINS8_5tupleINS8_6detail15normal_iteratorINS8_10device_ptrIiEEEESH_NS8_9null_typeESI_SI_SI_SI_SI_SI_SI_EEEENS9_21zip_adj_not_predicateI22is_equal_div_10_uniqueIiEEEEEPllNS8_4plusIlEEEE10hipError_tPvRmT1_T2_T3_mT4_P12ihipStream_tbEUlT_E0_NS1_11comp_targetILNS1_3genE10ELNS1_11target_archE1200ELNS1_3gpuE4ELNS1_3repE0EEENS1_30default_config_static_selectorELNS0_4arch9wavefront6targetE1EEEvSW_.num_named_barrier, 0
	.set _ZN7rocprim17ROCPRIM_400000_NS6detail17trampoline_kernelINS0_14default_configENS1_22reduce_config_selectorIlEEZNS1_11reduce_implILb1ES3_N6thrust23THRUST_200600_302600_NS11hip_rocprim26transform_input_iterator_tIlNS8_12zip_iteratorINS8_5tupleINS8_6detail15normal_iteratorINS8_10device_ptrIiEEEESH_NS8_9null_typeESI_SI_SI_SI_SI_SI_SI_EEEENS9_21zip_adj_not_predicateI22is_equal_div_10_uniqueIiEEEEEPllNS8_4plusIlEEEE10hipError_tPvRmT1_T2_T3_mT4_P12ihipStream_tbEUlT_E0_NS1_11comp_targetILNS1_3genE10ELNS1_11target_archE1200ELNS1_3gpuE4ELNS1_3repE0EEENS1_30default_config_static_selectorELNS0_4arch9wavefront6targetE1EEEvSW_.private_seg_size, 0
	.set _ZN7rocprim17ROCPRIM_400000_NS6detail17trampoline_kernelINS0_14default_configENS1_22reduce_config_selectorIlEEZNS1_11reduce_implILb1ES3_N6thrust23THRUST_200600_302600_NS11hip_rocprim26transform_input_iterator_tIlNS8_12zip_iteratorINS8_5tupleINS8_6detail15normal_iteratorINS8_10device_ptrIiEEEESH_NS8_9null_typeESI_SI_SI_SI_SI_SI_SI_EEEENS9_21zip_adj_not_predicateI22is_equal_div_10_uniqueIiEEEEEPllNS8_4plusIlEEEE10hipError_tPvRmT1_T2_T3_mT4_P12ihipStream_tbEUlT_E0_NS1_11comp_targetILNS1_3genE10ELNS1_11target_archE1200ELNS1_3gpuE4ELNS1_3repE0EEENS1_30default_config_static_selectorELNS0_4arch9wavefront6targetE1EEEvSW_.uses_vcc, 0
	.set _ZN7rocprim17ROCPRIM_400000_NS6detail17trampoline_kernelINS0_14default_configENS1_22reduce_config_selectorIlEEZNS1_11reduce_implILb1ES3_N6thrust23THRUST_200600_302600_NS11hip_rocprim26transform_input_iterator_tIlNS8_12zip_iteratorINS8_5tupleINS8_6detail15normal_iteratorINS8_10device_ptrIiEEEESH_NS8_9null_typeESI_SI_SI_SI_SI_SI_SI_EEEENS9_21zip_adj_not_predicateI22is_equal_div_10_uniqueIiEEEEEPllNS8_4plusIlEEEE10hipError_tPvRmT1_T2_T3_mT4_P12ihipStream_tbEUlT_E0_NS1_11comp_targetILNS1_3genE10ELNS1_11target_archE1200ELNS1_3gpuE4ELNS1_3repE0EEENS1_30default_config_static_selectorELNS0_4arch9wavefront6targetE1EEEvSW_.uses_flat_scratch, 0
	.set _ZN7rocprim17ROCPRIM_400000_NS6detail17trampoline_kernelINS0_14default_configENS1_22reduce_config_selectorIlEEZNS1_11reduce_implILb1ES3_N6thrust23THRUST_200600_302600_NS11hip_rocprim26transform_input_iterator_tIlNS8_12zip_iteratorINS8_5tupleINS8_6detail15normal_iteratorINS8_10device_ptrIiEEEESH_NS8_9null_typeESI_SI_SI_SI_SI_SI_SI_EEEENS9_21zip_adj_not_predicateI22is_equal_div_10_uniqueIiEEEEEPllNS8_4plusIlEEEE10hipError_tPvRmT1_T2_T3_mT4_P12ihipStream_tbEUlT_E0_NS1_11comp_targetILNS1_3genE10ELNS1_11target_archE1200ELNS1_3gpuE4ELNS1_3repE0EEENS1_30default_config_static_selectorELNS0_4arch9wavefront6targetE1EEEvSW_.has_dyn_sized_stack, 0
	.set _ZN7rocprim17ROCPRIM_400000_NS6detail17trampoline_kernelINS0_14default_configENS1_22reduce_config_selectorIlEEZNS1_11reduce_implILb1ES3_N6thrust23THRUST_200600_302600_NS11hip_rocprim26transform_input_iterator_tIlNS8_12zip_iteratorINS8_5tupleINS8_6detail15normal_iteratorINS8_10device_ptrIiEEEESH_NS8_9null_typeESI_SI_SI_SI_SI_SI_SI_EEEENS9_21zip_adj_not_predicateI22is_equal_div_10_uniqueIiEEEEEPllNS8_4plusIlEEEE10hipError_tPvRmT1_T2_T3_mT4_P12ihipStream_tbEUlT_E0_NS1_11comp_targetILNS1_3genE10ELNS1_11target_archE1200ELNS1_3gpuE4ELNS1_3repE0EEENS1_30default_config_static_selectorELNS0_4arch9wavefront6targetE1EEEvSW_.has_recursion, 0
	.set _ZN7rocprim17ROCPRIM_400000_NS6detail17trampoline_kernelINS0_14default_configENS1_22reduce_config_selectorIlEEZNS1_11reduce_implILb1ES3_N6thrust23THRUST_200600_302600_NS11hip_rocprim26transform_input_iterator_tIlNS8_12zip_iteratorINS8_5tupleINS8_6detail15normal_iteratorINS8_10device_ptrIiEEEESH_NS8_9null_typeESI_SI_SI_SI_SI_SI_SI_EEEENS9_21zip_adj_not_predicateI22is_equal_div_10_uniqueIiEEEEEPllNS8_4plusIlEEEE10hipError_tPvRmT1_T2_T3_mT4_P12ihipStream_tbEUlT_E0_NS1_11comp_targetILNS1_3genE10ELNS1_11target_archE1200ELNS1_3gpuE4ELNS1_3repE0EEENS1_30default_config_static_selectorELNS0_4arch9wavefront6targetE1EEEvSW_.has_indirect_call, 0
	.section	.AMDGPU.csdata,"",@progbits
; Kernel info:
; codeLenInByte = 0
; TotalNumSgprs: 4
; NumVgprs: 0
; ScratchSize: 0
; MemoryBound: 0
; FloatMode: 240
; IeeeMode: 1
; LDSByteSize: 0 bytes/workgroup (compile time only)
; SGPRBlocks: 0
; VGPRBlocks: 0
; NumSGPRsForWavesPerEU: 4
; NumVGPRsForWavesPerEU: 1
; Occupancy: 10
; WaveLimiterHint : 0
; COMPUTE_PGM_RSRC2:SCRATCH_EN: 0
; COMPUTE_PGM_RSRC2:USER_SGPR: 6
; COMPUTE_PGM_RSRC2:TRAP_HANDLER: 0
; COMPUTE_PGM_RSRC2:TGID_X_EN: 1
; COMPUTE_PGM_RSRC2:TGID_Y_EN: 0
; COMPUTE_PGM_RSRC2:TGID_Z_EN: 0
; COMPUTE_PGM_RSRC2:TIDIG_COMP_CNT: 0
	.section	.text._ZN7rocprim17ROCPRIM_400000_NS6detail17trampoline_kernelINS0_14default_configENS1_22reduce_config_selectorIlEEZNS1_11reduce_implILb1ES3_N6thrust23THRUST_200600_302600_NS11hip_rocprim26transform_input_iterator_tIlNS8_12zip_iteratorINS8_5tupleINS8_6detail15normal_iteratorINS8_10device_ptrIiEEEESH_NS8_9null_typeESI_SI_SI_SI_SI_SI_SI_EEEENS9_21zip_adj_not_predicateI22is_equal_div_10_uniqueIiEEEEEPllNS8_4plusIlEEEE10hipError_tPvRmT1_T2_T3_mT4_P12ihipStream_tbEUlT_E0_NS1_11comp_targetILNS1_3genE9ELNS1_11target_archE1100ELNS1_3gpuE3ELNS1_3repE0EEENS1_30default_config_static_selectorELNS0_4arch9wavefront6targetE1EEEvSW_,"axG",@progbits,_ZN7rocprim17ROCPRIM_400000_NS6detail17trampoline_kernelINS0_14default_configENS1_22reduce_config_selectorIlEEZNS1_11reduce_implILb1ES3_N6thrust23THRUST_200600_302600_NS11hip_rocprim26transform_input_iterator_tIlNS8_12zip_iteratorINS8_5tupleINS8_6detail15normal_iteratorINS8_10device_ptrIiEEEESH_NS8_9null_typeESI_SI_SI_SI_SI_SI_SI_EEEENS9_21zip_adj_not_predicateI22is_equal_div_10_uniqueIiEEEEEPllNS8_4plusIlEEEE10hipError_tPvRmT1_T2_T3_mT4_P12ihipStream_tbEUlT_E0_NS1_11comp_targetILNS1_3genE9ELNS1_11target_archE1100ELNS1_3gpuE3ELNS1_3repE0EEENS1_30default_config_static_selectorELNS0_4arch9wavefront6targetE1EEEvSW_,comdat
	.protected	_ZN7rocprim17ROCPRIM_400000_NS6detail17trampoline_kernelINS0_14default_configENS1_22reduce_config_selectorIlEEZNS1_11reduce_implILb1ES3_N6thrust23THRUST_200600_302600_NS11hip_rocprim26transform_input_iterator_tIlNS8_12zip_iteratorINS8_5tupleINS8_6detail15normal_iteratorINS8_10device_ptrIiEEEESH_NS8_9null_typeESI_SI_SI_SI_SI_SI_SI_EEEENS9_21zip_adj_not_predicateI22is_equal_div_10_uniqueIiEEEEEPllNS8_4plusIlEEEE10hipError_tPvRmT1_T2_T3_mT4_P12ihipStream_tbEUlT_E0_NS1_11comp_targetILNS1_3genE9ELNS1_11target_archE1100ELNS1_3gpuE3ELNS1_3repE0EEENS1_30default_config_static_selectorELNS0_4arch9wavefront6targetE1EEEvSW_ ; -- Begin function _ZN7rocprim17ROCPRIM_400000_NS6detail17trampoline_kernelINS0_14default_configENS1_22reduce_config_selectorIlEEZNS1_11reduce_implILb1ES3_N6thrust23THRUST_200600_302600_NS11hip_rocprim26transform_input_iterator_tIlNS8_12zip_iteratorINS8_5tupleINS8_6detail15normal_iteratorINS8_10device_ptrIiEEEESH_NS8_9null_typeESI_SI_SI_SI_SI_SI_SI_EEEENS9_21zip_adj_not_predicateI22is_equal_div_10_uniqueIiEEEEEPllNS8_4plusIlEEEE10hipError_tPvRmT1_T2_T3_mT4_P12ihipStream_tbEUlT_E0_NS1_11comp_targetILNS1_3genE9ELNS1_11target_archE1100ELNS1_3gpuE3ELNS1_3repE0EEENS1_30default_config_static_selectorELNS0_4arch9wavefront6targetE1EEEvSW_
	.globl	_ZN7rocprim17ROCPRIM_400000_NS6detail17trampoline_kernelINS0_14default_configENS1_22reduce_config_selectorIlEEZNS1_11reduce_implILb1ES3_N6thrust23THRUST_200600_302600_NS11hip_rocprim26transform_input_iterator_tIlNS8_12zip_iteratorINS8_5tupleINS8_6detail15normal_iteratorINS8_10device_ptrIiEEEESH_NS8_9null_typeESI_SI_SI_SI_SI_SI_SI_EEEENS9_21zip_adj_not_predicateI22is_equal_div_10_uniqueIiEEEEEPllNS8_4plusIlEEEE10hipError_tPvRmT1_T2_T3_mT4_P12ihipStream_tbEUlT_E0_NS1_11comp_targetILNS1_3genE9ELNS1_11target_archE1100ELNS1_3gpuE3ELNS1_3repE0EEENS1_30default_config_static_selectorELNS0_4arch9wavefront6targetE1EEEvSW_
	.p2align	8
	.type	_ZN7rocprim17ROCPRIM_400000_NS6detail17trampoline_kernelINS0_14default_configENS1_22reduce_config_selectorIlEEZNS1_11reduce_implILb1ES3_N6thrust23THRUST_200600_302600_NS11hip_rocprim26transform_input_iterator_tIlNS8_12zip_iteratorINS8_5tupleINS8_6detail15normal_iteratorINS8_10device_ptrIiEEEESH_NS8_9null_typeESI_SI_SI_SI_SI_SI_SI_EEEENS9_21zip_adj_not_predicateI22is_equal_div_10_uniqueIiEEEEEPllNS8_4plusIlEEEE10hipError_tPvRmT1_T2_T3_mT4_P12ihipStream_tbEUlT_E0_NS1_11comp_targetILNS1_3genE9ELNS1_11target_archE1100ELNS1_3gpuE3ELNS1_3repE0EEENS1_30default_config_static_selectorELNS0_4arch9wavefront6targetE1EEEvSW_,@function
_ZN7rocprim17ROCPRIM_400000_NS6detail17trampoline_kernelINS0_14default_configENS1_22reduce_config_selectorIlEEZNS1_11reduce_implILb1ES3_N6thrust23THRUST_200600_302600_NS11hip_rocprim26transform_input_iterator_tIlNS8_12zip_iteratorINS8_5tupleINS8_6detail15normal_iteratorINS8_10device_ptrIiEEEESH_NS8_9null_typeESI_SI_SI_SI_SI_SI_SI_EEEENS9_21zip_adj_not_predicateI22is_equal_div_10_uniqueIiEEEEEPllNS8_4plusIlEEEE10hipError_tPvRmT1_T2_T3_mT4_P12ihipStream_tbEUlT_E0_NS1_11comp_targetILNS1_3genE9ELNS1_11target_archE1100ELNS1_3gpuE3ELNS1_3repE0EEENS1_30default_config_static_selectorELNS0_4arch9wavefront6targetE1EEEvSW_: ; @_ZN7rocprim17ROCPRIM_400000_NS6detail17trampoline_kernelINS0_14default_configENS1_22reduce_config_selectorIlEEZNS1_11reduce_implILb1ES3_N6thrust23THRUST_200600_302600_NS11hip_rocprim26transform_input_iterator_tIlNS8_12zip_iteratorINS8_5tupleINS8_6detail15normal_iteratorINS8_10device_ptrIiEEEESH_NS8_9null_typeESI_SI_SI_SI_SI_SI_SI_EEEENS9_21zip_adj_not_predicateI22is_equal_div_10_uniqueIiEEEEEPllNS8_4plusIlEEEE10hipError_tPvRmT1_T2_T3_mT4_P12ihipStream_tbEUlT_E0_NS1_11comp_targetILNS1_3genE9ELNS1_11target_archE1100ELNS1_3gpuE3ELNS1_3repE0EEENS1_30default_config_static_selectorELNS0_4arch9wavefront6targetE1EEEvSW_
; %bb.0:
	.section	.rodata,"a",@progbits
	.p2align	6, 0x0
	.amdhsa_kernel _ZN7rocprim17ROCPRIM_400000_NS6detail17trampoline_kernelINS0_14default_configENS1_22reduce_config_selectorIlEEZNS1_11reduce_implILb1ES3_N6thrust23THRUST_200600_302600_NS11hip_rocprim26transform_input_iterator_tIlNS8_12zip_iteratorINS8_5tupleINS8_6detail15normal_iteratorINS8_10device_ptrIiEEEESH_NS8_9null_typeESI_SI_SI_SI_SI_SI_SI_EEEENS9_21zip_adj_not_predicateI22is_equal_div_10_uniqueIiEEEEEPllNS8_4plusIlEEEE10hipError_tPvRmT1_T2_T3_mT4_P12ihipStream_tbEUlT_E0_NS1_11comp_targetILNS1_3genE9ELNS1_11target_archE1100ELNS1_3gpuE3ELNS1_3repE0EEENS1_30default_config_static_selectorELNS0_4arch9wavefront6targetE1EEEvSW_
		.amdhsa_group_segment_fixed_size 0
		.amdhsa_private_segment_fixed_size 0
		.amdhsa_kernarg_size 80
		.amdhsa_user_sgpr_count 6
		.amdhsa_user_sgpr_private_segment_buffer 1
		.amdhsa_user_sgpr_dispatch_ptr 0
		.amdhsa_user_sgpr_queue_ptr 0
		.amdhsa_user_sgpr_kernarg_segment_ptr 1
		.amdhsa_user_sgpr_dispatch_id 0
		.amdhsa_user_sgpr_flat_scratch_init 0
		.amdhsa_user_sgpr_private_segment_size 0
		.amdhsa_uses_dynamic_stack 0
		.amdhsa_system_sgpr_private_segment_wavefront_offset 0
		.amdhsa_system_sgpr_workgroup_id_x 1
		.amdhsa_system_sgpr_workgroup_id_y 0
		.amdhsa_system_sgpr_workgroup_id_z 0
		.amdhsa_system_sgpr_workgroup_info 0
		.amdhsa_system_vgpr_workitem_id 0
		.amdhsa_next_free_vgpr 1
		.amdhsa_next_free_sgpr 0
		.amdhsa_reserve_vcc 0
		.amdhsa_reserve_flat_scratch 0
		.amdhsa_float_round_mode_32 0
		.amdhsa_float_round_mode_16_64 0
		.amdhsa_float_denorm_mode_32 3
		.amdhsa_float_denorm_mode_16_64 3
		.amdhsa_dx10_clamp 1
		.amdhsa_ieee_mode 1
		.amdhsa_fp16_overflow 0
		.amdhsa_exception_fp_ieee_invalid_op 0
		.amdhsa_exception_fp_denorm_src 0
		.amdhsa_exception_fp_ieee_div_zero 0
		.amdhsa_exception_fp_ieee_overflow 0
		.amdhsa_exception_fp_ieee_underflow 0
		.amdhsa_exception_fp_ieee_inexact 0
		.amdhsa_exception_int_div_zero 0
	.end_amdhsa_kernel
	.section	.text._ZN7rocprim17ROCPRIM_400000_NS6detail17trampoline_kernelINS0_14default_configENS1_22reduce_config_selectorIlEEZNS1_11reduce_implILb1ES3_N6thrust23THRUST_200600_302600_NS11hip_rocprim26transform_input_iterator_tIlNS8_12zip_iteratorINS8_5tupleINS8_6detail15normal_iteratorINS8_10device_ptrIiEEEESH_NS8_9null_typeESI_SI_SI_SI_SI_SI_SI_EEEENS9_21zip_adj_not_predicateI22is_equal_div_10_uniqueIiEEEEEPllNS8_4plusIlEEEE10hipError_tPvRmT1_T2_T3_mT4_P12ihipStream_tbEUlT_E0_NS1_11comp_targetILNS1_3genE9ELNS1_11target_archE1100ELNS1_3gpuE3ELNS1_3repE0EEENS1_30default_config_static_selectorELNS0_4arch9wavefront6targetE1EEEvSW_,"axG",@progbits,_ZN7rocprim17ROCPRIM_400000_NS6detail17trampoline_kernelINS0_14default_configENS1_22reduce_config_selectorIlEEZNS1_11reduce_implILb1ES3_N6thrust23THRUST_200600_302600_NS11hip_rocprim26transform_input_iterator_tIlNS8_12zip_iteratorINS8_5tupleINS8_6detail15normal_iteratorINS8_10device_ptrIiEEEESH_NS8_9null_typeESI_SI_SI_SI_SI_SI_SI_EEEENS9_21zip_adj_not_predicateI22is_equal_div_10_uniqueIiEEEEEPllNS8_4plusIlEEEE10hipError_tPvRmT1_T2_T3_mT4_P12ihipStream_tbEUlT_E0_NS1_11comp_targetILNS1_3genE9ELNS1_11target_archE1100ELNS1_3gpuE3ELNS1_3repE0EEENS1_30default_config_static_selectorELNS0_4arch9wavefront6targetE1EEEvSW_,comdat
.Lfunc_end984:
	.size	_ZN7rocprim17ROCPRIM_400000_NS6detail17trampoline_kernelINS0_14default_configENS1_22reduce_config_selectorIlEEZNS1_11reduce_implILb1ES3_N6thrust23THRUST_200600_302600_NS11hip_rocprim26transform_input_iterator_tIlNS8_12zip_iteratorINS8_5tupleINS8_6detail15normal_iteratorINS8_10device_ptrIiEEEESH_NS8_9null_typeESI_SI_SI_SI_SI_SI_SI_EEEENS9_21zip_adj_not_predicateI22is_equal_div_10_uniqueIiEEEEEPllNS8_4plusIlEEEE10hipError_tPvRmT1_T2_T3_mT4_P12ihipStream_tbEUlT_E0_NS1_11comp_targetILNS1_3genE9ELNS1_11target_archE1100ELNS1_3gpuE3ELNS1_3repE0EEENS1_30default_config_static_selectorELNS0_4arch9wavefront6targetE1EEEvSW_, .Lfunc_end984-_ZN7rocprim17ROCPRIM_400000_NS6detail17trampoline_kernelINS0_14default_configENS1_22reduce_config_selectorIlEEZNS1_11reduce_implILb1ES3_N6thrust23THRUST_200600_302600_NS11hip_rocprim26transform_input_iterator_tIlNS8_12zip_iteratorINS8_5tupleINS8_6detail15normal_iteratorINS8_10device_ptrIiEEEESH_NS8_9null_typeESI_SI_SI_SI_SI_SI_SI_EEEENS9_21zip_adj_not_predicateI22is_equal_div_10_uniqueIiEEEEEPllNS8_4plusIlEEEE10hipError_tPvRmT1_T2_T3_mT4_P12ihipStream_tbEUlT_E0_NS1_11comp_targetILNS1_3genE9ELNS1_11target_archE1100ELNS1_3gpuE3ELNS1_3repE0EEENS1_30default_config_static_selectorELNS0_4arch9wavefront6targetE1EEEvSW_
                                        ; -- End function
	.set _ZN7rocprim17ROCPRIM_400000_NS6detail17trampoline_kernelINS0_14default_configENS1_22reduce_config_selectorIlEEZNS1_11reduce_implILb1ES3_N6thrust23THRUST_200600_302600_NS11hip_rocprim26transform_input_iterator_tIlNS8_12zip_iteratorINS8_5tupleINS8_6detail15normal_iteratorINS8_10device_ptrIiEEEESH_NS8_9null_typeESI_SI_SI_SI_SI_SI_SI_EEEENS9_21zip_adj_not_predicateI22is_equal_div_10_uniqueIiEEEEEPllNS8_4plusIlEEEE10hipError_tPvRmT1_T2_T3_mT4_P12ihipStream_tbEUlT_E0_NS1_11comp_targetILNS1_3genE9ELNS1_11target_archE1100ELNS1_3gpuE3ELNS1_3repE0EEENS1_30default_config_static_selectorELNS0_4arch9wavefront6targetE1EEEvSW_.num_vgpr, 0
	.set _ZN7rocprim17ROCPRIM_400000_NS6detail17trampoline_kernelINS0_14default_configENS1_22reduce_config_selectorIlEEZNS1_11reduce_implILb1ES3_N6thrust23THRUST_200600_302600_NS11hip_rocprim26transform_input_iterator_tIlNS8_12zip_iteratorINS8_5tupleINS8_6detail15normal_iteratorINS8_10device_ptrIiEEEESH_NS8_9null_typeESI_SI_SI_SI_SI_SI_SI_EEEENS9_21zip_adj_not_predicateI22is_equal_div_10_uniqueIiEEEEEPllNS8_4plusIlEEEE10hipError_tPvRmT1_T2_T3_mT4_P12ihipStream_tbEUlT_E0_NS1_11comp_targetILNS1_3genE9ELNS1_11target_archE1100ELNS1_3gpuE3ELNS1_3repE0EEENS1_30default_config_static_selectorELNS0_4arch9wavefront6targetE1EEEvSW_.num_agpr, 0
	.set _ZN7rocprim17ROCPRIM_400000_NS6detail17trampoline_kernelINS0_14default_configENS1_22reduce_config_selectorIlEEZNS1_11reduce_implILb1ES3_N6thrust23THRUST_200600_302600_NS11hip_rocprim26transform_input_iterator_tIlNS8_12zip_iteratorINS8_5tupleINS8_6detail15normal_iteratorINS8_10device_ptrIiEEEESH_NS8_9null_typeESI_SI_SI_SI_SI_SI_SI_EEEENS9_21zip_adj_not_predicateI22is_equal_div_10_uniqueIiEEEEEPllNS8_4plusIlEEEE10hipError_tPvRmT1_T2_T3_mT4_P12ihipStream_tbEUlT_E0_NS1_11comp_targetILNS1_3genE9ELNS1_11target_archE1100ELNS1_3gpuE3ELNS1_3repE0EEENS1_30default_config_static_selectorELNS0_4arch9wavefront6targetE1EEEvSW_.numbered_sgpr, 0
	.set _ZN7rocprim17ROCPRIM_400000_NS6detail17trampoline_kernelINS0_14default_configENS1_22reduce_config_selectorIlEEZNS1_11reduce_implILb1ES3_N6thrust23THRUST_200600_302600_NS11hip_rocprim26transform_input_iterator_tIlNS8_12zip_iteratorINS8_5tupleINS8_6detail15normal_iteratorINS8_10device_ptrIiEEEESH_NS8_9null_typeESI_SI_SI_SI_SI_SI_SI_EEEENS9_21zip_adj_not_predicateI22is_equal_div_10_uniqueIiEEEEEPllNS8_4plusIlEEEE10hipError_tPvRmT1_T2_T3_mT4_P12ihipStream_tbEUlT_E0_NS1_11comp_targetILNS1_3genE9ELNS1_11target_archE1100ELNS1_3gpuE3ELNS1_3repE0EEENS1_30default_config_static_selectorELNS0_4arch9wavefront6targetE1EEEvSW_.num_named_barrier, 0
	.set _ZN7rocprim17ROCPRIM_400000_NS6detail17trampoline_kernelINS0_14default_configENS1_22reduce_config_selectorIlEEZNS1_11reduce_implILb1ES3_N6thrust23THRUST_200600_302600_NS11hip_rocprim26transform_input_iterator_tIlNS8_12zip_iteratorINS8_5tupleINS8_6detail15normal_iteratorINS8_10device_ptrIiEEEESH_NS8_9null_typeESI_SI_SI_SI_SI_SI_SI_EEEENS9_21zip_adj_not_predicateI22is_equal_div_10_uniqueIiEEEEEPllNS8_4plusIlEEEE10hipError_tPvRmT1_T2_T3_mT4_P12ihipStream_tbEUlT_E0_NS1_11comp_targetILNS1_3genE9ELNS1_11target_archE1100ELNS1_3gpuE3ELNS1_3repE0EEENS1_30default_config_static_selectorELNS0_4arch9wavefront6targetE1EEEvSW_.private_seg_size, 0
	.set _ZN7rocprim17ROCPRIM_400000_NS6detail17trampoline_kernelINS0_14default_configENS1_22reduce_config_selectorIlEEZNS1_11reduce_implILb1ES3_N6thrust23THRUST_200600_302600_NS11hip_rocprim26transform_input_iterator_tIlNS8_12zip_iteratorINS8_5tupleINS8_6detail15normal_iteratorINS8_10device_ptrIiEEEESH_NS8_9null_typeESI_SI_SI_SI_SI_SI_SI_EEEENS9_21zip_adj_not_predicateI22is_equal_div_10_uniqueIiEEEEEPllNS8_4plusIlEEEE10hipError_tPvRmT1_T2_T3_mT4_P12ihipStream_tbEUlT_E0_NS1_11comp_targetILNS1_3genE9ELNS1_11target_archE1100ELNS1_3gpuE3ELNS1_3repE0EEENS1_30default_config_static_selectorELNS0_4arch9wavefront6targetE1EEEvSW_.uses_vcc, 0
	.set _ZN7rocprim17ROCPRIM_400000_NS6detail17trampoline_kernelINS0_14default_configENS1_22reduce_config_selectorIlEEZNS1_11reduce_implILb1ES3_N6thrust23THRUST_200600_302600_NS11hip_rocprim26transform_input_iterator_tIlNS8_12zip_iteratorINS8_5tupleINS8_6detail15normal_iteratorINS8_10device_ptrIiEEEESH_NS8_9null_typeESI_SI_SI_SI_SI_SI_SI_EEEENS9_21zip_adj_not_predicateI22is_equal_div_10_uniqueIiEEEEEPllNS8_4plusIlEEEE10hipError_tPvRmT1_T2_T3_mT4_P12ihipStream_tbEUlT_E0_NS1_11comp_targetILNS1_3genE9ELNS1_11target_archE1100ELNS1_3gpuE3ELNS1_3repE0EEENS1_30default_config_static_selectorELNS0_4arch9wavefront6targetE1EEEvSW_.uses_flat_scratch, 0
	.set _ZN7rocprim17ROCPRIM_400000_NS6detail17trampoline_kernelINS0_14default_configENS1_22reduce_config_selectorIlEEZNS1_11reduce_implILb1ES3_N6thrust23THRUST_200600_302600_NS11hip_rocprim26transform_input_iterator_tIlNS8_12zip_iteratorINS8_5tupleINS8_6detail15normal_iteratorINS8_10device_ptrIiEEEESH_NS8_9null_typeESI_SI_SI_SI_SI_SI_SI_EEEENS9_21zip_adj_not_predicateI22is_equal_div_10_uniqueIiEEEEEPllNS8_4plusIlEEEE10hipError_tPvRmT1_T2_T3_mT4_P12ihipStream_tbEUlT_E0_NS1_11comp_targetILNS1_3genE9ELNS1_11target_archE1100ELNS1_3gpuE3ELNS1_3repE0EEENS1_30default_config_static_selectorELNS0_4arch9wavefront6targetE1EEEvSW_.has_dyn_sized_stack, 0
	.set _ZN7rocprim17ROCPRIM_400000_NS6detail17trampoline_kernelINS0_14default_configENS1_22reduce_config_selectorIlEEZNS1_11reduce_implILb1ES3_N6thrust23THRUST_200600_302600_NS11hip_rocprim26transform_input_iterator_tIlNS8_12zip_iteratorINS8_5tupleINS8_6detail15normal_iteratorINS8_10device_ptrIiEEEESH_NS8_9null_typeESI_SI_SI_SI_SI_SI_SI_EEEENS9_21zip_adj_not_predicateI22is_equal_div_10_uniqueIiEEEEEPllNS8_4plusIlEEEE10hipError_tPvRmT1_T2_T3_mT4_P12ihipStream_tbEUlT_E0_NS1_11comp_targetILNS1_3genE9ELNS1_11target_archE1100ELNS1_3gpuE3ELNS1_3repE0EEENS1_30default_config_static_selectorELNS0_4arch9wavefront6targetE1EEEvSW_.has_recursion, 0
	.set _ZN7rocprim17ROCPRIM_400000_NS6detail17trampoline_kernelINS0_14default_configENS1_22reduce_config_selectorIlEEZNS1_11reduce_implILb1ES3_N6thrust23THRUST_200600_302600_NS11hip_rocprim26transform_input_iterator_tIlNS8_12zip_iteratorINS8_5tupleINS8_6detail15normal_iteratorINS8_10device_ptrIiEEEESH_NS8_9null_typeESI_SI_SI_SI_SI_SI_SI_EEEENS9_21zip_adj_not_predicateI22is_equal_div_10_uniqueIiEEEEEPllNS8_4plusIlEEEE10hipError_tPvRmT1_T2_T3_mT4_P12ihipStream_tbEUlT_E0_NS1_11comp_targetILNS1_3genE9ELNS1_11target_archE1100ELNS1_3gpuE3ELNS1_3repE0EEENS1_30default_config_static_selectorELNS0_4arch9wavefront6targetE1EEEvSW_.has_indirect_call, 0
	.section	.AMDGPU.csdata,"",@progbits
; Kernel info:
; codeLenInByte = 0
; TotalNumSgprs: 4
; NumVgprs: 0
; ScratchSize: 0
; MemoryBound: 0
; FloatMode: 240
; IeeeMode: 1
; LDSByteSize: 0 bytes/workgroup (compile time only)
; SGPRBlocks: 0
; VGPRBlocks: 0
; NumSGPRsForWavesPerEU: 4
; NumVGPRsForWavesPerEU: 1
; Occupancy: 10
; WaveLimiterHint : 0
; COMPUTE_PGM_RSRC2:SCRATCH_EN: 0
; COMPUTE_PGM_RSRC2:USER_SGPR: 6
; COMPUTE_PGM_RSRC2:TRAP_HANDLER: 0
; COMPUTE_PGM_RSRC2:TGID_X_EN: 1
; COMPUTE_PGM_RSRC2:TGID_Y_EN: 0
; COMPUTE_PGM_RSRC2:TGID_Z_EN: 0
; COMPUTE_PGM_RSRC2:TIDIG_COMP_CNT: 0
	.section	.text._ZN7rocprim17ROCPRIM_400000_NS6detail17trampoline_kernelINS0_14default_configENS1_22reduce_config_selectorIlEEZNS1_11reduce_implILb1ES3_N6thrust23THRUST_200600_302600_NS11hip_rocprim26transform_input_iterator_tIlNS8_12zip_iteratorINS8_5tupleINS8_6detail15normal_iteratorINS8_10device_ptrIiEEEESH_NS8_9null_typeESI_SI_SI_SI_SI_SI_SI_EEEENS9_21zip_adj_not_predicateI22is_equal_div_10_uniqueIiEEEEEPllNS8_4plusIlEEEE10hipError_tPvRmT1_T2_T3_mT4_P12ihipStream_tbEUlT_E0_NS1_11comp_targetILNS1_3genE8ELNS1_11target_archE1030ELNS1_3gpuE2ELNS1_3repE0EEENS1_30default_config_static_selectorELNS0_4arch9wavefront6targetE1EEEvSW_,"axG",@progbits,_ZN7rocprim17ROCPRIM_400000_NS6detail17trampoline_kernelINS0_14default_configENS1_22reduce_config_selectorIlEEZNS1_11reduce_implILb1ES3_N6thrust23THRUST_200600_302600_NS11hip_rocprim26transform_input_iterator_tIlNS8_12zip_iteratorINS8_5tupleINS8_6detail15normal_iteratorINS8_10device_ptrIiEEEESH_NS8_9null_typeESI_SI_SI_SI_SI_SI_SI_EEEENS9_21zip_adj_not_predicateI22is_equal_div_10_uniqueIiEEEEEPllNS8_4plusIlEEEE10hipError_tPvRmT1_T2_T3_mT4_P12ihipStream_tbEUlT_E0_NS1_11comp_targetILNS1_3genE8ELNS1_11target_archE1030ELNS1_3gpuE2ELNS1_3repE0EEENS1_30default_config_static_selectorELNS0_4arch9wavefront6targetE1EEEvSW_,comdat
	.protected	_ZN7rocprim17ROCPRIM_400000_NS6detail17trampoline_kernelINS0_14default_configENS1_22reduce_config_selectorIlEEZNS1_11reduce_implILb1ES3_N6thrust23THRUST_200600_302600_NS11hip_rocprim26transform_input_iterator_tIlNS8_12zip_iteratorINS8_5tupleINS8_6detail15normal_iteratorINS8_10device_ptrIiEEEESH_NS8_9null_typeESI_SI_SI_SI_SI_SI_SI_EEEENS9_21zip_adj_not_predicateI22is_equal_div_10_uniqueIiEEEEEPllNS8_4plusIlEEEE10hipError_tPvRmT1_T2_T3_mT4_P12ihipStream_tbEUlT_E0_NS1_11comp_targetILNS1_3genE8ELNS1_11target_archE1030ELNS1_3gpuE2ELNS1_3repE0EEENS1_30default_config_static_selectorELNS0_4arch9wavefront6targetE1EEEvSW_ ; -- Begin function _ZN7rocprim17ROCPRIM_400000_NS6detail17trampoline_kernelINS0_14default_configENS1_22reduce_config_selectorIlEEZNS1_11reduce_implILb1ES3_N6thrust23THRUST_200600_302600_NS11hip_rocprim26transform_input_iterator_tIlNS8_12zip_iteratorINS8_5tupleINS8_6detail15normal_iteratorINS8_10device_ptrIiEEEESH_NS8_9null_typeESI_SI_SI_SI_SI_SI_SI_EEEENS9_21zip_adj_not_predicateI22is_equal_div_10_uniqueIiEEEEEPllNS8_4plusIlEEEE10hipError_tPvRmT1_T2_T3_mT4_P12ihipStream_tbEUlT_E0_NS1_11comp_targetILNS1_3genE8ELNS1_11target_archE1030ELNS1_3gpuE2ELNS1_3repE0EEENS1_30default_config_static_selectorELNS0_4arch9wavefront6targetE1EEEvSW_
	.globl	_ZN7rocprim17ROCPRIM_400000_NS6detail17trampoline_kernelINS0_14default_configENS1_22reduce_config_selectorIlEEZNS1_11reduce_implILb1ES3_N6thrust23THRUST_200600_302600_NS11hip_rocprim26transform_input_iterator_tIlNS8_12zip_iteratorINS8_5tupleINS8_6detail15normal_iteratorINS8_10device_ptrIiEEEESH_NS8_9null_typeESI_SI_SI_SI_SI_SI_SI_EEEENS9_21zip_adj_not_predicateI22is_equal_div_10_uniqueIiEEEEEPllNS8_4plusIlEEEE10hipError_tPvRmT1_T2_T3_mT4_P12ihipStream_tbEUlT_E0_NS1_11comp_targetILNS1_3genE8ELNS1_11target_archE1030ELNS1_3gpuE2ELNS1_3repE0EEENS1_30default_config_static_selectorELNS0_4arch9wavefront6targetE1EEEvSW_
	.p2align	8
	.type	_ZN7rocprim17ROCPRIM_400000_NS6detail17trampoline_kernelINS0_14default_configENS1_22reduce_config_selectorIlEEZNS1_11reduce_implILb1ES3_N6thrust23THRUST_200600_302600_NS11hip_rocprim26transform_input_iterator_tIlNS8_12zip_iteratorINS8_5tupleINS8_6detail15normal_iteratorINS8_10device_ptrIiEEEESH_NS8_9null_typeESI_SI_SI_SI_SI_SI_SI_EEEENS9_21zip_adj_not_predicateI22is_equal_div_10_uniqueIiEEEEEPllNS8_4plusIlEEEE10hipError_tPvRmT1_T2_T3_mT4_P12ihipStream_tbEUlT_E0_NS1_11comp_targetILNS1_3genE8ELNS1_11target_archE1030ELNS1_3gpuE2ELNS1_3repE0EEENS1_30default_config_static_selectorELNS0_4arch9wavefront6targetE1EEEvSW_,@function
_ZN7rocprim17ROCPRIM_400000_NS6detail17trampoline_kernelINS0_14default_configENS1_22reduce_config_selectorIlEEZNS1_11reduce_implILb1ES3_N6thrust23THRUST_200600_302600_NS11hip_rocprim26transform_input_iterator_tIlNS8_12zip_iteratorINS8_5tupleINS8_6detail15normal_iteratorINS8_10device_ptrIiEEEESH_NS8_9null_typeESI_SI_SI_SI_SI_SI_SI_EEEENS9_21zip_adj_not_predicateI22is_equal_div_10_uniqueIiEEEEEPllNS8_4plusIlEEEE10hipError_tPvRmT1_T2_T3_mT4_P12ihipStream_tbEUlT_E0_NS1_11comp_targetILNS1_3genE8ELNS1_11target_archE1030ELNS1_3gpuE2ELNS1_3repE0EEENS1_30default_config_static_selectorELNS0_4arch9wavefront6targetE1EEEvSW_: ; @_ZN7rocprim17ROCPRIM_400000_NS6detail17trampoline_kernelINS0_14default_configENS1_22reduce_config_selectorIlEEZNS1_11reduce_implILb1ES3_N6thrust23THRUST_200600_302600_NS11hip_rocprim26transform_input_iterator_tIlNS8_12zip_iteratorINS8_5tupleINS8_6detail15normal_iteratorINS8_10device_ptrIiEEEESH_NS8_9null_typeESI_SI_SI_SI_SI_SI_SI_EEEENS9_21zip_adj_not_predicateI22is_equal_div_10_uniqueIiEEEEEPllNS8_4plusIlEEEE10hipError_tPvRmT1_T2_T3_mT4_P12ihipStream_tbEUlT_E0_NS1_11comp_targetILNS1_3genE8ELNS1_11target_archE1030ELNS1_3gpuE2ELNS1_3repE0EEENS1_30default_config_static_selectorELNS0_4arch9wavefront6targetE1EEEvSW_
; %bb.0:
	.section	.rodata,"a",@progbits
	.p2align	6, 0x0
	.amdhsa_kernel _ZN7rocprim17ROCPRIM_400000_NS6detail17trampoline_kernelINS0_14default_configENS1_22reduce_config_selectorIlEEZNS1_11reduce_implILb1ES3_N6thrust23THRUST_200600_302600_NS11hip_rocprim26transform_input_iterator_tIlNS8_12zip_iteratorINS8_5tupleINS8_6detail15normal_iteratorINS8_10device_ptrIiEEEESH_NS8_9null_typeESI_SI_SI_SI_SI_SI_SI_EEEENS9_21zip_adj_not_predicateI22is_equal_div_10_uniqueIiEEEEEPllNS8_4plusIlEEEE10hipError_tPvRmT1_T2_T3_mT4_P12ihipStream_tbEUlT_E0_NS1_11comp_targetILNS1_3genE8ELNS1_11target_archE1030ELNS1_3gpuE2ELNS1_3repE0EEENS1_30default_config_static_selectorELNS0_4arch9wavefront6targetE1EEEvSW_
		.amdhsa_group_segment_fixed_size 0
		.amdhsa_private_segment_fixed_size 0
		.amdhsa_kernarg_size 80
		.amdhsa_user_sgpr_count 6
		.amdhsa_user_sgpr_private_segment_buffer 1
		.amdhsa_user_sgpr_dispatch_ptr 0
		.amdhsa_user_sgpr_queue_ptr 0
		.amdhsa_user_sgpr_kernarg_segment_ptr 1
		.amdhsa_user_sgpr_dispatch_id 0
		.amdhsa_user_sgpr_flat_scratch_init 0
		.amdhsa_user_sgpr_private_segment_size 0
		.amdhsa_uses_dynamic_stack 0
		.amdhsa_system_sgpr_private_segment_wavefront_offset 0
		.amdhsa_system_sgpr_workgroup_id_x 1
		.amdhsa_system_sgpr_workgroup_id_y 0
		.amdhsa_system_sgpr_workgroup_id_z 0
		.amdhsa_system_sgpr_workgroup_info 0
		.amdhsa_system_vgpr_workitem_id 0
		.amdhsa_next_free_vgpr 1
		.amdhsa_next_free_sgpr 0
		.amdhsa_reserve_vcc 0
		.amdhsa_reserve_flat_scratch 0
		.amdhsa_float_round_mode_32 0
		.amdhsa_float_round_mode_16_64 0
		.amdhsa_float_denorm_mode_32 3
		.amdhsa_float_denorm_mode_16_64 3
		.amdhsa_dx10_clamp 1
		.amdhsa_ieee_mode 1
		.amdhsa_fp16_overflow 0
		.amdhsa_exception_fp_ieee_invalid_op 0
		.amdhsa_exception_fp_denorm_src 0
		.amdhsa_exception_fp_ieee_div_zero 0
		.amdhsa_exception_fp_ieee_overflow 0
		.amdhsa_exception_fp_ieee_underflow 0
		.amdhsa_exception_fp_ieee_inexact 0
		.amdhsa_exception_int_div_zero 0
	.end_amdhsa_kernel
	.section	.text._ZN7rocprim17ROCPRIM_400000_NS6detail17trampoline_kernelINS0_14default_configENS1_22reduce_config_selectorIlEEZNS1_11reduce_implILb1ES3_N6thrust23THRUST_200600_302600_NS11hip_rocprim26transform_input_iterator_tIlNS8_12zip_iteratorINS8_5tupleINS8_6detail15normal_iteratorINS8_10device_ptrIiEEEESH_NS8_9null_typeESI_SI_SI_SI_SI_SI_SI_EEEENS9_21zip_adj_not_predicateI22is_equal_div_10_uniqueIiEEEEEPllNS8_4plusIlEEEE10hipError_tPvRmT1_T2_T3_mT4_P12ihipStream_tbEUlT_E0_NS1_11comp_targetILNS1_3genE8ELNS1_11target_archE1030ELNS1_3gpuE2ELNS1_3repE0EEENS1_30default_config_static_selectorELNS0_4arch9wavefront6targetE1EEEvSW_,"axG",@progbits,_ZN7rocprim17ROCPRIM_400000_NS6detail17trampoline_kernelINS0_14default_configENS1_22reduce_config_selectorIlEEZNS1_11reduce_implILb1ES3_N6thrust23THRUST_200600_302600_NS11hip_rocprim26transform_input_iterator_tIlNS8_12zip_iteratorINS8_5tupleINS8_6detail15normal_iteratorINS8_10device_ptrIiEEEESH_NS8_9null_typeESI_SI_SI_SI_SI_SI_SI_EEEENS9_21zip_adj_not_predicateI22is_equal_div_10_uniqueIiEEEEEPllNS8_4plusIlEEEE10hipError_tPvRmT1_T2_T3_mT4_P12ihipStream_tbEUlT_E0_NS1_11comp_targetILNS1_3genE8ELNS1_11target_archE1030ELNS1_3gpuE2ELNS1_3repE0EEENS1_30default_config_static_selectorELNS0_4arch9wavefront6targetE1EEEvSW_,comdat
.Lfunc_end985:
	.size	_ZN7rocprim17ROCPRIM_400000_NS6detail17trampoline_kernelINS0_14default_configENS1_22reduce_config_selectorIlEEZNS1_11reduce_implILb1ES3_N6thrust23THRUST_200600_302600_NS11hip_rocprim26transform_input_iterator_tIlNS8_12zip_iteratorINS8_5tupleINS8_6detail15normal_iteratorINS8_10device_ptrIiEEEESH_NS8_9null_typeESI_SI_SI_SI_SI_SI_SI_EEEENS9_21zip_adj_not_predicateI22is_equal_div_10_uniqueIiEEEEEPllNS8_4plusIlEEEE10hipError_tPvRmT1_T2_T3_mT4_P12ihipStream_tbEUlT_E0_NS1_11comp_targetILNS1_3genE8ELNS1_11target_archE1030ELNS1_3gpuE2ELNS1_3repE0EEENS1_30default_config_static_selectorELNS0_4arch9wavefront6targetE1EEEvSW_, .Lfunc_end985-_ZN7rocprim17ROCPRIM_400000_NS6detail17trampoline_kernelINS0_14default_configENS1_22reduce_config_selectorIlEEZNS1_11reduce_implILb1ES3_N6thrust23THRUST_200600_302600_NS11hip_rocprim26transform_input_iterator_tIlNS8_12zip_iteratorINS8_5tupleINS8_6detail15normal_iteratorINS8_10device_ptrIiEEEESH_NS8_9null_typeESI_SI_SI_SI_SI_SI_SI_EEEENS9_21zip_adj_not_predicateI22is_equal_div_10_uniqueIiEEEEEPllNS8_4plusIlEEEE10hipError_tPvRmT1_T2_T3_mT4_P12ihipStream_tbEUlT_E0_NS1_11comp_targetILNS1_3genE8ELNS1_11target_archE1030ELNS1_3gpuE2ELNS1_3repE0EEENS1_30default_config_static_selectorELNS0_4arch9wavefront6targetE1EEEvSW_
                                        ; -- End function
	.set _ZN7rocprim17ROCPRIM_400000_NS6detail17trampoline_kernelINS0_14default_configENS1_22reduce_config_selectorIlEEZNS1_11reduce_implILb1ES3_N6thrust23THRUST_200600_302600_NS11hip_rocprim26transform_input_iterator_tIlNS8_12zip_iteratorINS8_5tupleINS8_6detail15normal_iteratorINS8_10device_ptrIiEEEESH_NS8_9null_typeESI_SI_SI_SI_SI_SI_SI_EEEENS9_21zip_adj_not_predicateI22is_equal_div_10_uniqueIiEEEEEPllNS8_4plusIlEEEE10hipError_tPvRmT1_T2_T3_mT4_P12ihipStream_tbEUlT_E0_NS1_11comp_targetILNS1_3genE8ELNS1_11target_archE1030ELNS1_3gpuE2ELNS1_3repE0EEENS1_30default_config_static_selectorELNS0_4arch9wavefront6targetE1EEEvSW_.num_vgpr, 0
	.set _ZN7rocprim17ROCPRIM_400000_NS6detail17trampoline_kernelINS0_14default_configENS1_22reduce_config_selectorIlEEZNS1_11reduce_implILb1ES3_N6thrust23THRUST_200600_302600_NS11hip_rocprim26transform_input_iterator_tIlNS8_12zip_iteratorINS8_5tupleINS8_6detail15normal_iteratorINS8_10device_ptrIiEEEESH_NS8_9null_typeESI_SI_SI_SI_SI_SI_SI_EEEENS9_21zip_adj_not_predicateI22is_equal_div_10_uniqueIiEEEEEPllNS8_4plusIlEEEE10hipError_tPvRmT1_T2_T3_mT4_P12ihipStream_tbEUlT_E0_NS1_11comp_targetILNS1_3genE8ELNS1_11target_archE1030ELNS1_3gpuE2ELNS1_3repE0EEENS1_30default_config_static_selectorELNS0_4arch9wavefront6targetE1EEEvSW_.num_agpr, 0
	.set _ZN7rocprim17ROCPRIM_400000_NS6detail17trampoline_kernelINS0_14default_configENS1_22reduce_config_selectorIlEEZNS1_11reduce_implILb1ES3_N6thrust23THRUST_200600_302600_NS11hip_rocprim26transform_input_iterator_tIlNS8_12zip_iteratorINS8_5tupleINS8_6detail15normal_iteratorINS8_10device_ptrIiEEEESH_NS8_9null_typeESI_SI_SI_SI_SI_SI_SI_EEEENS9_21zip_adj_not_predicateI22is_equal_div_10_uniqueIiEEEEEPllNS8_4plusIlEEEE10hipError_tPvRmT1_T2_T3_mT4_P12ihipStream_tbEUlT_E0_NS1_11comp_targetILNS1_3genE8ELNS1_11target_archE1030ELNS1_3gpuE2ELNS1_3repE0EEENS1_30default_config_static_selectorELNS0_4arch9wavefront6targetE1EEEvSW_.numbered_sgpr, 0
	.set _ZN7rocprim17ROCPRIM_400000_NS6detail17trampoline_kernelINS0_14default_configENS1_22reduce_config_selectorIlEEZNS1_11reduce_implILb1ES3_N6thrust23THRUST_200600_302600_NS11hip_rocprim26transform_input_iterator_tIlNS8_12zip_iteratorINS8_5tupleINS8_6detail15normal_iteratorINS8_10device_ptrIiEEEESH_NS8_9null_typeESI_SI_SI_SI_SI_SI_SI_EEEENS9_21zip_adj_not_predicateI22is_equal_div_10_uniqueIiEEEEEPllNS8_4plusIlEEEE10hipError_tPvRmT1_T2_T3_mT4_P12ihipStream_tbEUlT_E0_NS1_11comp_targetILNS1_3genE8ELNS1_11target_archE1030ELNS1_3gpuE2ELNS1_3repE0EEENS1_30default_config_static_selectorELNS0_4arch9wavefront6targetE1EEEvSW_.num_named_barrier, 0
	.set _ZN7rocprim17ROCPRIM_400000_NS6detail17trampoline_kernelINS0_14default_configENS1_22reduce_config_selectorIlEEZNS1_11reduce_implILb1ES3_N6thrust23THRUST_200600_302600_NS11hip_rocprim26transform_input_iterator_tIlNS8_12zip_iteratorINS8_5tupleINS8_6detail15normal_iteratorINS8_10device_ptrIiEEEESH_NS8_9null_typeESI_SI_SI_SI_SI_SI_SI_EEEENS9_21zip_adj_not_predicateI22is_equal_div_10_uniqueIiEEEEEPllNS8_4plusIlEEEE10hipError_tPvRmT1_T2_T3_mT4_P12ihipStream_tbEUlT_E0_NS1_11comp_targetILNS1_3genE8ELNS1_11target_archE1030ELNS1_3gpuE2ELNS1_3repE0EEENS1_30default_config_static_selectorELNS0_4arch9wavefront6targetE1EEEvSW_.private_seg_size, 0
	.set _ZN7rocprim17ROCPRIM_400000_NS6detail17trampoline_kernelINS0_14default_configENS1_22reduce_config_selectorIlEEZNS1_11reduce_implILb1ES3_N6thrust23THRUST_200600_302600_NS11hip_rocprim26transform_input_iterator_tIlNS8_12zip_iteratorINS8_5tupleINS8_6detail15normal_iteratorINS8_10device_ptrIiEEEESH_NS8_9null_typeESI_SI_SI_SI_SI_SI_SI_EEEENS9_21zip_adj_not_predicateI22is_equal_div_10_uniqueIiEEEEEPllNS8_4plusIlEEEE10hipError_tPvRmT1_T2_T3_mT4_P12ihipStream_tbEUlT_E0_NS1_11comp_targetILNS1_3genE8ELNS1_11target_archE1030ELNS1_3gpuE2ELNS1_3repE0EEENS1_30default_config_static_selectorELNS0_4arch9wavefront6targetE1EEEvSW_.uses_vcc, 0
	.set _ZN7rocprim17ROCPRIM_400000_NS6detail17trampoline_kernelINS0_14default_configENS1_22reduce_config_selectorIlEEZNS1_11reduce_implILb1ES3_N6thrust23THRUST_200600_302600_NS11hip_rocprim26transform_input_iterator_tIlNS8_12zip_iteratorINS8_5tupleINS8_6detail15normal_iteratorINS8_10device_ptrIiEEEESH_NS8_9null_typeESI_SI_SI_SI_SI_SI_SI_EEEENS9_21zip_adj_not_predicateI22is_equal_div_10_uniqueIiEEEEEPllNS8_4plusIlEEEE10hipError_tPvRmT1_T2_T3_mT4_P12ihipStream_tbEUlT_E0_NS1_11comp_targetILNS1_3genE8ELNS1_11target_archE1030ELNS1_3gpuE2ELNS1_3repE0EEENS1_30default_config_static_selectorELNS0_4arch9wavefront6targetE1EEEvSW_.uses_flat_scratch, 0
	.set _ZN7rocprim17ROCPRIM_400000_NS6detail17trampoline_kernelINS0_14default_configENS1_22reduce_config_selectorIlEEZNS1_11reduce_implILb1ES3_N6thrust23THRUST_200600_302600_NS11hip_rocprim26transform_input_iterator_tIlNS8_12zip_iteratorINS8_5tupleINS8_6detail15normal_iteratorINS8_10device_ptrIiEEEESH_NS8_9null_typeESI_SI_SI_SI_SI_SI_SI_EEEENS9_21zip_adj_not_predicateI22is_equal_div_10_uniqueIiEEEEEPllNS8_4plusIlEEEE10hipError_tPvRmT1_T2_T3_mT4_P12ihipStream_tbEUlT_E0_NS1_11comp_targetILNS1_3genE8ELNS1_11target_archE1030ELNS1_3gpuE2ELNS1_3repE0EEENS1_30default_config_static_selectorELNS0_4arch9wavefront6targetE1EEEvSW_.has_dyn_sized_stack, 0
	.set _ZN7rocprim17ROCPRIM_400000_NS6detail17trampoline_kernelINS0_14default_configENS1_22reduce_config_selectorIlEEZNS1_11reduce_implILb1ES3_N6thrust23THRUST_200600_302600_NS11hip_rocprim26transform_input_iterator_tIlNS8_12zip_iteratorINS8_5tupleINS8_6detail15normal_iteratorINS8_10device_ptrIiEEEESH_NS8_9null_typeESI_SI_SI_SI_SI_SI_SI_EEEENS9_21zip_adj_not_predicateI22is_equal_div_10_uniqueIiEEEEEPllNS8_4plusIlEEEE10hipError_tPvRmT1_T2_T3_mT4_P12ihipStream_tbEUlT_E0_NS1_11comp_targetILNS1_3genE8ELNS1_11target_archE1030ELNS1_3gpuE2ELNS1_3repE0EEENS1_30default_config_static_selectorELNS0_4arch9wavefront6targetE1EEEvSW_.has_recursion, 0
	.set _ZN7rocprim17ROCPRIM_400000_NS6detail17trampoline_kernelINS0_14default_configENS1_22reduce_config_selectorIlEEZNS1_11reduce_implILb1ES3_N6thrust23THRUST_200600_302600_NS11hip_rocprim26transform_input_iterator_tIlNS8_12zip_iteratorINS8_5tupleINS8_6detail15normal_iteratorINS8_10device_ptrIiEEEESH_NS8_9null_typeESI_SI_SI_SI_SI_SI_SI_EEEENS9_21zip_adj_not_predicateI22is_equal_div_10_uniqueIiEEEEEPllNS8_4plusIlEEEE10hipError_tPvRmT1_T2_T3_mT4_P12ihipStream_tbEUlT_E0_NS1_11comp_targetILNS1_3genE8ELNS1_11target_archE1030ELNS1_3gpuE2ELNS1_3repE0EEENS1_30default_config_static_selectorELNS0_4arch9wavefront6targetE1EEEvSW_.has_indirect_call, 0
	.section	.AMDGPU.csdata,"",@progbits
; Kernel info:
; codeLenInByte = 0
; TotalNumSgprs: 4
; NumVgprs: 0
; ScratchSize: 0
; MemoryBound: 0
; FloatMode: 240
; IeeeMode: 1
; LDSByteSize: 0 bytes/workgroup (compile time only)
; SGPRBlocks: 0
; VGPRBlocks: 0
; NumSGPRsForWavesPerEU: 4
; NumVGPRsForWavesPerEU: 1
; Occupancy: 10
; WaveLimiterHint : 0
; COMPUTE_PGM_RSRC2:SCRATCH_EN: 0
; COMPUTE_PGM_RSRC2:USER_SGPR: 6
; COMPUTE_PGM_RSRC2:TRAP_HANDLER: 0
; COMPUTE_PGM_RSRC2:TGID_X_EN: 1
; COMPUTE_PGM_RSRC2:TGID_Y_EN: 0
; COMPUTE_PGM_RSRC2:TGID_Z_EN: 0
; COMPUTE_PGM_RSRC2:TIDIG_COMP_CNT: 0
	.section	.text._ZN7rocprim17ROCPRIM_400000_NS6detail17trampoline_kernelINS0_14default_configENS1_22reduce_config_selectorIlEEZNS1_11reduce_implILb1ES3_N6thrust23THRUST_200600_302600_NS11hip_rocprim26transform_input_iterator_tIlNS8_12zip_iteratorINS8_5tupleINS8_6detail15normal_iteratorINS8_10device_ptrIiEEEESH_NS8_9null_typeESI_SI_SI_SI_SI_SI_SI_EEEENS9_21zip_adj_not_predicateI22is_equal_div_10_uniqueIiEEEEEPllNS8_4plusIlEEEE10hipError_tPvRmT1_T2_T3_mT4_P12ihipStream_tbEUlT_E1_NS1_11comp_targetILNS1_3genE0ELNS1_11target_archE4294967295ELNS1_3gpuE0ELNS1_3repE0EEENS1_30default_config_static_selectorELNS0_4arch9wavefront6targetE1EEEvSW_,"axG",@progbits,_ZN7rocprim17ROCPRIM_400000_NS6detail17trampoline_kernelINS0_14default_configENS1_22reduce_config_selectorIlEEZNS1_11reduce_implILb1ES3_N6thrust23THRUST_200600_302600_NS11hip_rocprim26transform_input_iterator_tIlNS8_12zip_iteratorINS8_5tupleINS8_6detail15normal_iteratorINS8_10device_ptrIiEEEESH_NS8_9null_typeESI_SI_SI_SI_SI_SI_SI_EEEENS9_21zip_adj_not_predicateI22is_equal_div_10_uniqueIiEEEEEPllNS8_4plusIlEEEE10hipError_tPvRmT1_T2_T3_mT4_P12ihipStream_tbEUlT_E1_NS1_11comp_targetILNS1_3genE0ELNS1_11target_archE4294967295ELNS1_3gpuE0ELNS1_3repE0EEENS1_30default_config_static_selectorELNS0_4arch9wavefront6targetE1EEEvSW_,comdat
	.protected	_ZN7rocprim17ROCPRIM_400000_NS6detail17trampoline_kernelINS0_14default_configENS1_22reduce_config_selectorIlEEZNS1_11reduce_implILb1ES3_N6thrust23THRUST_200600_302600_NS11hip_rocprim26transform_input_iterator_tIlNS8_12zip_iteratorINS8_5tupleINS8_6detail15normal_iteratorINS8_10device_ptrIiEEEESH_NS8_9null_typeESI_SI_SI_SI_SI_SI_SI_EEEENS9_21zip_adj_not_predicateI22is_equal_div_10_uniqueIiEEEEEPllNS8_4plusIlEEEE10hipError_tPvRmT1_T2_T3_mT4_P12ihipStream_tbEUlT_E1_NS1_11comp_targetILNS1_3genE0ELNS1_11target_archE4294967295ELNS1_3gpuE0ELNS1_3repE0EEENS1_30default_config_static_selectorELNS0_4arch9wavefront6targetE1EEEvSW_ ; -- Begin function _ZN7rocprim17ROCPRIM_400000_NS6detail17trampoline_kernelINS0_14default_configENS1_22reduce_config_selectorIlEEZNS1_11reduce_implILb1ES3_N6thrust23THRUST_200600_302600_NS11hip_rocprim26transform_input_iterator_tIlNS8_12zip_iteratorINS8_5tupleINS8_6detail15normal_iteratorINS8_10device_ptrIiEEEESH_NS8_9null_typeESI_SI_SI_SI_SI_SI_SI_EEEENS9_21zip_adj_not_predicateI22is_equal_div_10_uniqueIiEEEEEPllNS8_4plusIlEEEE10hipError_tPvRmT1_T2_T3_mT4_P12ihipStream_tbEUlT_E1_NS1_11comp_targetILNS1_3genE0ELNS1_11target_archE4294967295ELNS1_3gpuE0ELNS1_3repE0EEENS1_30default_config_static_selectorELNS0_4arch9wavefront6targetE1EEEvSW_
	.globl	_ZN7rocprim17ROCPRIM_400000_NS6detail17trampoline_kernelINS0_14default_configENS1_22reduce_config_selectorIlEEZNS1_11reduce_implILb1ES3_N6thrust23THRUST_200600_302600_NS11hip_rocprim26transform_input_iterator_tIlNS8_12zip_iteratorINS8_5tupleINS8_6detail15normal_iteratorINS8_10device_ptrIiEEEESH_NS8_9null_typeESI_SI_SI_SI_SI_SI_SI_EEEENS9_21zip_adj_not_predicateI22is_equal_div_10_uniqueIiEEEEEPllNS8_4plusIlEEEE10hipError_tPvRmT1_T2_T3_mT4_P12ihipStream_tbEUlT_E1_NS1_11comp_targetILNS1_3genE0ELNS1_11target_archE4294967295ELNS1_3gpuE0ELNS1_3repE0EEENS1_30default_config_static_selectorELNS0_4arch9wavefront6targetE1EEEvSW_
	.p2align	8
	.type	_ZN7rocprim17ROCPRIM_400000_NS6detail17trampoline_kernelINS0_14default_configENS1_22reduce_config_selectorIlEEZNS1_11reduce_implILb1ES3_N6thrust23THRUST_200600_302600_NS11hip_rocprim26transform_input_iterator_tIlNS8_12zip_iteratorINS8_5tupleINS8_6detail15normal_iteratorINS8_10device_ptrIiEEEESH_NS8_9null_typeESI_SI_SI_SI_SI_SI_SI_EEEENS9_21zip_adj_not_predicateI22is_equal_div_10_uniqueIiEEEEEPllNS8_4plusIlEEEE10hipError_tPvRmT1_T2_T3_mT4_P12ihipStream_tbEUlT_E1_NS1_11comp_targetILNS1_3genE0ELNS1_11target_archE4294967295ELNS1_3gpuE0ELNS1_3repE0EEENS1_30default_config_static_selectorELNS0_4arch9wavefront6targetE1EEEvSW_,@function
_ZN7rocprim17ROCPRIM_400000_NS6detail17trampoline_kernelINS0_14default_configENS1_22reduce_config_selectorIlEEZNS1_11reduce_implILb1ES3_N6thrust23THRUST_200600_302600_NS11hip_rocprim26transform_input_iterator_tIlNS8_12zip_iteratorINS8_5tupleINS8_6detail15normal_iteratorINS8_10device_ptrIiEEEESH_NS8_9null_typeESI_SI_SI_SI_SI_SI_SI_EEEENS9_21zip_adj_not_predicateI22is_equal_div_10_uniqueIiEEEEEPllNS8_4plusIlEEEE10hipError_tPvRmT1_T2_T3_mT4_P12ihipStream_tbEUlT_E1_NS1_11comp_targetILNS1_3genE0ELNS1_11target_archE4294967295ELNS1_3gpuE0ELNS1_3repE0EEENS1_30default_config_static_selectorELNS0_4arch9wavefront6targetE1EEEvSW_: ; @_ZN7rocprim17ROCPRIM_400000_NS6detail17trampoline_kernelINS0_14default_configENS1_22reduce_config_selectorIlEEZNS1_11reduce_implILb1ES3_N6thrust23THRUST_200600_302600_NS11hip_rocprim26transform_input_iterator_tIlNS8_12zip_iteratorINS8_5tupleINS8_6detail15normal_iteratorINS8_10device_ptrIiEEEESH_NS8_9null_typeESI_SI_SI_SI_SI_SI_SI_EEEENS9_21zip_adj_not_predicateI22is_equal_div_10_uniqueIiEEEEEPllNS8_4plusIlEEEE10hipError_tPvRmT1_T2_T3_mT4_P12ihipStream_tbEUlT_E1_NS1_11comp_targetILNS1_3genE0ELNS1_11target_archE4294967295ELNS1_3gpuE0ELNS1_3repE0EEENS1_30default_config_static_selectorELNS0_4arch9wavefront6targetE1EEEvSW_
; %bb.0:
	.section	.rodata,"a",@progbits
	.p2align	6, 0x0
	.amdhsa_kernel _ZN7rocprim17ROCPRIM_400000_NS6detail17trampoline_kernelINS0_14default_configENS1_22reduce_config_selectorIlEEZNS1_11reduce_implILb1ES3_N6thrust23THRUST_200600_302600_NS11hip_rocprim26transform_input_iterator_tIlNS8_12zip_iteratorINS8_5tupleINS8_6detail15normal_iteratorINS8_10device_ptrIiEEEESH_NS8_9null_typeESI_SI_SI_SI_SI_SI_SI_EEEENS9_21zip_adj_not_predicateI22is_equal_div_10_uniqueIiEEEEEPllNS8_4plusIlEEEE10hipError_tPvRmT1_T2_T3_mT4_P12ihipStream_tbEUlT_E1_NS1_11comp_targetILNS1_3genE0ELNS1_11target_archE4294967295ELNS1_3gpuE0ELNS1_3repE0EEENS1_30default_config_static_selectorELNS0_4arch9wavefront6targetE1EEEvSW_
		.amdhsa_group_segment_fixed_size 0
		.amdhsa_private_segment_fixed_size 0
		.amdhsa_kernarg_size 64
		.amdhsa_user_sgpr_count 6
		.amdhsa_user_sgpr_private_segment_buffer 1
		.amdhsa_user_sgpr_dispatch_ptr 0
		.amdhsa_user_sgpr_queue_ptr 0
		.amdhsa_user_sgpr_kernarg_segment_ptr 1
		.amdhsa_user_sgpr_dispatch_id 0
		.amdhsa_user_sgpr_flat_scratch_init 0
		.amdhsa_user_sgpr_private_segment_size 0
		.amdhsa_uses_dynamic_stack 0
		.amdhsa_system_sgpr_private_segment_wavefront_offset 0
		.amdhsa_system_sgpr_workgroup_id_x 1
		.amdhsa_system_sgpr_workgroup_id_y 0
		.amdhsa_system_sgpr_workgroup_id_z 0
		.amdhsa_system_sgpr_workgroup_info 0
		.amdhsa_system_vgpr_workitem_id 0
		.amdhsa_next_free_vgpr 1
		.amdhsa_next_free_sgpr 0
		.amdhsa_reserve_vcc 0
		.amdhsa_reserve_flat_scratch 0
		.amdhsa_float_round_mode_32 0
		.amdhsa_float_round_mode_16_64 0
		.amdhsa_float_denorm_mode_32 3
		.amdhsa_float_denorm_mode_16_64 3
		.amdhsa_dx10_clamp 1
		.amdhsa_ieee_mode 1
		.amdhsa_fp16_overflow 0
		.amdhsa_exception_fp_ieee_invalid_op 0
		.amdhsa_exception_fp_denorm_src 0
		.amdhsa_exception_fp_ieee_div_zero 0
		.amdhsa_exception_fp_ieee_overflow 0
		.amdhsa_exception_fp_ieee_underflow 0
		.amdhsa_exception_fp_ieee_inexact 0
		.amdhsa_exception_int_div_zero 0
	.end_amdhsa_kernel
	.section	.text._ZN7rocprim17ROCPRIM_400000_NS6detail17trampoline_kernelINS0_14default_configENS1_22reduce_config_selectorIlEEZNS1_11reduce_implILb1ES3_N6thrust23THRUST_200600_302600_NS11hip_rocprim26transform_input_iterator_tIlNS8_12zip_iteratorINS8_5tupleINS8_6detail15normal_iteratorINS8_10device_ptrIiEEEESH_NS8_9null_typeESI_SI_SI_SI_SI_SI_SI_EEEENS9_21zip_adj_not_predicateI22is_equal_div_10_uniqueIiEEEEEPllNS8_4plusIlEEEE10hipError_tPvRmT1_T2_T3_mT4_P12ihipStream_tbEUlT_E1_NS1_11comp_targetILNS1_3genE0ELNS1_11target_archE4294967295ELNS1_3gpuE0ELNS1_3repE0EEENS1_30default_config_static_selectorELNS0_4arch9wavefront6targetE1EEEvSW_,"axG",@progbits,_ZN7rocprim17ROCPRIM_400000_NS6detail17trampoline_kernelINS0_14default_configENS1_22reduce_config_selectorIlEEZNS1_11reduce_implILb1ES3_N6thrust23THRUST_200600_302600_NS11hip_rocprim26transform_input_iterator_tIlNS8_12zip_iteratorINS8_5tupleINS8_6detail15normal_iteratorINS8_10device_ptrIiEEEESH_NS8_9null_typeESI_SI_SI_SI_SI_SI_SI_EEEENS9_21zip_adj_not_predicateI22is_equal_div_10_uniqueIiEEEEEPllNS8_4plusIlEEEE10hipError_tPvRmT1_T2_T3_mT4_P12ihipStream_tbEUlT_E1_NS1_11comp_targetILNS1_3genE0ELNS1_11target_archE4294967295ELNS1_3gpuE0ELNS1_3repE0EEENS1_30default_config_static_selectorELNS0_4arch9wavefront6targetE1EEEvSW_,comdat
.Lfunc_end986:
	.size	_ZN7rocprim17ROCPRIM_400000_NS6detail17trampoline_kernelINS0_14default_configENS1_22reduce_config_selectorIlEEZNS1_11reduce_implILb1ES3_N6thrust23THRUST_200600_302600_NS11hip_rocprim26transform_input_iterator_tIlNS8_12zip_iteratorINS8_5tupleINS8_6detail15normal_iteratorINS8_10device_ptrIiEEEESH_NS8_9null_typeESI_SI_SI_SI_SI_SI_SI_EEEENS9_21zip_adj_not_predicateI22is_equal_div_10_uniqueIiEEEEEPllNS8_4plusIlEEEE10hipError_tPvRmT1_T2_T3_mT4_P12ihipStream_tbEUlT_E1_NS1_11comp_targetILNS1_3genE0ELNS1_11target_archE4294967295ELNS1_3gpuE0ELNS1_3repE0EEENS1_30default_config_static_selectorELNS0_4arch9wavefront6targetE1EEEvSW_, .Lfunc_end986-_ZN7rocprim17ROCPRIM_400000_NS6detail17trampoline_kernelINS0_14default_configENS1_22reduce_config_selectorIlEEZNS1_11reduce_implILb1ES3_N6thrust23THRUST_200600_302600_NS11hip_rocprim26transform_input_iterator_tIlNS8_12zip_iteratorINS8_5tupleINS8_6detail15normal_iteratorINS8_10device_ptrIiEEEESH_NS8_9null_typeESI_SI_SI_SI_SI_SI_SI_EEEENS9_21zip_adj_not_predicateI22is_equal_div_10_uniqueIiEEEEEPllNS8_4plusIlEEEE10hipError_tPvRmT1_T2_T3_mT4_P12ihipStream_tbEUlT_E1_NS1_11comp_targetILNS1_3genE0ELNS1_11target_archE4294967295ELNS1_3gpuE0ELNS1_3repE0EEENS1_30default_config_static_selectorELNS0_4arch9wavefront6targetE1EEEvSW_
                                        ; -- End function
	.set _ZN7rocprim17ROCPRIM_400000_NS6detail17trampoline_kernelINS0_14default_configENS1_22reduce_config_selectorIlEEZNS1_11reduce_implILb1ES3_N6thrust23THRUST_200600_302600_NS11hip_rocprim26transform_input_iterator_tIlNS8_12zip_iteratorINS8_5tupleINS8_6detail15normal_iteratorINS8_10device_ptrIiEEEESH_NS8_9null_typeESI_SI_SI_SI_SI_SI_SI_EEEENS9_21zip_adj_not_predicateI22is_equal_div_10_uniqueIiEEEEEPllNS8_4plusIlEEEE10hipError_tPvRmT1_T2_T3_mT4_P12ihipStream_tbEUlT_E1_NS1_11comp_targetILNS1_3genE0ELNS1_11target_archE4294967295ELNS1_3gpuE0ELNS1_3repE0EEENS1_30default_config_static_selectorELNS0_4arch9wavefront6targetE1EEEvSW_.num_vgpr, 0
	.set _ZN7rocprim17ROCPRIM_400000_NS6detail17trampoline_kernelINS0_14default_configENS1_22reduce_config_selectorIlEEZNS1_11reduce_implILb1ES3_N6thrust23THRUST_200600_302600_NS11hip_rocprim26transform_input_iterator_tIlNS8_12zip_iteratorINS8_5tupleINS8_6detail15normal_iteratorINS8_10device_ptrIiEEEESH_NS8_9null_typeESI_SI_SI_SI_SI_SI_SI_EEEENS9_21zip_adj_not_predicateI22is_equal_div_10_uniqueIiEEEEEPllNS8_4plusIlEEEE10hipError_tPvRmT1_T2_T3_mT4_P12ihipStream_tbEUlT_E1_NS1_11comp_targetILNS1_3genE0ELNS1_11target_archE4294967295ELNS1_3gpuE0ELNS1_3repE0EEENS1_30default_config_static_selectorELNS0_4arch9wavefront6targetE1EEEvSW_.num_agpr, 0
	.set _ZN7rocprim17ROCPRIM_400000_NS6detail17trampoline_kernelINS0_14default_configENS1_22reduce_config_selectorIlEEZNS1_11reduce_implILb1ES3_N6thrust23THRUST_200600_302600_NS11hip_rocprim26transform_input_iterator_tIlNS8_12zip_iteratorINS8_5tupleINS8_6detail15normal_iteratorINS8_10device_ptrIiEEEESH_NS8_9null_typeESI_SI_SI_SI_SI_SI_SI_EEEENS9_21zip_adj_not_predicateI22is_equal_div_10_uniqueIiEEEEEPllNS8_4plusIlEEEE10hipError_tPvRmT1_T2_T3_mT4_P12ihipStream_tbEUlT_E1_NS1_11comp_targetILNS1_3genE0ELNS1_11target_archE4294967295ELNS1_3gpuE0ELNS1_3repE0EEENS1_30default_config_static_selectorELNS0_4arch9wavefront6targetE1EEEvSW_.numbered_sgpr, 0
	.set _ZN7rocprim17ROCPRIM_400000_NS6detail17trampoline_kernelINS0_14default_configENS1_22reduce_config_selectorIlEEZNS1_11reduce_implILb1ES3_N6thrust23THRUST_200600_302600_NS11hip_rocprim26transform_input_iterator_tIlNS8_12zip_iteratorINS8_5tupleINS8_6detail15normal_iteratorINS8_10device_ptrIiEEEESH_NS8_9null_typeESI_SI_SI_SI_SI_SI_SI_EEEENS9_21zip_adj_not_predicateI22is_equal_div_10_uniqueIiEEEEEPllNS8_4plusIlEEEE10hipError_tPvRmT1_T2_T3_mT4_P12ihipStream_tbEUlT_E1_NS1_11comp_targetILNS1_3genE0ELNS1_11target_archE4294967295ELNS1_3gpuE0ELNS1_3repE0EEENS1_30default_config_static_selectorELNS0_4arch9wavefront6targetE1EEEvSW_.num_named_barrier, 0
	.set _ZN7rocprim17ROCPRIM_400000_NS6detail17trampoline_kernelINS0_14default_configENS1_22reduce_config_selectorIlEEZNS1_11reduce_implILb1ES3_N6thrust23THRUST_200600_302600_NS11hip_rocprim26transform_input_iterator_tIlNS8_12zip_iteratorINS8_5tupleINS8_6detail15normal_iteratorINS8_10device_ptrIiEEEESH_NS8_9null_typeESI_SI_SI_SI_SI_SI_SI_EEEENS9_21zip_adj_not_predicateI22is_equal_div_10_uniqueIiEEEEEPllNS8_4plusIlEEEE10hipError_tPvRmT1_T2_T3_mT4_P12ihipStream_tbEUlT_E1_NS1_11comp_targetILNS1_3genE0ELNS1_11target_archE4294967295ELNS1_3gpuE0ELNS1_3repE0EEENS1_30default_config_static_selectorELNS0_4arch9wavefront6targetE1EEEvSW_.private_seg_size, 0
	.set _ZN7rocprim17ROCPRIM_400000_NS6detail17trampoline_kernelINS0_14default_configENS1_22reduce_config_selectorIlEEZNS1_11reduce_implILb1ES3_N6thrust23THRUST_200600_302600_NS11hip_rocprim26transform_input_iterator_tIlNS8_12zip_iteratorINS8_5tupleINS8_6detail15normal_iteratorINS8_10device_ptrIiEEEESH_NS8_9null_typeESI_SI_SI_SI_SI_SI_SI_EEEENS9_21zip_adj_not_predicateI22is_equal_div_10_uniqueIiEEEEEPllNS8_4plusIlEEEE10hipError_tPvRmT1_T2_T3_mT4_P12ihipStream_tbEUlT_E1_NS1_11comp_targetILNS1_3genE0ELNS1_11target_archE4294967295ELNS1_3gpuE0ELNS1_3repE0EEENS1_30default_config_static_selectorELNS0_4arch9wavefront6targetE1EEEvSW_.uses_vcc, 0
	.set _ZN7rocprim17ROCPRIM_400000_NS6detail17trampoline_kernelINS0_14default_configENS1_22reduce_config_selectorIlEEZNS1_11reduce_implILb1ES3_N6thrust23THRUST_200600_302600_NS11hip_rocprim26transform_input_iterator_tIlNS8_12zip_iteratorINS8_5tupleINS8_6detail15normal_iteratorINS8_10device_ptrIiEEEESH_NS8_9null_typeESI_SI_SI_SI_SI_SI_SI_EEEENS9_21zip_adj_not_predicateI22is_equal_div_10_uniqueIiEEEEEPllNS8_4plusIlEEEE10hipError_tPvRmT1_T2_T3_mT4_P12ihipStream_tbEUlT_E1_NS1_11comp_targetILNS1_3genE0ELNS1_11target_archE4294967295ELNS1_3gpuE0ELNS1_3repE0EEENS1_30default_config_static_selectorELNS0_4arch9wavefront6targetE1EEEvSW_.uses_flat_scratch, 0
	.set _ZN7rocprim17ROCPRIM_400000_NS6detail17trampoline_kernelINS0_14default_configENS1_22reduce_config_selectorIlEEZNS1_11reduce_implILb1ES3_N6thrust23THRUST_200600_302600_NS11hip_rocprim26transform_input_iterator_tIlNS8_12zip_iteratorINS8_5tupleINS8_6detail15normal_iteratorINS8_10device_ptrIiEEEESH_NS8_9null_typeESI_SI_SI_SI_SI_SI_SI_EEEENS9_21zip_adj_not_predicateI22is_equal_div_10_uniqueIiEEEEEPllNS8_4plusIlEEEE10hipError_tPvRmT1_T2_T3_mT4_P12ihipStream_tbEUlT_E1_NS1_11comp_targetILNS1_3genE0ELNS1_11target_archE4294967295ELNS1_3gpuE0ELNS1_3repE0EEENS1_30default_config_static_selectorELNS0_4arch9wavefront6targetE1EEEvSW_.has_dyn_sized_stack, 0
	.set _ZN7rocprim17ROCPRIM_400000_NS6detail17trampoline_kernelINS0_14default_configENS1_22reduce_config_selectorIlEEZNS1_11reduce_implILb1ES3_N6thrust23THRUST_200600_302600_NS11hip_rocprim26transform_input_iterator_tIlNS8_12zip_iteratorINS8_5tupleINS8_6detail15normal_iteratorINS8_10device_ptrIiEEEESH_NS8_9null_typeESI_SI_SI_SI_SI_SI_SI_EEEENS9_21zip_adj_not_predicateI22is_equal_div_10_uniqueIiEEEEEPllNS8_4plusIlEEEE10hipError_tPvRmT1_T2_T3_mT4_P12ihipStream_tbEUlT_E1_NS1_11comp_targetILNS1_3genE0ELNS1_11target_archE4294967295ELNS1_3gpuE0ELNS1_3repE0EEENS1_30default_config_static_selectorELNS0_4arch9wavefront6targetE1EEEvSW_.has_recursion, 0
	.set _ZN7rocprim17ROCPRIM_400000_NS6detail17trampoline_kernelINS0_14default_configENS1_22reduce_config_selectorIlEEZNS1_11reduce_implILb1ES3_N6thrust23THRUST_200600_302600_NS11hip_rocprim26transform_input_iterator_tIlNS8_12zip_iteratorINS8_5tupleINS8_6detail15normal_iteratorINS8_10device_ptrIiEEEESH_NS8_9null_typeESI_SI_SI_SI_SI_SI_SI_EEEENS9_21zip_adj_not_predicateI22is_equal_div_10_uniqueIiEEEEEPllNS8_4plusIlEEEE10hipError_tPvRmT1_T2_T3_mT4_P12ihipStream_tbEUlT_E1_NS1_11comp_targetILNS1_3genE0ELNS1_11target_archE4294967295ELNS1_3gpuE0ELNS1_3repE0EEENS1_30default_config_static_selectorELNS0_4arch9wavefront6targetE1EEEvSW_.has_indirect_call, 0
	.section	.AMDGPU.csdata,"",@progbits
; Kernel info:
; codeLenInByte = 0
; TotalNumSgprs: 4
; NumVgprs: 0
; ScratchSize: 0
; MemoryBound: 0
; FloatMode: 240
; IeeeMode: 1
; LDSByteSize: 0 bytes/workgroup (compile time only)
; SGPRBlocks: 0
; VGPRBlocks: 0
; NumSGPRsForWavesPerEU: 4
; NumVGPRsForWavesPerEU: 1
; Occupancy: 10
; WaveLimiterHint : 0
; COMPUTE_PGM_RSRC2:SCRATCH_EN: 0
; COMPUTE_PGM_RSRC2:USER_SGPR: 6
; COMPUTE_PGM_RSRC2:TRAP_HANDLER: 0
; COMPUTE_PGM_RSRC2:TGID_X_EN: 1
; COMPUTE_PGM_RSRC2:TGID_Y_EN: 0
; COMPUTE_PGM_RSRC2:TGID_Z_EN: 0
; COMPUTE_PGM_RSRC2:TIDIG_COMP_CNT: 0
	.section	.text._ZN7rocprim17ROCPRIM_400000_NS6detail17trampoline_kernelINS0_14default_configENS1_22reduce_config_selectorIlEEZNS1_11reduce_implILb1ES3_N6thrust23THRUST_200600_302600_NS11hip_rocprim26transform_input_iterator_tIlNS8_12zip_iteratorINS8_5tupleINS8_6detail15normal_iteratorINS8_10device_ptrIiEEEESH_NS8_9null_typeESI_SI_SI_SI_SI_SI_SI_EEEENS9_21zip_adj_not_predicateI22is_equal_div_10_uniqueIiEEEEEPllNS8_4plusIlEEEE10hipError_tPvRmT1_T2_T3_mT4_P12ihipStream_tbEUlT_E1_NS1_11comp_targetILNS1_3genE5ELNS1_11target_archE942ELNS1_3gpuE9ELNS1_3repE0EEENS1_30default_config_static_selectorELNS0_4arch9wavefront6targetE1EEEvSW_,"axG",@progbits,_ZN7rocprim17ROCPRIM_400000_NS6detail17trampoline_kernelINS0_14default_configENS1_22reduce_config_selectorIlEEZNS1_11reduce_implILb1ES3_N6thrust23THRUST_200600_302600_NS11hip_rocprim26transform_input_iterator_tIlNS8_12zip_iteratorINS8_5tupleINS8_6detail15normal_iteratorINS8_10device_ptrIiEEEESH_NS8_9null_typeESI_SI_SI_SI_SI_SI_SI_EEEENS9_21zip_adj_not_predicateI22is_equal_div_10_uniqueIiEEEEEPllNS8_4plusIlEEEE10hipError_tPvRmT1_T2_T3_mT4_P12ihipStream_tbEUlT_E1_NS1_11comp_targetILNS1_3genE5ELNS1_11target_archE942ELNS1_3gpuE9ELNS1_3repE0EEENS1_30default_config_static_selectorELNS0_4arch9wavefront6targetE1EEEvSW_,comdat
	.protected	_ZN7rocprim17ROCPRIM_400000_NS6detail17trampoline_kernelINS0_14default_configENS1_22reduce_config_selectorIlEEZNS1_11reduce_implILb1ES3_N6thrust23THRUST_200600_302600_NS11hip_rocprim26transform_input_iterator_tIlNS8_12zip_iteratorINS8_5tupleINS8_6detail15normal_iteratorINS8_10device_ptrIiEEEESH_NS8_9null_typeESI_SI_SI_SI_SI_SI_SI_EEEENS9_21zip_adj_not_predicateI22is_equal_div_10_uniqueIiEEEEEPllNS8_4plusIlEEEE10hipError_tPvRmT1_T2_T3_mT4_P12ihipStream_tbEUlT_E1_NS1_11comp_targetILNS1_3genE5ELNS1_11target_archE942ELNS1_3gpuE9ELNS1_3repE0EEENS1_30default_config_static_selectorELNS0_4arch9wavefront6targetE1EEEvSW_ ; -- Begin function _ZN7rocprim17ROCPRIM_400000_NS6detail17trampoline_kernelINS0_14default_configENS1_22reduce_config_selectorIlEEZNS1_11reduce_implILb1ES3_N6thrust23THRUST_200600_302600_NS11hip_rocprim26transform_input_iterator_tIlNS8_12zip_iteratorINS8_5tupleINS8_6detail15normal_iteratorINS8_10device_ptrIiEEEESH_NS8_9null_typeESI_SI_SI_SI_SI_SI_SI_EEEENS9_21zip_adj_not_predicateI22is_equal_div_10_uniqueIiEEEEEPllNS8_4plusIlEEEE10hipError_tPvRmT1_T2_T3_mT4_P12ihipStream_tbEUlT_E1_NS1_11comp_targetILNS1_3genE5ELNS1_11target_archE942ELNS1_3gpuE9ELNS1_3repE0EEENS1_30default_config_static_selectorELNS0_4arch9wavefront6targetE1EEEvSW_
	.globl	_ZN7rocprim17ROCPRIM_400000_NS6detail17trampoline_kernelINS0_14default_configENS1_22reduce_config_selectorIlEEZNS1_11reduce_implILb1ES3_N6thrust23THRUST_200600_302600_NS11hip_rocprim26transform_input_iterator_tIlNS8_12zip_iteratorINS8_5tupleINS8_6detail15normal_iteratorINS8_10device_ptrIiEEEESH_NS8_9null_typeESI_SI_SI_SI_SI_SI_SI_EEEENS9_21zip_adj_not_predicateI22is_equal_div_10_uniqueIiEEEEEPllNS8_4plusIlEEEE10hipError_tPvRmT1_T2_T3_mT4_P12ihipStream_tbEUlT_E1_NS1_11comp_targetILNS1_3genE5ELNS1_11target_archE942ELNS1_3gpuE9ELNS1_3repE0EEENS1_30default_config_static_selectorELNS0_4arch9wavefront6targetE1EEEvSW_
	.p2align	8
	.type	_ZN7rocprim17ROCPRIM_400000_NS6detail17trampoline_kernelINS0_14default_configENS1_22reduce_config_selectorIlEEZNS1_11reduce_implILb1ES3_N6thrust23THRUST_200600_302600_NS11hip_rocprim26transform_input_iterator_tIlNS8_12zip_iteratorINS8_5tupleINS8_6detail15normal_iteratorINS8_10device_ptrIiEEEESH_NS8_9null_typeESI_SI_SI_SI_SI_SI_SI_EEEENS9_21zip_adj_not_predicateI22is_equal_div_10_uniqueIiEEEEEPllNS8_4plusIlEEEE10hipError_tPvRmT1_T2_T3_mT4_P12ihipStream_tbEUlT_E1_NS1_11comp_targetILNS1_3genE5ELNS1_11target_archE942ELNS1_3gpuE9ELNS1_3repE0EEENS1_30default_config_static_selectorELNS0_4arch9wavefront6targetE1EEEvSW_,@function
_ZN7rocprim17ROCPRIM_400000_NS6detail17trampoline_kernelINS0_14default_configENS1_22reduce_config_selectorIlEEZNS1_11reduce_implILb1ES3_N6thrust23THRUST_200600_302600_NS11hip_rocprim26transform_input_iterator_tIlNS8_12zip_iteratorINS8_5tupleINS8_6detail15normal_iteratorINS8_10device_ptrIiEEEESH_NS8_9null_typeESI_SI_SI_SI_SI_SI_SI_EEEENS9_21zip_adj_not_predicateI22is_equal_div_10_uniqueIiEEEEEPllNS8_4plusIlEEEE10hipError_tPvRmT1_T2_T3_mT4_P12ihipStream_tbEUlT_E1_NS1_11comp_targetILNS1_3genE5ELNS1_11target_archE942ELNS1_3gpuE9ELNS1_3repE0EEENS1_30default_config_static_selectorELNS0_4arch9wavefront6targetE1EEEvSW_: ; @_ZN7rocprim17ROCPRIM_400000_NS6detail17trampoline_kernelINS0_14default_configENS1_22reduce_config_selectorIlEEZNS1_11reduce_implILb1ES3_N6thrust23THRUST_200600_302600_NS11hip_rocprim26transform_input_iterator_tIlNS8_12zip_iteratorINS8_5tupleINS8_6detail15normal_iteratorINS8_10device_ptrIiEEEESH_NS8_9null_typeESI_SI_SI_SI_SI_SI_SI_EEEENS9_21zip_adj_not_predicateI22is_equal_div_10_uniqueIiEEEEEPllNS8_4plusIlEEEE10hipError_tPvRmT1_T2_T3_mT4_P12ihipStream_tbEUlT_E1_NS1_11comp_targetILNS1_3genE5ELNS1_11target_archE942ELNS1_3gpuE9ELNS1_3repE0EEENS1_30default_config_static_selectorELNS0_4arch9wavefront6targetE1EEEvSW_
; %bb.0:
	.section	.rodata,"a",@progbits
	.p2align	6, 0x0
	.amdhsa_kernel _ZN7rocprim17ROCPRIM_400000_NS6detail17trampoline_kernelINS0_14default_configENS1_22reduce_config_selectorIlEEZNS1_11reduce_implILb1ES3_N6thrust23THRUST_200600_302600_NS11hip_rocprim26transform_input_iterator_tIlNS8_12zip_iteratorINS8_5tupleINS8_6detail15normal_iteratorINS8_10device_ptrIiEEEESH_NS8_9null_typeESI_SI_SI_SI_SI_SI_SI_EEEENS9_21zip_adj_not_predicateI22is_equal_div_10_uniqueIiEEEEEPllNS8_4plusIlEEEE10hipError_tPvRmT1_T2_T3_mT4_P12ihipStream_tbEUlT_E1_NS1_11comp_targetILNS1_3genE5ELNS1_11target_archE942ELNS1_3gpuE9ELNS1_3repE0EEENS1_30default_config_static_selectorELNS0_4arch9wavefront6targetE1EEEvSW_
		.amdhsa_group_segment_fixed_size 0
		.amdhsa_private_segment_fixed_size 0
		.amdhsa_kernarg_size 64
		.amdhsa_user_sgpr_count 6
		.amdhsa_user_sgpr_private_segment_buffer 1
		.amdhsa_user_sgpr_dispatch_ptr 0
		.amdhsa_user_sgpr_queue_ptr 0
		.amdhsa_user_sgpr_kernarg_segment_ptr 1
		.amdhsa_user_sgpr_dispatch_id 0
		.amdhsa_user_sgpr_flat_scratch_init 0
		.amdhsa_user_sgpr_private_segment_size 0
		.amdhsa_uses_dynamic_stack 0
		.amdhsa_system_sgpr_private_segment_wavefront_offset 0
		.amdhsa_system_sgpr_workgroup_id_x 1
		.amdhsa_system_sgpr_workgroup_id_y 0
		.amdhsa_system_sgpr_workgroup_id_z 0
		.amdhsa_system_sgpr_workgroup_info 0
		.amdhsa_system_vgpr_workitem_id 0
		.amdhsa_next_free_vgpr 1
		.amdhsa_next_free_sgpr 0
		.amdhsa_reserve_vcc 0
		.amdhsa_reserve_flat_scratch 0
		.amdhsa_float_round_mode_32 0
		.amdhsa_float_round_mode_16_64 0
		.amdhsa_float_denorm_mode_32 3
		.amdhsa_float_denorm_mode_16_64 3
		.amdhsa_dx10_clamp 1
		.amdhsa_ieee_mode 1
		.amdhsa_fp16_overflow 0
		.amdhsa_exception_fp_ieee_invalid_op 0
		.amdhsa_exception_fp_denorm_src 0
		.amdhsa_exception_fp_ieee_div_zero 0
		.amdhsa_exception_fp_ieee_overflow 0
		.amdhsa_exception_fp_ieee_underflow 0
		.amdhsa_exception_fp_ieee_inexact 0
		.amdhsa_exception_int_div_zero 0
	.end_amdhsa_kernel
	.section	.text._ZN7rocprim17ROCPRIM_400000_NS6detail17trampoline_kernelINS0_14default_configENS1_22reduce_config_selectorIlEEZNS1_11reduce_implILb1ES3_N6thrust23THRUST_200600_302600_NS11hip_rocprim26transform_input_iterator_tIlNS8_12zip_iteratorINS8_5tupleINS8_6detail15normal_iteratorINS8_10device_ptrIiEEEESH_NS8_9null_typeESI_SI_SI_SI_SI_SI_SI_EEEENS9_21zip_adj_not_predicateI22is_equal_div_10_uniqueIiEEEEEPllNS8_4plusIlEEEE10hipError_tPvRmT1_T2_T3_mT4_P12ihipStream_tbEUlT_E1_NS1_11comp_targetILNS1_3genE5ELNS1_11target_archE942ELNS1_3gpuE9ELNS1_3repE0EEENS1_30default_config_static_selectorELNS0_4arch9wavefront6targetE1EEEvSW_,"axG",@progbits,_ZN7rocprim17ROCPRIM_400000_NS6detail17trampoline_kernelINS0_14default_configENS1_22reduce_config_selectorIlEEZNS1_11reduce_implILb1ES3_N6thrust23THRUST_200600_302600_NS11hip_rocprim26transform_input_iterator_tIlNS8_12zip_iteratorINS8_5tupleINS8_6detail15normal_iteratorINS8_10device_ptrIiEEEESH_NS8_9null_typeESI_SI_SI_SI_SI_SI_SI_EEEENS9_21zip_adj_not_predicateI22is_equal_div_10_uniqueIiEEEEEPllNS8_4plusIlEEEE10hipError_tPvRmT1_T2_T3_mT4_P12ihipStream_tbEUlT_E1_NS1_11comp_targetILNS1_3genE5ELNS1_11target_archE942ELNS1_3gpuE9ELNS1_3repE0EEENS1_30default_config_static_selectorELNS0_4arch9wavefront6targetE1EEEvSW_,comdat
.Lfunc_end987:
	.size	_ZN7rocprim17ROCPRIM_400000_NS6detail17trampoline_kernelINS0_14default_configENS1_22reduce_config_selectorIlEEZNS1_11reduce_implILb1ES3_N6thrust23THRUST_200600_302600_NS11hip_rocprim26transform_input_iterator_tIlNS8_12zip_iteratorINS8_5tupleINS8_6detail15normal_iteratorINS8_10device_ptrIiEEEESH_NS8_9null_typeESI_SI_SI_SI_SI_SI_SI_EEEENS9_21zip_adj_not_predicateI22is_equal_div_10_uniqueIiEEEEEPllNS8_4plusIlEEEE10hipError_tPvRmT1_T2_T3_mT4_P12ihipStream_tbEUlT_E1_NS1_11comp_targetILNS1_3genE5ELNS1_11target_archE942ELNS1_3gpuE9ELNS1_3repE0EEENS1_30default_config_static_selectorELNS0_4arch9wavefront6targetE1EEEvSW_, .Lfunc_end987-_ZN7rocprim17ROCPRIM_400000_NS6detail17trampoline_kernelINS0_14default_configENS1_22reduce_config_selectorIlEEZNS1_11reduce_implILb1ES3_N6thrust23THRUST_200600_302600_NS11hip_rocprim26transform_input_iterator_tIlNS8_12zip_iteratorINS8_5tupleINS8_6detail15normal_iteratorINS8_10device_ptrIiEEEESH_NS8_9null_typeESI_SI_SI_SI_SI_SI_SI_EEEENS9_21zip_adj_not_predicateI22is_equal_div_10_uniqueIiEEEEEPllNS8_4plusIlEEEE10hipError_tPvRmT1_T2_T3_mT4_P12ihipStream_tbEUlT_E1_NS1_11comp_targetILNS1_3genE5ELNS1_11target_archE942ELNS1_3gpuE9ELNS1_3repE0EEENS1_30default_config_static_selectorELNS0_4arch9wavefront6targetE1EEEvSW_
                                        ; -- End function
	.set _ZN7rocprim17ROCPRIM_400000_NS6detail17trampoline_kernelINS0_14default_configENS1_22reduce_config_selectorIlEEZNS1_11reduce_implILb1ES3_N6thrust23THRUST_200600_302600_NS11hip_rocprim26transform_input_iterator_tIlNS8_12zip_iteratorINS8_5tupleINS8_6detail15normal_iteratorINS8_10device_ptrIiEEEESH_NS8_9null_typeESI_SI_SI_SI_SI_SI_SI_EEEENS9_21zip_adj_not_predicateI22is_equal_div_10_uniqueIiEEEEEPllNS8_4plusIlEEEE10hipError_tPvRmT1_T2_T3_mT4_P12ihipStream_tbEUlT_E1_NS1_11comp_targetILNS1_3genE5ELNS1_11target_archE942ELNS1_3gpuE9ELNS1_3repE0EEENS1_30default_config_static_selectorELNS0_4arch9wavefront6targetE1EEEvSW_.num_vgpr, 0
	.set _ZN7rocprim17ROCPRIM_400000_NS6detail17trampoline_kernelINS0_14default_configENS1_22reduce_config_selectorIlEEZNS1_11reduce_implILb1ES3_N6thrust23THRUST_200600_302600_NS11hip_rocprim26transform_input_iterator_tIlNS8_12zip_iteratorINS8_5tupleINS8_6detail15normal_iteratorINS8_10device_ptrIiEEEESH_NS8_9null_typeESI_SI_SI_SI_SI_SI_SI_EEEENS9_21zip_adj_not_predicateI22is_equal_div_10_uniqueIiEEEEEPllNS8_4plusIlEEEE10hipError_tPvRmT1_T2_T3_mT4_P12ihipStream_tbEUlT_E1_NS1_11comp_targetILNS1_3genE5ELNS1_11target_archE942ELNS1_3gpuE9ELNS1_3repE0EEENS1_30default_config_static_selectorELNS0_4arch9wavefront6targetE1EEEvSW_.num_agpr, 0
	.set _ZN7rocprim17ROCPRIM_400000_NS6detail17trampoline_kernelINS0_14default_configENS1_22reduce_config_selectorIlEEZNS1_11reduce_implILb1ES3_N6thrust23THRUST_200600_302600_NS11hip_rocprim26transform_input_iterator_tIlNS8_12zip_iteratorINS8_5tupleINS8_6detail15normal_iteratorINS8_10device_ptrIiEEEESH_NS8_9null_typeESI_SI_SI_SI_SI_SI_SI_EEEENS9_21zip_adj_not_predicateI22is_equal_div_10_uniqueIiEEEEEPllNS8_4plusIlEEEE10hipError_tPvRmT1_T2_T3_mT4_P12ihipStream_tbEUlT_E1_NS1_11comp_targetILNS1_3genE5ELNS1_11target_archE942ELNS1_3gpuE9ELNS1_3repE0EEENS1_30default_config_static_selectorELNS0_4arch9wavefront6targetE1EEEvSW_.numbered_sgpr, 0
	.set _ZN7rocprim17ROCPRIM_400000_NS6detail17trampoline_kernelINS0_14default_configENS1_22reduce_config_selectorIlEEZNS1_11reduce_implILb1ES3_N6thrust23THRUST_200600_302600_NS11hip_rocprim26transform_input_iterator_tIlNS8_12zip_iteratorINS8_5tupleINS8_6detail15normal_iteratorINS8_10device_ptrIiEEEESH_NS8_9null_typeESI_SI_SI_SI_SI_SI_SI_EEEENS9_21zip_adj_not_predicateI22is_equal_div_10_uniqueIiEEEEEPllNS8_4plusIlEEEE10hipError_tPvRmT1_T2_T3_mT4_P12ihipStream_tbEUlT_E1_NS1_11comp_targetILNS1_3genE5ELNS1_11target_archE942ELNS1_3gpuE9ELNS1_3repE0EEENS1_30default_config_static_selectorELNS0_4arch9wavefront6targetE1EEEvSW_.num_named_barrier, 0
	.set _ZN7rocprim17ROCPRIM_400000_NS6detail17trampoline_kernelINS0_14default_configENS1_22reduce_config_selectorIlEEZNS1_11reduce_implILb1ES3_N6thrust23THRUST_200600_302600_NS11hip_rocprim26transform_input_iterator_tIlNS8_12zip_iteratorINS8_5tupleINS8_6detail15normal_iteratorINS8_10device_ptrIiEEEESH_NS8_9null_typeESI_SI_SI_SI_SI_SI_SI_EEEENS9_21zip_adj_not_predicateI22is_equal_div_10_uniqueIiEEEEEPllNS8_4plusIlEEEE10hipError_tPvRmT1_T2_T3_mT4_P12ihipStream_tbEUlT_E1_NS1_11comp_targetILNS1_3genE5ELNS1_11target_archE942ELNS1_3gpuE9ELNS1_3repE0EEENS1_30default_config_static_selectorELNS0_4arch9wavefront6targetE1EEEvSW_.private_seg_size, 0
	.set _ZN7rocprim17ROCPRIM_400000_NS6detail17trampoline_kernelINS0_14default_configENS1_22reduce_config_selectorIlEEZNS1_11reduce_implILb1ES3_N6thrust23THRUST_200600_302600_NS11hip_rocprim26transform_input_iterator_tIlNS8_12zip_iteratorINS8_5tupleINS8_6detail15normal_iteratorINS8_10device_ptrIiEEEESH_NS8_9null_typeESI_SI_SI_SI_SI_SI_SI_EEEENS9_21zip_adj_not_predicateI22is_equal_div_10_uniqueIiEEEEEPllNS8_4plusIlEEEE10hipError_tPvRmT1_T2_T3_mT4_P12ihipStream_tbEUlT_E1_NS1_11comp_targetILNS1_3genE5ELNS1_11target_archE942ELNS1_3gpuE9ELNS1_3repE0EEENS1_30default_config_static_selectorELNS0_4arch9wavefront6targetE1EEEvSW_.uses_vcc, 0
	.set _ZN7rocprim17ROCPRIM_400000_NS6detail17trampoline_kernelINS0_14default_configENS1_22reduce_config_selectorIlEEZNS1_11reduce_implILb1ES3_N6thrust23THRUST_200600_302600_NS11hip_rocprim26transform_input_iterator_tIlNS8_12zip_iteratorINS8_5tupleINS8_6detail15normal_iteratorINS8_10device_ptrIiEEEESH_NS8_9null_typeESI_SI_SI_SI_SI_SI_SI_EEEENS9_21zip_adj_not_predicateI22is_equal_div_10_uniqueIiEEEEEPllNS8_4plusIlEEEE10hipError_tPvRmT1_T2_T3_mT4_P12ihipStream_tbEUlT_E1_NS1_11comp_targetILNS1_3genE5ELNS1_11target_archE942ELNS1_3gpuE9ELNS1_3repE0EEENS1_30default_config_static_selectorELNS0_4arch9wavefront6targetE1EEEvSW_.uses_flat_scratch, 0
	.set _ZN7rocprim17ROCPRIM_400000_NS6detail17trampoline_kernelINS0_14default_configENS1_22reduce_config_selectorIlEEZNS1_11reduce_implILb1ES3_N6thrust23THRUST_200600_302600_NS11hip_rocprim26transform_input_iterator_tIlNS8_12zip_iteratorINS8_5tupleINS8_6detail15normal_iteratorINS8_10device_ptrIiEEEESH_NS8_9null_typeESI_SI_SI_SI_SI_SI_SI_EEEENS9_21zip_adj_not_predicateI22is_equal_div_10_uniqueIiEEEEEPllNS8_4plusIlEEEE10hipError_tPvRmT1_T2_T3_mT4_P12ihipStream_tbEUlT_E1_NS1_11comp_targetILNS1_3genE5ELNS1_11target_archE942ELNS1_3gpuE9ELNS1_3repE0EEENS1_30default_config_static_selectorELNS0_4arch9wavefront6targetE1EEEvSW_.has_dyn_sized_stack, 0
	.set _ZN7rocprim17ROCPRIM_400000_NS6detail17trampoline_kernelINS0_14default_configENS1_22reduce_config_selectorIlEEZNS1_11reduce_implILb1ES3_N6thrust23THRUST_200600_302600_NS11hip_rocprim26transform_input_iterator_tIlNS8_12zip_iteratorINS8_5tupleINS8_6detail15normal_iteratorINS8_10device_ptrIiEEEESH_NS8_9null_typeESI_SI_SI_SI_SI_SI_SI_EEEENS9_21zip_adj_not_predicateI22is_equal_div_10_uniqueIiEEEEEPllNS8_4plusIlEEEE10hipError_tPvRmT1_T2_T3_mT4_P12ihipStream_tbEUlT_E1_NS1_11comp_targetILNS1_3genE5ELNS1_11target_archE942ELNS1_3gpuE9ELNS1_3repE0EEENS1_30default_config_static_selectorELNS0_4arch9wavefront6targetE1EEEvSW_.has_recursion, 0
	.set _ZN7rocprim17ROCPRIM_400000_NS6detail17trampoline_kernelINS0_14default_configENS1_22reduce_config_selectorIlEEZNS1_11reduce_implILb1ES3_N6thrust23THRUST_200600_302600_NS11hip_rocprim26transform_input_iterator_tIlNS8_12zip_iteratorINS8_5tupleINS8_6detail15normal_iteratorINS8_10device_ptrIiEEEESH_NS8_9null_typeESI_SI_SI_SI_SI_SI_SI_EEEENS9_21zip_adj_not_predicateI22is_equal_div_10_uniqueIiEEEEEPllNS8_4plusIlEEEE10hipError_tPvRmT1_T2_T3_mT4_P12ihipStream_tbEUlT_E1_NS1_11comp_targetILNS1_3genE5ELNS1_11target_archE942ELNS1_3gpuE9ELNS1_3repE0EEENS1_30default_config_static_selectorELNS0_4arch9wavefront6targetE1EEEvSW_.has_indirect_call, 0
	.section	.AMDGPU.csdata,"",@progbits
; Kernel info:
; codeLenInByte = 0
; TotalNumSgprs: 4
; NumVgprs: 0
; ScratchSize: 0
; MemoryBound: 0
; FloatMode: 240
; IeeeMode: 1
; LDSByteSize: 0 bytes/workgroup (compile time only)
; SGPRBlocks: 0
; VGPRBlocks: 0
; NumSGPRsForWavesPerEU: 4
; NumVGPRsForWavesPerEU: 1
; Occupancy: 10
; WaveLimiterHint : 0
; COMPUTE_PGM_RSRC2:SCRATCH_EN: 0
; COMPUTE_PGM_RSRC2:USER_SGPR: 6
; COMPUTE_PGM_RSRC2:TRAP_HANDLER: 0
; COMPUTE_PGM_RSRC2:TGID_X_EN: 1
; COMPUTE_PGM_RSRC2:TGID_Y_EN: 0
; COMPUTE_PGM_RSRC2:TGID_Z_EN: 0
; COMPUTE_PGM_RSRC2:TIDIG_COMP_CNT: 0
	.section	.text._ZN7rocprim17ROCPRIM_400000_NS6detail17trampoline_kernelINS0_14default_configENS1_22reduce_config_selectorIlEEZNS1_11reduce_implILb1ES3_N6thrust23THRUST_200600_302600_NS11hip_rocprim26transform_input_iterator_tIlNS8_12zip_iteratorINS8_5tupleINS8_6detail15normal_iteratorINS8_10device_ptrIiEEEESH_NS8_9null_typeESI_SI_SI_SI_SI_SI_SI_EEEENS9_21zip_adj_not_predicateI22is_equal_div_10_uniqueIiEEEEEPllNS8_4plusIlEEEE10hipError_tPvRmT1_T2_T3_mT4_P12ihipStream_tbEUlT_E1_NS1_11comp_targetILNS1_3genE4ELNS1_11target_archE910ELNS1_3gpuE8ELNS1_3repE0EEENS1_30default_config_static_selectorELNS0_4arch9wavefront6targetE1EEEvSW_,"axG",@progbits,_ZN7rocprim17ROCPRIM_400000_NS6detail17trampoline_kernelINS0_14default_configENS1_22reduce_config_selectorIlEEZNS1_11reduce_implILb1ES3_N6thrust23THRUST_200600_302600_NS11hip_rocprim26transform_input_iterator_tIlNS8_12zip_iteratorINS8_5tupleINS8_6detail15normal_iteratorINS8_10device_ptrIiEEEESH_NS8_9null_typeESI_SI_SI_SI_SI_SI_SI_EEEENS9_21zip_adj_not_predicateI22is_equal_div_10_uniqueIiEEEEEPllNS8_4plusIlEEEE10hipError_tPvRmT1_T2_T3_mT4_P12ihipStream_tbEUlT_E1_NS1_11comp_targetILNS1_3genE4ELNS1_11target_archE910ELNS1_3gpuE8ELNS1_3repE0EEENS1_30default_config_static_selectorELNS0_4arch9wavefront6targetE1EEEvSW_,comdat
	.protected	_ZN7rocprim17ROCPRIM_400000_NS6detail17trampoline_kernelINS0_14default_configENS1_22reduce_config_selectorIlEEZNS1_11reduce_implILb1ES3_N6thrust23THRUST_200600_302600_NS11hip_rocprim26transform_input_iterator_tIlNS8_12zip_iteratorINS8_5tupleINS8_6detail15normal_iteratorINS8_10device_ptrIiEEEESH_NS8_9null_typeESI_SI_SI_SI_SI_SI_SI_EEEENS9_21zip_adj_not_predicateI22is_equal_div_10_uniqueIiEEEEEPllNS8_4plusIlEEEE10hipError_tPvRmT1_T2_T3_mT4_P12ihipStream_tbEUlT_E1_NS1_11comp_targetILNS1_3genE4ELNS1_11target_archE910ELNS1_3gpuE8ELNS1_3repE0EEENS1_30default_config_static_selectorELNS0_4arch9wavefront6targetE1EEEvSW_ ; -- Begin function _ZN7rocprim17ROCPRIM_400000_NS6detail17trampoline_kernelINS0_14default_configENS1_22reduce_config_selectorIlEEZNS1_11reduce_implILb1ES3_N6thrust23THRUST_200600_302600_NS11hip_rocprim26transform_input_iterator_tIlNS8_12zip_iteratorINS8_5tupleINS8_6detail15normal_iteratorINS8_10device_ptrIiEEEESH_NS8_9null_typeESI_SI_SI_SI_SI_SI_SI_EEEENS9_21zip_adj_not_predicateI22is_equal_div_10_uniqueIiEEEEEPllNS8_4plusIlEEEE10hipError_tPvRmT1_T2_T3_mT4_P12ihipStream_tbEUlT_E1_NS1_11comp_targetILNS1_3genE4ELNS1_11target_archE910ELNS1_3gpuE8ELNS1_3repE0EEENS1_30default_config_static_selectorELNS0_4arch9wavefront6targetE1EEEvSW_
	.globl	_ZN7rocprim17ROCPRIM_400000_NS6detail17trampoline_kernelINS0_14default_configENS1_22reduce_config_selectorIlEEZNS1_11reduce_implILb1ES3_N6thrust23THRUST_200600_302600_NS11hip_rocprim26transform_input_iterator_tIlNS8_12zip_iteratorINS8_5tupleINS8_6detail15normal_iteratorINS8_10device_ptrIiEEEESH_NS8_9null_typeESI_SI_SI_SI_SI_SI_SI_EEEENS9_21zip_adj_not_predicateI22is_equal_div_10_uniqueIiEEEEEPllNS8_4plusIlEEEE10hipError_tPvRmT1_T2_T3_mT4_P12ihipStream_tbEUlT_E1_NS1_11comp_targetILNS1_3genE4ELNS1_11target_archE910ELNS1_3gpuE8ELNS1_3repE0EEENS1_30default_config_static_selectorELNS0_4arch9wavefront6targetE1EEEvSW_
	.p2align	8
	.type	_ZN7rocprim17ROCPRIM_400000_NS6detail17trampoline_kernelINS0_14default_configENS1_22reduce_config_selectorIlEEZNS1_11reduce_implILb1ES3_N6thrust23THRUST_200600_302600_NS11hip_rocprim26transform_input_iterator_tIlNS8_12zip_iteratorINS8_5tupleINS8_6detail15normal_iteratorINS8_10device_ptrIiEEEESH_NS8_9null_typeESI_SI_SI_SI_SI_SI_SI_EEEENS9_21zip_adj_not_predicateI22is_equal_div_10_uniqueIiEEEEEPllNS8_4plusIlEEEE10hipError_tPvRmT1_T2_T3_mT4_P12ihipStream_tbEUlT_E1_NS1_11comp_targetILNS1_3genE4ELNS1_11target_archE910ELNS1_3gpuE8ELNS1_3repE0EEENS1_30default_config_static_selectorELNS0_4arch9wavefront6targetE1EEEvSW_,@function
_ZN7rocprim17ROCPRIM_400000_NS6detail17trampoline_kernelINS0_14default_configENS1_22reduce_config_selectorIlEEZNS1_11reduce_implILb1ES3_N6thrust23THRUST_200600_302600_NS11hip_rocprim26transform_input_iterator_tIlNS8_12zip_iteratorINS8_5tupleINS8_6detail15normal_iteratorINS8_10device_ptrIiEEEESH_NS8_9null_typeESI_SI_SI_SI_SI_SI_SI_EEEENS9_21zip_adj_not_predicateI22is_equal_div_10_uniqueIiEEEEEPllNS8_4plusIlEEEE10hipError_tPvRmT1_T2_T3_mT4_P12ihipStream_tbEUlT_E1_NS1_11comp_targetILNS1_3genE4ELNS1_11target_archE910ELNS1_3gpuE8ELNS1_3repE0EEENS1_30default_config_static_selectorELNS0_4arch9wavefront6targetE1EEEvSW_: ; @_ZN7rocprim17ROCPRIM_400000_NS6detail17trampoline_kernelINS0_14default_configENS1_22reduce_config_selectorIlEEZNS1_11reduce_implILb1ES3_N6thrust23THRUST_200600_302600_NS11hip_rocprim26transform_input_iterator_tIlNS8_12zip_iteratorINS8_5tupleINS8_6detail15normal_iteratorINS8_10device_ptrIiEEEESH_NS8_9null_typeESI_SI_SI_SI_SI_SI_SI_EEEENS9_21zip_adj_not_predicateI22is_equal_div_10_uniqueIiEEEEEPllNS8_4plusIlEEEE10hipError_tPvRmT1_T2_T3_mT4_P12ihipStream_tbEUlT_E1_NS1_11comp_targetILNS1_3genE4ELNS1_11target_archE910ELNS1_3gpuE8ELNS1_3repE0EEENS1_30default_config_static_selectorELNS0_4arch9wavefront6targetE1EEEvSW_
; %bb.0:
	.section	.rodata,"a",@progbits
	.p2align	6, 0x0
	.amdhsa_kernel _ZN7rocprim17ROCPRIM_400000_NS6detail17trampoline_kernelINS0_14default_configENS1_22reduce_config_selectorIlEEZNS1_11reduce_implILb1ES3_N6thrust23THRUST_200600_302600_NS11hip_rocprim26transform_input_iterator_tIlNS8_12zip_iteratorINS8_5tupleINS8_6detail15normal_iteratorINS8_10device_ptrIiEEEESH_NS8_9null_typeESI_SI_SI_SI_SI_SI_SI_EEEENS9_21zip_adj_not_predicateI22is_equal_div_10_uniqueIiEEEEEPllNS8_4plusIlEEEE10hipError_tPvRmT1_T2_T3_mT4_P12ihipStream_tbEUlT_E1_NS1_11comp_targetILNS1_3genE4ELNS1_11target_archE910ELNS1_3gpuE8ELNS1_3repE0EEENS1_30default_config_static_selectorELNS0_4arch9wavefront6targetE1EEEvSW_
		.amdhsa_group_segment_fixed_size 0
		.amdhsa_private_segment_fixed_size 0
		.amdhsa_kernarg_size 64
		.amdhsa_user_sgpr_count 6
		.amdhsa_user_sgpr_private_segment_buffer 1
		.amdhsa_user_sgpr_dispatch_ptr 0
		.amdhsa_user_sgpr_queue_ptr 0
		.amdhsa_user_sgpr_kernarg_segment_ptr 1
		.amdhsa_user_sgpr_dispatch_id 0
		.amdhsa_user_sgpr_flat_scratch_init 0
		.amdhsa_user_sgpr_private_segment_size 0
		.amdhsa_uses_dynamic_stack 0
		.amdhsa_system_sgpr_private_segment_wavefront_offset 0
		.amdhsa_system_sgpr_workgroup_id_x 1
		.amdhsa_system_sgpr_workgroup_id_y 0
		.amdhsa_system_sgpr_workgroup_id_z 0
		.amdhsa_system_sgpr_workgroup_info 0
		.amdhsa_system_vgpr_workitem_id 0
		.amdhsa_next_free_vgpr 1
		.amdhsa_next_free_sgpr 0
		.amdhsa_reserve_vcc 0
		.amdhsa_reserve_flat_scratch 0
		.amdhsa_float_round_mode_32 0
		.amdhsa_float_round_mode_16_64 0
		.amdhsa_float_denorm_mode_32 3
		.amdhsa_float_denorm_mode_16_64 3
		.amdhsa_dx10_clamp 1
		.amdhsa_ieee_mode 1
		.amdhsa_fp16_overflow 0
		.amdhsa_exception_fp_ieee_invalid_op 0
		.amdhsa_exception_fp_denorm_src 0
		.amdhsa_exception_fp_ieee_div_zero 0
		.amdhsa_exception_fp_ieee_overflow 0
		.amdhsa_exception_fp_ieee_underflow 0
		.amdhsa_exception_fp_ieee_inexact 0
		.amdhsa_exception_int_div_zero 0
	.end_amdhsa_kernel
	.section	.text._ZN7rocprim17ROCPRIM_400000_NS6detail17trampoline_kernelINS0_14default_configENS1_22reduce_config_selectorIlEEZNS1_11reduce_implILb1ES3_N6thrust23THRUST_200600_302600_NS11hip_rocprim26transform_input_iterator_tIlNS8_12zip_iteratorINS8_5tupleINS8_6detail15normal_iteratorINS8_10device_ptrIiEEEESH_NS8_9null_typeESI_SI_SI_SI_SI_SI_SI_EEEENS9_21zip_adj_not_predicateI22is_equal_div_10_uniqueIiEEEEEPllNS8_4plusIlEEEE10hipError_tPvRmT1_T2_T3_mT4_P12ihipStream_tbEUlT_E1_NS1_11comp_targetILNS1_3genE4ELNS1_11target_archE910ELNS1_3gpuE8ELNS1_3repE0EEENS1_30default_config_static_selectorELNS0_4arch9wavefront6targetE1EEEvSW_,"axG",@progbits,_ZN7rocprim17ROCPRIM_400000_NS6detail17trampoline_kernelINS0_14default_configENS1_22reduce_config_selectorIlEEZNS1_11reduce_implILb1ES3_N6thrust23THRUST_200600_302600_NS11hip_rocprim26transform_input_iterator_tIlNS8_12zip_iteratorINS8_5tupleINS8_6detail15normal_iteratorINS8_10device_ptrIiEEEESH_NS8_9null_typeESI_SI_SI_SI_SI_SI_SI_EEEENS9_21zip_adj_not_predicateI22is_equal_div_10_uniqueIiEEEEEPllNS8_4plusIlEEEE10hipError_tPvRmT1_T2_T3_mT4_P12ihipStream_tbEUlT_E1_NS1_11comp_targetILNS1_3genE4ELNS1_11target_archE910ELNS1_3gpuE8ELNS1_3repE0EEENS1_30default_config_static_selectorELNS0_4arch9wavefront6targetE1EEEvSW_,comdat
.Lfunc_end988:
	.size	_ZN7rocprim17ROCPRIM_400000_NS6detail17trampoline_kernelINS0_14default_configENS1_22reduce_config_selectorIlEEZNS1_11reduce_implILb1ES3_N6thrust23THRUST_200600_302600_NS11hip_rocprim26transform_input_iterator_tIlNS8_12zip_iteratorINS8_5tupleINS8_6detail15normal_iteratorINS8_10device_ptrIiEEEESH_NS8_9null_typeESI_SI_SI_SI_SI_SI_SI_EEEENS9_21zip_adj_not_predicateI22is_equal_div_10_uniqueIiEEEEEPllNS8_4plusIlEEEE10hipError_tPvRmT1_T2_T3_mT4_P12ihipStream_tbEUlT_E1_NS1_11comp_targetILNS1_3genE4ELNS1_11target_archE910ELNS1_3gpuE8ELNS1_3repE0EEENS1_30default_config_static_selectorELNS0_4arch9wavefront6targetE1EEEvSW_, .Lfunc_end988-_ZN7rocprim17ROCPRIM_400000_NS6detail17trampoline_kernelINS0_14default_configENS1_22reduce_config_selectorIlEEZNS1_11reduce_implILb1ES3_N6thrust23THRUST_200600_302600_NS11hip_rocprim26transform_input_iterator_tIlNS8_12zip_iteratorINS8_5tupleINS8_6detail15normal_iteratorINS8_10device_ptrIiEEEESH_NS8_9null_typeESI_SI_SI_SI_SI_SI_SI_EEEENS9_21zip_adj_not_predicateI22is_equal_div_10_uniqueIiEEEEEPllNS8_4plusIlEEEE10hipError_tPvRmT1_T2_T3_mT4_P12ihipStream_tbEUlT_E1_NS1_11comp_targetILNS1_3genE4ELNS1_11target_archE910ELNS1_3gpuE8ELNS1_3repE0EEENS1_30default_config_static_selectorELNS0_4arch9wavefront6targetE1EEEvSW_
                                        ; -- End function
	.set _ZN7rocprim17ROCPRIM_400000_NS6detail17trampoline_kernelINS0_14default_configENS1_22reduce_config_selectorIlEEZNS1_11reduce_implILb1ES3_N6thrust23THRUST_200600_302600_NS11hip_rocprim26transform_input_iterator_tIlNS8_12zip_iteratorINS8_5tupleINS8_6detail15normal_iteratorINS8_10device_ptrIiEEEESH_NS8_9null_typeESI_SI_SI_SI_SI_SI_SI_EEEENS9_21zip_adj_not_predicateI22is_equal_div_10_uniqueIiEEEEEPllNS8_4plusIlEEEE10hipError_tPvRmT1_T2_T3_mT4_P12ihipStream_tbEUlT_E1_NS1_11comp_targetILNS1_3genE4ELNS1_11target_archE910ELNS1_3gpuE8ELNS1_3repE0EEENS1_30default_config_static_selectorELNS0_4arch9wavefront6targetE1EEEvSW_.num_vgpr, 0
	.set _ZN7rocprim17ROCPRIM_400000_NS6detail17trampoline_kernelINS0_14default_configENS1_22reduce_config_selectorIlEEZNS1_11reduce_implILb1ES3_N6thrust23THRUST_200600_302600_NS11hip_rocprim26transform_input_iterator_tIlNS8_12zip_iteratorINS8_5tupleINS8_6detail15normal_iteratorINS8_10device_ptrIiEEEESH_NS8_9null_typeESI_SI_SI_SI_SI_SI_SI_EEEENS9_21zip_adj_not_predicateI22is_equal_div_10_uniqueIiEEEEEPllNS8_4plusIlEEEE10hipError_tPvRmT1_T2_T3_mT4_P12ihipStream_tbEUlT_E1_NS1_11comp_targetILNS1_3genE4ELNS1_11target_archE910ELNS1_3gpuE8ELNS1_3repE0EEENS1_30default_config_static_selectorELNS0_4arch9wavefront6targetE1EEEvSW_.num_agpr, 0
	.set _ZN7rocprim17ROCPRIM_400000_NS6detail17trampoline_kernelINS0_14default_configENS1_22reduce_config_selectorIlEEZNS1_11reduce_implILb1ES3_N6thrust23THRUST_200600_302600_NS11hip_rocprim26transform_input_iterator_tIlNS8_12zip_iteratorINS8_5tupleINS8_6detail15normal_iteratorINS8_10device_ptrIiEEEESH_NS8_9null_typeESI_SI_SI_SI_SI_SI_SI_EEEENS9_21zip_adj_not_predicateI22is_equal_div_10_uniqueIiEEEEEPllNS8_4plusIlEEEE10hipError_tPvRmT1_T2_T3_mT4_P12ihipStream_tbEUlT_E1_NS1_11comp_targetILNS1_3genE4ELNS1_11target_archE910ELNS1_3gpuE8ELNS1_3repE0EEENS1_30default_config_static_selectorELNS0_4arch9wavefront6targetE1EEEvSW_.numbered_sgpr, 0
	.set _ZN7rocprim17ROCPRIM_400000_NS6detail17trampoline_kernelINS0_14default_configENS1_22reduce_config_selectorIlEEZNS1_11reduce_implILb1ES3_N6thrust23THRUST_200600_302600_NS11hip_rocprim26transform_input_iterator_tIlNS8_12zip_iteratorINS8_5tupleINS8_6detail15normal_iteratorINS8_10device_ptrIiEEEESH_NS8_9null_typeESI_SI_SI_SI_SI_SI_SI_EEEENS9_21zip_adj_not_predicateI22is_equal_div_10_uniqueIiEEEEEPllNS8_4plusIlEEEE10hipError_tPvRmT1_T2_T3_mT4_P12ihipStream_tbEUlT_E1_NS1_11comp_targetILNS1_3genE4ELNS1_11target_archE910ELNS1_3gpuE8ELNS1_3repE0EEENS1_30default_config_static_selectorELNS0_4arch9wavefront6targetE1EEEvSW_.num_named_barrier, 0
	.set _ZN7rocprim17ROCPRIM_400000_NS6detail17trampoline_kernelINS0_14default_configENS1_22reduce_config_selectorIlEEZNS1_11reduce_implILb1ES3_N6thrust23THRUST_200600_302600_NS11hip_rocprim26transform_input_iterator_tIlNS8_12zip_iteratorINS8_5tupleINS8_6detail15normal_iteratorINS8_10device_ptrIiEEEESH_NS8_9null_typeESI_SI_SI_SI_SI_SI_SI_EEEENS9_21zip_adj_not_predicateI22is_equal_div_10_uniqueIiEEEEEPllNS8_4plusIlEEEE10hipError_tPvRmT1_T2_T3_mT4_P12ihipStream_tbEUlT_E1_NS1_11comp_targetILNS1_3genE4ELNS1_11target_archE910ELNS1_3gpuE8ELNS1_3repE0EEENS1_30default_config_static_selectorELNS0_4arch9wavefront6targetE1EEEvSW_.private_seg_size, 0
	.set _ZN7rocprim17ROCPRIM_400000_NS6detail17trampoline_kernelINS0_14default_configENS1_22reduce_config_selectorIlEEZNS1_11reduce_implILb1ES3_N6thrust23THRUST_200600_302600_NS11hip_rocprim26transform_input_iterator_tIlNS8_12zip_iteratorINS8_5tupleINS8_6detail15normal_iteratorINS8_10device_ptrIiEEEESH_NS8_9null_typeESI_SI_SI_SI_SI_SI_SI_EEEENS9_21zip_adj_not_predicateI22is_equal_div_10_uniqueIiEEEEEPllNS8_4plusIlEEEE10hipError_tPvRmT1_T2_T3_mT4_P12ihipStream_tbEUlT_E1_NS1_11comp_targetILNS1_3genE4ELNS1_11target_archE910ELNS1_3gpuE8ELNS1_3repE0EEENS1_30default_config_static_selectorELNS0_4arch9wavefront6targetE1EEEvSW_.uses_vcc, 0
	.set _ZN7rocprim17ROCPRIM_400000_NS6detail17trampoline_kernelINS0_14default_configENS1_22reduce_config_selectorIlEEZNS1_11reduce_implILb1ES3_N6thrust23THRUST_200600_302600_NS11hip_rocprim26transform_input_iterator_tIlNS8_12zip_iteratorINS8_5tupleINS8_6detail15normal_iteratorINS8_10device_ptrIiEEEESH_NS8_9null_typeESI_SI_SI_SI_SI_SI_SI_EEEENS9_21zip_adj_not_predicateI22is_equal_div_10_uniqueIiEEEEEPllNS8_4plusIlEEEE10hipError_tPvRmT1_T2_T3_mT4_P12ihipStream_tbEUlT_E1_NS1_11comp_targetILNS1_3genE4ELNS1_11target_archE910ELNS1_3gpuE8ELNS1_3repE0EEENS1_30default_config_static_selectorELNS0_4arch9wavefront6targetE1EEEvSW_.uses_flat_scratch, 0
	.set _ZN7rocprim17ROCPRIM_400000_NS6detail17trampoline_kernelINS0_14default_configENS1_22reduce_config_selectorIlEEZNS1_11reduce_implILb1ES3_N6thrust23THRUST_200600_302600_NS11hip_rocprim26transform_input_iterator_tIlNS8_12zip_iteratorINS8_5tupleINS8_6detail15normal_iteratorINS8_10device_ptrIiEEEESH_NS8_9null_typeESI_SI_SI_SI_SI_SI_SI_EEEENS9_21zip_adj_not_predicateI22is_equal_div_10_uniqueIiEEEEEPllNS8_4plusIlEEEE10hipError_tPvRmT1_T2_T3_mT4_P12ihipStream_tbEUlT_E1_NS1_11comp_targetILNS1_3genE4ELNS1_11target_archE910ELNS1_3gpuE8ELNS1_3repE0EEENS1_30default_config_static_selectorELNS0_4arch9wavefront6targetE1EEEvSW_.has_dyn_sized_stack, 0
	.set _ZN7rocprim17ROCPRIM_400000_NS6detail17trampoline_kernelINS0_14default_configENS1_22reduce_config_selectorIlEEZNS1_11reduce_implILb1ES3_N6thrust23THRUST_200600_302600_NS11hip_rocprim26transform_input_iterator_tIlNS8_12zip_iteratorINS8_5tupleINS8_6detail15normal_iteratorINS8_10device_ptrIiEEEESH_NS8_9null_typeESI_SI_SI_SI_SI_SI_SI_EEEENS9_21zip_adj_not_predicateI22is_equal_div_10_uniqueIiEEEEEPllNS8_4plusIlEEEE10hipError_tPvRmT1_T2_T3_mT4_P12ihipStream_tbEUlT_E1_NS1_11comp_targetILNS1_3genE4ELNS1_11target_archE910ELNS1_3gpuE8ELNS1_3repE0EEENS1_30default_config_static_selectorELNS0_4arch9wavefront6targetE1EEEvSW_.has_recursion, 0
	.set _ZN7rocprim17ROCPRIM_400000_NS6detail17trampoline_kernelINS0_14default_configENS1_22reduce_config_selectorIlEEZNS1_11reduce_implILb1ES3_N6thrust23THRUST_200600_302600_NS11hip_rocprim26transform_input_iterator_tIlNS8_12zip_iteratorINS8_5tupleINS8_6detail15normal_iteratorINS8_10device_ptrIiEEEESH_NS8_9null_typeESI_SI_SI_SI_SI_SI_SI_EEEENS9_21zip_adj_not_predicateI22is_equal_div_10_uniqueIiEEEEEPllNS8_4plusIlEEEE10hipError_tPvRmT1_T2_T3_mT4_P12ihipStream_tbEUlT_E1_NS1_11comp_targetILNS1_3genE4ELNS1_11target_archE910ELNS1_3gpuE8ELNS1_3repE0EEENS1_30default_config_static_selectorELNS0_4arch9wavefront6targetE1EEEvSW_.has_indirect_call, 0
	.section	.AMDGPU.csdata,"",@progbits
; Kernel info:
; codeLenInByte = 0
; TotalNumSgprs: 4
; NumVgprs: 0
; ScratchSize: 0
; MemoryBound: 0
; FloatMode: 240
; IeeeMode: 1
; LDSByteSize: 0 bytes/workgroup (compile time only)
; SGPRBlocks: 0
; VGPRBlocks: 0
; NumSGPRsForWavesPerEU: 4
; NumVGPRsForWavesPerEU: 1
; Occupancy: 10
; WaveLimiterHint : 0
; COMPUTE_PGM_RSRC2:SCRATCH_EN: 0
; COMPUTE_PGM_RSRC2:USER_SGPR: 6
; COMPUTE_PGM_RSRC2:TRAP_HANDLER: 0
; COMPUTE_PGM_RSRC2:TGID_X_EN: 1
; COMPUTE_PGM_RSRC2:TGID_Y_EN: 0
; COMPUTE_PGM_RSRC2:TGID_Z_EN: 0
; COMPUTE_PGM_RSRC2:TIDIG_COMP_CNT: 0
	.section	.text._ZN7rocprim17ROCPRIM_400000_NS6detail17trampoline_kernelINS0_14default_configENS1_22reduce_config_selectorIlEEZNS1_11reduce_implILb1ES3_N6thrust23THRUST_200600_302600_NS11hip_rocprim26transform_input_iterator_tIlNS8_12zip_iteratorINS8_5tupleINS8_6detail15normal_iteratorINS8_10device_ptrIiEEEESH_NS8_9null_typeESI_SI_SI_SI_SI_SI_SI_EEEENS9_21zip_adj_not_predicateI22is_equal_div_10_uniqueIiEEEEEPllNS8_4plusIlEEEE10hipError_tPvRmT1_T2_T3_mT4_P12ihipStream_tbEUlT_E1_NS1_11comp_targetILNS1_3genE3ELNS1_11target_archE908ELNS1_3gpuE7ELNS1_3repE0EEENS1_30default_config_static_selectorELNS0_4arch9wavefront6targetE1EEEvSW_,"axG",@progbits,_ZN7rocprim17ROCPRIM_400000_NS6detail17trampoline_kernelINS0_14default_configENS1_22reduce_config_selectorIlEEZNS1_11reduce_implILb1ES3_N6thrust23THRUST_200600_302600_NS11hip_rocprim26transform_input_iterator_tIlNS8_12zip_iteratorINS8_5tupleINS8_6detail15normal_iteratorINS8_10device_ptrIiEEEESH_NS8_9null_typeESI_SI_SI_SI_SI_SI_SI_EEEENS9_21zip_adj_not_predicateI22is_equal_div_10_uniqueIiEEEEEPllNS8_4plusIlEEEE10hipError_tPvRmT1_T2_T3_mT4_P12ihipStream_tbEUlT_E1_NS1_11comp_targetILNS1_3genE3ELNS1_11target_archE908ELNS1_3gpuE7ELNS1_3repE0EEENS1_30default_config_static_selectorELNS0_4arch9wavefront6targetE1EEEvSW_,comdat
	.protected	_ZN7rocprim17ROCPRIM_400000_NS6detail17trampoline_kernelINS0_14default_configENS1_22reduce_config_selectorIlEEZNS1_11reduce_implILb1ES3_N6thrust23THRUST_200600_302600_NS11hip_rocprim26transform_input_iterator_tIlNS8_12zip_iteratorINS8_5tupleINS8_6detail15normal_iteratorINS8_10device_ptrIiEEEESH_NS8_9null_typeESI_SI_SI_SI_SI_SI_SI_EEEENS9_21zip_adj_not_predicateI22is_equal_div_10_uniqueIiEEEEEPllNS8_4plusIlEEEE10hipError_tPvRmT1_T2_T3_mT4_P12ihipStream_tbEUlT_E1_NS1_11comp_targetILNS1_3genE3ELNS1_11target_archE908ELNS1_3gpuE7ELNS1_3repE0EEENS1_30default_config_static_selectorELNS0_4arch9wavefront6targetE1EEEvSW_ ; -- Begin function _ZN7rocprim17ROCPRIM_400000_NS6detail17trampoline_kernelINS0_14default_configENS1_22reduce_config_selectorIlEEZNS1_11reduce_implILb1ES3_N6thrust23THRUST_200600_302600_NS11hip_rocprim26transform_input_iterator_tIlNS8_12zip_iteratorINS8_5tupleINS8_6detail15normal_iteratorINS8_10device_ptrIiEEEESH_NS8_9null_typeESI_SI_SI_SI_SI_SI_SI_EEEENS9_21zip_adj_not_predicateI22is_equal_div_10_uniqueIiEEEEEPllNS8_4plusIlEEEE10hipError_tPvRmT1_T2_T3_mT4_P12ihipStream_tbEUlT_E1_NS1_11comp_targetILNS1_3genE3ELNS1_11target_archE908ELNS1_3gpuE7ELNS1_3repE0EEENS1_30default_config_static_selectorELNS0_4arch9wavefront6targetE1EEEvSW_
	.globl	_ZN7rocprim17ROCPRIM_400000_NS6detail17trampoline_kernelINS0_14default_configENS1_22reduce_config_selectorIlEEZNS1_11reduce_implILb1ES3_N6thrust23THRUST_200600_302600_NS11hip_rocprim26transform_input_iterator_tIlNS8_12zip_iteratorINS8_5tupleINS8_6detail15normal_iteratorINS8_10device_ptrIiEEEESH_NS8_9null_typeESI_SI_SI_SI_SI_SI_SI_EEEENS9_21zip_adj_not_predicateI22is_equal_div_10_uniqueIiEEEEEPllNS8_4plusIlEEEE10hipError_tPvRmT1_T2_T3_mT4_P12ihipStream_tbEUlT_E1_NS1_11comp_targetILNS1_3genE3ELNS1_11target_archE908ELNS1_3gpuE7ELNS1_3repE0EEENS1_30default_config_static_selectorELNS0_4arch9wavefront6targetE1EEEvSW_
	.p2align	8
	.type	_ZN7rocprim17ROCPRIM_400000_NS6detail17trampoline_kernelINS0_14default_configENS1_22reduce_config_selectorIlEEZNS1_11reduce_implILb1ES3_N6thrust23THRUST_200600_302600_NS11hip_rocprim26transform_input_iterator_tIlNS8_12zip_iteratorINS8_5tupleINS8_6detail15normal_iteratorINS8_10device_ptrIiEEEESH_NS8_9null_typeESI_SI_SI_SI_SI_SI_SI_EEEENS9_21zip_adj_not_predicateI22is_equal_div_10_uniqueIiEEEEEPllNS8_4plusIlEEEE10hipError_tPvRmT1_T2_T3_mT4_P12ihipStream_tbEUlT_E1_NS1_11comp_targetILNS1_3genE3ELNS1_11target_archE908ELNS1_3gpuE7ELNS1_3repE0EEENS1_30default_config_static_selectorELNS0_4arch9wavefront6targetE1EEEvSW_,@function
_ZN7rocprim17ROCPRIM_400000_NS6detail17trampoline_kernelINS0_14default_configENS1_22reduce_config_selectorIlEEZNS1_11reduce_implILb1ES3_N6thrust23THRUST_200600_302600_NS11hip_rocprim26transform_input_iterator_tIlNS8_12zip_iteratorINS8_5tupleINS8_6detail15normal_iteratorINS8_10device_ptrIiEEEESH_NS8_9null_typeESI_SI_SI_SI_SI_SI_SI_EEEENS9_21zip_adj_not_predicateI22is_equal_div_10_uniqueIiEEEEEPllNS8_4plusIlEEEE10hipError_tPvRmT1_T2_T3_mT4_P12ihipStream_tbEUlT_E1_NS1_11comp_targetILNS1_3genE3ELNS1_11target_archE908ELNS1_3gpuE7ELNS1_3repE0EEENS1_30default_config_static_selectorELNS0_4arch9wavefront6targetE1EEEvSW_: ; @_ZN7rocprim17ROCPRIM_400000_NS6detail17trampoline_kernelINS0_14default_configENS1_22reduce_config_selectorIlEEZNS1_11reduce_implILb1ES3_N6thrust23THRUST_200600_302600_NS11hip_rocprim26transform_input_iterator_tIlNS8_12zip_iteratorINS8_5tupleINS8_6detail15normal_iteratorINS8_10device_ptrIiEEEESH_NS8_9null_typeESI_SI_SI_SI_SI_SI_SI_EEEENS9_21zip_adj_not_predicateI22is_equal_div_10_uniqueIiEEEEEPllNS8_4plusIlEEEE10hipError_tPvRmT1_T2_T3_mT4_P12ihipStream_tbEUlT_E1_NS1_11comp_targetILNS1_3genE3ELNS1_11target_archE908ELNS1_3gpuE7ELNS1_3repE0EEENS1_30default_config_static_selectorELNS0_4arch9wavefront6targetE1EEEvSW_
; %bb.0:
	.section	.rodata,"a",@progbits
	.p2align	6, 0x0
	.amdhsa_kernel _ZN7rocprim17ROCPRIM_400000_NS6detail17trampoline_kernelINS0_14default_configENS1_22reduce_config_selectorIlEEZNS1_11reduce_implILb1ES3_N6thrust23THRUST_200600_302600_NS11hip_rocprim26transform_input_iterator_tIlNS8_12zip_iteratorINS8_5tupleINS8_6detail15normal_iteratorINS8_10device_ptrIiEEEESH_NS8_9null_typeESI_SI_SI_SI_SI_SI_SI_EEEENS9_21zip_adj_not_predicateI22is_equal_div_10_uniqueIiEEEEEPllNS8_4plusIlEEEE10hipError_tPvRmT1_T2_T3_mT4_P12ihipStream_tbEUlT_E1_NS1_11comp_targetILNS1_3genE3ELNS1_11target_archE908ELNS1_3gpuE7ELNS1_3repE0EEENS1_30default_config_static_selectorELNS0_4arch9wavefront6targetE1EEEvSW_
		.amdhsa_group_segment_fixed_size 0
		.amdhsa_private_segment_fixed_size 0
		.amdhsa_kernarg_size 64
		.amdhsa_user_sgpr_count 6
		.amdhsa_user_sgpr_private_segment_buffer 1
		.amdhsa_user_sgpr_dispatch_ptr 0
		.amdhsa_user_sgpr_queue_ptr 0
		.amdhsa_user_sgpr_kernarg_segment_ptr 1
		.amdhsa_user_sgpr_dispatch_id 0
		.amdhsa_user_sgpr_flat_scratch_init 0
		.amdhsa_user_sgpr_private_segment_size 0
		.amdhsa_uses_dynamic_stack 0
		.amdhsa_system_sgpr_private_segment_wavefront_offset 0
		.amdhsa_system_sgpr_workgroup_id_x 1
		.amdhsa_system_sgpr_workgroup_id_y 0
		.amdhsa_system_sgpr_workgroup_id_z 0
		.amdhsa_system_sgpr_workgroup_info 0
		.amdhsa_system_vgpr_workitem_id 0
		.amdhsa_next_free_vgpr 1
		.amdhsa_next_free_sgpr 0
		.amdhsa_reserve_vcc 0
		.amdhsa_reserve_flat_scratch 0
		.amdhsa_float_round_mode_32 0
		.amdhsa_float_round_mode_16_64 0
		.amdhsa_float_denorm_mode_32 3
		.amdhsa_float_denorm_mode_16_64 3
		.amdhsa_dx10_clamp 1
		.amdhsa_ieee_mode 1
		.amdhsa_fp16_overflow 0
		.amdhsa_exception_fp_ieee_invalid_op 0
		.amdhsa_exception_fp_denorm_src 0
		.amdhsa_exception_fp_ieee_div_zero 0
		.amdhsa_exception_fp_ieee_overflow 0
		.amdhsa_exception_fp_ieee_underflow 0
		.amdhsa_exception_fp_ieee_inexact 0
		.amdhsa_exception_int_div_zero 0
	.end_amdhsa_kernel
	.section	.text._ZN7rocprim17ROCPRIM_400000_NS6detail17trampoline_kernelINS0_14default_configENS1_22reduce_config_selectorIlEEZNS1_11reduce_implILb1ES3_N6thrust23THRUST_200600_302600_NS11hip_rocprim26transform_input_iterator_tIlNS8_12zip_iteratorINS8_5tupleINS8_6detail15normal_iteratorINS8_10device_ptrIiEEEESH_NS8_9null_typeESI_SI_SI_SI_SI_SI_SI_EEEENS9_21zip_adj_not_predicateI22is_equal_div_10_uniqueIiEEEEEPllNS8_4plusIlEEEE10hipError_tPvRmT1_T2_T3_mT4_P12ihipStream_tbEUlT_E1_NS1_11comp_targetILNS1_3genE3ELNS1_11target_archE908ELNS1_3gpuE7ELNS1_3repE0EEENS1_30default_config_static_selectorELNS0_4arch9wavefront6targetE1EEEvSW_,"axG",@progbits,_ZN7rocprim17ROCPRIM_400000_NS6detail17trampoline_kernelINS0_14default_configENS1_22reduce_config_selectorIlEEZNS1_11reduce_implILb1ES3_N6thrust23THRUST_200600_302600_NS11hip_rocprim26transform_input_iterator_tIlNS8_12zip_iteratorINS8_5tupleINS8_6detail15normal_iteratorINS8_10device_ptrIiEEEESH_NS8_9null_typeESI_SI_SI_SI_SI_SI_SI_EEEENS9_21zip_adj_not_predicateI22is_equal_div_10_uniqueIiEEEEEPllNS8_4plusIlEEEE10hipError_tPvRmT1_T2_T3_mT4_P12ihipStream_tbEUlT_E1_NS1_11comp_targetILNS1_3genE3ELNS1_11target_archE908ELNS1_3gpuE7ELNS1_3repE0EEENS1_30default_config_static_selectorELNS0_4arch9wavefront6targetE1EEEvSW_,comdat
.Lfunc_end989:
	.size	_ZN7rocprim17ROCPRIM_400000_NS6detail17trampoline_kernelINS0_14default_configENS1_22reduce_config_selectorIlEEZNS1_11reduce_implILb1ES3_N6thrust23THRUST_200600_302600_NS11hip_rocprim26transform_input_iterator_tIlNS8_12zip_iteratorINS8_5tupleINS8_6detail15normal_iteratorINS8_10device_ptrIiEEEESH_NS8_9null_typeESI_SI_SI_SI_SI_SI_SI_EEEENS9_21zip_adj_not_predicateI22is_equal_div_10_uniqueIiEEEEEPllNS8_4plusIlEEEE10hipError_tPvRmT1_T2_T3_mT4_P12ihipStream_tbEUlT_E1_NS1_11comp_targetILNS1_3genE3ELNS1_11target_archE908ELNS1_3gpuE7ELNS1_3repE0EEENS1_30default_config_static_selectorELNS0_4arch9wavefront6targetE1EEEvSW_, .Lfunc_end989-_ZN7rocprim17ROCPRIM_400000_NS6detail17trampoline_kernelINS0_14default_configENS1_22reduce_config_selectorIlEEZNS1_11reduce_implILb1ES3_N6thrust23THRUST_200600_302600_NS11hip_rocprim26transform_input_iterator_tIlNS8_12zip_iteratorINS8_5tupleINS8_6detail15normal_iteratorINS8_10device_ptrIiEEEESH_NS8_9null_typeESI_SI_SI_SI_SI_SI_SI_EEEENS9_21zip_adj_not_predicateI22is_equal_div_10_uniqueIiEEEEEPllNS8_4plusIlEEEE10hipError_tPvRmT1_T2_T3_mT4_P12ihipStream_tbEUlT_E1_NS1_11comp_targetILNS1_3genE3ELNS1_11target_archE908ELNS1_3gpuE7ELNS1_3repE0EEENS1_30default_config_static_selectorELNS0_4arch9wavefront6targetE1EEEvSW_
                                        ; -- End function
	.set _ZN7rocprim17ROCPRIM_400000_NS6detail17trampoline_kernelINS0_14default_configENS1_22reduce_config_selectorIlEEZNS1_11reduce_implILb1ES3_N6thrust23THRUST_200600_302600_NS11hip_rocprim26transform_input_iterator_tIlNS8_12zip_iteratorINS8_5tupleINS8_6detail15normal_iteratorINS8_10device_ptrIiEEEESH_NS8_9null_typeESI_SI_SI_SI_SI_SI_SI_EEEENS9_21zip_adj_not_predicateI22is_equal_div_10_uniqueIiEEEEEPllNS8_4plusIlEEEE10hipError_tPvRmT1_T2_T3_mT4_P12ihipStream_tbEUlT_E1_NS1_11comp_targetILNS1_3genE3ELNS1_11target_archE908ELNS1_3gpuE7ELNS1_3repE0EEENS1_30default_config_static_selectorELNS0_4arch9wavefront6targetE1EEEvSW_.num_vgpr, 0
	.set _ZN7rocprim17ROCPRIM_400000_NS6detail17trampoline_kernelINS0_14default_configENS1_22reduce_config_selectorIlEEZNS1_11reduce_implILb1ES3_N6thrust23THRUST_200600_302600_NS11hip_rocprim26transform_input_iterator_tIlNS8_12zip_iteratorINS8_5tupleINS8_6detail15normal_iteratorINS8_10device_ptrIiEEEESH_NS8_9null_typeESI_SI_SI_SI_SI_SI_SI_EEEENS9_21zip_adj_not_predicateI22is_equal_div_10_uniqueIiEEEEEPllNS8_4plusIlEEEE10hipError_tPvRmT1_T2_T3_mT4_P12ihipStream_tbEUlT_E1_NS1_11comp_targetILNS1_3genE3ELNS1_11target_archE908ELNS1_3gpuE7ELNS1_3repE0EEENS1_30default_config_static_selectorELNS0_4arch9wavefront6targetE1EEEvSW_.num_agpr, 0
	.set _ZN7rocprim17ROCPRIM_400000_NS6detail17trampoline_kernelINS0_14default_configENS1_22reduce_config_selectorIlEEZNS1_11reduce_implILb1ES3_N6thrust23THRUST_200600_302600_NS11hip_rocprim26transform_input_iterator_tIlNS8_12zip_iteratorINS8_5tupleINS8_6detail15normal_iteratorINS8_10device_ptrIiEEEESH_NS8_9null_typeESI_SI_SI_SI_SI_SI_SI_EEEENS9_21zip_adj_not_predicateI22is_equal_div_10_uniqueIiEEEEEPllNS8_4plusIlEEEE10hipError_tPvRmT1_T2_T3_mT4_P12ihipStream_tbEUlT_E1_NS1_11comp_targetILNS1_3genE3ELNS1_11target_archE908ELNS1_3gpuE7ELNS1_3repE0EEENS1_30default_config_static_selectorELNS0_4arch9wavefront6targetE1EEEvSW_.numbered_sgpr, 0
	.set _ZN7rocprim17ROCPRIM_400000_NS6detail17trampoline_kernelINS0_14default_configENS1_22reduce_config_selectorIlEEZNS1_11reduce_implILb1ES3_N6thrust23THRUST_200600_302600_NS11hip_rocprim26transform_input_iterator_tIlNS8_12zip_iteratorINS8_5tupleINS8_6detail15normal_iteratorINS8_10device_ptrIiEEEESH_NS8_9null_typeESI_SI_SI_SI_SI_SI_SI_EEEENS9_21zip_adj_not_predicateI22is_equal_div_10_uniqueIiEEEEEPllNS8_4plusIlEEEE10hipError_tPvRmT1_T2_T3_mT4_P12ihipStream_tbEUlT_E1_NS1_11comp_targetILNS1_3genE3ELNS1_11target_archE908ELNS1_3gpuE7ELNS1_3repE0EEENS1_30default_config_static_selectorELNS0_4arch9wavefront6targetE1EEEvSW_.num_named_barrier, 0
	.set _ZN7rocprim17ROCPRIM_400000_NS6detail17trampoline_kernelINS0_14default_configENS1_22reduce_config_selectorIlEEZNS1_11reduce_implILb1ES3_N6thrust23THRUST_200600_302600_NS11hip_rocprim26transform_input_iterator_tIlNS8_12zip_iteratorINS8_5tupleINS8_6detail15normal_iteratorINS8_10device_ptrIiEEEESH_NS8_9null_typeESI_SI_SI_SI_SI_SI_SI_EEEENS9_21zip_adj_not_predicateI22is_equal_div_10_uniqueIiEEEEEPllNS8_4plusIlEEEE10hipError_tPvRmT1_T2_T3_mT4_P12ihipStream_tbEUlT_E1_NS1_11comp_targetILNS1_3genE3ELNS1_11target_archE908ELNS1_3gpuE7ELNS1_3repE0EEENS1_30default_config_static_selectorELNS0_4arch9wavefront6targetE1EEEvSW_.private_seg_size, 0
	.set _ZN7rocprim17ROCPRIM_400000_NS6detail17trampoline_kernelINS0_14default_configENS1_22reduce_config_selectorIlEEZNS1_11reduce_implILb1ES3_N6thrust23THRUST_200600_302600_NS11hip_rocprim26transform_input_iterator_tIlNS8_12zip_iteratorINS8_5tupleINS8_6detail15normal_iteratorINS8_10device_ptrIiEEEESH_NS8_9null_typeESI_SI_SI_SI_SI_SI_SI_EEEENS9_21zip_adj_not_predicateI22is_equal_div_10_uniqueIiEEEEEPllNS8_4plusIlEEEE10hipError_tPvRmT1_T2_T3_mT4_P12ihipStream_tbEUlT_E1_NS1_11comp_targetILNS1_3genE3ELNS1_11target_archE908ELNS1_3gpuE7ELNS1_3repE0EEENS1_30default_config_static_selectorELNS0_4arch9wavefront6targetE1EEEvSW_.uses_vcc, 0
	.set _ZN7rocprim17ROCPRIM_400000_NS6detail17trampoline_kernelINS0_14default_configENS1_22reduce_config_selectorIlEEZNS1_11reduce_implILb1ES3_N6thrust23THRUST_200600_302600_NS11hip_rocprim26transform_input_iterator_tIlNS8_12zip_iteratorINS8_5tupleINS8_6detail15normal_iteratorINS8_10device_ptrIiEEEESH_NS8_9null_typeESI_SI_SI_SI_SI_SI_SI_EEEENS9_21zip_adj_not_predicateI22is_equal_div_10_uniqueIiEEEEEPllNS8_4plusIlEEEE10hipError_tPvRmT1_T2_T3_mT4_P12ihipStream_tbEUlT_E1_NS1_11comp_targetILNS1_3genE3ELNS1_11target_archE908ELNS1_3gpuE7ELNS1_3repE0EEENS1_30default_config_static_selectorELNS0_4arch9wavefront6targetE1EEEvSW_.uses_flat_scratch, 0
	.set _ZN7rocprim17ROCPRIM_400000_NS6detail17trampoline_kernelINS0_14default_configENS1_22reduce_config_selectorIlEEZNS1_11reduce_implILb1ES3_N6thrust23THRUST_200600_302600_NS11hip_rocprim26transform_input_iterator_tIlNS8_12zip_iteratorINS8_5tupleINS8_6detail15normal_iteratorINS8_10device_ptrIiEEEESH_NS8_9null_typeESI_SI_SI_SI_SI_SI_SI_EEEENS9_21zip_adj_not_predicateI22is_equal_div_10_uniqueIiEEEEEPllNS8_4plusIlEEEE10hipError_tPvRmT1_T2_T3_mT4_P12ihipStream_tbEUlT_E1_NS1_11comp_targetILNS1_3genE3ELNS1_11target_archE908ELNS1_3gpuE7ELNS1_3repE0EEENS1_30default_config_static_selectorELNS0_4arch9wavefront6targetE1EEEvSW_.has_dyn_sized_stack, 0
	.set _ZN7rocprim17ROCPRIM_400000_NS6detail17trampoline_kernelINS0_14default_configENS1_22reduce_config_selectorIlEEZNS1_11reduce_implILb1ES3_N6thrust23THRUST_200600_302600_NS11hip_rocprim26transform_input_iterator_tIlNS8_12zip_iteratorINS8_5tupleINS8_6detail15normal_iteratorINS8_10device_ptrIiEEEESH_NS8_9null_typeESI_SI_SI_SI_SI_SI_SI_EEEENS9_21zip_adj_not_predicateI22is_equal_div_10_uniqueIiEEEEEPllNS8_4plusIlEEEE10hipError_tPvRmT1_T2_T3_mT4_P12ihipStream_tbEUlT_E1_NS1_11comp_targetILNS1_3genE3ELNS1_11target_archE908ELNS1_3gpuE7ELNS1_3repE0EEENS1_30default_config_static_selectorELNS0_4arch9wavefront6targetE1EEEvSW_.has_recursion, 0
	.set _ZN7rocprim17ROCPRIM_400000_NS6detail17trampoline_kernelINS0_14default_configENS1_22reduce_config_selectorIlEEZNS1_11reduce_implILb1ES3_N6thrust23THRUST_200600_302600_NS11hip_rocprim26transform_input_iterator_tIlNS8_12zip_iteratorINS8_5tupleINS8_6detail15normal_iteratorINS8_10device_ptrIiEEEESH_NS8_9null_typeESI_SI_SI_SI_SI_SI_SI_EEEENS9_21zip_adj_not_predicateI22is_equal_div_10_uniqueIiEEEEEPllNS8_4plusIlEEEE10hipError_tPvRmT1_T2_T3_mT4_P12ihipStream_tbEUlT_E1_NS1_11comp_targetILNS1_3genE3ELNS1_11target_archE908ELNS1_3gpuE7ELNS1_3repE0EEENS1_30default_config_static_selectorELNS0_4arch9wavefront6targetE1EEEvSW_.has_indirect_call, 0
	.section	.AMDGPU.csdata,"",@progbits
; Kernel info:
; codeLenInByte = 0
; TotalNumSgprs: 4
; NumVgprs: 0
; ScratchSize: 0
; MemoryBound: 0
; FloatMode: 240
; IeeeMode: 1
; LDSByteSize: 0 bytes/workgroup (compile time only)
; SGPRBlocks: 0
; VGPRBlocks: 0
; NumSGPRsForWavesPerEU: 4
; NumVGPRsForWavesPerEU: 1
; Occupancy: 10
; WaveLimiterHint : 0
; COMPUTE_PGM_RSRC2:SCRATCH_EN: 0
; COMPUTE_PGM_RSRC2:USER_SGPR: 6
; COMPUTE_PGM_RSRC2:TRAP_HANDLER: 0
; COMPUTE_PGM_RSRC2:TGID_X_EN: 1
; COMPUTE_PGM_RSRC2:TGID_Y_EN: 0
; COMPUTE_PGM_RSRC2:TGID_Z_EN: 0
; COMPUTE_PGM_RSRC2:TIDIG_COMP_CNT: 0
	.section	.text._ZN7rocprim17ROCPRIM_400000_NS6detail17trampoline_kernelINS0_14default_configENS1_22reduce_config_selectorIlEEZNS1_11reduce_implILb1ES3_N6thrust23THRUST_200600_302600_NS11hip_rocprim26transform_input_iterator_tIlNS8_12zip_iteratorINS8_5tupleINS8_6detail15normal_iteratorINS8_10device_ptrIiEEEESH_NS8_9null_typeESI_SI_SI_SI_SI_SI_SI_EEEENS9_21zip_adj_not_predicateI22is_equal_div_10_uniqueIiEEEEEPllNS8_4plusIlEEEE10hipError_tPvRmT1_T2_T3_mT4_P12ihipStream_tbEUlT_E1_NS1_11comp_targetILNS1_3genE2ELNS1_11target_archE906ELNS1_3gpuE6ELNS1_3repE0EEENS1_30default_config_static_selectorELNS0_4arch9wavefront6targetE1EEEvSW_,"axG",@progbits,_ZN7rocprim17ROCPRIM_400000_NS6detail17trampoline_kernelINS0_14default_configENS1_22reduce_config_selectorIlEEZNS1_11reduce_implILb1ES3_N6thrust23THRUST_200600_302600_NS11hip_rocprim26transform_input_iterator_tIlNS8_12zip_iteratorINS8_5tupleINS8_6detail15normal_iteratorINS8_10device_ptrIiEEEESH_NS8_9null_typeESI_SI_SI_SI_SI_SI_SI_EEEENS9_21zip_adj_not_predicateI22is_equal_div_10_uniqueIiEEEEEPllNS8_4plusIlEEEE10hipError_tPvRmT1_T2_T3_mT4_P12ihipStream_tbEUlT_E1_NS1_11comp_targetILNS1_3genE2ELNS1_11target_archE906ELNS1_3gpuE6ELNS1_3repE0EEENS1_30default_config_static_selectorELNS0_4arch9wavefront6targetE1EEEvSW_,comdat
	.protected	_ZN7rocprim17ROCPRIM_400000_NS6detail17trampoline_kernelINS0_14default_configENS1_22reduce_config_selectorIlEEZNS1_11reduce_implILb1ES3_N6thrust23THRUST_200600_302600_NS11hip_rocprim26transform_input_iterator_tIlNS8_12zip_iteratorINS8_5tupleINS8_6detail15normal_iteratorINS8_10device_ptrIiEEEESH_NS8_9null_typeESI_SI_SI_SI_SI_SI_SI_EEEENS9_21zip_adj_not_predicateI22is_equal_div_10_uniqueIiEEEEEPllNS8_4plusIlEEEE10hipError_tPvRmT1_T2_T3_mT4_P12ihipStream_tbEUlT_E1_NS1_11comp_targetILNS1_3genE2ELNS1_11target_archE906ELNS1_3gpuE6ELNS1_3repE0EEENS1_30default_config_static_selectorELNS0_4arch9wavefront6targetE1EEEvSW_ ; -- Begin function _ZN7rocprim17ROCPRIM_400000_NS6detail17trampoline_kernelINS0_14default_configENS1_22reduce_config_selectorIlEEZNS1_11reduce_implILb1ES3_N6thrust23THRUST_200600_302600_NS11hip_rocprim26transform_input_iterator_tIlNS8_12zip_iteratorINS8_5tupleINS8_6detail15normal_iteratorINS8_10device_ptrIiEEEESH_NS8_9null_typeESI_SI_SI_SI_SI_SI_SI_EEEENS9_21zip_adj_not_predicateI22is_equal_div_10_uniqueIiEEEEEPllNS8_4plusIlEEEE10hipError_tPvRmT1_T2_T3_mT4_P12ihipStream_tbEUlT_E1_NS1_11comp_targetILNS1_3genE2ELNS1_11target_archE906ELNS1_3gpuE6ELNS1_3repE0EEENS1_30default_config_static_selectorELNS0_4arch9wavefront6targetE1EEEvSW_
	.globl	_ZN7rocprim17ROCPRIM_400000_NS6detail17trampoline_kernelINS0_14default_configENS1_22reduce_config_selectorIlEEZNS1_11reduce_implILb1ES3_N6thrust23THRUST_200600_302600_NS11hip_rocprim26transform_input_iterator_tIlNS8_12zip_iteratorINS8_5tupleINS8_6detail15normal_iteratorINS8_10device_ptrIiEEEESH_NS8_9null_typeESI_SI_SI_SI_SI_SI_SI_EEEENS9_21zip_adj_not_predicateI22is_equal_div_10_uniqueIiEEEEEPllNS8_4plusIlEEEE10hipError_tPvRmT1_T2_T3_mT4_P12ihipStream_tbEUlT_E1_NS1_11comp_targetILNS1_3genE2ELNS1_11target_archE906ELNS1_3gpuE6ELNS1_3repE0EEENS1_30default_config_static_selectorELNS0_4arch9wavefront6targetE1EEEvSW_
	.p2align	8
	.type	_ZN7rocprim17ROCPRIM_400000_NS6detail17trampoline_kernelINS0_14default_configENS1_22reduce_config_selectorIlEEZNS1_11reduce_implILb1ES3_N6thrust23THRUST_200600_302600_NS11hip_rocprim26transform_input_iterator_tIlNS8_12zip_iteratorINS8_5tupleINS8_6detail15normal_iteratorINS8_10device_ptrIiEEEESH_NS8_9null_typeESI_SI_SI_SI_SI_SI_SI_EEEENS9_21zip_adj_not_predicateI22is_equal_div_10_uniqueIiEEEEEPllNS8_4plusIlEEEE10hipError_tPvRmT1_T2_T3_mT4_P12ihipStream_tbEUlT_E1_NS1_11comp_targetILNS1_3genE2ELNS1_11target_archE906ELNS1_3gpuE6ELNS1_3repE0EEENS1_30default_config_static_selectorELNS0_4arch9wavefront6targetE1EEEvSW_,@function
_ZN7rocprim17ROCPRIM_400000_NS6detail17trampoline_kernelINS0_14default_configENS1_22reduce_config_selectorIlEEZNS1_11reduce_implILb1ES3_N6thrust23THRUST_200600_302600_NS11hip_rocprim26transform_input_iterator_tIlNS8_12zip_iteratorINS8_5tupleINS8_6detail15normal_iteratorINS8_10device_ptrIiEEEESH_NS8_9null_typeESI_SI_SI_SI_SI_SI_SI_EEEENS9_21zip_adj_not_predicateI22is_equal_div_10_uniqueIiEEEEEPllNS8_4plusIlEEEE10hipError_tPvRmT1_T2_T3_mT4_P12ihipStream_tbEUlT_E1_NS1_11comp_targetILNS1_3genE2ELNS1_11target_archE906ELNS1_3gpuE6ELNS1_3repE0EEENS1_30default_config_static_selectorELNS0_4arch9wavefront6targetE1EEEvSW_: ; @_ZN7rocprim17ROCPRIM_400000_NS6detail17trampoline_kernelINS0_14default_configENS1_22reduce_config_selectorIlEEZNS1_11reduce_implILb1ES3_N6thrust23THRUST_200600_302600_NS11hip_rocprim26transform_input_iterator_tIlNS8_12zip_iteratorINS8_5tupleINS8_6detail15normal_iteratorINS8_10device_ptrIiEEEESH_NS8_9null_typeESI_SI_SI_SI_SI_SI_SI_EEEENS9_21zip_adj_not_predicateI22is_equal_div_10_uniqueIiEEEEEPllNS8_4plusIlEEEE10hipError_tPvRmT1_T2_T3_mT4_P12ihipStream_tbEUlT_E1_NS1_11comp_targetILNS1_3genE2ELNS1_11target_archE906ELNS1_3gpuE6ELNS1_3repE0EEENS1_30default_config_static_selectorELNS0_4arch9wavefront6targetE1EEEvSW_
; %bb.0:
	s_load_dword s30, s[4:5], 0x4
	s_load_dwordx4 s[24:27], s[4:5], 0x8
	s_load_dwordx4 s[20:23], s[4:5], 0x20
	s_waitcnt lgkmcnt(0)
	s_cmp_lt_i32 s30, 4
	s_cbranch_scc1 .LBB990_10
; %bb.1:
	s_cmp_gt_i32 s30, 7
	s_cbranch_scc0 .LBB990_11
; %bb.2:
	s_cmp_gt_i32 s30, 15
	s_cbranch_scc0 .LBB990_12
; %bb.3:
	s_mov_b64 s[2:3], 0
	s_cmp_eq_u32 s30, 16
	s_mov_b64 s[0:1], 0
                                        ; implicit-def: $vgpr1_vgpr2
                                        ; implicit-def: $vgpr3_vgpr4
	s_cbranch_scc0 .LBB990_13
; %bb.4:
	s_mov_b32 s7, 0
	s_lshl_b32 s12, s6, 12
	s_mov_b32 s13, s7
	s_lshr_b64 s[0:1], s[20:21], 12
	s_lshl_b64 s[10:11], s[12:13], 2
	s_add_u32 s8, s24, s10
	s_addc_u32 s9, s25, s11
	s_add_u32 s10, s26, s10
	s_addc_u32 s11, s27, s11
	s_cmp_lg_u64 s[0:1], s[6:7]
	s_cbranch_scc0 .LBB990_21
; %bb.5:
	v_lshlrev_b32_e32 v3, 2, v0
	v_mov_b32_e32 v1, s9
	v_add_co_u32_e32 v9, vcc, s8, v3
	v_addc_co_u32_e32 v10, vcc, 0, v1, vcc
	global_load_dword v11, v3, s[8:9]
	global_load_dword v12, v3, s[10:11]
	global_load_dword v13, v3, s[8:9] offset:1024
	global_load_dword v14, v3, s[10:11] offset:1024
	;; [unrolled: 1-line block ×6, first 2 shown]
	s_movk_i32 s0, 0x2000
	v_add_co_u32_e32 v1, vcc, s0, v9
	v_addc_co_u32_e32 v2, vcc, 0, v10, vcc
	v_mov_b32_e32 v4, s11
	v_add_co_u32_e32 v20, vcc, s10, v3
	v_addc_co_u32_e32 v21, vcc, 0, v4, vcc
	v_add_co_u32_e32 v3, vcc, s0, v20
	v_addc_co_u32_e32 v4, vcc, 0, v21, vcc
	global_load_dword v19, v[1:2], off offset:-4096
	global_load_dword v22, v[3:4], off offset:-4096
	s_movk_i32 s0, 0x1000
	v_add_co_u32_e32 v5, vcc, s0, v9
	v_addc_co_u32_e32 v6, vcc, 0, v10, vcc
	global_load_dword v23, v[5:6], off offset:1024
	v_add_co_u32_e32 v7, vcc, s0, v20
	v_addc_co_u32_e32 v8, vcc, 0, v21, vcc
	global_load_dword v24, v[7:8], off offset:1024
	global_load_dword v25, v[5:6], off offset:2048
	;; [unrolled: 1-line block ×3, first 2 shown]
	s_mov_b32 s13, 0x66666667
	global_load_dword v28, v[5:6], off offset:3072
	global_load_dword v29, v[7:8], off offset:3072
	global_load_dword v30, v[3:4], off
	global_load_dword v31, v[3:4], off offset:1024
	global_load_dword v32, v[3:4], off offset:2048
	global_load_dword v33, v[1:2], off
	global_load_dword v34, v[1:2], off offset:1024
	global_load_dword v35, v[1:2], off offset:2048
                                        ; kill: killed $vgpr7 killed $vgpr8
                                        ; kill: killed $vgpr5 killed $vgpr6
	global_load_dword v5, v[1:2], off offset:3072
	s_movk_i32 s0, 0x3000
	v_mov_b32_e32 v27, 0
	s_waitcnt vmcnt(22)
	v_mul_hi_i32 v1, v11, s13
	s_waitcnt vmcnt(21)
	v_mul_hi_i32 v2, v12, s13
	;; [unrolled: 2-line block ×5, first 2 shown]
	v_lshrrev_b32_e32 v15, 31, v1
	v_ashrrev_i32_e32 v1, 2, v1
	s_waitcnt vmcnt(17)
	v_mul_hi_i32 v11, v16, s13
	v_add_u32_e32 v15, v1, v15
	v_lshrrev_b32_e32 v1, 31, v2
	v_ashrrev_i32_e32 v2, 2, v2
	s_waitcnt vmcnt(15)
	v_mul_hi_i32 v12, v18, s13
	v_add_u32_e32 v16, v2, v1
	v_lshrrev_b32_e32 v1, 31, v6
	v_ashrrev_i32_e32 v2, 2, v6
	v_mul_hi_i32 v13, v17, s13
	v_add_u32_e32 v6, v2, v1
	v_lshrrev_b32_e32 v1, 31, v7
	v_ashrrev_i32_e32 v2, 2, v7
	v_add_u32_e32 v7, v2, v1
	v_lshrrev_b32_e32 v1, 31, v8
	v_ashrrev_i32_e32 v2, 2, v8
	;; [unrolled: 3-line block ×5, first 2 shown]
	v_add_u32_e32 v2, v12, v2
	s_waitcnt vmcnt(14)
	v_mul_hi_i32 v14, v19, s13
	v_cmp_ne_u32_e32 vcc, v1, v2
	s_waitcnt vmcnt(13)
	v_mul_hi_i32 v1, v22, s13
	v_cndmask_b32_e64 v12, 0, 1, vcc
	global_load_dword v13, v[3:4], off offset:3072
	v_lshrrev_b32_e32 v2, 31, v14
	v_ashrrev_i32_e32 v3, 2, v14
	v_lshrrev_b32_e32 v17, 31, v1
	v_ashrrev_i32_e32 v18, 2, v1
	v_add_co_u32_e32 v1, vcc, s0, v9
	v_add_u32_e32 v14, v3, v2
	v_addc_co_u32_e32 v2, vcc, 0, v10, vcc
	v_add_co_u32_e32 v3, vcc, s0, v20
	global_load_dword v9, v[1:2], off
	v_addc_co_u32_e32 v4, vcc, 0, v21, vcc
	s_waitcnt vmcnt(14)
	v_mul_hi_i32 v19, v23, s13
	global_load_dword v10, v[3:4], off
	global_load_dword v21, v[3:4], off offset:1024
	global_load_dword v22, v[3:4], off offset:2048
	v_add_u32_e32 v17, v18, v17
	v_cmp_ne_u32_e32 vcc, v14, v17
	v_lshrrev_b32_e32 v14, 31, v19
	v_ashrrev_i32_e32 v18, 2, v19
	s_waitcnt vmcnt(16)
	v_mul_hi_i32 v17, v24, s13
	v_add_u32_e32 v14, v18, v14
	global_load_dword v18, v[1:2], off offset:1024
	s_waitcnt vmcnt(16)
	v_mul_hi_i32 v20, v25, s13
	v_lshrrev_b32_e32 v19, 31, v17
	v_ashrrev_i32_e32 v17, 2, v17
	v_add_u32_e32 v17, v17, v19
	v_cmp_ne_u32_e64 s[0:1], v14, v17
	v_lshrrev_b32_e32 v14, 31, v20
	v_ashrrev_i32_e32 v19, 2, v20
	global_load_dword v20, v[1:2], off offset:2048
	s_waitcnt vmcnt(16)
	v_mul_hi_i32 v17, v26, s13
	global_load_dword v1, v[1:2], off offset:3072
	v_add_u32_e32 v14, v19, v14
	global_load_dword v3, v[3:4], off offset:3072
	v_lshrrev_b32_e32 v19, 31, v17
	v_ashrrev_i32_e32 v17, 2, v17
	v_add_u32_e32 v17, v17, v19
	s_waitcnt vmcnt(17)
	v_mul_hi_i32 v23, v28, s13
	v_cndmask_b32_e64 v19, 0, 1, vcc
	v_cmp_ne_u32_e32 vcc, v14, v17
	s_waitcnt vmcnt(16)
	v_mul_hi_i32 v17, v29, s13
	v_lshrrev_b32_e32 v4, 31, v23
	v_ashrrev_i32_e32 v23, 2, v23
	v_add_u32_e32 v4, v23, v4
	v_lshrrev_b32_e32 v23, 31, v17
	v_ashrrev_i32_e32 v17, 2, v17
	v_add_u32_e32 v17, v17, v23
	s_waitcnt vmcnt(12)
	v_mul_hi_i32 v23, v33, s13
	v_cndmask_b32_e64 v14, 0, 1, vcc
	v_cmp_ne_u32_e32 vcc, v4, v17
	v_mul_hi_i32 v17, v30, s13
	v_lshrrev_b32_e32 v24, 31, v23
	v_ashrrev_i32_e32 v23, 2, v23
	v_add_u32_e32 v23, v23, v24
	v_lshrrev_b32_e32 v24, 31, v17
	v_ashrrev_i32_e32 v17, 2, v17
	v_add_u32_e32 v17, v17, v24
	s_waitcnt vmcnt(11)
	v_mul_hi_i32 v24, v34, s13
	v_cndmask_b32_e64 v4, 0, 1, vcc
	v_cmp_ne_u32_e32 vcc, v23, v17
	;; [unrolled: 11-line block ×3, first 2 shown]
	v_mul_hi_i32 v24, v32, s13
	s_waitcnt vmcnt(9)
	v_mul_hi_i32 v5, v5, s13
	v_lshrrev_b32_e32 v26, 31, v25
	v_ashrrev_i32_e32 v25, 2, v25
	v_add_u32_e32 v25, v25, v26
	v_lshrrev_b32_e32 v26, 31, v24
	s_waitcnt vmcnt(8)
	v_mul_hi_i32 v13, v13, s13
	v_ashrrev_i32_e32 v24, 2, v24
	v_add_u32_e32 v24, v24, v26
	v_cndmask_b32_e64 v23, 0, 1, vcc
	v_cmp_ne_u32_e32 vcc, v25, v24
	v_lshrrev_b32_e32 v25, 31, v5
	v_ashrrev_i32_e32 v5, 2, v5
	v_add_u32_e32 v5, v5, v25
	v_lshrrev_b32_e32 v25, 31, v13
	v_ashrrev_i32_e32 v13, 2, v13
	v_add_u32_e32 v13, v13, v25
	v_cndmask_b32_e64 v24, 0, 1, vcc
	s_waitcnt vmcnt(7)
	v_mul_hi_i32 v9, v9, s13
	v_cmp_ne_u32_e32 vcc, v5, v13
	v_cndmask_b32_e64 v5, 0, 1, vcc
	v_cndmask_b32_e64 v2, 0, 1, s[0:1]
	s_waitcnt vmcnt(6)
	v_mul_hi_i32 v10, v10, s13
	v_lshrrev_b32_e32 v13, 31, v9
	v_ashrrev_i32_e32 v9, 2, v9
	v_add_u32_e32 v9, v9, v13
	v_lshrrev_b32_e32 v13, 31, v10
	v_ashrrev_i32_e32 v10, 2, v10
	v_add_u32_e32 v10, v10, v13
	v_cmp_ne_u32_e32 vcc, v9, v10
	s_waitcnt vmcnt(5)
	v_mul_hi_i32 v10, v21, s13
	s_waitcnt vmcnt(3)
	v_mul_hi_i32 v13, v18, s13
	v_cndmask_b32_e64 v9, 0, 1, vcc
	v_lshrrev_b32_e32 v18, 31, v13
	v_ashrrev_i32_e32 v13, 2, v13
	v_add_u32_e32 v13, v13, v18
	v_lshrrev_b32_e32 v18, 31, v10
	v_ashrrev_i32_e32 v10, 2, v10
	v_add_u32_e32 v10, v10, v18
	s_waitcnt vmcnt(2)
	v_mul_hi_i32 v18, v20, s13
	v_cmp_ne_u32_e32 vcc, v13, v10
	v_mul_hi_i32 v13, v22, s13
	s_waitcnt vmcnt(1)
	v_mul_hi_i32 v1, v1, s13
	v_lshrrev_b32_e32 v20, 31, v18
	v_ashrrev_i32_e32 v18, 2, v18
	s_waitcnt vmcnt(0)
	v_mul_hi_i32 v3, v3, s13
	v_add_u32_e32 v18, v18, v20
	v_lshrrev_b32_e32 v20, 31, v13
	v_ashrrev_i32_e32 v13, 2, v13
	v_add_u32_e32 v13, v13, v20
	v_cndmask_b32_e64 v10, 0, 1, vcc
	v_cmp_ne_u32_e32 vcc, v18, v13
	v_lshrrev_b32_e32 v18, 31, v1
	v_ashrrev_i32_e32 v1, 2, v1
	v_add_u32_e32 v1, v1, v18
	v_lshrrev_b32_e32 v18, 31, v3
	v_ashrrev_i32_e32 v3, 2, v3
	v_add_u32_e32 v3, v3, v18
	v_cndmask_b32_e64 v13, 0, 1, vcc
	v_cmp_ne_u32_e32 vcc, v1, v3
	v_cndmask_b32_e64 v1, 0, 1, vcc
	v_cmp_ne_u32_e32 vcc, v6, v7
	v_cndmask_b32_e64 v3, 0, 1, vcc
	v_cmp_ne_u32_e32 vcc, v15, v16
	v_cndmask_b32_e64 v6, 0, 1, vcc
	v_cmp_ne_u32_e32 vcc, v8, v11
	v_addc_co_u32_e32 v3, vcc, v3, v6, vcc
	v_add_co_u32_e32 v3, vcc, v3, v12
	v_addc_co_u32_e64 v6, s[0:1], 0, 0, vcc
	v_add_co_u32_e32 v3, vcc, v3, v19
	v_addc_co_u32_e32 v6, vcc, 0, v6, vcc
	v_add_co_u32_e32 v2, vcc, v3, v2
	v_addc_co_u32_e32 v3, vcc, 0, v6, vcc
	;; [unrolled: 2-line block ×12, first 2 shown]
	s_nop 0
	v_mov_b32_dpp v4, v1 quad_perm:[1,0,3,2] row_mask:0xf bank_mask:0xf bound_ctrl:1
	v_add_co_u32_e32 v1, vcc, v1, v4
	v_addc_co_u32_e32 v2, vcc, 0, v2, vcc
	v_mov_b32_dpp v5, v27 quad_perm:[1,0,3,2] row_mask:0xf bank_mask:0xf bound_ctrl:1
	v_add_co_u32_e32 v4, vcc, 0, v1
	v_addc_co_u32_e32 v2, vcc, v5, v2, vcc
	v_mov_b32_dpp v1, v1 quad_perm:[2,3,0,1] row_mask:0xf bank_mask:0xf bound_ctrl:1
	v_add_co_u32_e32 v1, vcc, v4, v1
	v_mov_b32_dpp v5, v2 quad_perm:[2,3,0,1] row_mask:0xf bank_mask:0xf bound_ctrl:1
	v_addc_co_u32_e32 v2, vcc, 0, v2, vcc
	v_add_co_u32_e32 v4, vcc, 0, v1
	v_addc_co_u32_e32 v2, vcc, v2, v5, vcc
	v_mov_b32_dpp v1, v1 row_ror:4 row_mask:0xf bank_mask:0xf bound_ctrl:1
	v_add_co_u32_e32 v1, vcc, v4, v1
	v_mov_b32_dpp v5, v2 row_ror:4 row_mask:0xf bank_mask:0xf bound_ctrl:1
	v_addc_co_u32_e32 v2, vcc, 0, v2, vcc
	v_add_co_u32_e32 v4, vcc, 0, v1
	v_addc_co_u32_e32 v2, vcc, v2, v5, vcc
	v_mov_b32_dpp v1, v1 row_ror:8 row_mask:0xf bank_mask:0xf bound_ctrl:1
	v_add_co_u32_e32 v1, vcc, v4, v1
	v_mov_b32_dpp v5, v2 row_ror:8 row_mask:0xf bank_mask:0xf bound_ctrl:1
	v_addc_co_u32_e32 v2, vcc, 0, v2, vcc
	v_add_co_u32_e32 v4, vcc, 0, v1
	v_addc_co_u32_e32 v2, vcc, v2, v5, vcc
	v_mov_b32_dpp v1, v1 row_bcast:15 row_mask:0xf bank_mask:0xf bound_ctrl:1
	v_add_co_u32_e32 v1, vcc, v4, v1
	v_mov_b32_dpp v5, v2 row_bcast:15 row_mask:0xf bank_mask:0xf bound_ctrl:1
	v_addc_co_u32_e32 v2, vcc, 0, v2, vcc
	v_add_co_u32_e32 v4, vcc, 0, v1
	v_addc_co_u32_e32 v2, vcc, v2, v5, vcc
	v_mov_b32_dpp v1, v1 row_bcast:31 row_mask:0xf bank_mask:0xf bound_ctrl:1
	v_mbcnt_lo_u32_b32 v3, -1, 0
	v_add_co_u32_e32 v1, vcc, v4, v1
	v_mbcnt_hi_u32_b32 v3, -1, v3
	v_addc_co_u32_e32 v4, vcc, 0, v2, vcc
	v_cmp_eq_u32_e32 vcc, 0, v3
	s_nop 0
	v_add_u32_dpp v2, v2, v4 row_bcast:31 row_mask:0xf bank_mask:0xf bound_ctrl:1
	v_lshlrev_b32_e32 v4, 2, v3
	v_or_b32_e32 v5, 0xfc, v4
	ds_bpermute_b32 v1, v5, v1
	ds_bpermute_b32 v2, v5, v2
	s_and_saveexec_b64 s[0:1], vcc
	s_cbranch_execz .LBB990_7
; %bb.6:
	v_lshrrev_b32_e32 v5, 3, v0
	v_and_b32_e32 v5, 24, v5
	s_waitcnt lgkmcnt(0)
	ds_write_b64 v5, v[1:2]
.LBB990_7:
	s_or_b64 exec, exec, s[0:1]
	v_cmp_gt_u32_e32 vcc, 64, v0
	s_waitcnt lgkmcnt(0)
	s_barrier
	s_and_saveexec_b64 s[0:1], vcc
	s_cbranch_execz .LBB990_9
; %bb.8:
	v_and_b32_e32 v5, 3, v3
	v_lshlrev_b32_e32 v1, 3, v5
	ds_read_b64 v[1:2], v1
	v_cmp_ne_u32_e32 vcc, 3, v5
	v_addc_co_u32_e32 v3, vcc, 0, v3, vcc
	v_lshlrev_b32_e32 v3, 2, v3
	s_waitcnt lgkmcnt(0)
	ds_bpermute_b32 v5, v3, v1
	ds_bpermute_b32 v3, v3, v2
	v_or_b32_e32 v4, 8, v4
	s_waitcnt lgkmcnt(1)
	v_add_co_u32_e32 v1, vcc, v1, v5
	v_addc_co_u32_e32 v2, vcc, 0, v2, vcc
	ds_bpermute_b32 v5, v4, v1
	v_add_co_u32_e32 v1, vcc, 0, v1
	s_waitcnt lgkmcnt(1)
	v_addc_co_u32_e32 v2, vcc, v3, v2, vcc
	ds_bpermute_b32 v3, v4, v2
	s_waitcnt lgkmcnt(1)
	v_add_co_u32_e32 v1, vcc, v1, v5
	v_addc_co_u32_e32 v2, vcc, 0, v2, vcc
	v_add_co_u32_e32 v1, vcc, 0, v1
	s_waitcnt lgkmcnt(0)
	v_addc_co_u32_e32 v2, vcc, v2, v3, vcc
.LBB990_9:
	s_or_b64 exec, exec, s[0:1]
	s_mov_b64 s[0:1], 0
	s_branch .LBB990_22
.LBB990_10:
	s_mov_b64 s[0:1], 0
                                        ; implicit-def: $vgpr1_vgpr2
                                        ; implicit-def: $vgpr3_vgpr4
	s_cbranch_execnz .LBB990_145
	s_branch .LBB990_206
.LBB990_11:
	s_mov_b64 s[0:1], 0
                                        ; implicit-def: $vgpr1_vgpr2
                                        ; implicit-def: $vgpr3_vgpr4
	s_cbranch_execnz .LBB990_110
	s_branch .LBB990_144
.LBB990_12:
	s_mov_b64 s[2:3], -1
	s_mov_b64 s[0:1], 0
                                        ; implicit-def: $vgpr1_vgpr2
                                        ; implicit-def: $vgpr3_vgpr4
.LBB990_13:
	s_and_b64 vcc, exec, s[2:3]
	s_cbranch_vccz .LBB990_109
.LBB990_14:
	s_cmp_eq_u32 s30, 8
                                        ; implicit-def: $vgpr1_vgpr2
                                        ; implicit-def: $vgpr3_vgpr4
	s_cbranch_scc0 .LBB990_109
; %bb.15:
	s_mov_b32 s7, 0
	s_lshl_b32 s0, s6, 11
	s_mov_b32 s1, s7
	s_lshr_b64 s[2:3], s[20:21], 11
	s_lshl_b64 s[8:9], s[0:1], 2
	s_add_u32 s16, s24, s8
	s_addc_u32 s17, s25, s9
	s_add_u32 s18, s26, s8
	s_addc_u32 s19, s27, s9
	s_cmp_lg_u64 s[2:3], s[6:7]
	s_cbranch_scc0 .LBB990_73
; %bb.16:
	v_lshlrev_b32_e32 v1, 2, v0
	v_mov_b32_e32 v2, s17
	v_add_co_u32_e32 v3, vcc, s16, v1
	v_addc_co_u32_e32 v2, vcc, 0, v2, vcc
	v_mov_b32_e32 v4, s19
	v_add_co_u32_e32 v5, vcc, s18, v1
	v_addc_co_u32_e32 v4, vcc, 0, v4, vcc
	s_movk_i32 s1, 0x1000
	global_load_dword v6, v1, s[16:17]
	global_load_dword v7, v1, s[18:19]
	global_load_dword v8, v1, s[16:17] offset:1024
	global_load_dword v9, v1, s[18:19] offset:1024
	global_load_dword v10, v1, s[16:17] offset:2048
	global_load_dword v11, v1, s[18:19] offset:2048
	global_load_dword v12, v1, s[18:19] offset:3072
	global_load_dword v13, v1, s[16:17] offset:3072
	v_add_co_u32_e32 v1, vcc, s1, v3
	v_addc_co_u32_e32 v2, vcc, 0, v2, vcc
	global_load_dword v14, v[1:2], off
	v_add_co_u32_e32 v3, vcc, s1, v5
	v_addc_co_u32_e32 v4, vcc, 0, v4, vcc
	global_load_dword v5, v[3:4], off
	global_load_dword v15, v[1:2], off offset:1024
	global_load_dword v16, v[3:4], off offset:1024
	;; [unrolled: 1-line block ×6, first 2 shown]
	s_mov_b32 s1, 0x66666667
	v_mov_b32_e32 v1, 0
	s_waitcnt vmcnt(15)
	v_mul_hi_i32 v2, v6, s1
	s_waitcnt vmcnt(14)
	v_mul_hi_i32 v3, v7, s1
	;; [unrolled: 2-line block ×8, first 2 shown]
	v_lshrrev_b32_e32 v21, 31, v6
	v_ashrrev_i32_e32 v6, 2, v6
	v_lshrrev_b32_e32 v25, 31, v10
	s_waitcnt vmcnt(6)
	v_mul_hi_i32 v5, v5, s1
	v_mul_hi_i32 v11, v14, s1
	s_waitcnt vmcnt(5)
	v_mul_hi_i32 v12, v15, s1
	s_waitcnt vmcnt(4)
	v_mul_hi_i32 v13, v16, s1
	v_lshrrev_b32_e32 v24, 31, v9
	v_ashrrev_i32_e32 v9, 2, v9
	v_ashrrev_i32_e32 v10, 2, v10
	v_lshrrev_b32_e32 v14, 31, v2
	v_ashrrev_i32_e32 v2, 2, v2
	v_add_u32_e32 v9, v9, v24
	v_add_u32_e32 v10, v10, v25
	v_lshrrev_b32_e32 v15, 31, v3
	v_ashrrev_i32_e32 v3, 2, v3
	v_lshrrev_b32_e32 v16, 31, v4
	v_ashrrev_i32_e32 v4, 2, v4
	v_add_u32_e32 v2, v2, v14
	v_cmp_ne_u32_e32 vcc, v9, v10
	v_lshrrev_b32_e32 v10, 31, v11
	v_ashrrev_i32_e32 v11, 2, v11
	v_lshrrev_b32_e32 v14, 31, v5
	v_ashrrev_i32_e32 v5, 2, v5
	v_add_u32_e32 v3, v3, v15
	v_add_u32_e32 v4, v4, v16
	v_lshrrev_b32_e32 v15, 31, v12
	v_ashrrev_i32_e32 v12, 2, v12
	v_lshrrev_b32_e32 v16, 31, v13
	v_ashrrev_i32_e32 v13, 2, v13
	v_add_u32_e32 v10, v11, v10
	v_add_u32_e32 v5, v5, v14
	v_cndmask_b32_e64 v9, 0, 1, vcc
	v_add_u32_e32 v11, v12, v15
	v_add_u32_e32 v12, v13, v16
	v_cmp_ne_u32_e32 vcc, v10, v5
	s_waitcnt vmcnt(3)
	v_mul_hi_i32 v10, v17, s1
	v_cndmask_b32_e64 v5, 0, 1, vcc
	v_cmp_ne_u32_e32 vcc, v11, v12
	s_waitcnt vmcnt(2)
	v_mul_hi_i32 v12, v18, s1
	v_lshrrev_b32_e32 v13, 31, v10
	v_ashrrev_i32_e32 v10, 2, v10
	v_add_u32_e32 v10, v10, v13
	v_lshrrev_b32_e32 v13, 31, v12
	v_ashrrev_i32_e32 v12, 2, v12
	v_add_u32_e32 v12, v12, v13
	s_waitcnt vmcnt(1)
	v_mul_hi_i32 v13, v19, s1
	v_cndmask_b32_e64 v11, 0, 1, vcc
	v_cmp_ne_u32_e32 vcc, v10, v12
	s_waitcnt vmcnt(0)
	v_mul_hi_i32 v12, v20, s1
	v_lshrrev_b32_e32 v14, 31, v13
	v_ashrrev_i32_e32 v13, 2, v13
	v_add_u32_e32 v13, v13, v14
	v_lshrrev_b32_e32 v14, 31, v12
	v_ashrrev_i32_e32 v12, 2, v12
	v_add_u32_e32 v12, v12, v14
	v_add_u32_e32 v6, v6, v21
	v_cndmask_b32_e64 v10, 0, 1, vcc
	v_cmp_ne_u32_e32 vcc, v13, v12
	v_lshrrev_b32_e32 v22, 31, v7
	v_ashrrev_i32_e32 v7, 2, v7
	v_lshrrev_b32_e32 v23, 31, v8
	v_ashrrev_i32_e32 v8, 2, v8
	v_cndmask_b32_e64 v12, 0, 1, vcc
	v_cmp_ne_u32_e32 vcc, v4, v6
	v_add_u32_e32 v7, v7, v22
	v_add_u32_e32 v8, v8, v23
	v_cndmask_b32_e64 v4, 0, 1, vcc
	v_cmp_ne_u32_e32 vcc, v2, v3
	v_cndmask_b32_e64 v2, 0, 1, vcc
	v_cmp_ne_u32_e32 vcc, v7, v8
	v_addc_co_u32_e32 v2, vcc, v4, v2, vcc
	v_add_co_u32_e32 v2, vcc, v2, v9
	v_addc_co_u32_e64 v3, s[2:3], 0, 0, vcc
	v_add_co_u32_e32 v2, vcc, v2, v5
	v_addc_co_u32_e32 v3, vcc, 0, v3, vcc
	v_add_co_u32_e32 v2, vcc, v2, v11
	v_addc_co_u32_e32 v3, vcc, 0, v3, vcc
	;; [unrolled: 2-line block ×4, first 2 shown]
	s_nop 0
	v_mov_b32_dpp v5, v2 quad_perm:[1,0,3,2] row_mask:0xf bank_mask:0xf bound_ctrl:1
	v_add_co_u32_e32 v2, vcc, v2, v5
	v_addc_co_u32_e32 v4, vcc, 0, v4, vcc
	v_mov_b32_dpp v1, v1 quad_perm:[1,0,3,2] row_mask:0xf bank_mask:0xf bound_ctrl:1
	v_add_co_u32_e32 v5, vcc, 0, v2
	v_addc_co_u32_e32 v1, vcc, v1, v4, vcc
	v_mov_b32_dpp v2, v2 quad_perm:[2,3,0,1] row_mask:0xf bank_mask:0xf bound_ctrl:1
	v_add_co_u32_e32 v2, vcc, v5, v2
	v_mov_b32_dpp v4, v1 quad_perm:[2,3,0,1] row_mask:0xf bank_mask:0xf bound_ctrl:1
	v_addc_co_u32_e32 v1, vcc, 0, v1, vcc
	v_add_co_u32_e32 v5, vcc, 0, v2
	v_addc_co_u32_e32 v1, vcc, v1, v4, vcc
	v_mov_b32_dpp v2, v2 row_ror:4 row_mask:0xf bank_mask:0xf bound_ctrl:1
	v_add_co_u32_e32 v2, vcc, v5, v2
	v_mov_b32_dpp v4, v1 row_ror:4 row_mask:0xf bank_mask:0xf bound_ctrl:1
	v_addc_co_u32_e32 v1, vcc, 0, v1, vcc
	v_add_co_u32_e32 v5, vcc, 0, v2
	v_addc_co_u32_e32 v1, vcc, v1, v4, vcc
	v_mov_b32_dpp v2, v2 row_ror:8 row_mask:0xf bank_mask:0xf bound_ctrl:1
	v_add_co_u32_e32 v2, vcc, v5, v2
	v_mov_b32_dpp v4, v1 row_ror:8 row_mask:0xf bank_mask:0xf bound_ctrl:1
	v_addc_co_u32_e32 v1, vcc, 0, v1, vcc
	v_add_co_u32_e32 v5, vcc, 0, v2
	v_addc_co_u32_e32 v1, vcc, v1, v4, vcc
	v_mov_b32_dpp v2, v2 row_bcast:15 row_mask:0xf bank_mask:0xf bound_ctrl:1
	v_add_co_u32_e32 v2, vcc, v5, v2
	v_mov_b32_dpp v4, v1 row_bcast:15 row_mask:0xf bank_mask:0xf bound_ctrl:1
	v_addc_co_u32_e32 v1, vcc, 0, v1, vcc
	v_add_co_u32_e32 v5, vcc, 0, v2
	v_addc_co_u32_e32 v1, vcc, v1, v4, vcc
	v_mov_b32_dpp v2, v2 row_bcast:31 row_mask:0xf bank_mask:0xf bound_ctrl:1
	v_mbcnt_lo_u32_b32 v3, -1, 0
	v_add_co_u32_e32 v2, vcc, v5, v2
	v_mbcnt_hi_u32_b32 v3, -1, v3
	v_addc_co_u32_e32 v4, vcc, 0, v1, vcc
	v_cmp_eq_u32_e32 vcc, 0, v3
	s_nop 0
	v_add_u32_dpp v5, v1, v4 row_bcast:31 row_mask:0xf bank_mask:0xf bound_ctrl:1
	v_lshlrev_b32_e32 v4, 2, v3
	v_or_b32_e32 v6, 0xfc, v4
	ds_bpermute_b32 v1, v6, v2
	ds_bpermute_b32 v2, v6, v5
	s_and_saveexec_b64 s[2:3], vcc
	s_cbranch_execz .LBB990_18
; %bb.17:
	v_lshrrev_b32_e32 v5, 3, v0
	v_and_b32_e32 v5, 24, v5
	s_waitcnt lgkmcnt(0)
	ds_write_b64 v5, v[1:2] offset:128
.LBB990_18:
	s_or_b64 exec, exec, s[2:3]
	v_cmp_gt_u32_e32 vcc, 64, v0
	s_waitcnt lgkmcnt(0)
	s_barrier
	s_and_saveexec_b64 s[2:3], vcc
	s_cbranch_execz .LBB990_20
; %bb.19:
	v_and_b32_e32 v5, 3, v3
	v_lshlrev_b32_e32 v1, 3, v5
	ds_read_b64 v[1:2], v1 offset:128
	v_cmp_ne_u32_e32 vcc, 3, v5
	v_addc_co_u32_e32 v3, vcc, 0, v3, vcc
	v_lshlrev_b32_e32 v3, 2, v3
	s_waitcnt lgkmcnt(0)
	ds_bpermute_b32 v5, v3, v1
	ds_bpermute_b32 v3, v3, v2
	v_or_b32_e32 v4, 8, v4
	s_waitcnt lgkmcnt(1)
	v_add_co_u32_e32 v1, vcc, v1, v5
	v_addc_co_u32_e32 v2, vcc, 0, v2, vcc
	ds_bpermute_b32 v5, v4, v1
	v_add_co_u32_e32 v1, vcc, 0, v1
	s_waitcnt lgkmcnt(1)
	v_addc_co_u32_e32 v2, vcc, v3, v2, vcc
	ds_bpermute_b32 v3, v4, v2
	s_waitcnt lgkmcnt(1)
	v_add_co_u32_e32 v1, vcc, v1, v5
	v_addc_co_u32_e32 v2, vcc, 0, v2, vcc
	v_add_co_u32_e32 v1, vcc, 0, v1
	s_waitcnt lgkmcnt(0)
	v_addc_co_u32_e32 v2, vcc, v2, v3, vcc
.LBB990_20:
	s_or_b64 exec, exec, s[2:3]
	s_mov_b64 s[2:3], 0
	s_branch .LBB990_74
.LBB990_21:
	s_mov_b64 s[0:1], -1
                                        ; implicit-def: $vgpr1_vgpr2
.LBB990_22:
	s_and_b64 vcc, exec, s[0:1]
	s_cbranch_vccz .LBB990_72
; %bb.23:
	s_sub_i32 s12, s20, s12
	v_cmp_gt_u32_e32 vcc, s12, v0
                                        ; implicit-def: $vgpr1_vgpr2
	s_and_saveexec_b64 s[0:1], vcc
	s_cbranch_execz .LBB990_25
; %bb.24:
	v_lshlrev_b32_e32 v1, 2, v0
	global_load_dword v2, v1, s[8:9]
	global_load_dword v3, v1, s[10:11]
	s_mov_b32 s13, 0x66666667
	s_waitcnt vmcnt(1)
	v_mul_hi_i32 v1, v2, s13
	s_waitcnt vmcnt(0)
	v_mul_hi_i32 v2, v3, s13
	s_mov_b32 s13, 0
	v_lshrrev_b32_e32 v3, 31, v1
	v_ashrrev_i32_e32 v1, 2, v1
	v_lshrrev_b32_e32 v4, 31, v2
	v_ashrrev_i32_e32 v2, 2, v2
	v_add_u32_e32 v1, v1, v3
	v_add_u32_e32 v2, v2, v4
	v_cmp_ne_u32_e32 vcc, v1, v2
	v_cndmask_b32_e64 v1, 0, 1, vcc
	v_mov_b32_e32 v2, s13
.LBB990_25:
	s_or_b64 exec, exec, s[0:1]
	v_or_b32_e32 v7, 0x100, v0
	v_mov_b32_e32 v3, 0
	v_mov_b32_e32 v5, 0
	;; [unrolled: 1-line block ×4, first 2 shown]
	v_cmp_gt_u32_e32 vcc, s12, v7
	s_and_saveexec_b64 s[0:1], vcc
	s_cbranch_execz .LBB990_27
; %bb.26:
	v_lshlrev_b32_e32 v5, 2, v0
	global_load_dword v6, v5, s[8:9] offset:1024
	global_load_dword v7, v5, s[10:11] offset:1024
	s_mov_b32 s13, 0x66666667
	s_waitcnt vmcnt(1)
	v_mul_hi_i32 v5, v6, s13
	s_waitcnt vmcnt(0)
	v_mul_hi_i32 v6, v7, s13
	s_mov_b32 s13, 0
	v_lshrrev_b32_e32 v7, 31, v5
	v_ashrrev_i32_e32 v5, 2, v5
	v_lshrrev_b32_e32 v8, 31, v6
	v_ashrrev_i32_e32 v6, 2, v6
	v_add_u32_e32 v5, v5, v7
	v_add_u32_e32 v6, v6, v8
	v_cmp_ne_u32_e32 vcc, v5, v6
	v_cndmask_b32_e64 v5, 0, 1, vcc
	v_mov_b32_e32 v6, s13
.LBB990_27:
	s_or_b64 exec, exec, s[0:1]
	v_or_b32_e32 v7, 0x200, v0
	v_cmp_gt_u32_e32 vcc, s12, v7
	s_and_saveexec_b64 s[0:1], vcc
	s_cbranch_execz .LBB990_29
; %bb.28:
	v_lshlrev_b32_e32 v3, 2, v0
	global_load_dword v4, v3, s[8:9] offset:2048
	global_load_dword v7, v3, s[10:11] offset:2048
	s_mov_b32 s13, 0x66666667
	s_waitcnt vmcnt(1)
	v_mul_hi_i32 v3, v4, s13
	s_waitcnt vmcnt(0)
	v_mul_hi_i32 v4, v7, s13
	s_mov_b32 s13, 0
	v_lshrrev_b32_e32 v7, 31, v3
	v_ashrrev_i32_e32 v3, 2, v3
	v_lshrrev_b32_e32 v8, 31, v4
	v_ashrrev_i32_e32 v4, 2, v4
	v_add_u32_e32 v3, v3, v7
	v_add_u32_e32 v4, v4, v8
	v_cmp_ne_u32_e32 vcc, v3, v4
	v_cndmask_b32_e64 v3, 0, 1, vcc
	v_mov_b32_e32 v4, s13
.LBB990_29:
	s_or_b64 exec, exec, s[0:1]
	v_or_b32_e32 v11, 0x300, v0
	v_mov_b32_e32 v7, 0
	v_mov_b32_e32 v9, 0
	;; [unrolled: 1-line block ×4, first 2 shown]
	v_cmp_gt_u32_e32 vcc, s12, v11
	s_and_saveexec_b64 s[0:1], vcc
	s_cbranch_execz .LBB990_31
; %bb.30:
	v_lshlrev_b32_e32 v9, 2, v0
	global_load_dword v10, v9, s[8:9] offset:3072
	global_load_dword v11, v9, s[10:11] offset:3072
	s_mov_b32 s13, 0x66666667
	s_waitcnt vmcnt(1)
	v_mul_hi_i32 v9, v10, s13
	s_waitcnt vmcnt(0)
	v_mul_hi_i32 v10, v11, s13
	s_mov_b32 s13, 0
	v_lshrrev_b32_e32 v11, 31, v9
	v_ashrrev_i32_e32 v9, 2, v9
	v_lshrrev_b32_e32 v12, 31, v10
	v_ashrrev_i32_e32 v10, 2, v10
	v_add_u32_e32 v9, v9, v11
	v_add_u32_e32 v10, v10, v12
	v_cmp_ne_u32_e32 vcc, v9, v10
	v_cndmask_b32_e64 v9, 0, 1, vcc
	v_mov_b32_e32 v10, s13
.LBB990_31:
	s_or_b64 exec, exec, s[0:1]
	v_or_b32_e32 v11, 0x400, v0
	v_cmp_gt_u32_e32 vcc, s12, v11
	s_and_saveexec_b64 s[0:1], vcc
	s_cbranch_execz .LBB990_33
; %bb.32:
	v_lshlrev_b32_e32 v7, 2, v11
	global_load_dword v8, v7, s[8:9]
	global_load_dword v11, v7, s[10:11]
	s_mov_b32 s13, 0x66666667
	s_waitcnt vmcnt(1)
	v_mul_hi_i32 v7, v8, s13
	s_waitcnt vmcnt(0)
	v_mul_hi_i32 v8, v11, s13
	s_mov_b32 s13, 0
	v_lshrrev_b32_e32 v11, 31, v7
	v_ashrrev_i32_e32 v7, 2, v7
	v_lshrrev_b32_e32 v12, 31, v8
	v_ashrrev_i32_e32 v8, 2, v8
	v_add_u32_e32 v7, v7, v11
	v_add_u32_e32 v8, v8, v12
	v_cmp_ne_u32_e32 vcc, v7, v8
	v_cndmask_b32_e64 v7, 0, 1, vcc
	v_mov_b32_e32 v8, s13
.LBB990_33:
	s_or_b64 exec, exec, s[0:1]
	v_or_b32_e32 v15, 0x500, v0
	v_mov_b32_e32 v11, 0
	v_mov_b32_e32 v13, 0
	v_mov_b32_e32 v12, 0
	v_mov_b32_e32 v14, 0
	v_cmp_gt_u32_e32 vcc, s12, v15
	s_and_saveexec_b64 s[0:1], vcc
	s_cbranch_execz .LBB990_35
; %bb.34:
	v_lshlrev_b32_e32 v13, 2, v15
	global_load_dword v14, v13, s[8:9]
	global_load_dword v15, v13, s[10:11]
	s_mov_b32 s13, 0x66666667
	s_waitcnt vmcnt(1)
	v_mul_hi_i32 v13, v14, s13
	s_waitcnt vmcnt(0)
	v_mul_hi_i32 v14, v15, s13
	s_mov_b32 s13, 0
	v_lshrrev_b32_e32 v15, 31, v13
	v_ashrrev_i32_e32 v13, 2, v13
	v_lshrrev_b32_e32 v16, 31, v14
	v_ashrrev_i32_e32 v14, 2, v14
	v_add_u32_e32 v13, v13, v15
	v_add_u32_e32 v14, v14, v16
	v_cmp_ne_u32_e32 vcc, v13, v14
	v_cndmask_b32_e64 v13, 0, 1, vcc
	v_mov_b32_e32 v14, s13
.LBB990_35:
	s_or_b64 exec, exec, s[0:1]
	v_or_b32_e32 v15, 0x600, v0
	v_cmp_gt_u32_e32 vcc, s12, v15
	s_and_saveexec_b64 s[0:1], vcc
	s_cbranch_execz .LBB990_37
; %bb.36:
	v_lshlrev_b32_e32 v11, 2, v15
	global_load_dword v12, v11, s[8:9]
	global_load_dword v15, v11, s[10:11]
	s_mov_b32 s13, 0x66666667
	s_waitcnt vmcnt(1)
	v_mul_hi_i32 v11, v12, s13
	s_waitcnt vmcnt(0)
	v_mul_hi_i32 v12, v15, s13
	s_mov_b32 s13, 0
	v_lshrrev_b32_e32 v15, 31, v11
	v_ashrrev_i32_e32 v11, 2, v11
	v_lshrrev_b32_e32 v16, 31, v12
	v_ashrrev_i32_e32 v12, 2, v12
	v_add_u32_e32 v11, v11, v15
	v_add_u32_e32 v12, v12, v16
	v_cmp_ne_u32_e32 vcc, v11, v12
	v_cndmask_b32_e64 v11, 0, 1, vcc
	v_mov_b32_e32 v12, s13
.LBB990_37:
	s_or_b64 exec, exec, s[0:1]
	v_or_b32_e32 v19, 0x700, v0
	v_mov_b32_e32 v15, 0
	v_mov_b32_e32 v17, 0
	v_mov_b32_e32 v16, 0
	v_mov_b32_e32 v18, 0
	v_cmp_gt_u32_e32 vcc, s12, v19
	s_and_saveexec_b64 s[0:1], vcc
	s_cbranch_execz .LBB990_39
; %bb.38:
	v_lshlrev_b32_e32 v17, 2, v19
	global_load_dword v18, v17, s[8:9]
	global_load_dword v19, v17, s[10:11]
	s_mov_b32 s13, 0x66666667
	s_waitcnt vmcnt(1)
	v_mul_hi_i32 v17, v18, s13
	s_waitcnt vmcnt(0)
	v_mul_hi_i32 v18, v19, s13
	s_mov_b32 s13, 0
	v_lshrrev_b32_e32 v19, 31, v17
	v_ashrrev_i32_e32 v17, 2, v17
	v_lshrrev_b32_e32 v20, 31, v18
	v_ashrrev_i32_e32 v18, 2, v18
	v_add_u32_e32 v17, v17, v19
	v_add_u32_e32 v18, v18, v20
	v_cmp_ne_u32_e32 vcc, v17, v18
	v_cndmask_b32_e64 v17, 0, 1, vcc
	v_mov_b32_e32 v18, s13
.LBB990_39:
	;; [unrolled: 54-line block ×5, first 2 shown]
	s_or_b64 exec, exec, s[0:1]
	v_or_b32_e32 v31, 0xe00, v0
	v_cmp_gt_u32_e32 vcc, s12, v31
	s_and_saveexec_b64 s[0:1], vcc
	s_cbranch_execz .LBB990_53
; %bb.52:
	v_lshlrev_b32_e32 v27, 2, v31
	global_load_dword v28, v27, s[8:9]
	global_load_dword v31, v27, s[10:11]
	s_mov_b32 s13, 0x66666667
	s_waitcnt vmcnt(1)
	v_mul_hi_i32 v27, v28, s13
	s_waitcnt vmcnt(0)
	v_mul_hi_i32 v28, v31, s13
	s_mov_b32 s13, 0
	v_lshrrev_b32_e32 v31, 31, v27
	v_ashrrev_i32_e32 v27, 2, v27
	v_lshrrev_b32_e32 v32, 31, v28
	v_ashrrev_i32_e32 v28, 2, v28
	v_add_u32_e32 v27, v27, v31
	v_add_u32_e32 v28, v28, v32
	v_cmp_ne_u32_e32 vcc, v27, v28
	v_cndmask_b32_e64 v27, 0, 1, vcc
	v_mov_b32_e32 v28, s13
.LBB990_53:
	s_or_b64 exec, exec, s[0:1]
	v_or_b32_e32 v33, 0xf00, v0
	v_mov_b32_e32 v31, 0
	v_mov_b32_e32 v32, 0
	v_cmp_gt_u32_e32 vcc, s12, v33
	s_and_saveexec_b64 s[0:1], vcc
	s_cbranch_execz .LBB990_55
; %bb.54:
	v_lshlrev_b32_e32 v31, 2, v33
	global_load_dword v32, v31, s[8:9]
	global_load_dword v33, v31, s[10:11]
	s_mov_b32 s8, 0x66666667
	s_waitcnt vmcnt(1)
	v_mul_hi_i32 v31, v32, s8
	s_waitcnt vmcnt(0)
	v_mul_hi_i32 v32, v33, s8
	s_mov_b32 s8, 0
	v_lshrrev_b32_e32 v33, 31, v31
	v_ashrrev_i32_e32 v31, 2, v31
	v_lshrrev_b32_e32 v34, 31, v32
	v_ashrrev_i32_e32 v32, 2, v32
	v_add_u32_e32 v31, v31, v33
	v_add_u32_e32 v32, v32, v34
	v_cmp_ne_u32_e32 vcc, v31, v32
	v_cndmask_b32_e64 v31, 0, 1, vcc
	v_mov_b32_e32 v32, s8
.LBB990_55:
	s_or_b64 exec, exec, s[0:1]
	v_add_co_u32_e32 v1, vcc, v5, v1
	v_addc_co_u32_e32 v2, vcc, v6, v2, vcc
	v_add_co_u32_e32 v1, vcc, v1, v3
	v_addc_co_u32_e32 v2, vcc, v2, v4, vcc
	;; [unrolled: 2-line block ×14, first 2 shown]
	v_mbcnt_lo_u32_b32 v3, -1, 0
	v_add_co_u32_e32 v1, vcc, v1, v31
	v_mbcnt_hi_u32_b32 v3, -1, v3
	v_addc_co_u32_e32 v2, vcc, v2, v32, vcc
	v_and_b32_e32 v4, 63, v3
	v_cmp_ne_u32_e32 vcc, 63, v4
	v_addc_co_u32_e32 v6, vcc, 0, v3, vcc
	v_lshlrev_b32_e32 v6, 2, v6
	ds_bpermute_b32 v8, v6, v1
	ds_bpermute_b32 v7, v6, v2
	s_min_u32 s8, s12, 0x100
	v_and_b32_e32 v5, 0xc0, v0
	v_sub_u32_e64 v5, s8, v5 clamp
	v_add_u32_e32 v6, 1, v4
	v_cmp_lt_u32_e32 vcc, v6, v5
	v_mov_b32_e32 v6, v1
	s_and_saveexec_b64 s[0:1], vcc
	s_cbranch_execz .LBB990_57
; %bb.56:
	s_waitcnt lgkmcnt(1)
	v_add_co_u32_e32 v6, vcc, v1, v8
	v_addc_co_u32_e32 v2, vcc, 0, v2, vcc
	v_add_co_u32_e32 v1, vcc, 0, v6
	s_waitcnt lgkmcnt(0)
	v_addc_co_u32_e32 v2, vcc, v7, v2, vcc
.LBB990_57:
	s_or_b64 exec, exec, s[0:1]
	v_cmp_gt_u32_e32 vcc, 62, v4
	s_waitcnt lgkmcnt(0)
	v_cndmask_b32_e64 v7, 0, 2, vcc
	v_add_lshl_u32 v7, v7, v3, 2
	ds_bpermute_b32 v8, v7, v6
	ds_bpermute_b32 v7, v7, v2
	v_add_u32_e32 v9, 2, v4
	v_cmp_lt_u32_e32 vcc, v9, v5
	s_and_saveexec_b64 s[0:1], vcc
	s_cbranch_execz .LBB990_59
; %bb.58:
	s_waitcnt lgkmcnt(1)
	v_add_co_u32_e32 v6, vcc, v1, v8
	v_addc_co_u32_e32 v2, vcc, 0, v2, vcc
	v_add_co_u32_e32 v1, vcc, 0, v6
	s_waitcnt lgkmcnt(0)
	v_addc_co_u32_e32 v2, vcc, v7, v2, vcc
.LBB990_59:
	s_or_b64 exec, exec, s[0:1]
	v_cmp_gt_u32_e32 vcc, 60, v4
	s_waitcnt lgkmcnt(0)
	v_cndmask_b32_e64 v7, 0, 4, vcc
	v_add_lshl_u32 v7, v7, v3, 2
	ds_bpermute_b32 v8, v7, v6
	ds_bpermute_b32 v7, v7, v2
	v_add_u32_e32 v9, 4, v4
	v_cmp_lt_u32_e32 vcc, v9, v5
	;; [unrolled: 19-line block ×4, first 2 shown]
	s_and_saveexec_b64 s[0:1], vcc
	s_cbranch_execz .LBB990_65
; %bb.64:
	s_waitcnt lgkmcnt(1)
	v_add_co_u32_e32 v6, vcc, v1, v8
	v_addc_co_u32_e32 v2, vcc, 0, v2, vcc
	v_add_co_u32_e32 v1, vcc, 0, v6
	s_waitcnt lgkmcnt(0)
	v_addc_co_u32_e32 v2, vcc, v7, v2, vcc
.LBB990_65:
	s_or_b64 exec, exec, s[0:1]
	s_waitcnt lgkmcnt(0)
	v_lshlrev_b32_e32 v7, 2, v3
	v_or_b32_e32 v8, 0x80, v7
	ds_bpermute_b32 v6, v8, v6
	ds_bpermute_b32 v8, v8, v2
	v_add_u32_e32 v4, 32, v4
	s_waitcnt lgkmcnt(1)
	v_add_co_u32_e32 v6, vcc, v1, v6
	v_addc_co_u32_e32 v9, vcc, 0, v2, vcc
	v_add_co_u32_e32 v6, vcc, 0, v6
	s_waitcnt lgkmcnt(0)
	v_addc_co_u32_e32 v8, vcc, v9, v8, vcc
	v_cmp_lt_u32_e32 vcc, v4, v5
	v_cndmask_b32_e32 v2, v2, v8, vcc
	v_cndmask_b32_e32 v1, v1, v6, vcc
	v_cmp_eq_u32_e32 vcc, 0, v3
	s_and_saveexec_b64 s[0:1], vcc
; %bb.66:
	v_lshrrev_b32_e32 v4, 3, v0
	v_and_b32_e32 v4, 24, v4
	ds_write_b64 v4, v[1:2] offset:160
; %bb.67:
	s_or_b64 exec, exec, s[0:1]
	v_cmp_gt_u32_e32 vcc, 4, v0
	s_waitcnt lgkmcnt(0)
	s_barrier
	s_and_saveexec_b64 s[0:1], vcc
	s_cbranch_execz .LBB990_71
; %bb.68:
	v_lshlrev_b32_e32 v1, 3, v3
	ds_read_b64 v[1:2], v1 offset:160
	v_and_b32_e32 v4, 3, v3
	v_cmp_ne_u32_e32 vcc, 3, v4
	v_addc_co_u32_e32 v3, vcc, 0, v3, vcc
	v_lshlrev_b32_e32 v3, 2, v3
	s_waitcnt lgkmcnt(0)
	ds_bpermute_b32 v6, v3, v1
	ds_bpermute_b32 v5, v3, v2
	s_add_i32 s8, s8, 63
	s_lshr_b32 s10, s8, 6
	v_add_u32_e32 v3, 1, v4
	v_cmp_gt_u32_e32 vcc, s10, v3
	v_mov_b32_e32 v3, v1
	s_and_saveexec_b64 s[8:9], vcc
	s_cbranch_execz .LBB990_70
; %bb.69:
	s_waitcnt lgkmcnt(1)
	v_add_co_u32_e32 v3, vcc, v1, v6
	v_addc_co_u32_e32 v2, vcc, 0, v2, vcc
	v_add_co_u32_e32 v1, vcc, 0, v3
	s_waitcnt lgkmcnt(0)
	v_addc_co_u32_e32 v2, vcc, v5, v2, vcc
.LBB990_70:
	s_or_b64 exec, exec, s[8:9]
	s_waitcnt lgkmcnt(0)
	v_or_b32_e32 v5, 8, v7
	ds_bpermute_b32 v3, v5, v3
	ds_bpermute_b32 v5, v5, v2
	v_add_u32_e32 v4, 2, v4
	s_waitcnt lgkmcnt(1)
	v_add_co_u32_e32 v3, vcc, v1, v3
	v_addc_co_u32_e32 v6, vcc, 0, v2, vcc
	v_add_co_u32_e32 v3, vcc, 0, v3
	s_waitcnt lgkmcnt(0)
	v_addc_co_u32_e32 v5, vcc, v6, v5, vcc
	v_cmp_gt_u32_e32 vcc, s10, v4
	v_cndmask_b32_e32 v2, v2, v5, vcc
	v_cndmask_b32_e32 v1, v1, v3, vcc
.LBB990_71:
	s_or_b64 exec, exec, s[0:1]
.LBB990_72:
	v_mov_b32_e32 v3, s6
	v_cmp_eq_u32_e64 s[0:1], 0, v0
	v_mov_b32_e32 v4, s7
	s_and_b64 vcc, exec, s[2:3]
	s_cbranch_vccnz .LBB990_14
	s_branch .LBB990_109
.LBB990_73:
	s_mov_b64 s[2:3], -1
                                        ; implicit-def: $vgpr1_vgpr2
.LBB990_74:
	s_and_b64 vcc, exec, s[2:3]
	s_cbranch_vccz .LBB990_108
; %bb.75:
	s_sub_i32 s31, s20, s0
	v_mov_b32_e32 v1, 0
	v_cmp_gt_u32_e32 vcc, s31, v0
	v_mov_b32_e32 v2, v1
	v_mov_b32_e32 v3, v1
	;; [unrolled: 1-line block ×15, first 2 shown]
	s_and_saveexec_b64 s[0:1], vcc
	s_cbranch_execz .LBB990_77
; %bb.76:
	v_mov_b32_e32 v2, v1
	v_mov_b32_e32 v3, v1
	;; [unrolled: 1-line block ×15, first 2 shown]
	v_lshlrev_b32_e32 v1, 2, v0
	global_load_dword v17, v1, s[16:17]
	global_load_dword v18, v1, s[18:19]
	s_mov_b32 s2, 0x66666667
	s_waitcnt vmcnt(1)
	v_mul_hi_i32 v1, v17, s2
	s_waitcnt vmcnt(0)
	v_mul_hi_i32 v17, v18, s2
	v_lshrrev_b32_e32 v18, 31, v1
	v_ashrrev_i32_e32 v1, 2, v1
	v_lshrrev_b32_e32 v19, 31, v17
	v_ashrrev_i32_e32 v17, 2, v17
	v_add_u32_e32 v1, v1, v18
	v_add_u32_e32 v17, v17, v19
	v_cmp_ne_u32_e32 vcc, v1, v17
	v_cndmask_b32_e64 v1, 0, 1, vcc
	v_and_b32_e32 v1, 0xffff, v1
.LBB990_77:
	s_or_b64 exec, exec, s[0:1]
	v_or_b32_e32 v17, 0x100, v0
	v_cmp_gt_u32_e32 vcc, s31, v17
	s_and_saveexec_b64 s[2:3], vcc
	s_cbranch_execz .LBB990_79
; %bb.78:
	v_lshlrev_b32_e32 v3, 2, v0
	global_load_dword v4, v3, s[16:17] offset:1024
	global_load_dword v17, v3, s[18:19] offset:1024
	s_mov_b32 s0, 0x66666667
	s_mov_b32 s8, 0
	s_waitcnt vmcnt(1)
	v_mul_hi_i32 v3, v4, s0
	s_waitcnt vmcnt(0)
	v_mul_hi_i32 v4, v17, s0
	v_lshrrev_b32_e32 v17, 31, v3
	v_ashrrev_i32_e32 v3, 2, v3
	v_lshrrev_b32_e32 v18, 31, v4
	v_ashrrev_i32_e32 v4, 2, v4
	v_add_u32_e32 v3, v3, v17
	v_add_u32_e32 v4, v4, v18
	v_cmp_ne_u32_e64 s[0:1], v3, v4
	v_cndmask_b32_e64 v3, 0, 1, s[0:1]
	v_mov_b32_e32 v4, s8
.LBB990_79:
	s_or_b64 exec, exec, s[2:3]
	v_or_b32_e32 v17, 0x200, v0
	v_cmp_gt_u32_e64 s[0:1], s31, v17
	s_and_saveexec_b64 s[8:9], s[0:1]
	s_cbranch_execz .LBB990_81
; %bb.80:
	v_lshlrev_b32_e32 v5, 2, v0
	global_load_dword v6, v5, s[16:17] offset:2048
	global_load_dword v17, v5, s[18:19] offset:2048
	s_mov_b32 s2, 0x66666667
	s_mov_b32 s10, 0
	s_waitcnt vmcnt(1)
	v_mul_hi_i32 v5, v6, s2
	s_waitcnt vmcnt(0)
	v_mul_hi_i32 v6, v17, s2
	v_lshrrev_b32_e32 v17, 31, v5
	v_ashrrev_i32_e32 v5, 2, v5
	v_lshrrev_b32_e32 v18, 31, v6
	v_ashrrev_i32_e32 v6, 2, v6
	v_add_u32_e32 v5, v5, v17
	v_add_u32_e32 v6, v6, v18
	v_cmp_ne_u32_e64 s[2:3], v5, v6
	v_cndmask_b32_e64 v5, 0, 1, s[2:3]
	v_mov_b32_e32 v6, s10
.LBB990_81:
	s_or_b64 exec, exec, s[8:9]
	v_or_b32_e32 v17, 0x300, v0
	v_cmp_gt_u32_e64 s[2:3], s31, v17
	s_and_saveexec_b64 s[10:11], s[2:3]
	;; [unrolled: 25-line block ×3, first 2 shown]
	s_cbranch_execz .LBB990_85
; %bb.84:
	v_lshlrev_b32_e32 v9, 2, v17
	global_load_dword v10, v9, s[16:17]
	global_load_dword v17, v9, s[18:19]
	s_mov_b32 s10, 0x66666667
	s_mov_b32 s14, 0
	s_waitcnt vmcnt(1)
	v_mul_hi_i32 v9, v10, s10
	s_waitcnt vmcnt(0)
	v_mul_hi_i32 v10, v17, s10
	v_lshrrev_b32_e32 v17, 31, v9
	v_ashrrev_i32_e32 v9, 2, v9
	v_lshrrev_b32_e32 v18, 31, v10
	v_ashrrev_i32_e32 v10, 2, v10
	v_add_u32_e32 v9, v9, v17
	v_add_u32_e32 v10, v10, v18
	v_cmp_ne_u32_e64 s[10:11], v9, v10
	v_cndmask_b32_e64 v9, 0, 1, s[10:11]
	v_mov_b32_e32 v10, s14
.LBB990_85:
	s_or_b64 exec, exec, s[12:13]
	v_or_b32_e32 v17, 0x500, v0
	v_cmp_gt_u32_e64 s[10:11], s31, v17
	s_and_saveexec_b64 s[14:15], s[10:11]
	s_cbranch_execz .LBB990_87
; %bb.86:
	v_lshlrev_b32_e32 v11, 2, v17
	global_load_dword v12, v11, s[16:17]
	global_load_dword v17, v11, s[18:19]
	s_mov_b32 s12, 0x66666667
	s_mov_b32 s28, 0
	s_waitcnt vmcnt(1)
	v_mul_hi_i32 v11, v12, s12
	s_waitcnt vmcnt(0)
	v_mul_hi_i32 v12, v17, s12
	v_lshrrev_b32_e32 v17, 31, v11
	v_ashrrev_i32_e32 v11, 2, v11
	v_lshrrev_b32_e32 v18, 31, v12
	v_ashrrev_i32_e32 v12, 2, v12
	v_add_u32_e32 v11, v11, v17
	v_add_u32_e32 v12, v12, v18
	v_cmp_ne_u32_e64 s[12:13], v11, v12
	v_cndmask_b32_e64 v11, 0, 1, s[12:13]
	v_mov_b32_e32 v12, s28
.LBB990_87:
	s_or_b64 exec, exec, s[14:15]
	v_or_b32_e32 v17, 0x600, v0
	v_cmp_gt_u32_e64 s[12:13], s31, v17
	s_and_saveexec_b64 s[28:29], s[12:13]
	;; [unrolled: 25-line block ×3, first 2 shown]
	s_cbranch_execz .LBB990_91
; %bb.90:
	v_lshlrev_b32_e32 v15, 2, v17
	global_load_dword v16, v15, s[16:17]
	global_load_dword v17, v15, s[18:19]
	s_mov_b32 s16, 0x66666667
	s_mov_b32 s18, 0
	s_waitcnt vmcnt(1)
	v_mul_hi_i32 v15, v16, s16
	s_waitcnt vmcnt(0)
	v_mul_hi_i32 v16, v17, s16
	v_lshrrev_b32_e32 v17, 31, v15
	v_ashrrev_i32_e32 v15, 2, v15
	v_lshrrev_b32_e32 v18, 31, v16
	v_ashrrev_i32_e32 v16, 2, v16
	v_add_u32_e32 v15, v15, v17
	v_add_u32_e32 v16, v16, v18
	v_cmp_ne_u32_e64 s[16:17], v15, v16
	v_cndmask_b32_e64 v15, 0, 1, s[16:17]
	v_mov_b32_e32 v16, s18
.LBB990_91:
	s_or_b64 exec, exec, s[28:29]
	v_cndmask_b32_e32 v3, 0, v3, vcc
	v_cndmask_b32_e32 v4, 0, v4, vcc
	v_add_co_u32_e32 v1, vcc, v3, v1
	v_addc_co_u32_e32 v2, vcc, v4, v2, vcc
	v_cndmask_b32_e64 v4, 0, v5, s[0:1]
	v_cndmask_b32_e64 v3, 0, v6, s[0:1]
	v_add_co_u32_e32 v1, vcc, v1, v4
	v_addc_co_u32_e32 v2, vcc, v2, v3, vcc
	v_cndmask_b32_e64 v4, 0, v7, s[2:3]
	v_cndmask_b32_e64 v3, 0, v8, s[2:3]
	;; [unrolled: 4-line block ×6, first 2 shown]
	v_add_co_u32_e32 v1, vcc, v1, v4
	v_addc_co_u32_e32 v2, vcc, v2, v3, vcc
	v_mbcnt_lo_u32_b32 v3, -1, 0
	v_mbcnt_hi_u32_b32 v3, -1, v3
	v_and_b32_e32 v4, 63, v3
	v_cmp_ne_u32_e32 vcc, 63, v4
	v_addc_co_u32_e32 v6, vcc, 0, v3, vcc
	v_lshlrev_b32_e32 v6, 2, v6
	ds_bpermute_b32 v8, v6, v1
	ds_bpermute_b32 v7, v6, v2
	s_min_u32 s2, s31, 0x100
	v_and_b32_e32 v5, 0xc0, v0
	v_sub_u32_e64 v5, s2, v5 clamp
	v_add_u32_e32 v6, 1, v4
	v_cmp_lt_u32_e32 vcc, v6, v5
	v_mov_b32_e32 v6, v1
	s_and_saveexec_b64 s[0:1], vcc
	s_cbranch_execz .LBB990_93
; %bb.92:
	s_waitcnt lgkmcnt(1)
	v_add_co_u32_e32 v6, vcc, v1, v8
	v_addc_co_u32_e32 v2, vcc, 0, v2, vcc
	v_add_co_u32_e32 v1, vcc, 0, v6
	s_waitcnt lgkmcnt(0)
	v_addc_co_u32_e32 v2, vcc, v2, v7, vcc
.LBB990_93:
	s_or_b64 exec, exec, s[0:1]
	v_cmp_gt_u32_e32 vcc, 62, v4
	s_waitcnt lgkmcnt(0)
	v_cndmask_b32_e64 v7, 0, 2, vcc
	v_add_lshl_u32 v7, v7, v3, 2
	ds_bpermute_b32 v8, v7, v6
	ds_bpermute_b32 v7, v7, v2
	v_add_u32_e32 v9, 2, v4
	v_cmp_lt_u32_e32 vcc, v9, v5
	s_and_saveexec_b64 s[0:1], vcc
	s_cbranch_execz .LBB990_95
; %bb.94:
	s_waitcnt lgkmcnt(1)
	v_add_co_u32_e32 v6, vcc, v1, v8
	v_addc_co_u32_e32 v2, vcc, 0, v2, vcc
	v_add_co_u32_e32 v1, vcc, 0, v6
	s_waitcnt lgkmcnt(0)
	v_addc_co_u32_e32 v2, vcc, v7, v2, vcc
.LBB990_95:
	s_or_b64 exec, exec, s[0:1]
	v_cmp_gt_u32_e32 vcc, 60, v4
	s_waitcnt lgkmcnt(0)
	v_cndmask_b32_e64 v7, 0, 4, vcc
	v_add_lshl_u32 v7, v7, v3, 2
	ds_bpermute_b32 v8, v7, v6
	ds_bpermute_b32 v7, v7, v2
	v_add_u32_e32 v9, 4, v4
	v_cmp_lt_u32_e32 vcc, v9, v5
	;; [unrolled: 19-line block ×4, first 2 shown]
	s_and_saveexec_b64 s[0:1], vcc
	s_cbranch_execz .LBB990_101
; %bb.100:
	s_waitcnt lgkmcnt(1)
	v_add_co_u32_e32 v6, vcc, v1, v8
	v_addc_co_u32_e32 v2, vcc, 0, v2, vcc
	v_add_co_u32_e32 v1, vcc, 0, v6
	s_waitcnt lgkmcnt(0)
	v_addc_co_u32_e32 v2, vcc, v7, v2, vcc
.LBB990_101:
	s_or_b64 exec, exec, s[0:1]
	s_waitcnt lgkmcnt(0)
	v_lshlrev_b32_e32 v7, 2, v3
	v_or_b32_e32 v8, 0x80, v7
	ds_bpermute_b32 v6, v8, v6
	ds_bpermute_b32 v8, v8, v2
	v_add_u32_e32 v4, 32, v4
	s_waitcnt lgkmcnt(1)
	v_add_co_u32_e32 v6, vcc, v1, v6
	v_addc_co_u32_e32 v9, vcc, 0, v2, vcc
	v_add_co_u32_e32 v6, vcc, 0, v6
	s_waitcnt lgkmcnt(0)
	v_addc_co_u32_e32 v8, vcc, v9, v8, vcc
	v_cmp_lt_u32_e32 vcc, v4, v5
	v_cndmask_b32_e32 v2, v2, v8, vcc
	v_cndmask_b32_e32 v1, v1, v6, vcc
	v_cmp_eq_u32_e32 vcc, 0, v3
	s_and_saveexec_b64 s[0:1], vcc
; %bb.102:
	v_lshrrev_b32_e32 v4, 3, v0
	v_and_b32_e32 v4, 24, v4
	ds_write_b64 v4, v[1:2] offset:160
; %bb.103:
	s_or_b64 exec, exec, s[0:1]
	v_cmp_gt_u32_e32 vcc, 4, v0
	s_waitcnt lgkmcnt(0)
	s_barrier
	s_and_saveexec_b64 s[0:1], vcc
	s_cbranch_execz .LBB990_107
; %bb.104:
	v_lshlrev_b32_e32 v1, 3, v3
	ds_read_b64 v[1:2], v1 offset:160
	v_and_b32_e32 v4, 3, v3
	v_cmp_ne_u32_e32 vcc, 3, v4
	v_addc_co_u32_e32 v3, vcc, 0, v3, vcc
	v_lshlrev_b32_e32 v3, 2, v3
	s_waitcnt lgkmcnt(0)
	ds_bpermute_b32 v6, v3, v1
	ds_bpermute_b32 v5, v3, v2
	s_add_i32 s2, s2, 63
	s_lshr_b32 s8, s2, 6
	v_add_u32_e32 v3, 1, v4
	v_cmp_gt_u32_e32 vcc, s8, v3
	v_mov_b32_e32 v3, v1
	s_and_saveexec_b64 s[2:3], vcc
	s_cbranch_execz .LBB990_106
; %bb.105:
	s_waitcnt lgkmcnt(1)
	v_add_co_u32_e32 v3, vcc, v1, v6
	v_addc_co_u32_e32 v2, vcc, 0, v2, vcc
	v_add_co_u32_e32 v1, vcc, 0, v3
	s_waitcnt lgkmcnt(0)
	v_addc_co_u32_e32 v2, vcc, v5, v2, vcc
.LBB990_106:
	s_or_b64 exec, exec, s[2:3]
	s_waitcnt lgkmcnt(0)
	v_or_b32_e32 v5, 8, v7
	ds_bpermute_b32 v3, v5, v3
	ds_bpermute_b32 v5, v5, v2
	v_add_u32_e32 v4, 2, v4
	s_waitcnt lgkmcnt(1)
	v_add_co_u32_e32 v3, vcc, v1, v3
	v_addc_co_u32_e32 v6, vcc, 0, v2, vcc
	v_add_co_u32_e32 v3, vcc, 0, v3
	s_waitcnt lgkmcnt(0)
	v_addc_co_u32_e32 v5, vcc, v6, v5, vcc
	v_cmp_gt_u32_e32 vcc, s8, v4
	v_cndmask_b32_e32 v2, v2, v5, vcc
	v_cndmask_b32_e32 v1, v1, v3, vcc
.LBB990_107:
	s_or_b64 exec, exec, s[0:1]
.LBB990_108:
	v_mov_b32_e32 v3, s6
	v_cmp_eq_u32_e64 s[0:1], 0, v0
	v_mov_b32_e32 v4, s7
.LBB990_109:
	s_branch .LBB990_144
.LBB990_110:
	s_cmp_eq_u32 s30, 4
                                        ; implicit-def: $vgpr1_vgpr2
                                        ; implicit-def: $vgpr3_vgpr4
	s_cbranch_scc0 .LBB990_144
; %bb.111:
	s_mov_b32 s7, 0
	s_lshl_b32 s0, s6, 10
	s_mov_b32 s1, s7
	s_lshr_b64 s[2:3], s[20:21], 10
	s_lshl_b64 s[10:11], s[0:1], 2
	s_add_u32 s8, s24, s10
	s_addc_u32 s9, s25, s11
	s_add_u32 s10, s26, s10
	s_addc_u32 s11, s27, s11
	s_cmp_lg_u64 s[2:3], s[6:7]
	s_cbranch_scc0 .LBB990_117
; %bb.112:
	v_lshlrev_b32_e32 v1, 2, v0
	global_load_dword v2, v1, s[8:9]
	global_load_dword v4, v1, s[10:11]
	global_load_dword v5, v1, s[8:9] offset:1024
	global_load_dword v6, v1, s[10:11] offset:1024
	;; [unrolled: 1-line block ×6, first 2 shown]
	s_mov_b32 s1, 0x66666667
	v_mov_b32_e32 v1, 0
	v_mbcnt_lo_u32_b32 v3, -1, 0
	v_mbcnt_hi_u32_b32 v3, -1, v3
	v_mov_b32_dpp v1, v1 quad_perm:[1,0,3,2] row_mask:0xf bank_mask:0xf bound_ctrl:1
	s_waitcnt vmcnt(7)
	v_mul_hi_i32 v2, v2, s1
	s_waitcnt vmcnt(6)
	v_mul_hi_i32 v4, v4, s1
	;; [unrolled: 2-line block ×8, first 2 shown]
	v_lshrrev_b32_e32 v13, 31, v5
	v_ashrrev_i32_e32 v5, 2, v5
	v_lshrrev_b32_e32 v18, 31, v9
	v_lshrrev_b32_e32 v17, 31, v10
	v_ashrrev_i32_e32 v10, 2, v10
	v_ashrrev_i32_e32 v9, 2, v9
	v_lshrrev_b32_e32 v14, 31, v6
	v_ashrrev_i32_e32 v6, 2, v6
	v_add_u32_e32 v10, v10, v17
	v_add_u32_e32 v9, v9, v18
	v_lshrrev_b32_e32 v11, 31, v2
	v_ashrrev_i32_e32 v2, 2, v2
	v_lshrrev_b32_e32 v12, 31, v4
	v_ashrrev_i32_e32 v4, 2, v4
	v_add_u32_e32 v5, v5, v13
	v_add_u32_e32 v6, v6, v14
	v_cmp_ne_u32_e32 vcc, v10, v9
	v_lshrrev_b32_e32 v15, 31, v7
	v_ashrrev_i32_e32 v7, 2, v7
	v_lshrrev_b32_e32 v16, 31, v8
	v_ashrrev_i32_e32 v8, 2, v8
	v_add_u32_e32 v2, v2, v11
	v_add_u32_e32 v4, v4, v12
	v_cndmask_b32_e64 v9, 0, 1, vcc
	v_cmp_ne_u32_e32 vcc, v5, v6
	v_add_u32_e32 v7, v7, v15
	v_add_u32_e32 v8, v8, v16
	v_cndmask_b32_e64 v5, 0, 1, vcc
	v_cmp_ne_u32_e32 vcc, v2, v4
	v_cndmask_b32_e64 v2, 0, 1, vcc
	v_cmp_ne_u32_e32 vcc, v7, v8
	v_addc_co_u32_e32 v2, vcc, v5, v2, vcc
	v_add_co_u32_e32 v2, vcc, v2, v9
	v_addc_co_u32_e64 v4, s[2:3], 0, 0, vcc
	s_nop 0
	v_mov_b32_dpp v5, v2 quad_perm:[1,0,3,2] row_mask:0xf bank_mask:0xf bound_ctrl:1
	v_add_co_u32_e32 v2, vcc, v2, v5
	v_addc_co_u32_e32 v4, vcc, 0, v4, vcc
	v_add_co_u32_e32 v5, vcc, 0, v2
	v_addc_co_u32_e32 v1, vcc, v1, v4, vcc
	v_mov_b32_dpp v2, v2 quad_perm:[2,3,0,1] row_mask:0xf bank_mask:0xf bound_ctrl:1
	v_add_co_u32_e32 v2, vcc, v5, v2
	v_mov_b32_dpp v4, v1 quad_perm:[2,3,0,1] row_mask:0xf bank_mask:0xf bound_ctrl:1
	v_addc_co_u32_e32 v1, vcc, 0, v1, vcc
	v_add_co_u32_e32 v5, vcc, 0, v2
	v_addc_co_u32_e32 v1, vcc, v1, v4, vcc
	v_mov_b32_dpp v2, v2 row_ror:4 row_mask:0xf bank_mask:0xf bound_ctrl:1
	v_add_co_u32_e32 v2, vcc, v5, v2
	v_mov_b32_dpp v4, v1 row_ror:4 row_mask:0xf bank_mask:0xf bound_ctrl:1
	v_addc_co_u32_e32 v1, vcc, 0, v1, vcc
	v_add_co_u32_e32 v5, vcc, 0, v2
	v_addc_co_u32_e32 v1, vcc, v1, v4, vcc
	v_mov_b32_dpp v2, v2 row_ror:8 row_mask:0xf bank_mask:0xf bound_ctrl:1
	v_add_co_u32_e32 v2, vcc, v5, v2
	v_mov_b32_dpp v4, v1 row_ror:8 row_mask:0xf bank_mask:0xf bound_ctrl:1
	v_addc_co_u32_e32 v1, vcc, 0, v1, vcc
	v_add_co_u32_e32 v5, vcc, 0, v2
	v_addc_co_u32_e32 v1, vcc, v1, v4, vcc
	v_mov_b32_dpp v2, v2 row_bcast:15 row_mask:0xf bank_mask:0xf bound_ctrl:1
	v_add_co_u32_e32 v2, vcc, v5, v2
	v_mov_b32_dpp v4, v1 row_bcast:15 row_mask:0xf bank_mask:0xf bound_ctrl:1
	v_addc_co_u32_e32 v1, vcc, 0, v1, vcc
	v_add_co_u32_e32 v5, vcc, 0, v2
	v_addc_co_u32_e32 v1, vcc, v1, v4, vcc
	v_mov_b32_dpp v2, v2 row_bcast:31 row_mask:0xf bank_mask:0xf bound_ctrl:1
	v_add_co_u32_e32 v2, vcc, v5, v2
	v_addc_co_u32_e32 v4, vcc, 0, v1, vcc
	v_cmp_eq_u32_e32 vcc, 0, v3
	s_nop 0
	v_add_u32_dpp v5, v1, v4 row_bcast:31 row_mask:0xf bank_mask:0xf bound_ctrl:1
	v_lshlrev_b32_e32 v4, 2, v3
	v_or_b32_e32 v6, 0xfc, v4
	ds_bpermute_b32 v1, v6, v2
	ds_bpermute_b32 v2, v6, v5
	s_and_saveexec_b64 s[2:3], vcc
	s_cbranch_execz .LBB990_114
; %bb.113:
	v_lshrrev_b32_e32 v5, 3, v0
	v_and_b32_e32 v5, 24, v5
	s_waitcnt lgkmcnt(0)
	ds_write_b64 v5, v[1:2] offset:96
.LBB990_114:
	s_or_b64 exec, exec, s[2:3]
	v_cmp_gt_u32_e32 vcc, 64, v0
	s_waitcnt lgkmcnt(0)
	s_barrier
	s_and_saveexec_b64 s[2:3], vcc
	s_cbranch_execz .LBB990_116
; %bb.115:
	v_and_b32_e32 v5, 3, v3
	v_lshlrev_b32_e32 v1, 3, v5
	ds_read_b64 v[1:2], v1 offset:96
	v_cmp_ne_u32_e32 vcc, 3, v5
	v_addc_co_u32_e32 v3, vcc, 0, v3, vcc
	v_lshlrev_b32_e32 v3, 2, v3
	s_waitcnt lgkmcnt(0)
	ds_bpermute_b32 v5, v3, v1
	ds_bpermute_b32 v3, v3, v2
	v_or_b32_e32 v4, 8, v4
	s_waitcnt lgkmcnt(1)
	v_add_co_u32_e32 v1, vcc, v1, v5
	v_addc_co_u32_e32 v2, vcc, 0, v2, vcc
	ds_bpermute_b32 v5, v4, v1
	v_add_co_u32_e32 v1, vcc, 0, v1
	s_waitcnt lgkmcnt(1)
	v_addc_co_u32_e32 v2, vcc, v3, v2, vcc
	ds_bpermute_b32 v3, v4, v2
	s_waitcnt lgkmcnt(1)
	v_add_co_u32_e32 v1, vcc, v1, v5
	v_addc_co_u32_e32 v2, vcc, 0, v2, vcc
	v_add_co_u32_e32 v1, vcc, 0, v1
	s_waitcnt lgkmcnt(0)
	v_addc_co_u32_e32 v2, vcc, v2, v3, vcc
.LBB990_116:
	s_or_b64 exec, exec, s[2:3]
	s_branch .LBB990_143
.LBB990_117:
                                        ; implicit-def: $vgpr1_vgpr2
	s_cbranch_execz .LBB990_143
; %bb.118:
	s_sub_i32 s14, s20, s0
	v_mov_b32_e32 v1, 0
	v_cmp_gt_u32_e32 vcc, s14, v0
	v_mov_b32_e32 v2, v1
	v_mov_b32_e32 v3, v1
	;; [unrolled: 1-line block ×7, first 2 shown]
	s_and_saveexec_b64 s[0:1], vcc
	s_cbranch_execz .LBB990_120
; %bb.119:
	v_lshlrev_b32_e32 v2, 2, v0
	global_load_dword v7, v2, s[8:9]
	global_load_dword v8, v2, s[10:11]
	s_mov_b32 s2, 0x66666667
	v_mov_b32_e32 v3, v1
	v_mov_b32_e32 v4, v1
	;; [unrolled: 1-line block ×4, first 2 shown]
	s_waitcnt vmcnt(1)
	v_mul_hi_i32 v2, v7, s2
	s_waitcnt vmcnt(0)
	v_mul_hi_i32 v9, v8, s2
	v_mov_b32_e32 v7, v1
	v_mov_b32_e32 v8, v1
	v_lshrrev_b32_e32 v10, 31, v2
	v_ashrrev_i32_e32 v2, 2, v2
	v_lshrrev_b32_e32 v11, 31, v9
	v_ashrrev_i32_e32 v9, 2, v9
	v_add_u32_e32 v2, v2, v10
	v_add_u32_e32 v9, v9, v11
	v_cmp_ne_u32_e32 vcc, v2, v9
	v_cndmask_b32_e64 v2, 0, 1, vcc
	v_and_b32_e32 v2, 0xffff, v2
	v_mov_b32_e32 v9, v1
	v_mov_b32_e32 v1, v2
	;; [unrolled: 1-line block ×9, first 2 shown]
.LBB990_120:
	s_or_b64 exec, exec, s[0:1]
	v_or_b32_e32 v9, 0x100, v0
	v_cmp_gt_u32_e32 vcc, s14, v9
	s_and_saveexec_b64 s[2:3], vcc
	s_cbranch_execz .LBB990_122
; %bb.121:
	v_lshlrev_b32_e32 v3, 2, v0
	global_load_dword v4, v3, s[8:9] offset:1024
	global_load_dword v9, v3, s[10:11] offset:1024
	s_mov_b32 s0, 0x66666667
	s_mov_b32 s12, 0
	s_waitcnt vmcnt(1)
	v_mul_hi_i32 v3, v4, s0
	s_waitcnt vmcnt(0)
	v_mul_hi_i32 v4, v9, s0
	v_lshrrev_b32_e32 v9, 31, v3
	v_ashrrev_i32_e32 v3, 2, v3
	v_lshrrev_b32_e32 v10, 31, v4
	v_ashrrev_i32_e32 v4, 2, v4
	v_add_u32_e32 v3, v3, v9
	v_add_u32_e32 v4, v4, v10
	v_cmp_ne_u32_e64 s[0:1], v3, v4
	v_cndmask_b32_e64 v3, 0, 1, s[0:1]
	v_mov_b32_e32 v4, s12
.LBB990_122:
	s_or_b64 exec, exec, s[2:3]
	v_or_b32_e32 v9, 0x200, v0
	v_cmp_gt_u32_e64 s[0:1], s14, v9
	s_and_saveexec_b64 s[12:13], s[0:1]
	s_cbranch_execz .LBB990_124
; %bb.123:
	v_lshlrev_b32_e32 v5, 2, v0
	global_load_dword v6, v5, s[8:9] offset:2048
	global_load_dword v9, v5, s[10:11] offset:2048
	s_mov_b32 s2, 0x66666667
	s_mov_b32 s15, 0
	s_waitcnt vmcnt(1)
	v_mul_hi_i32 v5, v6, s2
	s_waitcnt vmcnt(0)
	v_mul_hi_i32 v6, v9, s2
	v_lshrrev_b32_e32 v9, 31, v5
	v_ashrrev_i32_e32 v5, 2, v5
	v_lshrrev_b32_e32 v10, 31, v6
	v_ashrrev_i32_e32 v6, 2, v6
	v_add_u32_e32 v5, v5, v9
	v_add_u32_e32 v6, v6, v10
	v_cmp_ne_u32_e64 s[2:3], v5, v6
	v_cndmask_b32_e64 v5, 0, 1, s[2:3]
	v_mov_b32_e32 v6, s15
.LBB990_124:
	s_or_b64 exec, exec, s[12:13]
	v_or_b32_e32 v9, 0x300, v0
	v_cmp_gt_u32_e64 s[2:3], s14, v9
	s_and_saveexec_b64 s[12:13], s[2:3]
	s_cbranch_execz .LBB990_126
; %bb.125:
	v_lshlrev_b32_e32 v7, 2, v0
	global_load_dword v8, v7, s[8:9] offset:3072
	global_load_dword v9, v7, s[10:11] offset:3072
	s_mov_b32 s8, 0x66666667
	s_mov_b32 s10, 0
	s_waitcnt vmcnt(1)
	v_mul_hi_i32 v7, v8, s8
	s_waitcnt vmcnt(0)
	v_mul_hi_i32 v8, v9, s8
	v_lshrrev_b32_e32 v9, 31, v7
	v_ashrrev_i32_e32 v7, 2, v7
	v_lshrrev_b32_e32 v10, 31, v8
	v_ashrrev_i32_e32 v8, 2, v8
	v_add_u32_e32 v7, v7, v9
	v_add_u32_e32 v8, v8, v10
	v_cmp_ne_u32_e64 s[8:9], v7, v8
	v_cndmask_b32_e64 v7, 0, 1, s[8:9]
	v_mov_b32_e32 v8, s10
.LBB990_126:
	s_or_b64 exec, exec, s[12:13]
	v_cndmask_b32_e32 v3, 0, v3, vcc
	v_cndmask_b32_e32 v4, 0, v4, vcc
	v_add_co_u32_e32 v1, vcc, v3, v1
	v_addc_co_u32_e32 v2, vcc, v4, v2, vcc
	v_cndmask_b32_e64 v4, 0, v5, s[0:1]
	v_cndmask_b32_e64 v3, 0, v6, s[0:1]
	v_add_co_u32_e32 v1, vcc, v1, v4
	v_addc_co_u32_e32 v2, vcc, v2, v3, vcc
	v_cndmask_b32_e64 v4, 0, v7, s[2:3]
	v_cndmask_b32_e64 v3, 0, v8, s[2:3]
	v_add_co_u32_e32 v1, vcc, v1, v4
	v_addc_co_u32_e32 v2, vcc, v2, v3, vcc
	v_mbcnt_lo_u32_b32 v3, -1, 0
	v_mbcnt_hi_u32_b32 v3, -1, v3
	v_and_b32_e32 v4, 63, v3
	v_cmp_ne_u32_e32 vcc, 63, v4
	v_addc_co_u32_e32 v6, vcc, 0, v3, vcc
	v_lshlrev_b32_e32 v6, 2, v6
	ds_bpermute_b32 v8, v6, v1
	ds_bpermute_b32 v7, v6, v2
	s_min_u32 s2, s14, 0x100
	v_and_b32_e32 v5, 0xc0, v0
	v_sub_u32_e64 v5, s2, v5 clamp
	v_add_u32_e32 v6, 1, v4
	v_cmp_lt_u32_e32 vcc, v6, v5
	v_mov_b32_e32 v6, v1
	s_and_saveexec_b64 s[0:1], vcc
	s_cbranch_execz .LBB990_128
; %bb.127:
	s_waitcnt lgkmcnt(1)
	v_add_co_u32_e32 v6, vcc, v1, v8
	v_addc_co_u32_e32 v2, vcc, 0, v2, vcc
	v_add_co_u32_e32 v1, vcc, 0, v6
	s_waitcnt lgkmcnt(0)
	v_addc_co_u32_e32 v2, vcc, v7, v2, vcc
.LBB990_128:
	s_or_b64 exec, exec, s[0:1]
	v_cmp_gt_u32_e32 vcc, 62, v4
	s_waitcnt lgkmcnt(0)
	v_cndmask_b32_e64 v7, 0, 2, vcc
	v_add_lshl_u32 v7, v7, v3, 2
	ds_bpermute_b32 v8, v7, v6
	ds_bpermute_b32 v7, v7, v2
	v_add_u32_e32 v9, 2, v4
	v_cmp_lt_u32_e32 vcc, v9, v5
	s_and_saveexec_b64 s[0:1], vcc
	s_cbranch_execz .LBB990_130
; %bb.129:
	s_waitcnt lgkmcnt(1)
	v_add_co_u32_e32 v6, vcc, v1, v8
	v_addc_co_u32_e32 v2, vcc, 0, v2, vcc
	v_add_co_u32_e32 v1, vcc, 0, v6
	s_waitcnt lgkmcnt(0)
	v_addc_co_u32_e32 v2, vcc, v7, v2, vcc
.LBB990_130:
	s_or_b64 exec, exec, s[0:1]
	v_cmp_gt_u32_e32 vcc, 60, v4
	s_waitcnt lgkmcnt(0)
	v_cndmask_b32_e64 v7, 0, 4, vcc
	v_add_lshl_u32 v7, v7, v3, 2
	ds_bpermute_b32 v8, v7, v6
	ds_bpermute_b32 v7, v7, v2
	v_add_u32_e32 v9, 4, v4
	v_cmp_lt_u32_e32 vcc, v9, v5
	;; [unrolled: 19-line block ×4, first 2 shown]
	s_and_saveexec_b64 s[0:1], vcc
	s_cbranch_execz .LBB990_136
; %bb.135:
	s_waitcnt lgkmcnt(1)
	v_add_co_u32_e32 v6, vcc, v1, v8
	v_addc_co_u32_e32 v2, vcc, 0, v2, vcc
	v_add_co_u32_e32 v1, vcc, 0, v6
	s_waitcnt lgkmcnt(0)
	v_addc_co_u32_e32 v2, vcc, v7, v2, vcc
.LBB990_136:
	s_or_b64 exec, exec, s[0:1]
	s_waitcnt lgkmcnt(0)
	v_lshlrev_b32_e32 v7, 2, v3
	v_or_b32_e32 v8, 0x80, v7
	ds_bpermute_b32 v6, v8, v6
	ds_bpermute_b32 v8, v8, v2
	v_add_u32_e32 v4, 32, v4
	s_waitcnt lgkmcnt(1)
	v_add_co_u32_e32 v6, vcc, v1, v6
	v_addc_co_u32_e32 v9, vcc, 0, v2, vcc
	v_add_co_u32_e32 v6, vcc, 0, v6
	s_waitcnt lgkmcnt(0)
	v_addc_co_u32_e32 v8, vcc, v9, v8, vcc
	v_cmp_lt_u32_e32 vcc, v4, v5
	v_cndmask_b32_e32 v2, v2, v8, vcc
	v_cndmask_b32_e32 v1, v1, v6, vcc
	v_cmp_eq_u32_e32 vcc, 0, v3
	s_and_saveexec_b64 s[0:1], vcc
; %bb.137:
	v_lshrrev_b32_e32 v4, 3, v0
	v_and_b32_e32 v4, 24, v4
	ds_write_b64 v4, v[1:2] offset:160
; %bb.138:
	s_or_b64 exec, exec, s[0:1]
	v_cmp_gt_u32_e32 vcc, 4, v0
	s_waitcnt lgkmcnt(0)
	s_barrier
	s_and_saveexec_b64 s[0:1], vcc
	s_cbranch_execz .LBB990_142
; %bb.139:
	v_lshlrev_b32_e32 v1, 3, v3
	ds_read_b64 v[1:2], v1 offset:160
	v_and_b32_e32 v4, 3, v3
	v_cmp_ne_u32_e32 vcc, 3, v4
	v_addc_co_u32_e32 v3, vcc, 0, v3, vcc
	v_lshlrev_b32_e32 v3, 2, v3
	s_waitcnt lgkmcnt(0)
	ds_bpermute_b32 v6, v3, v1
	ds_bpermute_b32 v5, v3, v2
	s_add_i32 s2, s2, 63
	s_lshr_b32 s8, s2, 6
	v_add_u32_e32 v3, 1, v4
	v_cmp_gt_u32_e32 vcc, s8, v3
	v_mov_b32_e32 v3, v1
	s_and_saveexec_b64 s[2:3], vcc
	s_cbranch_execz .LBB990_141
; %bb.140:
	s_waitcnt lgkmcnt(1)
	v_add_co_u32_e32 v3, vcc, v1, v6
	v_addc_co_u32_e32 v2, vcc, 0, v2, vcc
	v_add_co_u32_e32 v1, vcc, 0, v3
	s_waitcnt lgkmcnt(0)
	v_addc_co_u32_e32 v2, vcc, v5, v2, vcc
.LBB990_141:
	s_or_b64 exec, exec, s[2:3]
	s_waitcnt lgkmcnt(0)
	v_or_b32_e32 v5, 8, v7
	ds_bpermute_b32 v3, v5, v3
	ds_bpermute_b32 v5, v5, v2
	v_add_u32_e32 v4, 2, v4
	s_waitcnt lgkmcnt(1)
	v_add_co_u32_e32 v3, vcc, v1, v3
	v_addc_co_u32_e32 v6, vcc, 0, v2, vcc
	v_add_co_u32_e32 v3, vcc, 0, v3
	s_waitcnt lgkmcnt(0)
	v_addc_co_u32_e32 v5, vcc, v6, v5, vcc
	v_cmp_gt_u32_e32 vcc, s8, v4
	v_cndmask_b32_e32 v2, v2, v5, vcc
	v_cndmask_b32_e32 v1, v1, v3, vcc
.LBB990_142:
	s_or_b64 exec, exec, s[0:1]
.LBB990_143:
	v_mov_b32_e32 v3, s6
	v_cmp_eq_u32_e64 s[0:1], 0, v0
	v_mov_b32_e32 v4, s7
.LBB990_144:
	s_branch .LBB990_206
.LBB990_145:
	s_cmp_gt_i32 s30, 1
	s_cbranch_scc0 .LBB990_153
; %bb.146:
	s_cmp_eq_u32 s30, 2
                                        ; implicit-def: $vgpr1_vgpr2
                                        ; implicit-def: $vgpr3_vgpr4
	s_cbranch_scc0 .LBB990_154
; %bb.147:
	s_mov_b32 s7, 0
	s_lshl_b32 s8, s6, 9
	s_mov_b32 s9, s7
	s_lshr_b64 s[10:11], s[20:21], 9
	s_lshl_b64 s[2:3], s[8:9], 2
	s_add_u32 s0, s24, s2
	s_addc_u32 s1, s25, s3
	s_add_u32 s2, s26, s2
	s_addc_u32 s3, s27, s3
	s_cmp_lg_u64 s[10:11], s[6:7]
	s_cbranch_scc0 .LBB990_155
; %bb.148:
	v_lshlrev_b32_e32 v1, 2, v0
	global_load_dword v2, v1, s[0:1]
	global_load_dword v5, v1, s[2:3]
	global_load_dword v6, v1, s[2:3] offset:1024
	global_load_dword v7, v1, s[0:1] offset:1024
	s_mov_b32 s9, 0x66666667
	v_mov_b32_e32 v1, 0
	v_mbcnt_lo_u32_b32 v3, -1, 0
	v_mbcnt_hi_u32_b32 v3, -1, v3
	v_mov_b32_dpp v1, v1 quad_perm:[1,0,3,2] row_mask:0xf bank_mask:0xf bound_ctrl:1
	v_lshlrev_b32_e32 v4, 2, v3
	v_or_b32_e32 v8, 0xfc, v4
	s_waitcnt vmcnt(3)
	v_mul_hi_i32 v2, v2, s9
	s_waitcnt vmcnt(2)
	v_mul_hi_i32 v5, v5, s9
	;; [unrolled: 2-line block ×4, first 2 shown]
	v_lshrrev_b32_e32 v9, 31, v2
	v_ashrrev_i32_e32 v2, 2, v2
	v_lshrrev_b32_e32 v10, 31, v5
	v_ashrrev_i32_e32 v5, 2, v5
	;; [unrolled: 2-line block ×4, first 2 shown]
	v_add_u32_e32 v2, v2, v9
	v_add_u32_e32 v5, v5, v10
	;; [unrolled: 1-line block ×4, first 2 shown]
	v_cmp_ne_u32_e32 vcc, v2, v5
	v_cndmask_b32_e64 v2, 0, 1, vcc
	v_cmp_ne_u32_e32 vcc, v7, v6
	v_addc_co_u32_e32 v2, vcc, 0, v2, vcc
	s_nop 1
	v_mov_b32_dpp v5, v2 quad_perm:[1,0,3,2] row_mask:0xf bank_mask:0xf bound_ctrl:1
	v_add_co_u32_e32 v2, vcc, v2, v5
	v_addc_co_u32_e64 v5, s[10:11], 0, 0, vcc
	v_add_co_u32_e32 v6, vcc, 0, v2
	v_addc_co_u32_e32 v1, vcc, v1, v5, vcc
	v_mov_b32_dpp v2, v2 quad_perm:[2,3,0,1] row_mask:0xf bank_mask:0xf bound_ctrl:1
	v_add_co_u32_e32 v2, vcc, v6, v2
	v_mov_b32_dpp v5, v1 quad_perm:[2,3,0,1] row_mask:0xf bank_mask:0xf bound_ctrl:1
	v_addc_co_u32_e32 v1, vcc, 0, v1, vcc
	v_add_co_u32_e32 v6, vcc, 0, v2
	v_addc_co_u32_e32 v1, vcc, v1, v5, vcc
	v_mov_b32_dpp v2, v2 row_ror:4 row_mask:0xf bank_mask:0xf bound_ctrl:1
	v_add_co_u32_e32 v2, vcc, v6, v2
	v_mov_b32_dpp v5, v1 row_ror:4 row_mask:0xf bank_mask:0xf bound_ctrl:1
	v_addc_co_u32_e32 v1, vcc, 0, v1, vcc
	v_add_co_u32_e32 v6, vcc, 0, v2
	v_addc_co_u32_e32 v1, vcc, v1, v5, vcc
	v_mov_b32_dpp v2, v2 row_ror:8 row_mask:0xf bank_mask:0xf bound_ctrl:1
	v_add_co_u32_e32 v2, vcc, v6, v2
	v_mov_b32_dpp v5, v1 row_ror:8 row_mask:0xf bank_mask:0xf bound_ctrl:1
	v_addc_co_u32_e32 v1, vcc, 0, v1, vcc
	v_add_co_u32_e32 v6, vcc, 0, v2
	v_addc_co_u32_e32 v1, vcc, v1, v5, vcc
	v_mov_b32_dpp v2, v2 row_bcast:15 row_mask:0xf bank_mask:0xf bound_ctrl:1
	v_add_co_u32_e32 v2, vcc, v6, v2
	v_mov_b32_dpp v5, v1 row_bcast:15 row_mask:0xf bank_mask:0xf bound_ctrl:1
	v_addc_co_u32_e32 v1, vcc, 0, v1, vcc
	v_add_co_u32_e32 v6, vcc, 0, v2
	v_addc_co_u32_e32 v1, vcc, v1, v5, vcc
	v_mov_b32_dpp v2, v2 row_bcast:31 row_mask:0xf bank_mask:0xf bound_ctrl:1
	v_add_co_u32_e32 v2, vcc, v6, v2
	v_addc_co_u32_e32 v5, vcc, 0, v1, vcc
	v_cmp_eq_u32_e32 vcc, 0, v3
	s_nop 0
	v_add_u32_dpp v5, v1, v5 row_bcast:31 row_mask:0xf bank_mask:0xf bound_ctrl:1
	ds_bpermute_b32 v1, v8, v2
	ds_bpermute_b32 v2, v8, v5
	s_and_saveexec_b64 s[10:11], vcc
	s_cbranch_execz .LBB990_150
; %bb.149:
	v_lshrrev_b32_e32 v5, 3, v0
	v_and_b32_e32 v5, 24, v5
	s_waitcnt lgkmcnt(0)
	ds_write_b64 v5, v[1:2] offset:64
.LBB990_150:
	s_or_b64 exec, exec, s[10:11]
	v_cmp_gt_u32_e32 vcc, 64, v0
	s_waitcnt lgkmcnt(0)
	s_barrier
	s_and_saveexec_b64 s[10:11], vcc
	s_cbranch_execz .LBB990_152
; %bb.151:
	v_and_b32_e32 v5, 3, v3
	v_lshlrev_b32_e32 v1, 3, v5
	ds_read_b64 v[1:2], v1 offset:64
	v_cmp_ne_u32_e32 vcc, 3, v5
	v_addc_co_u32_e32 v3, vcc, 0, v3, vcc
	v_lshlrev_b32_e32 v3, 2, v3
	s_waitcnt lgkmcnt(0)
	ds_bpermute_b32 v5, v3, v1
	ds_bpermute_b32 v3, v3, v2
	v_or_b32_e32 v4, 8, v4
	s_waitcnt lgkmcnt(1)
	v_add_co_u32_e32 v1, vcc, v1, v5
	v_addc_co_u32_e32 v2, vcc, 0, v2, vcc
	ds_bpermute_b32 v5, v4, v1
	v_add_co_u32_e32 v1, vcc, 0, v1
	s_waitcnt lgkmcnt(1)
	v_addc_co_u32_e32 v2, vcc, v3, v2, vcc
	ds_bpermute_b32 v3, v4, v2
	s_waitcnt lgkmcnt(1)
	v_add_co_u32_e32 v1, vcc, v1, v5
	v_addc_co_u32_e32 v2, vcc, 0, v2, vcc
	v_add_co_u32_e32 v1, vcc, 0, v1
	s_waitcnt lgkmcnt(0)
	v_addc_co_u32_e32 v2, vcc, v2, v3, vcc
.LBB990_152:
	s_or_b64 exec, exec, s[10:11]
	s_branch .LBB990_177
.LBB990_153:
                                        ; implicit-def: $vgpr1_vgpr2
                                        ; implicit-def: $vgpr3_vgpr4
	s_cbranch_execnz .LBB990_178
	s_branch .LBB990_206
.LBB990_154:
	s_branch .LBB990_206
.LBB990_155:
                                        ; implicit-def: $vgpr1_vgpr2
	s_cbranch_execz .LBB990_177
; %bb.156:
	s_sub_i32 s10, s20, s8
	v_mov_b32_e32 v1, 0
	v_cmp_gt_u32_e32 vcc, s10, v0
	v_mov_b32_e32 v2, v1
	v_mov_b32_e32 v3, v1
	;; [unrolled: 1-line block ×3, first 2 shown]
	s_and_saveexec_b64 s[8:9], vcc
	s_cbranch_execz .LBB990_158
; %bb.157:
	v_lshlrev_b32_e32 v2, 2, v0
	global_load_dword v3, v2, s[0:1]
	global_load_dword v4, v2, s[2:3]
	s_mov_b32 s11, 0x66666667
	s_waitcnt vmcnt(1)
	v_mul_hi_i32 v2, v3, s11
	s_waitcnt vmcnt(0)
	v_mul_hi_i32 v5, v4, s11
	v_mov_b32_e32 v3, v1
	v_mov_b32_e32 v4, v1
	v_lshrrev_b32_e32 v6, 31, v2
	v_ashrrev_i32_e32 v2, 2, v2
	v_lshrrev_b32_e32 v7, 31, v5
	v_ashrrev_i32_e32 v5, 2, v5
	v_add_u32_e32 v2, v2, v6
	v_add_u32_e32 v5, v5, v7
	v_cmp_ne_u32_e32 vcc, v2, v5
	v_cndmask_b32_e64 v2, 0, 1, vcc
	v_and_b32_e32 v2, 0xffff, v2
	v_mov_b32_e32 v5, v1
	v_mov_b32_e32 v1, v2
	;; [unrolled: 1-line block ×5, first 2 shown]
.LBB990_158:
	s_or_b64 exec, exec, s[8:9]
	v_or_b32_e32 v5, 0x100, v0
	v_cmp_gt_u32_e32 vcc, s10, v5
	s_and_saveexec_b64 s[8:9], vcc
	s_cbranch_execz .LBB990_160
; %bb.159:
	v_lshlrev_b32_e32 v3, 2, v0
	global_load_dword v4, v3, s[0:1] offset:1024
	global_load_dword v5, v3, s[2:3] offset:1024
	s_mov_b32 s0, 0x66666667
	s_mov_b32 s2, 0
	s_waitcnt vmcnt(1)
	v_mul_hi_i32 v3, v4, s0
	s_waitcnt vmcnt(0)
	v_mul_hi_i32 v4, v5, s0
	v_lshrrev_b32_e32 v5, 31, v3
	v_ashrrev_i32_e32 v3, 2, v3
	v_lshrrev_b32_e32 v6, 31, v4
	v_ashrrev_i32_e32 v4, 2, v4
	v_add_u32_e32 v3, v3, v5
	v_add_u32_e32 v4, v4, v6
	v_cmp_ne_u32_e64 s[0:1], v3, v4
	v_cndmask_b32_e64 v3, 0, 1, s[0:1]
	v_mov_b32_e32 v4, s2
.LBB990_160:
	s_or_b64 exec, exec, s[8:9]
	v_cndmask_b32_e32 v3, 0, v3, vcc
	v_cndmask_b32_e32 v4, 0, v4, vcc
	v_add_co_u32_e32 v1, vcc, v3, v1
	v_mbcnt_lo_u32_b32 v3, -1, 0
	v_mbcnt_hi_u32_b32 v3, -1, v3
	v_addc_co_u32_e32 v2, vcc, v4, v2, vcc
	v_and_b32_e32 v4, 63, v3
	v_cmp_ne_u32_e32 vcc, 63, v4
	v_addc_co_u32_e32 v6, vcc, 0, v3, vcc
	v_lshlrev_b32_e32 v6, 2, v6
	ds_bpermute_b32 v8, v6, v1
	ds_bpermute_b32 v7, v6, v2
	s_min_u32 s2, s10, 0x100
	v_and_b32_e32 v5, 0xc0, v0
	v_sub_u32_e64 v5, s2, v5 clamp
	v_add_u32_e32 v6, 1, v4
	v_cmp_lt_u32_e32 vcc, v6, v5
	v_mov_b32_e32 v6, v1
	s_and_saveexec_b64 s[0:1], vcc
	s_cbranch_execz .LBB990_162
; %bb.161:
	s_waitcnt lgkmcnt(1)
	v_add_co_u32_e32 v6, vcc, v1, v8
	v_addc_co_u32_e32 v2, vcc, 0, v2, vcc
	v_add_co_u32_e32 v1, vcc, 0, v6
	s_waitcnt lgkmcnt(0)
	v_addc_co_u32_e32 v2, vcc, v7, v2, vcc
.LBB990_162:
	s_or_b64 exec, exec, s[0:1]
	v_cmp_gt_u32_e32 vcc, 62, v4
	s_waitcnt lgkmcnt(0)
	v_cndmask_b32_e64 v7, 0, 2, vcc
	v_add_lshl_u32 v7, v7, v3, 2
	ds_bpermute_b32 v8, v7, v6
	ds_bpermute_b32 v7, v7, v2
	v_add_u32_e32 v9, 2, v4
	v_cmp_lt_u32_e32 vcc, v9, v5
	s_and_saveexec_b64 s[0:1], vcc
	s_cbranch_execz .LBB990_164
; %bb.163:
	s_waitcnt lgkmcnt(1)
	v_add_co_u32_e32 v6, vcc, v1, v8
	v_addc_co_u32_e32 v2, vcc, 0, v2, vcc
	v_add_co_u32_e32 v1, vcc, 0, v6
	s_waitcnt lgkmcnt(0)
	v_addc_co_u32_e32 v2, vcc, v7, v2, vcc
.LBB990_164:
	s_or_b64 exec, exec, s[0:1]
	v_cmp_gt_u32_e32 vcc, 60, v4
	s_waitcnt lgkmcnt(0)
	v_cndmask_b32_e64 v7, 0, 4, vcc
	v_add_lshl_u32 v7, v7, v3, 2
	ds_bpermute_b32 v8, v7, v6
	ds_bpermute_b32 v7, v7, v2
	v_add_u32_e32 v9, 4, v4
	v_cmp_lt_u32_e32 vcc, v9, v5
	s_and_saveexec_b64 s[0:1], vcc
	s_cbranch_execz .LBB990_166
; %bb.165:
	s_waitcnt lgkmcnt(1)
	v_add_co_u32_e32 v6, vcc, v1, v8
	v_addc_co_u32_e32 v2, vcc, 0, v2, vcc
	v_add_co_u32_e32 v1, vcc, 0, v6
	s_waitcnt lgkmcnt(0)
	v_addc_co_u32_e32 v2, vcc, v7, v2, vcc
.LBB990_166:
	s_or_b64 exec, exec, s[0:1]
	v_cmp_gt_u32_e32 vcc, 56, v4
	s_waitcnt lgkmcnt(0)
	v_cndmask_b32_e64 v7, 0, 8, vcc
	v_add_lshl_u32 v7, v7, v3, 2
	ds_bpermute_b32 v8, v7, v6
	ds_bpermute_b32 v7, v7, v2
	v_add_u32_e32 v9, 8, v4
	v_cmp_lt_u32_e32 vcc, v9, v5
	s_and_saveexec_b64 s[0:1], vcc
	s_cbranch_execz .LBB990_168
; %bb.167:
	s_waitcnt lgkmcnt(1)
	v_add_co_u32_e32 v6, vcc, v1, v8
	v_addc_co_u32_e32 v2, vcc, 0, v2, vcc
	v_add_co_u32_e32 v1, vcc, 0, v6
	s_waitcnt lgkmcnt(0)
	v_addc_co_u32_e32 v2, vcc, v7, v2, vcc
.LBB990_168:
	s_or_b64 exec, exec, s[0:1]
	v_cmp_gt_u32_e32 vcc, 48, v4
	s_waitcnt lgkmcnt(0)
	v_cndmask_b32_e64 v7, 0, 16, vcc
	v_add_lshl_u32 v7, v7, v3, 2
	ds_bpermute_b32 v8, v7, v6
	ds_bpermute_b32 v7, v7, v2
	v_add_u32_e32 v9, 16, v4
	v_cmp_lt_u32_e32 vcc, v9, v5
	s_and_saveexec_b64 s[0:1], vcc
	s_cbranch_execz .LBB990_170
; %bb.169:
	s_waitcnt lgkmcnt(1)
	v_add_co_u32_e32 v6, vcc, v1, v8
	v_addc_co_u32_e32 v2, vcc, 0, v2, vcc
	v_add_co_u32_e32 v1, vcc, 0, v6
	s_waitcnt lgkmcnt(0)
	v_addc_co_u32_e32 v2, vcc, v7, v2, vcc
.LBB990_170:
	s_or_b64 exec, exec, s[0:1]
	s_waitcnt lgkmcnt(0)
	v_lshlrev_b32_e32 v7, 2, v3
	v_or_b32_e32 v8, 0x80, v7
	ds_bpermute_b32 v6, v8, v6
	ds_bpermute_b32 v8, v8, v2
	v_add_u32_e32 v4, 32, v4
	s_waitcnt lgkmcnt(1)
	v_add_co_u32_e32 v6, vcc, v1, v6
	v_addc_co_u32_e32 v9, vcc, 0, v2, vcc
	v_add_co_u32_e32 v6, vcc, 0, v6
	s_waitcnt lgkmcnt(0)
	v_addc_co_u32_e32 v8, vcc, v9, v8, vcc
	v_cmp_lt_u32_e32 vcc, v4, v5
	v_cndmask_b32_e32 v2, v2, v8, vcc
	v_cndmask_b32_e32 v1, v1, v6, vcc
	v_cmp_eq_u32_e32 vcc, 0, v3
	s_and_saveexec_b64 s[0:1], vcc
; %bb.171:
	v_lshrrev_b32_e32 v4, 3, v0
	v_and_b32_e32 v4, 24, v4
	ds_write_b64 v4, v[1:2] offset:160
; %bb.172:
	s_or_b64 exec, exec, s[0:1]
	v_cmp_gt_u32_e32 vcc, 4, v0
	s_waitcnt lgkmcnt(0)
	s_barrier
	s_and_saveexec_b64 s[0:1], vcc
	s_cbranch_execz .LBB990_176
; %bb.173:
	v_lshlrev_b32_e32 v1, 3, v3
	ds_read_b64 v[1:2], v1 offset:160
	v_and_b32_e32 v4, 3, v3
	v_cmp_ne_u32_e32 vcc, 3, v4
	v_addc_co_u32_e32 v3, vcc, 0, v3, vcc
	v_lshlrev_b32_e32 v3, 2, v3
	s_waitcnt lgkmcnt(0)
	ds_bpermute_b32 v6, v3, v1
	ds_bpermute_b32 v5, v3, v2
	s_add_i32 s2, s2, 63
	s_lshr_b32 s8, s2, 6
	v_add_u32_e32 v3, 1, v4
	v_cmp_gt_u32_e32 vcc, s8, v3
	v_mov_b32_e32 v3, v1
	s_and_saveexec_b64 s[2:3], vcc
	s_cbranch_execz .LBB990_175
; %bb.174:
	s_waitcnt lgkmcnt(1)
	v_add_co_u32_e32 v3, vcc, v1, v6
	v_addc_co_u32_e32 v2, vcc, 0, v2, vcc
	v_add_co_u32_e32 v1, vcc, 0, v3
	s_waitcnt lgkmcnt(0)
	v_addc_co_u32_e32 v2, vcc, v5, v2, vcc
.LBB990_175:
	s_or_b64 exec, exec, s[2:3]
	s_waitcnt lgkmcnt(0)
	v_or_b32_e32 v5, 8, v7
	ds_bpermute_b32 v3, v5, v3
	ds_bpermute_b32 v5, v5, v2
	v_add_u32_e32 v4, 2, v4
	s_waitcnt lgkmcnt(1)
	v_add_co_u32_e32 v3, vcc, v1, v3
	v_addc_co_u32_e32 v6, vcc, 0, v2, vcc
	v_add_co_u32_e32 v3, vcc, 0, v3
	s_waitcnt lgkmcnt(0)
	v_addc_co_u32_e32 v5, vcc, v6, v5, vcc
	v_cmp_gt_u32_e32 vcc, s8, v4
	v_cndmask_b32_e32 v2, v2, v5, vcc
	v_cndmask_b32_e32 v1, v1, v3, vcc
.LBB990_176:
	s_or_b64 exec, exec, s[0:1]
.LBB990_177:
	v_mov_b32_e32 v3, s6
	v_cmp_eq_u32_e64 s[0:1], 0, v0
	v_mov_b32_e32 v4, s7
	s_branch .LBB990_206
.LBB990_178:
	s_cmp_eq_u32 s30, 1
                                        ; implicit-def: $vgpr1_vgpr2
                                        ; implicit-def: $vgpr3_vgpr4
	s_cbranch_scc0 .LBB990_206
; %bb.179:
	s_mov_b32 s1, 0
	s_lshl_b32 s0, s6, 8
	s_mov_b32 s7, s1
	s_lshr_b64 s[2:3], s[20:21], 8
	s_cmp_lg_u64 s[2:3], s[6:7]
	v_mbcnt_lo_u32_b32 v3, -1, 0
	s_cbranch_scc0 .LBB990_185
; %bb.180:
	s_lshl_b64 s[2:3], s[0:1], 2
	s_add_u32 s8, s24, s2
	s_addc_u32 s9, s25, s3
	v_lshlrev_b32_e32 v1, 2, v0
	s_add_u32 s2, s26, s2
	global_load_dword v2, v1, s[8:9]
	s_addc_u32 s3, s27, s3
	global_load_dword v1, v1, s[2:3]
	s_mov_b32 s2, 0x66666667
	v_mov_b32_e32 v5, 0
	v_mbcnt_hi_u32_b32 v4, -1, v3
	s_waitcnt vmcnt(1)
	v_mul_hi_i32 v2, v2, s2
	v_mov_b32_dpp v6, v5 quad_perm:[1,0,3,2] row_mask:0xf bank_mask:0xf bound_ctrl:1
	s_waitcnt vmcnt(0)
	v_mul_hi_i32 v1, v1, s2
	v_lshlrev_b32_e32 v5, 2, v4
	v_lshrrev_b32_e32 v8, 31, v2
	v_ashrrev_i32_e32 v2, 2, v2
	v_add_u32_e32 v2, v2, v8
	v_lshrrev_b32_e32 v8, 31, v1
	v_ashrrev_i32_e32 v1, 2, v1
	v_add_u32_e32 v1, v1, v8
	v_cmp_ne_u32_e32 vcc, v2, v1
	v_cndmask_b32_e64 v1, 0, 1, vcc
	v_or_b32_e32 v7, 0xfc, v5
	s_nop 0
	v_mov_b32_dpp v2, v1 quad_perm:[1,0,3,2] row_mask:0xf bank_mask:0xf bound_ctrl:1
	v_add_co_u32_e32 v1, vcc, v2, v1
	v_addc_co_u32_e64 v2, s[2:3], 0, 0, vcc
	v_add_co_u32_e32 v8, vcc, 0, v1
	v_addc_co_u32_e32 v2, vcc, v6, v2, vcc
	v_mov_b32_dpp v1, v1 quad_perm:[2,3,0,1] row_mask:0xf bank_mask:0xf bound_ctrl:1
	v_add_co_u32_e32 v1, vcc, v8, v1
	v_mov_b32_dpp v6, v2 quad_perm:[2,3,0,1] row_mask:0xf bank_mask:0xf bound_ctrl:1
	v_addc_co_u32_e32 v2, vcc, 0, v2, vcc
	v_add_co_u32_e32 v8, vcc, 0, v1
	v_addc_co_u32_e32 v2, vcc, v2, v6, vcc
	v_mov_b32_dpp v1, v1 row_ror:4 row_mask:0xf bank_mask:0xf bound_ctrl:1
	v_add_co_u32_e32 v1, vcc, v8, v1
	v_mov_b32_dpp v6, v2 row_ror:4 row_mask:0xf bank_mask:0xf bound_ctrl:1
	v_addc_co_u32_e32 v2, vcc, 0, v2, vcc
	v_add_co_u32_e32 v8, vcc, 0, v1
	v_addc_co_u32_e32 v2, vcc, v2, v6, vcc
	v_mov_b32_dpp v1, v1 row_ror:8 row_mask:0xf bank_mask:0xf bound_ctrl:1
	v_add_co_u32_e32 v1, vcc, v8, v1
	v_mov_b32_dpp v6, v2 row_ror:8 row_mask:0xf bank_mask:0xf bound_ctrl:1
	v_addc_co_u32_e32 v2, vcc, 0, v2, vcc
	v_add_co_u32_e32 v8, vcc, 0, v1
	v_addc_co_u32_e32 v2, vcc, v2, v6, vcc
	v_mov_b32_dpp v1, v1 row_bcast:15 row_mask:0xf bank_mask:0xf bound_ctrl:1
	v_add_co_u32_e32 v1, vcc, v8, v1
	v_mov_b32_dpp v6, v2 row_bcast:15 row_mask:0xf bank_mask:0xf bound_ctrl:1
	v_addc_co_u32_e32 v2, vcc, 0, v2, vcc
	v_add_co_u32_e32 v8, vcc, 0, v1
	v_addc_co_u32_e32 v2, vcc, v2, v6, vcc
	v_mov_b32_dpp v1, v1 row_bcast:31 row_mask:0xf bank_mask:0xf bound_ctrl:1
	v_add_co_u32_e32 v1, vcc, v8, v1
	v_addc_co_u32_e32 v6, vcc, 0, v2, vcc
	ds_bpermute_b32 v1, v7, v1
	s_nop 0
	v_add_u32_dpp v2, v2, v6 row_bcast:31 row_mask:0xf bank_mask:0xf bound_ctrl:1
	ds_bpermute_b32 v2, v7, v2
	v_cmp_eq_u32_e32 vcc, 0, v4
	s_and_saveexec_b64 s[2:3], vcc
	s_cbranch_execz .LBB990_182
; %bb.181:
	v_lshrrev_b32_e32 v6, 3, v0
	v_and_b32_e32 v6, 24, v6
	s_waitcnt lgkmcnt(0)
	ds_write_b64 v6, v[1:2] offset:32
.LBB990_182:
	s_or_b64 exec, exec, s[2:3]
	v_cmp_gt_u32_e32 vcc, 64, v0
	s_waitcnt lgkmcnt(0)
	s_barrier
	s_and_saveexec_b64 s[2:3], vcc
	s_cbranch_execz .LBB990_184
; %bb.183:
	v_and_b32_e32 v6, 3, v4
	v_lshlrev_b32_e32 v1, 3, v6
	ds_read_b64 v[1:2], v1 offset:32
	v_cmp_ne_u32_e32 vcc, 3, v6
	v_addc_co_u32_e32 v4, vcc, 0, v4, vcc
	v_lshlrev_b32_e32 v4, 2, v4
	s_waitcnt lgkmcnt(0)
	ds_bpermute_b32 v6, v4, v1
	ds_bpermute_b32 v4, v4, v2
	v_or_b32_e32 v5, 8, v5
	s_waitcnt lgkmcnt(1)
	v_add_co_u32_e32 v1, vcc, v1, v6
	v_addc_co_u32_e32 v2, vcc, 0, v2, vcc
	ds_bpermute_b32 v6, v5, v1
	v_add_co_u32_e32 v1, vcc, 0, v1
	s_waitcnt lgkmcnt(1)
	v_addc_co_u32_e32 v2, vcc, v4, v2, vcc
	ds_bpermute_b32 v4, v5, v2
	s_waitcnt lgkmcnt(1)
	v_add_co_u32_e32 v1, vcc, v1, v6
	v_addc_co_u32_e32 v2, vcc, 0, v2, vcc
	v_add_co_u32_e32 v1, vcc, 0, v1
	s_waitcnt lgkmcnt(0)
	v_addc_co_u32_e32 v2, vcc, v2, v4, vcc
.LBB990_184:
	s_or_b64 exec, exec, s[2:3]
	s_branch .LBB990_205
.LBB990_185:
                                        ; implicit-def: $vgpr1_vgpr2
	s_cbranch_execz .LBB990_205
; %bb.186:
	s_sub_i32 s8, s20, s0
	v_cmp_gt_u32_e32 vcc, s8, v0
                                        ; implicit-def: $vgpr1_vgpr2
	s_and_saveexec_b64 s[2:3], vcc
	s_cbranch_execz .LBB990_188
; %bb.187:
	s_lshl_b64 s[0:1], s[0:1], 2
	s_add_u32 s10, s26, s0
	s_addc_u32 s11, s27, s1
	s_add_u32 s0, s24, s0
	s_addc_u32 s1, s25, s1
	v_lshlrev_b32_e32 v1, 2, v0
	global_load_dword v2, v1, s[0:1]
	global_load_dword v4, v1, s[10:11]
	s_mov_b32 s0, 0x66666667
	s_waitcnt vmcnt(1)
	v_mul_hi_i32 v1, v2, s0
	s_waitcnt vmcnt(0)
	v_mul_hi_i32 v2, v4, s0
	s_mov_b32 s0, 0
	v_lshrrev_b32_e32 v4, 31, v1
	v_ashrrev_i32_e32 v1, 2, v1
	v_lshrrev_b32_e32 v5, 31, v2
	v_ashrrev_i32_e32 v2, 2, v2
	v_add_u32_e32 v1, v1, v4
	v_add_u32_e32 v2, v2, v5
	v_cmp_ne_u32_e32 vcc, v1, v2
	v_cndmask_b32_e64 v1, 0, 1, vcc
	v_mov_b32_e32 v2, s0
.LBB990_188:
	s_or_b64 exec, exec, s[2:3]
	v_mbcnt_hi_u32_b32 v3, -1, v3
	v_and_b32_e32 v4, 63, v3
	v_cmp_ne_u32_e32 vcc, 63, v4
	v_addc_co_u32_e32 v6, vcc, 0, v3, vcc
	v_lshlrev_b32_e32 v6, 2, v6
	ds_bpermute_b32 v8, v6, v1
	ds_bpermute_b32 v7, v6, v2
	s_min_u32 s2, s8, 0x100
	v_and_b32_e32 v5, 0xc0, v0
	v_sub_u32_e64 v5, s2, v5 clamp
	v_add_u32_e32 v6, 1, v4
	v_cmp_lt_u32_e32 vcc, v6, v5
	v_mov_b32_e32 v6, v1
	s_and_saveexec_b64 s[0:1], vcc
	s_cbranch_execz .LBB990_190
; %bb.189:
	s_waitcnt lgkmcnt(1)
	v_add_co_u32_e32 v6, vcc, v1, v8
	v_addc_co_u32_e32 v2, vcc, 0, v2, vcc
	v_add_co_u32_e32 v1, vcc, 0, v6
	s_waitcnt lgkmcnt(0)
	v_addc_co_u32_e32 v2, vcc, v7, v2, vcc
.LBB990_190:
	s_or_b64 exec, exec, s[0:1]
	v_cmp_gt_u32_e32 vcc, 62, v4
	s_waitcnt lgkmcnt(0)
	v_cndmask_b32_e64 v7, 0, 2, vcc
	v_add_lshl_u32 v7, v7, v3, 2
	ds_bpermute_b32 v8, v7, v6
	ds_bpermute_b32 v7, v7, v2
	v_add_u32_e32 v9, 2, v4
	v_cmp_lt_u32_e32 vcc, v9, v5
	s_and_saveexec_b64 s[0:1], vcc
	s_cbranch_execz .LBB990_192
; %bb.191:
	s_waitcnt lgkmcnt(1)
	v_add_co_u32_e32 v6, vcc, v1, v8
	v_addc_co_u32_e32 v2, vcc, 0, v2, vcc
	v_add_co_u32_e32 v1, vcc, 0, v6
	s_waitcnt lgkmcnt(0)
	v_addc_co_u32_e32 v2, vcc, v7, v2, vcc
.LBB990_192:
	s_or_b64 exec, exec, s[0:1]
	v_cmp_gt_u32_e32 vcc, 60, v4
	s_waitcnt lgkmcnt(0)
	v_cndmask_b32_e64 v7, 0, 4, vcc
	v_add_lshl_u32 v7, v7, v3, 2
	ds_bpermute_b32 v8, v7, v6
	ds_bpermute_b32 v7, v7, v2
	v_add_u32_e32 v9, 4, v4
	v_cmp_lt_u32_e32 vcc, v9, v5
	;; [unrolled: 19-line block ×4, first 2 shown]
	s_and_saveexec_b64 s[0:1], vcc
	s_cbranch_execz .LBB990_198
; %bb.197:
	s_waitcnt lgkmcnt(1)
	v_add_co_u32_e32 v6, vcc, v1, v8
	v_addc_co_u32_e32 v2, vcc, 0, v2, vcc
	v_add_co_u32_e32 v1, vcc, 0, v6
	s_waitcnt lgkmcnt(0)
	v_addc_co_u32_e32 v2, vcc, v7, v2, vcc
.LBB990_198:
	s_or_b64 exec, exec, s[0:1]
	s_waitcnt lgkmcnt(0)
	v_lshlrev_b32_e32 v7, 2, v3
	v_or_b32_e32 v8, 0x80, v7
	ds_bpermute_b32 v6, v8, v6
	ds_bpermute_b32 v8, v8, v2
	v_add_u32_e32 v4, 32, v4
	s_waitcnt lgkmcnt(1)
	v_add_co_u32_e32 v6, vcc, v1, v6
	v_addc_co_u32_e32 v9, vcc, 0, v2, vcc
	v_add_co_u32_e32 v6, vcc, 0, v6
	s_waitcnt lgkmcnt(0)
	v_addc_co_u32_e32 v8, vcc, v9, v8, vcc
	v_cmp_lt_u32_e32 vcc, v4, v5
	v_cndmask_b32_e32 v2, v2, v8, vcc
	v_cndmask_b32_e32 v1, v1, v6, vcc
	v_cmp_eq_u32_e32 vcc, 0, v3
	s_and_saveexec_b64 s[0:1], vcc
; %bb.199:
	v_lshrrev_b32_e32 v4, 3, v0
	v_and_b32_e32 v4, 24, v4
	ds_write_b64 v4, v[1:2] offset:160
; %bb.200:
	s_or_b64 exec, exec, s[0:1]
	v_cmp_gt_u32_e32 vcc, 4, v0
	s_waitcnt lgkmcnt(0)
	s_barrier
	s_and_saveexec_b64 s[0:1], vcc
	s_cbranch_execz .LBB990_204
; %bb.201:
	v_lshlrev_b32_e32 v1, 3, v3
	ds_read_b64 v[1:2], v1 offset:160
	v_and_b32_e32 v4, 3, v3
	v_cmp_ne_u32_e32 vcc, 3, v4
	v_addc_co_u32_e32 v3, vcc, 0, v3, vcc
	v_lshlrev_b32_e32 v3, 2, v3
	s_waitcnt lgkmcnt(0)
	ds_bpermute_b32 v6, v3, v1
	ds_bpermute_b32 v5, v3, v2
	s_add_i32 s2, s2, 63
	s_lshr_b32 s8, s2, 6
	v_add_u32_e32 v3, 1, v4
	v_cmp_gt_u32_e32 vcc, s8, v3
	v_mov_b32_e32 v3, v1
	s_and_saveexec_b64 s[2:3], vcc
	s_cbranch_execz .LBB990_203
; %bb.202:
	s_waitcnt lgkmcnt(1)
	v_add_co_u32_e32 v3, vcc, v1, v6
	v_addc_co_u32_e32 v2, vcc, 0, v2, vcc
	v_add_co_u32_e32 v1, vcc, 0, v3
	s_waitcnt lgkmcnt(0)
	v_addc_co_u32_e32 v2, vcc, v5, v2, vcc
.LBB990_203:
	s_or_b64 exec, exec, s[2:3]
	s_waitcnt lgkmcnt(0)
	v_or_b32_e32 v5, 8, v7
	ds_bpermute_b32 v3, v5, v3
	ds_bpermute_b32 v5, v5, v2
	v_add_u32_e32 v4, 2, v4
	s_waitcnt lgkmcnt(1)
	v_add_co_u32_e32 v3, vcc, v1, v3
	v_addc_co_u32_e32 v6, vcc, 0, v2, vcc
	v_add_co_u32_e32 v3, vcc, 0, v3
	s_waitcnt lgkmcnt(0)
	v_addc_co_u32_e32 v5, vcc, v6, v5, vcc
	v_cmp_gt_u32_e32 vcc, s8, v4
	v_cndmask_b32_e32 v2, v2, v5, vcc
	v_cndmask_b32_e32 v1, v1, v3, vcc
.LBB990_204:
	s_or_b64 exec, exec, s[0:1]
.LBB990_205:
	v_mov_b32_e32 v3, s6
	v_cmp_eq_u32_e64 s[0:1], 0, v0
	v_mov_b32_e32 v4, s7
.LBB990_206:
	s_and_saveexec_b64 s[2:3], s[0:1]
	s_cbranch_execz .LBB990_208
; %bb.207:
	v_lshlrev_b64 v[3:4], 3, v[3:4]
	s_load_dwordx2 s[0:1], s[4:5], 0x30
	v_mov_b32_e32 v0, s23
	v_add_co_u32_e32 v3, vcc, s22, v3
	v_addc_co_u32_e32 v4, vcc, v0, v4, vcc
	s_cmp_lg_u64 s[20:21], 0
	s_cselect_b64 vcc, -1, 0
	v_cndmask_b32_e32 v0, 0, v1, vcc
	v_cndmask_b32_e32 v2, 0, v2, vcc
	s_waitcnt lgkmcnt(0)
	v_mov_b32_e32 v1, s1
	v_add_co_u32_e32 v0, vcc, s0, v0
	v_addc_co_u32_e32 v1, vcc, v2, v1, vcc
	global_store_dwordx2 v[3:4], v[0:1], off
.LBB990_208:
	s_endpgm
	.section	.rodata,"a",@progbits
	.p2align	6, 0x0
	.amdhsa_kernel _ZN7rocprim17ROCPRIM_400000_NS6detail17trampoline_kernelINS0_14default_configENS1_22reduce_config_selectorIlEEZNS1_11reduce_implILb1ES3_N6thrust23THRUST_200600_302600_NS11hip_rocprim26transform_input_iterator_tIlNS8_12zip_iteratorINS8_5tupleINS8_6detail15normal_iteratorINS8_10device_ptrIiEEEESH_NS8_9null_typeESI_SI_SI_SI_SI_SI_SI_EEEENS9_21zip_adj_not_predicateI22is_equal_div_10_uniqueIiEEEEEPllNS8_4plusIlEEEE10hipError_tPvRmT1_T2_T3_mT4_P12ihipStream_tbEUlT_E1_NS1_11comp_targetILNS1_3genE2ELNS1_11target_archE906ELNS1_3gpuE6ELNS1_3repE0EEENS1_30default_config_static_selectorELNS0_4arch9wavefront6targetE1EEEvSW_
		.amdhsa_group_segment_fixed_size 192
		.amdhsa_private_segment_fixed_size 0
		.amdhsa_kernarg_size 64
		.amdhsa_user_sgpr_count 6
		.amdhsa_user_sgpr_private_segment_buffer 1
		.amdhsa_user_sgpr_dispatch_ptr 0
		.amdhsa_user_sgpr_queue_ptr 0
		.amdhsa_user_sgpr_kernarg_segment_ptr 1
		.amdhsa_user_sgpr_dispatch_id 0
		.amdhsa_user_sgpr_flat_scratch_init 0
		.amdhsa_user_sgpr_private_segment_size 0
		.amdhsa_uses_dynamic_stack 0
		.amdhsa_system_sgpr_private_segment_wavefront_offset 0
		.amdhsa_system_sgpr_workgroup_id_x 1
		.amdhsa_system_sgpr_workgroup_id_y 0
		.amdhsa_system_sgpr_workgroup_id_z 0
		.amdhsa_system_sgpr_workgroup_info 0
		.amdhsa_system_vgpr_workitem_id 0
		.amdhsa_next_free_vgpr 36
		.amdhsa_next_free_sgpr 34
		.amdhsa_reserve_vcc 1
		.amdhsa_reserve_flat_scratch 0
		.amdhsa_float_round_mode_32 0
		.amdhsa_float_round_mode_16_64 0
		.amdhsa_float_denorm_mode_32 3
		.amdhsa_float_denorm_mode_16_64 3
		.amdhsa_dx10_clamp 1
		.amdhsa_ieee_mode 1
		.amdhsa_fp16_overflow 0
		.amdhsa_exception_fp_ieee_invalid_op 0
		.amdhsa_exception_fp_denorm_src 0
		.amdhsa_exception_fp_ieee_div_zero 0
		.amdhsa_exception_fp_ieee_overflow 0
		.amdhsa_exception_fp_ieee_underflow 0
		.amdhsa_exception_fp_ieee_inexact 0
		.amdhsa_exception_int_div_zero 0
	.end_amdhsa_kernel
	.section	.text._ZN7rocprim17ROCPRIM_400000_NS6detail17trampoline_kernelINS0_14default_configENS1_22reduce_config_selectorIlEEZNS1_11reduce_implILb1ES3_N6thrust23THRUST_200600_302600_NS11hip_rocprim26transform_input_iterator_tIlNS8_12zip_iteratorINS8_5tupleINS8_6detail15normal_iteratorINS8_10device_ptrIiEEEESH_NS8_9null_typeESI_SI_SI_SI_SI_SI_SI_EEEENS9_21zip_adj_not_predicateI22is_equal_div_10_uniqueIiEEEEEPllNS8_4plusIlEEEE10hipError_tPvRmT1_T2_T3_mT4_P12ihipStream_tbEUlT_E1_NS1_11comp_targetILNS1_3genE2ELNS1_11target_archE906ELNS1_3gpuE6ELNS1_3repE0EEENS1_30default_config_static_selectorELNS0_4arch9wavefront6targetE1EEEvSW_,"axG",@progbits,_ZN7rocprim17ROCPRIM_400000_NS6detail17trampoline_kernelINS0_14default_configENS1_22reduce_config_selectorIlEEZNS1_11reduce_implILb1ES3_N6thrust23THRUST_200600_302600_NS11hip_rocprim26transform_input_iterator_tIlNS8_12zip_iteratorINS8_5tupleINS8_6detail15normal_iteratorINS8_10device_ptrIiEEEESH_NS8_9null_typeESI_SI_SI_SI_SI_SI_SI_EEEENS9_21zip_adj_not_predicateI22is_equal_div_10_uniqueIiEEEEEPllNS8_4plusIlEEEE10hipError_tPvRmT1_T2_T3_mT4_P12ihipStream_tbEUlT_E1_NS1_11comp_targetILNS1_3genE2ELNS1_11target_archE906ELNS1_3gpuE6ELNS1_3repE0EEENS1_30default_config_static_selectorELNS0_4arch9wavefront6targetE1EEEvSW_,comdat
.Lfunc_end990:
	.size	_ZN7rocprim17ROCPRIM_400000_NS6detail17trampoline_kernelINS0_14default_configENS1_22reduce_config_selectorIlEEZNS1_11reduce_implILb1ES3_N6thrust23THRUST_200600_302600_NS11hip_rocprim26transform_input_iterator_tIlNS8_12zip_iteratorINS8_5tupleINS8_6detail15normal_iteratorINS8_10device_ptrIiEEEESH_NS8_9null_typeESI_SI_SI_SI_SI_SI_SI_EEEENS9_21zip_adj_not_predicateI22is_equal_div_10_uniqueIiEEEEEPllNS8_4plusIlEEEE10hipError_tPvRmT1_T2_T3_mT4_P12ihipStream_tbEUlT_E1_NS1_11comp_targetILNS1_3genE2ELNS1_11target_archE906ELNS1_3gpuE6ELNS1_3repE0EEENS1_30default_config_static_selectorELNS0_4arch9wavefront6targetE1EEEvSW_, .Lfunc_end990-_ZN7rocprim17ROCPRIM_400000_NS6detail17trampoline_kernelINS0_14default_configENS1_22reduce_config_selectorIlEEZNS1_11reduce_implILb1ES3_N6thrust23THRUST_200600_302600_NS11hip_rocprim26transform_input_iterator_tIlNS8_12zip_iteratorINS8_5tupleINS8_6detail15normal_iteratorINS8_10device_ptrIiEEEESH_NS8_9null_typeESI_SI_SI_SI_SI_SI_SI_EEEENS9_21zip_adj_not_predicateI22is_equal_div_10_uniqueIiEEEEEPllNS8_4plusIlEEEE10hipError_tPvRmT1_T2_T3_mT4_P12ihipStream_tbEUlT_E1_NS1_11comp_targetILNS1_3genE2ELNS1_11target_archE906ELNS1_3gpuE6ELNS1_3repE0EEENS1_30default_config_static_selectorELNS0_4arch9wavefront6targetE1EEEvSW_
                                        ; -- End function
	.set _ZN7rocprim17ROCPRIM_400000_NS6detail17trampoline_kernelINS0_14default_configENS1_22reduce_config_selectorIlEEZNS1_11reduce_implILb1ES3_N6thrust23THRUST_200600_302600_NS11hip_rocprim26transform_input_iterator_tIlNS8_12zip_iteratorINS8_5tupleINS8_6detail15normal_iteratorINS8_10device_ptrIiEEEESH_NS8_9null_typeESI_SI_SI_SI_SI_SI_SI_EEEENS9_21zip_adj_not_predicateI22is_equal_div_10_uniqueIiEEEEEPllNS8_4plusIlEEEE10hipError_tPvRmT1_T2_T3_mT4_P12ihipStream_tbEUlT_E1_NS1_11comp_targetILNS1_3genE2ELNS1_11target_archE906ELNS1_3gpuE6ELNS1_3repE0EEENS1_30default_config_static_selectorELNS0_4arch9wavefront6targetE1EEEvSW_.num_vgpr, 36
	.set _ZN7rocprim17ROCPRIM_400000_NS6detail17trampoline_kernelINS0_14default_configENS1_22reduce_config_selectorIlEEZNS1_11reduce_implILb1ES3_N6thrust23THRUST_200600_302600_NS11hip_rocprim26transform_input_iterator_tIlNS8_12zip_iteratorINS8_5tupleINS8_6detail15normal_iteratorINS8_10device_ptrIiEEEESH_NS8_9null_typeESI_SI_SI_SI_SI_SI_SI_EEEENS9_21zip_adj_not_predicateI22is_equal_div_10_uniqueIiEEEEEPllNS8_4plusIlEEEE10hipError_tPvRmT1_T2_T3_mT4_P12ihipStream_tbEUlT_E1_NS1_11comp_targetILNS1_3genE2ELNS1_11target_archE906ELNS1_3gpuE6ELNS1_3repE0EEENS1_30default_config_static_selectorELNS0_4arch9wavefront6targetE1EEEvSW_.num_agpr, 0
	.set _ZN7rocprim17ROCPRIM_400000_NS6detail17trampoline_kernelINS0_14default_configENS1_22reduce_config_selectorIlEEZNS1_11reduce_implILb1ES3_N6thrust23THRUST_200600_302600_NS11hip_rocprim26transform_input_iterator_tIlNS8_12zip_iteratorINS8_5tupleINS8_6detail15normal_iteratorINS8_10device_ptrIiEEEESH_NS8_9null_typeESI_SI_SI_SI_SI_SI_SI_EEEENS9_21zip_adj_not_predicateI22is_equal_div_10_uniqueIiEEEEEPllNS8_4plusIlEEEE10hipError_tPvRmT1_T2_T3_mT4_P12ihipStream_tbEUlT_E1_NS1_11comp_targetILNS1_3genE2ELNS1_11target_archE906ELNS1_3gpuE6ELNS1_3repE0EEENS1_30default_config_static_selectorELNS0_4arch9wavefront6targetE1EEEvSW_.numbered_sgpr, 34
	.set _ZN7rocprim17ROCPRIM_400000_NS6detail17trampoline_kernelINS0_14default_configENS1_22reduce_config_selectorIlEEZNS1_11reduce_implILb1ES3_N6thrust23THRUST_200600_302600_NS11hip_rocprim26transform_input_iterator_tIlNS8_12zip_iteratorINS8_5tupleINS8_6detail15normal_iteratorINS8_10device_ptrIiEEEESH_NS8_9null_typeESI_SI_SI_SI_SI_SI_SI_EEEENS9_21zip_adj_not_predicateI22is_equal_div_10_uniqueIiEEEEEPllNS8_4plusIlEEEE10hipError_tPvRmT1_T2_T3_mT4_P12ihipStream_tbEUlT_E1_NS1_11comp_targetILNS1_3genE2ELNS1_11target_archE906ELNS1_3gpuE6ELNS1_3repE0EEENS1_30default_config_static_selectorELNS0_4arch9wavefront6targetE1EEEvSW_.num_named_barrier, 0
	.set _ZN7rocprim17ROCPRIM_400000_NS6detail17trampoline_kernelINS0_14default_configENS1_22reduce_config_selectorIlEEZNS1_11reduce_implILb1ES3_N6thrust23THRUST_200600_302600_NS11hip_rocprim26transform_input_iterator_tIlNS8_12zip_iteratorINS8_5tupleINS8_6detail15normal_iteratorINS8_10device_ptrIiEEEESH_NS8_9null_typeESI_SI_SI_SI_SI_SI_SI_EEEENS9_21zip_adj_not_predicateI22is_equal_div_10_uniqueIiEEEEEPllNS8_4plusIlEEEE10hipError_tPvRmT1_T2_T3_mT4_P12ihipStream_tbEUlT_E1_NS1_11comp_targetILNS1_3genE2ELNS1_11target_archE906ELNS1_3gpuE6ELNS1_3repE0EEENS1_30default_config_static_selectorELNS0_4arch9wavefront6targetE1EEEvSW_.private_seg_size, 0
	.set _ZN7rocprim17ROCPRIM_400000_NS6detail17trampoline_kernelINS0_14default_configENS1_22reduce_config_selectorIlEEZNS1_11reduce_implILb1ES3_N6thrust23THRUST_200600_302600_NS11hip_rocprim26transform_input_iterator_tIlNS8_12zip_iteratorINS8_5tupleINS8_6detail15normal_iteratorINS8_10device_ptrIiEEEESH_NS8_9null_typeESI_SI_SI_SI_SI_SI_SI_EEEENS9_21zip_adj_not_predicateI22is_equal_div_10_uniqueIiEEEEEPllNS8_4plusIlEEEE10hipError_tPvRmT1_T2_T3_mT4_P12ihipStream_tbEUlT_E1_NS1_11comp_targetILNS1_3genE2ELNS1_11target_archE906ELNS1_3gpuE6ELNS1_3repE0EEENS1_30default_config_static_selectorELNS0_4arch9wavefront6targetE1EEEvSW_.uses_vcc, 1
	.set _ZN7rocprim17ROCPRIM_400000_NS6detail17trampoline_kernelINS0_14default_configENS1_22reduce_config_selectorIlEEZNS1_11reduce_implILb1ES3_N6thrust23THRUST_200600_302600_NS11hip_rocprim26transform_input_iterator_tIlNS8_12zip_iteratorINS8_5tupleINS8_6detail15normal_iteratorINS8_10device_ptrIiEEEESH_NS8_9null_typeESI_SI_SI_SI_SI_SI_SI_EEEENS9_21zip_adj_not_predicateI22is_equal_div_10_uniqueIiEEEEEPllNS8_4plusIlEEEE10hipError_tPvRmT1_T2_T3_mT4_P12ihipStream_tbEUlT_E1_NS1_11comp_targetILNS1_3genE2ELNS1_11target_archE906ELNS1_3gpuE6ELNS1_3repE0EEENS1_30default_config_static_selectorELNS0_4arch9wavefront6targetE1EEEvSW_.uses_flat_scratch, 0
	.set _ZN7rocprim17ROCPRIM_400000_NS6detail17trampoline_kernelINS0_14default_configENS1_22reduce_config_selectorIlEEZNS1_11reduce_implILb1ES3_N6thrust23THRUST_200600_302600_NS11hip_rocprim26transform_input_iterator_tIlNS8_12zip_iteratorINS8_5tupleINS8_6detail15normal_iteratorINS8_10device_ptrIiEEEESH_NS8_9null_typeESI_SI_SI_SI_SI_SI_SI_EEEENS9_21zip_adj_not_predicateI22is_equal_div_10_uniqueIiEEEEEPllNS8_4plusIlEEEE10hipError_tPvRmT1_T2_T3_mT4_P12ihipStream_tbEUlT_E1_NS1_11comp_targetILNS1_3genE2ELNS1_11target_archE906ELNS1_3gpuE6ELNS1_3repE0EEENS1_30default_config_static_selectorELNS0_4arch9wavefront6targetE1EEEvSW_.has_dyn_sized_stack, 0
	.set _ZN7rocprim17ROCPRIM_400000_NS6detail17trampoline_kernelINS0_14default_configENS1_22reduce_config_selectorIlEEZNS1_11reduce_implILb1ES3_N6thrust23THRUST_200600_302600_NS11hip_rocprim26transform_input_iterator_tIlNS8_12zip_iteratorINS8_5tupleINS8_6detail15normal_iteratorINS8_10device_ptrIiEEEESH_NS8_9null_typeESI_SI_SI_SI_SI_SI_SI_EEEENS9_21zip_adj_not_predicateI22is_equal_div_10_uniqueIiEEEEEPllNS8_4plusIlEEEE10hipError_tPvRmT1_T2_T3_mT4_P12ihipStream_tbEUlT_E1_NS1_11comp_targetILNS1_3genE2ELNS1_11target_archE906ELNS1_3gpuE6ELNS1_3repE0EEENS1_30default_config_static_selectorELNS0_4arch9wavefront6targetE1EEEvSW_.has_recursion, 0
	.set _ZN7rocprim17ROCPRIM_400000_NS6detail17trampoline_kernelINS0_14default_configENS1_22reduce_config_selectorIlEEZNS1_11reduce_implILb1ES3_N6thrust23THRUST_200600_302600_NS11hip_rocprim26transform_input_iterator_tIlNS8_12zip_iteratorINS8_5tupleINS8_6detail15normal_iteratorINS8_10device_ptrIiEEEESH_NS8_9null_typeESI_SI_SI_SI_SI_SI_SI_EEEENS9_21zip_adj_not_predicateI22is_equal_div_10_uniqueIiEEEEEPllNS8_4plusIlEEEE10hipError_tPvRmT1_T2_T3_mT4_P12ihipStream_tbEUlT_E1_NS1_11comp_targetILNS1_3genE2ELNS1_11target_archE906ELNS1_3gpuE6ELNS1_3repE0EEENS1_30default_config_static_selectorELNS0_4arch9wavefront6targetE1EEEvSW_.has_indirect_call, 0
	.section	.AMDGPU.csdata,"",@progbits
; Kernel info:
; codeLenInByte = 13656
; TotalNumSgprs: 38
; NumVgprs: 36
; ScratchSize: 0
; MemoryBound: 0
; FloatMode: 240
; IeeeMode: 1
; LDSByteSize: 192 bytes/workgroup (compile time only)
; SGPRBlocks: 4
; VGPRBlocks: 8
; NumSGPRsForWavesPerEU: 38
; NumVGPRsForWavesPerEU: 36
; Occupancy: 7
; WaveLimiterHint : 0
; COMPUTE_PGM_RSRC2:SCRATCH_EN: 0
; COMPUTE_PGM_RSRC2:USER_SGPR: 6
; COMPUTE_PGM_RSRC2:TRAP_HANDLER: 0
; COMPUTE_PGM_RSRC2:TGID_X_EN: 1
; COMPUTE_PGM_RSRC2:TGID_Y_EN: 0
; COMPUTE_PGM_RSRC2:TGID_Z_EN: 0
; COMPUTE_PGM_RSRC2:TIDIG_COMP_CNT: 0
	.section	.text._ZN7rocprim17ROCPRIM_400000_NS6detail17trampoline_kernelINS0_14default_configENS1_22reduce_config_selectorIlEEZNS1_11reduce_implILb1ES3_N6thrust23THRUST_200600_302600_NS11hip_rocprim26transform_input_iterator_tIlNS8_12zip_iteratorINS8_5tupleINS8_6detail15normal_iteratorINS8_10device_ptrIiEEEESH_NS8_9null_typeESI_SI_SI_SI_SI_SI_SI_EEEENS9_21zip_adj_not_predicateI22is_equal_div_10_uniqueIiEEEEEPllNS8_4plusIlEEEE10hipError_tPvRmT1_T2_T3_mT4_P12ihipStream_tbEUlT_E1_NS1_11comp_targetILNS1_3genE10ELNS1_11target_archE1201ELNS1_3gpuE5ELNS1_3repE0EEENS1_30default_config_static_selectorELNS0_4arch9wavefront6targetE1EEEvSW_,"axG",@progbits,_ZN7rocprim17ROCPRIM_400000_NS6detail17trampoline_kernelINS0_14default_configENS1_22reduce_config_selectorIlEEZNS1_11reduce_implILb1ES3_N6thrust23THRUST_200600_302600_NS11hip_rocprim26transform_input_iterator_tIlNS8_12zip_iteratorINS8_5tupleINS8_6detail15normal_iteratorINS8_10device_ptrIiEEEESH_NS8_9null_typeESI_SI_SI_SI_SI_SI_SI_EEEENS9_21zip_adj_not_predicateI22is_equal_div_10_uniqueIiEEEEEPllNS8_4plusIlEEEE10hipError_tPvRmT1_T2_T3_mT4_P12ihipStream_tbEUlT_E1_NS1_11comp_targetILNS1_3genE10ELNS1_11target_archE1201ELNS1_3gpuE5ELNS1_3repE0EEENS1_30default_config_static_selectorELNS0_4arch9wavefront6targetE1EEEvSW_,comdat
	.protected	_ZN7rocprim17ROCPRIM_400000_NS6detail17trampoline_kernelINS0_14default_configENS1_22reduce_config_selectorIlEEZNS1_11reduce_implILb1ES3_N6thrust23THRUST_200600_302600_NS11hip_rocprim26transform_input_iterator_tIlNS8_12zip_iteratorINS8_5tupleINS8_6detail15normal_iteratorINS8_10device_ptrIiEEEESH_NS8_9null_typeESI_SI_SI_SI_SI_SI_SI_EEEENS9_21zip_adj_not_predicateI22is_equal_div_10_uniqueIiEEEEEPllNS8_4plusIlEEEE10hipError_tPvRmT1_T2_T3_mT4_P12ihipStream_tbEUlT_E1_NS1_11comp_targetILNS1_3genE10ELNS1_11target_archE1201ELNS1_3gpuE5ELNS1_3repE0EEENS1_30default_config_static_selectorELNS0_4arch9wavefront6targetE1EEEvSW_ ; -- Begin function _ZN7rocprim17ROCPRIM_400000_NS6detail17trampoline_kernelINS0_14default_configENS1_22reduce_config_selectorIlEEZNS1_11reduce_implILb1ES3_N6thrust23THRUST_200600_302600_NS11hip_rocprim26transform_input_iterator_tIlNS8_12zip_iteratorINS8_5tupleINS8_6detail15normal_iteratorINS8_10device_ptrIiEEEESH_NS8_9null_typeESI_SI_SI_SI_SI_SI_SI_EEEENS9_21zip_adj_not_predicateI22is_equal_div_10_uniqueIiEEEEEPllNS8_4plusIlEEEE10hipError_tPvRmT1_T2_T3_mT4_P12ihipStream_tbEUlT_E1_NS1_11comp_targetILNS1_3genE10ELNS1_11target_archE1201ELNS1_3gpuE5ELNS1_3repE0EEENS1_30default_config_static_selectorELNS0_4arch9wavefront6targetE1EEEvSW_
	.globl	_ZN7rocprim17ROCPRIM_400000_NS6detail17trampoline_kernelINS0_14default_configENS1_22reduce_config_selectorIlEEZNS1_11reduce_implILb1ES3_N6thrust23THRUST_200600_302600_NS11hip_rocprim26transform_input_iterator_tIlNS8_12zip_iteratorINS8_5tupleINS8_6detail15normal_iteratorINS8_10device_ptrIiEEEESH_NS8_9null_typeESI_SI_SI_SI_SI_SI_SI_EEEENS9_21zip_adj_not_predicateI22is_equal_div_10_uniqueIiEEEEEPllNS8_4plusIlEEEE10hipError_tPvRmT1_T2_T3_mT4_P12ihipStream_tbEUlT_E1_NS1_11comp_targetILNS1_3genE10ELNS1_11target_archE1201ELNS1_3gpuE5ELNS1_3repE0EEENS1_30default_config_static_selectorELNS0_4arch9wavefront6targetE1EEEvSW_
	.p2align	8
	.type	_ZN7rocprim17ROCPRIM_400000_NS6detail17trampoline_kernelINS0_14default_configENS1_22reduce_config_selectorIlEEZNS1_11reduce_implILb1ES3_N6thrust23THRUST_200600_302600_NS11hip_rocprim26transform_input_iterator_tIlNS8_12zip_iteratorINS8_5tupleINS8_6detail15normal_iteratorINS8_10device_ptrIiEEEESH_NS8_9null_typeESI_SI_SI_SI_SI_SI_SI_EEEENS9_21zip_adj_not_predicateI22is_equal_div_10_uniqueIiEEEEEPllNS8_4plusIlEEEE10hipError_tPvRmT1_T2_T3_mT4_P12ihipStream_tbEUlT_E1_NS1_11comp_targetILNS1_3genE10ELNS1_11target_archE1201ELNS1_3gpuE5ELNS1_3repE0EEENS1_30default_config_static_selectorELNS0_4arch9wavefront6targetE1EEEvSW_,@function
_ZN7rocprim17ROCPRIM_400000_NS6detail17trampoline_kernelINS0_14default_configENS1_22reduce_config_selectorIlEEZNS1_11reduce_implILb1ES3_N6thrust23THRUST_200600_302600_NS11hip_rocprim26transform_input_iterator_tIlNS8_12zip_iteratorINS8_5tupleINS8_6detail15normal_iteratorINS8_10device_ptrIiEEEESH_NS8_9null_typeESI_SI_SI_SI_SI_SI_SI_EEEENS9_21zip_adj_not_predicateI22is_equal_div_10_uniqueIiEEEEEPllNS8_4plusIlEEEE10hipError_tPvRmT1_T2_T3_mT4_P12ihipStream_tbEUlT_E1_NS1_11comp_targetILNS1_3genE10ELNS1_11target_archE1201ELNS1_3gpuE5ELNS1_3repE0EEENS1_30default_config_static_selectorELNS0_4arch9wavefront6targetE1EEEvSW_: ; @_ZN7rocprim17ROCPRIM_400000_NS6detail17trampoline_kernelINS0_14default_configENS1_22reduce_config_selectorIlEEZNS1_11reduce_implILb1ES3_N6thrust23THRUST_200600_302600_NS11hip_rocprim26transform_input_iterator_tIlNS8_12zip_iteratorINS8_5tupleINS8_6detail15normal_iteratorINS8_10device_ptrIiEEEESH_NS8_9null_typeESI_SI_SI_SI_SI_SI_SI_EEEENS9_21zip_adj_not_predicateI22is_equal_div_10_uniqueIiEEEEEPllNS8_4plusIlEEEE10hipError_tPvRmT1_T2_T3_mT4_P12ihipStream_tbEUlT_E1_NS1_11comp_targetILNS1_3genE10ELNS1_11target_archE1201ELNS1_3gpuE5ELNS1_3repE0EEENS1_30default_config_static_selectorELNS0_4arch9wavefront6targetE1EEEvSW_
; %bb.0:
	.section	.rodata,"a",@progbits
	.p2align	6, 0x0
	.amdhsa_kernel _ZN7rocprim17ROCPRIM_400000_NS6detail17trampoline_kernelINS0_14default_configENS1_22reduce_config_selectorIlEEZNS1_11reduce_implILb1ES3_N6thrust23THRUST_200600_302600_NS11hip_rocprim26transform_input_iterator_tIlNS8_12zip_iteratorINS8_5tupleINS8_6detail15normal_iteratorINS8_10device_ptrIiEEEESH_NS8_9null_typeESI_SI_SI_SI_SI_SI_SI_EEEENS9_21zip_adj_not_predicateI22is_equal_div_10_uniqueIiEEEEEPllNS8_4plusIlEEEE10hipError_tPvRmT1_T2_T3_mT4_P12ihipStream_tbEUlT_E1_NS1_11comp_targetILNS1_3genE10ELNS1_11target_archE1201ELNS1_3gpuE5ELNS1_3repE0EEENS1_30default_config_static_selectorELNS0_4arch9wavefront6targetE1EEEvSW_
		.amdhsa_group_segment_fixed_size 0
		.amdhsa_private_segment_fixed_size 0
		.amdhsa_kernarg_size 64
		.amdhsa_user_sgpr_count 6
		.amdhsa_user_sgpr_private_segment_buffer 1
		.amdhsa_user_sgpr_dispatch_ptr 0
		.amdhsa_user_sgpr_queue_ptr 0
		.amdhsa_user_sgpr_kernarg_segment_ptr 1
		.amdhsa_user_sgpr_dispatch_id 0
		.amdhsa_user_sgpr_flat_scratch_init 0
		.amdhsa_user_sgpr_private_segment_size 0
		.amdhsa_uses_dynamic_stack 0
		.amdhsa_system_sgpr_private_segment_wavefront_offset 0
		.amdhsa_system_sgpr_workgroup_id_x 1
		.amdhsa_system_sgpr_workgroup_id_y 0
		.amdhsa_system_sgpr_workgroup_id_z 0
		.amdhsa_system_sgpr_workgroup_info 0
		.amdhsa_system_vgpr_workitem_id 0
		.amdhsa_next_free_vgpr 1
		.amdhsa_next_free_sgpr 0
		.amdhsa_reserve_vcc 0
		.amdhsa_reserve_flat_scratch 0
		.amdhsa_float_round_mode_32 0
		.amdhsa_float_round_mode_16_64 0
		.amdhsa_float_denorm_mode_32 3
		.amdhsa_float_denorm_mode_16_64 3
		.amdhsa_dx10_clamp 1
		.amdhsa_ieee_mode 1
		.amdhsa_fp16_overflow 0
		.amdhsa_exception_fp_ieee_invalid_op 0
		.amdhsa_exception_fp_denorm_src 0
		.amdhsa_exception_fp_ieee_div_zero 0
		.amdhsa_exception_fp_ieee_overflow 0
		.amdhsa_exception_fp_ieee_underflow 0
		.amdhsa_exception_fp_ieee_inexact 0
		.amdhsa_exception_int_div_zero 0
	.end_amdhsa_kernel
	.section	.text._ZN7rocprim17ROCPRIM_400000_NS6detail17trampoline_kernelINS0_14default_configENS1_22reduce_config_selectorIlEEZNS1_11reduce_implILb1ES3_N6thrust23THRUST_200600_302600_NS11hip_rocprim26transform_input_iterator_tIlNS8_12zip_iteratorINS8_5tupleINS8_6detail15normal_iteratorINS8_10device_ptrIiEEEESH_NS8_9null_typeESI_SI_SI_SI_SI_SI_SI_EEEENS9_21zip_adj_not_predicateI22is_equal_div_10_uniqueIiEEEEEPllNS8_4plusIlEEEE10hipError_tPvRmT1_T2_T3_mT4_P12ihipStream_tbEUlT_E1_NS1_11comp_targetILNS1_3genE10ELNS1_11target_archE1201ELNS1_3gpuE5ELNS1_3repE0EEENS1_30default_config_static_selectorELNS0_4arch9wavefront6targetE1EEEvSW_,"axG",@progbits,_ZN7rocprim17ROCPRIM_400000_NS6detail17trampoline_kernelINS0_14default_configENS1_22reduce_config_selectorIlEEZNS1_11reduce_implILb1ES3_N6thrust23THRUST_200600_302600_NS11hip_rocprim26transform_input_iterator_tIlNS8_12zip_iteratorINS8_5tupleINS8_6detail15normal_iteratorINS8_10device_ptrIiEEEESH_NS8_9null_typeESI_SI_SI_SI_SI_SI_SI_EEEENS9_21zip_adj_not_predicateI22is_equal_div_10_uniqueIiEEEEEPllNS8_4plusIlEEEE10hipError_tPvRmT1_T2_T3_mT4_P12ihipStream_tbEUlT_E1_NS1_11comp_targetILNS1_3genE10ELNS1_11target_archE1201ELNS1_3gpuE5ELNS1_3repE0EEENS1_30default_config_static_selectorELNS0_4arch9wavefront6targetE1EEEvSW_,comdat
.Lfunc_end991:
	.size	_ZN7rocprim17ROCPRIM_400000_NS6detail17trampoline_kernelINS0_14default_configENS1_22reduce_config_selectorIlEEZNS1_11reduce_implILb1ES3_N6thrust23THRUST_200600_302600_NS11hip_rocprim26transform_input_iterator_tIlNS8_12zip_iteratorINS8_5tupleINS8_6detail15normal_iteratorINS8_10device_ptrIiEEEESH_NS8_9null_typeESI_SI_SI_SI_SI_SI_SI_EEEENS9_21zip_adj_not_predicateI22is_equal_div_10_uniqueIiEEEEEPllNS8_4plusIlEEEE10hipError_tPvRmT1_T2_T3_mT4_P12ihipStream_tbEUlT_E1_NS1_11comp_targetILNS1_3genE10ELNS1_11target_archE1201ELNS1_3gpuE5ELNS1_3repE0EEENS1_30default_config_static_selectorELNS0_4arch9wavefront6targetE1EEEvSW_, .Lfunc_end991-_ZN7rocprim17ROCPRIM_400000_NS6detail17trampoline_kernelINS0_14default_configENS1_22reduce_config_selectorIlEEZNS1_11reduce_implILb1ES3_N6thrust23THRUST_200600_302600_NS11hip_rocprim26transform_input_iterator_tIlNS8_12zip_iteratorINS8_5tupleINS8_6detail15normal_iteratorINS8_10device_ptrIiEEEESH_NS8_9null_typeESI_SI_SI_SI_SI_SI_SI_EEEENS9_21zip_adj_not_predicateI22is_equal_div_10_uniqueIiEEEEEPllNS8_4plusIlEEEE10hipError_tPvRmT1_T2_T3_mT4_P12ihipStream_tbEUlT_E1_NS1_11comp_targetILNS1_3genE10ELNS1_11target_archE1201ELNS1_3gpuE5ELNS1_3repE0EEENS1_30default_config_static_selectorELNS0_4arch9wavefront6targetE1EEEvSW_
                                        ; -- End function
	.set _ZN7rocprim17ROCPRIM_400000_NS6detail17trampoline_kernelINS0_14default_configENS1_22reduce_config_selectorIlEEZNS1_11reduce_implILb1ES3_N6thrust23THRUST_200600_302600_NS11hip_rocprim26transform_input_iterator_tIlNS8_12zip_iteratorINS8_5tupleINS8_6detail15normal_iteratorINS8_10device_ptrIiEEEESH_NS8_9null_typeESI_SI_SI_SI_SI_SI_SI_EEEENS9_21zip_adj_not_predicateI22is_equal_div_10_uniqueIiEEEEEPllNS8_4plusIlEEEE10hipError_tPvRmT1_T2_T3_mT4_P12ihipStream_tbEUlT_E1_NS1_11comp_targetILNS1_3genE10ELNS1_11target_archE1201ELNS1_3gpuE5ELNS1_3repE0EEENS1_30default_config_static_selectorELNS0_4arch9wavefront6targetE1EEEvSW_.num_vgpr, 0
	.set _ZN7rocprim17ROCPRIM_400000_NS6detail17trampoline_kernelINS0_14default_configENS1_22reduce_config_selectorIlEEZNS1_11reduce_implILb1ES3_N6thrust23THRUST_200600_302600_NS11hip_rocprim26transform_input_iterator_tIlNS8_12zip_iteratorINS8_5tupleINS8_6detail15normal_iteratorINS8_10device_ptrIiEEEESH_NS8_9null_typeESI_SI_SI_SI_SI_SI_SI_EEEENS9_21zip_adj_not_predicateI22is_equal_div_10_uniqueIiEEEEEPllNS8_4plusIlEEEE10hipError_tPvRmT1_T2_T3_mT4_P12ihipStream_tbEUlT_E1_NS1_11comp_targetILNS1_3genE10ELNS1_11target_archE1201ELNS1_3gpuE5ELNS1_3repE0EEENS1_30default_config_static_selectorELNS0_4arch9wavefront6targetE1EEEvSW_.num_agpr, 0
	.set _ZN7rocprim17ROCPRIM_400000_NS6detail17trampoline_kernelINS0_14default_configENS1_22reduce_config_selectorIlEEZNS1_11reduce_implILb1ES3_N6thrust23THRUST_200600_302600_NS11hip_rocprim26transform_input_iterator_tIlNS8_12zip_iteratorINS8_5tupleINS8_6detail15normal_iteratorINS8_10device_ptrIiEEEESH_NS8_9null_typeESI_SI_SI_SI_SI_SI_SI_EEEENS9_21zip_adj_not_predicateI22is_equal_div_10_uniqueIiEEEEEPllNS8_4plusIlEEEE10hipError_tPvRmT1_T2_T3_mT4_P12ihipStream_tbEUlT_E1_NS1_11comp_targetILNS1_3genE10ELNS1_11target_archE1201ELNS1_3gpuE5ELNS1_3repE0EEENS1_30default_config_static_selectorELNS0_4arch9wavefront6targetE1EEEvSW_.numbered_sgpr, 0
	.set _ZN7rocprim17ROCPRIM_400000_NS6detail17trampoline_kernelINS0_14default_configENS1_22reduce_config_selectorIlEEZNS1_11reduce_implILb1ES3_N6thrust23THRUST_200600_302600_NS11hip_rocprim26transform_input_iterator_tIlNS8_12zip_iteratorINS8_5tupleINS8_6detail15normal_iteratorINS8_10device_ptrIiEEEESH_NS8_9null_typeESI_SI_SI_SI_SI_SI_SI_EEEENS9_21zip_adj_not_predicateI22is_equal_div_10_uniqueIiEEEEEPllNS8_4plusIlEEEE10hipError_tPvRmT1_T2_T3_mT4_P12ihipStream_tbEUlT_E1_NS1_11comp_targetILNS1_3genE10ELNS1_11target_archE1201ELNS1_3gpuE5ELNS1_3repE0EEENS1_30default_config_static_selectorELNS0_4arch9wavefront6targetE1EEEvSW_.num_named_barrier, 0
	.set _ZN7rocprim17ROCPRIM_400000_NS6detail17trampoline_kernelINS0_14default_configENS1_22reduce_config_selectorIlEEZNS1_11reduce_implILb1ES3_N6thrust23THRUST_200600_302600_NS11hip_rocprim26transform_input_iterator_tIlNS8_12zip_iteratorINS8_5tupleINS8_6detail15normal_iteratorINS8_10device_ptrIiEEEESH_NS8_9null_typeESI_SI_SI_SI_SI_SI_SI_EEEENS9_21zip_adj_not_predicateI22is_equal_div_10_uniqueIiEEEEEPllNS8_4plusIlEEEE10hipError_tPvRmT1_T2_T3_mT4_P12ihipStream_tbEUlT_E1_NS1_11comp_targetILNS1_3genE10ELNS1_11target_archE1201ELNS1_3gpuE5ELNS1_3repE0EEENS1_30default_config_static_selectorELNS0_4arch9wavefront6targetE1EEEvSW_.private_seg_size, 0
	.set _ZN7rocprim17ROCPRIM_400000_NS6detail17trampoline_kernelINS0_14default_configENS1_22reduce_config_selectorIlEEZNS1_11reduce_implILb1ES3_N6thrust23THRUST_200600_302600_NS11hip_rocprim26transform_input_iterator_tIlNS8_12zip_iteratorINS8_5tupleINS8_6detail15normal_iteratorINS8_10device_ptrIiEEEESH_NS8_9null_typeESI_SI_SI_SI_SI_SI_SI_EEEENS9_21zip_adj_not_predicateI22is_equal_div_10_uniqueIiEEEEEPllNS8_4plusIlEEEE10hipError_tPvRmT1_T2_T3_mT4_P12ihipStream_tbEUlT_E1_NS1_11comp_targetILNS1_3genE10ELNS1_11target_archE1201ELNS1_3gpuE5ELNS1_3repE0EEENS1_30default_config_static_selectorELNS0_4arch9wavefront6targetE1EEEvSW_.uses_vcc, 0
	.set _ZN7rocprim17ROCPRIM_400000_NS6detail17trampoline_kernelINS0_14default_configENS1_22reduce_config_selectorIlEEZNS1_11reduce_implILb1ES3_N6thrust23THRUST_200600_302600_NS11hip_rocprim26transform_input_iterator_tIlNS8_12zip_iteratorINS8_5tupleINS8_6detail15normal_iteratorINS8_10device_ptrIiEEEESH_NS8_9null_typeESI_SI_SI_SI_SI_SI_SI_EEEENS9_21zip_adj_not_predicateI22is_equal_div_10_uniqueIiEEEEEPllNS8_4plusIlEEEE10hipError_tPvRmT1_T2_T3_mT4_P12ihipStream_tbEUlT_E1_NS1_11comp_targetILNS1_3genE10ELNS1_11target_archE1201ELNS1_3gpuE5ELNS1_3repE0EEENS1_30default_config_static_selectorELNS0_4arch9wavefront6targetE1EEEvSW_.uses_flat_scratch, 0
	.set _ZN7rocprim17ROCPRIM_400000_NS6detail17trampoline_kernelINS0_14default_configENS1_22reduce_config_selectorIlEEZNS1_11reduce_implILb1ES3_N6thrust23THRUST_200600_302600_NS11hip_rocprim26transform_input_iterator_tIlNS8_12zip_iteratorINS8_5tupleINS8_6detail15normal_iteratorINS8_10device_ptrIiEEEESH_NS8_9null_typeESI_SI_SI_SI_SI_SI_SI_EEEENS9_21zip_adj_not_predicateI22is_equal_div_10_uniqueIiEEEEEPllNS8_4plusIlEEEE10hipError_tPvRmT1_T2_T3_mT4_P12ihipStream_tbEUlT_E1_NS1_11comp_targetILNS1_3genE10ELNS1_11target_archE1201ELNS1_3gpuE5ELNS1_3repE0EEENS1_30default_config_static_selectorELNS0_4arch9wavefront6targetE1EEEvSW_.has_dyn_sized_stack, 0
	.set _ZN7rocprim17ROCPRIM_400000_NS6detail17trampoline_kernelINS0_14default_configENS1_22reduce_config_selectorIlEEZNS1_11reduce_implILb1ES3_N6thrust23THRUST_200600_302600_NS11hip_rocprim26transform_input_iterator_tIlNS8_12zip_iteratorINS8_5tupleINS8_6detail15normal_iteratorINS8_10device_ptrIiEEEESH_NS8_9null_typeESI_SI_SI_SI_SI_SI_SI_EEEENS9_21zip_adj_not_predicateI22is_equal_div_10_uniqueIiEEEEEPllNS8_4plusIlEEEE10hipError_tPvRmT1_T2_T3_mT4_P12ihipStream_tbEUlT_E1_NS1_11comp_targetILNS1_3genE10ELNS1_11target_archE1201ELNS1_3gpuE5ELNS1_3repE0EEENS1_30default_config_static_selectorELNS0_4arch9wavefront6targetE1EEEvSW_.has_recursion, 0
	.set _ZN7rocprim17ROCPRIM_400000_NS6detail17trampoline_kernelINS0_14default_configENS1_22reduce_config_selectorIlEEZNS1_11reduce_implILb1ES3_N6thrust23THRUST_200600_302600_NS11hip_rocprim26transform_input_iterator_tIlNS8_12zip_iteratorINS8_5tupleINS8_6detail15normal_iteratorINS8_10device_ptrIiEEEESH_NS8_9null_typeESI_SI_SI_SI_SI_SI_SI_EEEENS9_21zip_adj_not_predicateI22is_equal_div_10_uniqueIiEEEEEPllNS8_4plusIlEEEE10hipError_tPvRmT1_T2_T3_mT4_P12ihipStream_tbEUlT_E1_NS1_11comp_targetILNS1_3genE10ELNS1_11target_archE1201ELNS1_3gpuE5ELNS1_3repE0EEENS1_30default_config_static_selectorELNS0_4arch9wavefront6targetE1EEEvSW_.has_indirect_call, 0
	.section	.AMDGPU.csdata,"",@progbits
; Kernel info:
; codeLenInByte = 0
; TotalNumSgprs: 4
; NumVgprs: 0
; ScratchSize: 0
; MemoryBound: 0
; FloatMode: 240
; IeeeMode: 1
; LDSByteSize: 0 bytes/workgroup (compile time only)
; SGPRBlocks: 0
; VGPRBlocks: 0
; NumSGPRsForWavesPerEU: 4
; NumVGPRsForWavesPerEU: 1
; Occupancy: 10
; WaveLimiterHint : 0
; COMPUTE_PGM_RSRC2:SCRATCH_EN: 0
; COMPUTE_PGM_RSRC2:USER_SGPR: 6
; COMPUTE_PGM_RSRC2:TRAP_HANDLER: 0
; COMPUTE_PGM_RSRC2:TGID_X_EN: 1
; COMPUTE_PGM_RSRC2:TGID_Y_EN: 0
; COMPUTE_PGM_RSRC2:TGID_Z_EN: 0
; COMPUTE_PGM_RSRC2:TIDIG_COMP_CNT: 0
	.section	.text._ZN7rocprim17ROCPRIM_400000_NS6detail17trampoline_kernelINS0_14default_configENS1_22reduce_config_selectorIlEEZNS1_11reduce_implILb1ES3_N6thrust23THRUST_200600_302600_NS11hip_rocprim26transform_input_iterator_tIlNS8_12zip_iteratorINS8_5tupleINS8_6detail15normal_iteratorINS8_10device_ptrIiEEEESH_NS8_9null_typeESI_SI_SI_SI_SI_SI_SI_EEEENS9_21zip_adj_not_predicateI22is_equal_div_10_uniqueIiEEEEEPllNS8_4plusIlEEEE10hipError_tPvRmT1_T2_T3_mT4_P12ihipStream_tbEUlT_E1_NS1_11comp_targetILNS1_3genE10ELNS1_11target_archE1200ELNS1_3gpuE4ELNS1_3repE0EEENS1_30default_config_static_selectorELNS0_4arch9wavefront6targetE1EEEvSW_,"axG",@progbits,_ZN7rocprim17ROCPRIM_400000_NS6detail17trampoline_kernelINS0_14default_configENS1_22reduce_config_selectorIlEEZNS1_11reduce_implILb1ES3_N6thrust23THRUST_200600_302600_NS11hip_rocprim26transform_input_iterator_tIlNS8_12zip_iteratorINS8_5tupleINS8_6detail15normal_iteratorINS8_10device_ptrIiEEEESH_NS8_9null_typeESI_SI_SI_SI_SI_SI_SI_EEEENS9_21zip_adj_not_predicateI22is_equal_div_10_uniqueIiEEEEEPllNS8_4plusIlEEEE10hipError_tPvRmT1_T2_T3_mT4_P12ihipStream_tbEUlT_E1_NS1_11comp_targetILNS1_3genE10ELNS1_11target_archE1200ELNS1_3gpuE4ELNS1_3repE0EEENS1_30default_config_static_selectorELNS0_4arch9wavefront6targetE1EEEvSW_,comdat
	.protected	_ZN7rocprim17ROCPRIM_400000_NS6detail17trampoline_kernelINS0_14default_configENS1_22reduce_config_selectorIlEEZNS1_11reduce_implILb1ES3_N6thrust23THRUST_200600_302600_NS11hip_rocprim26transform_input_iterator_tIlNS8_12zip_iteratorINS8_5tupleINS8_6detail15normal_iteratorINS8_10device_ptrIiEEEESH_NS8_9null_typeESI_SI_SI_SI_SI_SI_SI_EEEENS9_21zip_adj_not_predicateI22is_equal_div_10_uniqueIiEEEEEPllNS8_4plusIlEEEE10hipError_tPvRmT1_T2_T3_mT4_P12ihipStream_tbEUlT_E1_NS1_11comp_targetILNS1_3genE10ELNS1_11target_archE1200ELNS1_3gpuE4ELNS1_3repE0EEENS1_30default_config_static_selectorELNS0_4arch9wavefront6targetE1EEEvSW_ ; -- Begin function _ZN7rocprim17ROCPRIM_400000_NS6detail17trampoline_kernelINS0_14default_configENS1_22reduce_config_selectorIlEEZNS1_11reduce_implILb1ES3_N6thrust23THRUST_200600_302600_NS11hip_rocprim26transform_input_iterator_tIlNS8_12zip_iteratorINS8_5tupleINS8_6detail15normal_iteratorINS8_10device_ptrIiEEEESH_NS8_9null_typeESI_SI_SI_SI_SI_SI_SI_EEEENS9_21zip_adj_not_predicateI22is_equal_div_10_uniqueIiEEEEEPllNS8_4plusIlEEEE10hipError_tPvRmT1_T2_T3_mT4_P12ihipStream_tbEUlT_E1_NS1_11comp_targetILNS1_3genE10ELNS1_11target_archE1200ELNS1_3gpuE4ELNS1_3repE0EEENS1_30default_config_static_selectorELNS0_4arch9wavefront6targetE1EEEvSW_
	.globl	_ZN7rocprim17ROCPRIM_400000_NS6detail17trampoline_kernelINS0_14default_configENS1_22reduce_config_selectorIlEEZNS1_11reduce_implILb1ES3_N6thrust23THRUST_200600_302600_NS11hip_rocprim26transform_input_iterator_tIlNS8_12zip_iteratorINS8_5tupleINS8_6detail15normal_iteratorINS8_10device_ptrIiEEEESH_NS8_9null_typeESI_SI_SI_SI_SI_SI_SI_EEEENS9_21zip_adj_not_predicateI22is_equal_div_10_uniqueIiEEEEEPllNS8_4plusIlEEEE10hipError_tPvRmT1_T2_T3_mT4_P12ihipStream_tbEUlT_E1_NS1_11comp_targetILNS1_3genE10ELNS1_11target_archE1200ELNS1_3gpuE4ELNS1_3repE0EEENS1_30default_config_static_selectorELNS0_4arch9wavefront6targetE1EEEvSW_
	.p2align	8
	.type	_ZN7rocprim17ROCPRIM_400000_NS6detail17trampoline_kernelINS0_14default_configENS1_22reduce_config_selectorIlEEZNS1_11reduce_implILb1ES3_N6thrust23THRUST_200600_302600_NS11hip_rocprim26transform_input_iterator_tIlNS8_12zip_iteratorINS8_5tupleINS8_6detail15normal_iteratorINS8_10device_ptrIiEEEESH_NS8_9null_typeESI_SI_SI_SI_SI_SI_SI_EEEENS9_21zip_adj_not_predicateI22is_equal_div_10_uniqueIiEEEEEPllNS8_4plusIlEEEE10hipError_tPvRmT1_T2_T3_mT4_P12ihipStream_tbEUlT_E1_NS1_11comp_targetILNS1_3genE10ELNS1_11target_archE1200ELNS1_3gpuE4ELNS1_3repE0EEENS1_30default_config_static_selectorELNS0_4arch9wavefront6targetE1EEEvSW_,@function
_ZN7rocprim17ROCPRIM_400000_NS6detail17trampoline_kernelINS0_14default_configENS1_22reduce_config_selectorIlEEZNS1_11reduce_implILb1ES3_N6thrust23THRUST_200600_302600_NS11hip_rocprim26transform_input_iterator_tIlNS8_12zip_iteratorINS8_5tupleINS8_6detail15normal_iteratorINS8_10device_ptrIiEEEESH_NS8_9null_typeESI_SI_SI_SI_SI_SI_SI_EEEENS9_21zip_adj_not_predicateI22is_equal_div_10_uniqueIiEEEEEPllNS8_4plusIlEEEE10hipError_tPvRmT1_T2_T3_mT4_P12ihipStream_tbEUlT_E1_NS1_11comp_targetILNS1_3genE10ELNS1_11target_archE1200ELNS1_3gpuE4ELNS1_3repE0EEENS1_30default_config_static_selectorELNS0_4arch9wavefront6targetE1EEEvSW_: ; @_ZN7rocprim17ROCPRIM_400000_NS6detail17trampoline_kernelINS0_14default_configENS1_22reduce_config_selectorIlEEZNS1_11reduce_implILb1ES3_N6thrust23THRUST_200600_302600_NS11hip_rocprim26transform_input_iterator_tIlNS8_12zip_iteratorINS8_5tupleINS8_6detail15normal_iteratorINS8_10device_ptrIiEEEESH_NS8_9null_typeESI_SI_SI_SI_SI_SI_SI_EEEENS9_21zip_adj_not_predicateI22is_equal_div_10_uniqueIiEEEEEPllNS8_4plusIlEEEE10hipError_tPvRmT1_T2_T3_mT4_P12ihipStream_tbEUlT_E1_NS1_11comp_targetILNS1_3genE10ELNS1_11target_archE1200ELNS1_3gpuE4ELNS1_3repE0EEENS1_30default_config_static_selectorELNS0_4arch9wavefront6targetE1EEEvSW_
; %bb.0:
	.section	.rodata,"a",@progbits
	.p2align	6, 0x0
	.amdhsa_kernel _ZN7rocprim17ROCPRIM_400000_NS6detail17trampoline_kernelINS0_14default_configENS1_22reduce_config_selectorIlEEZNS1_11reduce_implILb1ES3_N6thrust23THRUST_200600_302600_NS11hip_rocprim26transform_input_iterator_tIlNS8_12zip_iteratorINS8_5tupleINS8_6detail15normal_iteratorINS8_10device_ptrIiEEEESH_NS8_9null_typeESI_SI_SI_SI_SI_SI_SI_EEEENS9_21zip_adj_not_predicateI22is_equal_div_10_uniqueIiEEEEEPllNS8_4plusIlEEEE10hipError_tPvRmT1_T2_T3_mT4_P12ihipStream_tbEUlT_E1_NS1_11comp_targetILNS1_3genE10ELNS1_11target_archE1200ELNS1_3gpuE4ELNS1_3repE0EEENS1_30default_config_static_selectorELNS0_4arch9wavefront6targetE1EEEvSW_
		.amdhsa_group_segment_fixed_size 0
		.amdhsa_private_segment_fixed_size 0
		.amdhsa_kernarg_size 64
		.amdhsa_user_sgpr_count 6
		.amdhsa_user_sgpr_private_segment_buffer 1
		.amdhsa_user_sgpr_dispatch_ptr 0
		.amdhsa_user_sgpr_queue_ptr 0
		.amdhsa_user_sgpr_kernarg_segment_ptr 1
		.amdhsa_user_sgpr_dispatch_id 0
		.amdhsa_user_sgpr_flat_scratch_init 0
		.amdhsa_user_sgpr_private_segment_size 0
		.amdhsa_uses_dynamic_stack 0
		.amdhsa_system_sgpr_private_segment_wavefront_offset 0
		.amdhsa_system_sgpr_workgroup_id_x 1
		.amdhsa_system_sgpr_workgroup_id_y 0
		.amdhsa_system_sgpr_workgroup_id_z 0
		.amdhsa_system_sgpr_workgroup_info 0
		.amdhsa_system_vgpr_workitem_id 0
		.amdhsa_next_free_vgpr 1
		.amdhsa_next_free_sgpr 0
		.amdhsa_reserve_vcc 0
		.amdhsa_reserve_flat_scratch 0
		.amdhsa_float_round_mode_32 0
		.amdhsa_float_round_mode_16_64 0
		.amdhsa_float_denorm_mode_32 3
		.amdhsa_float_denorm_mode_16_64 3
		.amdhsa_dx10_clamp 1
		.amdhsa_ieee_mode 1
		.amdhsa_fp16_overflow 0
		.amdhsa_exception_fp_ieee_invalid_op 0
		.amdhsa_exception_fp_denorm_src 0
		.amdhsa_exception_fp_ieee_div_zero 0
		.amdhsa_exception_fp_ieee_overflow 0
		.amdhsa_exception_fp_ieee_underflow 0
		.amdhsa_exception_fp_ieee_inexact 0
		.amdhsa_exception_int_div_zero 0
	.end_amdhsa_kernel
	.section	.text._ZN7rocprim17ROCPRIM_400000_NS6detail17trampoline_kernelINS0_14default_configENS1_22reduce_config_selectorIlEEZNS1_11reduce_implILb1ES3_N6thrust23THRUST_200600_302600_NS11hip_rocprim26transform_input_iterator_tIlNS8_12zip_iteratorINS8_5tupleINS8_6detail15normal_iteratorINS8_10device_ptrIiEEEESH_NS8_9null_typeESI_SI_SI_SI_SI_SI_SI_EEEENS9_21zip_adj_not_predicateI22is_equal_div_10_uniqueIiEEEEEPllNS8_4plusIlEEEE10hipError_tPvRmT1_T2_T3_mT4_P12ihipStream_tbEUlT_E1_NS1_11comp_targetILNS1_3genE10ELNS1_11target_archE1200ELNS1_3gpuE4ELNS1_3repE0EEENS1_30default_config_static_selectorELNS0_4arch9wavefront6targetE1EEEvSW_,"axG",@progbits,_ZN7rocprim17ROCPRIM_400000_NS6detail17trampoline_kernelINS0_14default_configENS1_22reduce_config_selectorIlEEZNS1_11reduce_implILb1ES3_N6thrust23THRUST_200600_302600_NS11hip_rocprim26transform_input_iterator_tIlNS8_12zip_iteratorINS8_5tupleINS8_6detail15normal_iteratorINS8_10device_ptrIiEEEESH_NS8_9null_typeESI_SI_SI_SI_SI_SI_SI_EEEENS9_21zip_adj_not_predicateI22is_equal_div_10_uniqueIiEEEEEPllNS8_4plusIlEEEE10hipError_tPvRmT1_T2_T3_mT4_P12ihipStream_tbEUlT_E1_NS1_11comp_targetILNS1_3genE10ELNS1_11target_archE1200ELNS1_3gpuE4ELNS1_3repE0EEENS1_30default_config_static_selectorELNS0_4arch9wavefront6targetE1EEEvSW_,comdat
.Lfunc_end992:
	.size	_ZN7rocprim17ROCPRIM_400000_NS6detail17trampoline_kernelINS0_14default_configENS1_22reduce_config_selectorIlEEZNS1_11reduce_implILb1ES3_N6thrust23THRUST_200600_302600_NS11hip_rocprim26transform_input_iterator_tIlNS8_12zip_iteratorINS8_5tupleINS8_6detail15normal_iteratorINS8_10device_ptrIiEEEESH_NS8_9null_typeESI_SI_SI_SI_SI_SI_SI_EEEENS9_21zip_adj_not_predicateI22is_equal_div_10_uniqueIiEEEEEPllNS8_4plusIlEEEE10hipError_tPvRmT1_T2_T3_mT4_P12ihipStream_tbEUlT_E1_NS1_11comp_targetILNS1_3genE10ELNS1_11target_archE1200ELNS1_3gpuE4ELNS1_3repE0EEENS1_30default_config_static_selectorELNS0_4arch9wavefront6targetE1EEEvSW_, .Lfunc_end992-_ZN7rocprim17ROCPRIM_400000_NS6detail17trampoline_kernelINS0_14default_configENS1_22reduce_config_selectorIlEEZNS1_11reduce_implILb1ES3_N6thrust23THRUST_200600_302600_NS11hip_rocprim26transform_input_iterator_tIlNS8_12zip_iteratorINS8_5tupleINS8_6detail15normal_iteratorINS8_10device_ptrIiEEEESH_NS8_9null_typeESI_SI_SI_SI_SI_SI_SI_EEEENS9_21zip_adj_not_predicateI22is_equal_div_10_uniqueIiEEEEEPllNS8_4plusIlEEEE10hipError_tPvRmT1_T2_T3_mT4_P12ihipStream_tbEUlT_E1_NS1_11comp_targetILNS1_3genE10ELNS1_11target_archE1200ELNS1_3gpuE4ELNS1_3repE0EEENS1_30default_config_static_selectorELNS0_4arch9wavefront6targetE1EEEvSW_
                                        ; -- End function
	.set _ZN7rocprim17ROCPRIM_400000_NS6detail17trampoline_kernelINS0_14default_configENS1_22reduce_config_selectorIlEEZNS1_11reduce_implILb1ES3_N6thrust23THRUST_200600_302600_NS11hip_rocprim26transform_input_iterator_tIlNS8_12zip_iteratorINS8_5tupleINS8_6detail15normal_iteratorINS8_10device_ptrIiEEEESH_NS8_9null_typeESI_SI_SI_SI_SI_SI_SI_EEEENS9_21zip_adj_not_predicateI22is_equal_div_10_uniqueIiEEEEEPllNS8_4plusIlEEEE10hipError_tPvRmT1_T2_T3_mT4_P12ihipStream_tbEUlT_E1_NS1_11comp_targetILNS1_3genE10ELNS1_11target_archE1200ELNS1_3gpuE4ELNS1_3repE0EEENS1_30default_config_static_selectorELNS0_4arch9wavefront6targetE1EEEvSW_.num_vgpr, 0
	.set _ZN7rocprim17ROCPRIM_400000_NS6detail17trampoline_kernelINS0_14default_configENS1_22reduce_config_selectorIlEEZNS1_11reduce_implILb1ES3_N6thrust23THRUST_200600_302600_NS11hip_rocprim26transform_input_iterator_tIlNS8_12zip_iteratorINS8_5tupleINS8_6detail15normal_iteratorINS8_10device_ptrIiEEEESH_NS8_9null_typeESI_SI_SI_SI_SI_SI_SI_EEEENS9_21zip_adj_not_predicateI22is_equal_div_10_uniqueIiEEEEEPllNS8_4plusIlEEEE10hipError_tPvRmT1_T2_T3_mT4_P12ihipStream_tbEUlT_E1_NS1_11comp_targetILNS1_3genE10ELNS1_11target_archE1200ELNS1_3gpuE4ELNS1_3repE0EEENS1_30default_config_static_selectorELNS0_4arch9wavefront6targetE1EEEvSW_.num_agpr, 0
	.set _ZN7rocprim17ROCPRIM_400000_NS6detail17trampoline_kernelINS0_14default_configENS1_22reduce_config_selectorIlEEZNS1_11reduce_implILb1ES3_N6thrust23THRUST_200600_302600_NS11hip_rocprim26transform_input_iterator_tIlNS8_12zip_iteratorINS8_5tupleINS8_6detail15normal_iteratorINS8_10device_ptrIiEEEESH_NS8_9null_typeESI_SI_SI_SI_SI_SI_SI_EEEENS9_21zip_adj_not_predicateI22is_equal_div_10_uniqueIiEEEEEPllNS8_4plusIlEEEE10hipError_tPvRmT1_T2_T3_mT4_P12ihipStream_tbEUlT_E1_NS1_11comp_targetILNS1_3genE10ELNS1_11target_archE1200ELNS1_3gpuE4ELNS1_3repE0EEENS1_30default_config_static_selectorELNS0_4arch9wavefront6targetE1EEEvSW_.numbered_sgpr, 0
	.set _ZN7rocprim17ROCPRIM_400000_NS6detail17trampoline_kernelINS0_14default_configENS1_22reduce_config_selectorIlEEZNS1_11reduce_implILb1ES3_N6thrust23THRUST_200600_302600_NS11hip_rocprim26transform_input_iterator_tIlNS8_12zip_iteratorINS8_5tupleINS8_6detail15normal_iteratorINS8_10device_ptrIiEEEESH_NS8_9null_typeESI_SI_SI_SI_SI_SI_SI_EEEENS9_21zip_adj_not_predicateI22is_equal_div_10_uniqueIiEEEEEPllNS8_4plusIlEEEE10hipError_tPvRmT1_T2_T3_mT4_P12ihipStream_tbEUlT_E1_NS1_11comp_targetILNS1_3genE10ELNS1_11target_archE1200ELNS1_3gpuE4ELNS1_3repE0EEENS1_30default_config_static_selectorELNS0_4arch9wavefront6targetE1EEEvSW_.num_named_barrier, 0
	.set _ZN7rocprim17ROCPRIM_400000_NS6detail17trampoline_kernelINS0_14default_configENS1_22reduce_config_selectorIlEEZNS1_11reduce_implILb1ES3_N6thrust23THRUST_200600_302600_NS11hip_rocprim26transform_input_iterator_tIlNS8_12zip_iteratorINS8_5tupleINS8_6detail15normal_iteratorINS8_10device_ptrIiEEEESH_NS8_9null_typeESI_SI_SI_SI_SI_SI_SI_EEEENS9_21zip_adj_not_predicateI22is_equal_div_10_uniqueIiEEEEEPllNS8_4plusIlEEEE10hipError_tPvRmT1_T2_T3_mT4_P12ihipStream_tbEUlT_E1_NS1_11comp_targetILNS1_3genE10ELNS1_11target_archE1200ELNS1_3gpuE4ELNS1_3repE0EEENS1_30default_config_static_selectorELNS0_4arch9wavefront6targetE1EEEvSW_.private_seg_size, 0
	.set _ZN7rocprim17ROCPRIM_400000_NS6detail17trampoline_kernelINS0_14default_configENS1_22reduce_config_selectorIlEEZNS1_11reduce_implILb1ES3_N6thrust23THRUST_200600_302600_NS11hip_rocprim26transform_input_iterator_tIlNS8_12zip_iteratorINS8_5tupleINS8_6detail15normal_iteratorINS8_10device_ptrIiEEEESH_NS8_9null_typeESI_SI_SI_SI_SI_SI_SI_EEEENS9_21zip_adj_not_predicateI22is_equal_div_10_uniqueIiEEEEEPllNS8_4plusIlEEEE10hipError_tPvRmT1_T2_T3_mT4_P12ihipStream_tbEUlT_E1_NS1_11comp_targetILNS1_3genE10ELNS1_11target_archE1200ELNS1_3gpuE4ELNS1_3repE0EEENS1_30default_config_static_selectorELNS0_4arch9wavefront6targetE1EEEvSW_.uses_vcc, 0
	.set _ZN7rocprim17ROCPRIM_400000_NS6detail17trampoline_kernelINS0_14default_configENS1_22reduce_config_selectorIlEEZNS1_11reduce_implILb1ES3_N6thrust23THRUST_200600_302600_NS11hip_rocprim26transform_input_iterator_tIlNS8_12zip_iteratorINS8_5tupleINS8_6detail15normal_iteratorINS8_10device_ptrIiEEEESH_NS8_9null_typeESI_SI_SI_SI_SI_SI_SI_EEEENS9_21zip_adj_not_predicateI22is_equal_div_10_uniqueIiEEEEEPllNS8_4plusIlEEEE10hipError_tPvRmT1_T2_T3_mT4_P12ihipStream_tbEUlT_E1_NS1_11comp_targetILNS1_3genE10ELNS1_11target_archE1200ELNS1_3gpuE4ELNS1_3repE0EEENS1_30default_config_static_selectorELNS0_4arch9wavefront6targetE1EEEvSW_.uses_flat_scratch, 0
	.set _ZN7rocprim17ROCPRIM_400000_NS6detail17trampoline_kernelINS0_14default_configENS1_22reduce_config_selectorIlEEZNS1_11reduce_implILb1ES3_N6thrust23THRUST_200600_302600_NS11hip_rocprim26transform_input_iterator_tIlNS8_12zip_iteratorINS8_5tupleINS8_6detail15normal_iteratorINS8_10device_ptrIiEEEESH_NS8_9null_typeESI_SI_SI_SI_SI_SI_SI_EEEENS9_21zip_adj_not_predicateI22is_equal_div_10_uniqueIiEEEEEPllNS8_4plusIlEEEE10hipError_tPvRmT1_T2_T3_mT4_P12ihipStream_tbEUlT_E1_NS1_11comp_targetILNS1_3genE10ELNS1_11target_archE1200ELNS1_3gpuE4ELNS1_3repE0EEENS1_30default_config_static_selectorELNS0_4arch9wavefront6targetE1EEEvSW_.has_dyn_sized_stack, 0
	.set _ZN7rocprim17ROCPRIM_400000_NS6detail17trampoline_kernelINS0_14default_configENS1_22reduce_config_selectorIlEEZNS1_11reduce_implILb1ES3_N6thrust23THRUST_200600_302600_NS11hip_rocprim26transform_input_iterator_tIlNS8_12zip_iteratorINS8_5tupleINS8_6detail15normal_iteratorINS8_10device_ptrIiEEEESH_NS8_9null_typeESI_SI_SI_SI_SI_SI_SI_EEEENS9_21zip_adj_not_predicateI22is_equal_div_10_uniqueIiEEEEEPllNS8_4plusIlEEEE10hipError_tPvRmT1_T2_T3_mT4_P12ihipStream_tbEUlT_E1_NS1_11comp_targetILNS1_3genE10ELNS1_11target_archE1200ELNS1_3gpuE4ELNS1_3repE0EEENS1_30default_config_static_selectorELNS0_4arch9wavefront6targetE1EEEvSW_.has_recursion, 0
	.set _ZN7rocprim17ROCPRIM_400000_NS6detail17trampoline_kernelINS0_14default_configENS1_22reduce_config_selectorIlEEZNS1_11reduce_implILb1ES3_N6thrust23THRUST_200600_302600_NS11hip_rocprim26transform_input_iterator_tIlNS8_12zip_iteratorINS8_5tupleINS8_6detail15normal_iteratorINS8_10device_ptrIiEEEESH_NS8_9null_typeESI_SI_SI_SI_SI_SI_SI_EEEENS9_21zip_adj_not_predicateI22is_equal_div_10_uniqueIiEEEEEPllNS8_4plusIlEEEE10hipError_tPvRmT1_T2_T3_mT4_P12ihipStream_tbEUlT_E1_NS1_11comp_targetILNS1_3genE10ELNS1_11target_archE1200ELNS1_3gpuE4ELNS1_3repE0EEENS1_30default_config_static_selectorELNS0_4arch9wavefront6targetE1EEEvSW_.has_indirect_call, 0
	.section	.AMDGPU.csdata,"",@progbits
; Kernel info:
; codeLenInByte = 0
; TotalNumSgprs: 4
; NumVgprs: 0
; ScratchSize: 0
; MemoryBound: 0
; FloatMode: 240
; IeeeMode: 1
; LDSByteSize: 0 bytes/workgroup (compile time only)
; SGPRBlocks: 0
; VGPRBlocks: 0
; NumSGPRsForWavesPerEU: 4
; NumVGPRsForWavesPerEU: 1
; Occupancy: 10
; WaveLimiterHint : 0
; COMPUTE_PGM_RSRC2:SCRATCH_EN: 0
; COMPUTE_PGM_RSRC2:USER_SGPR: 6
; COMPUTE_PGM_RSRC2:TRAP_HANDLER: 0
; COMPUTE_PGM_RSRC2:TGID_X_EN: 1
; COMPUTE_PGM_RSRC2:TGID_Y_EN: 0
; COMPUTE_PGM_RSRC2:TGID_Z_EN: 0
; COMPUTE_PGM_RSRC2:TIDIG_COMP_CNT: 0
	.section	.text._ZN7rocprim17ROCPRIM_400000_NS6detail17trampoline_kernelINS0_14default_configENS1_22reduce_config_selectorIlEEZNS1_11reduce_implILb1ES3_N6thrust23THRUST_200600_302600_NS11hip_rocprim26transform_input_iterator_tIlNS8_12zip_iteratorINS8_5tupleINS8_6detail15normal_iteratorINS8_10device_ptrIiEEEESH_NS8_9null_typeESI_SI_SI_SI_SI_SI_SI_EEEENS9_21zip_adj_not_predicateI22is_equal_div_10_uniqueIiEEEEEPllNS8_4plusIlEEEE10hipError_tPvRmT1_T2_T3_mT4_P12ihipStream_tbEUlT_E1_NS1_11comp_targetILNS1_3genE9ELNS1_11target_archE1100ELNS1_3gpuE3ELNS1_3repE0EEENS1_30default_config_static_selectorELNS0_4arch9wavefront6targetE1EEEvSW_,"axG",@progbits,_ZN7rocprim17ROCPRIM_400000_NS6detail17trampoline_kernelINS0_14default_configENS1_22reduce_config_selectorIlEEZNS1_11reduce_implILb1ES3_N6thrust23THRUST_200600_302600_NS11hip_rocprim26transform_input_iterator_tIlNS8_12zip_iteratorINS8_5tupleINS8_6detail15normal_iteratorINS8_10device_ptrIiEEEESH_NS8_9null_typeESI_SI_SI_SI_SI_SI_SI_EEEENS9_21zip_adj_not_predicateI22is_equal_div_10_uniqueIiEEEEEPllNS8_4plusIlEEEE10hipError_tPvRmT1_T2_T3_mT4_P12ihipStream_tbEUlT_E1_NS1_11comp_targetILNS1_3genE9ELNS1_11target_archE1100ELNS1_3gpuE3ELNS1_3repE0EEENS1_30default_config_static_selectorELNS0_4arch9wavefront6targetE1EEEvSW_,comdat
	.protected	_ZN7rocprim17ROCPRIM_400000_NS6detail17trampoline_kernelINS0_14default_configENS1_22reduce_config_selectorIlEEZNS1_11reduce_implILb1ES3_N6thrust23THRUST_200600_302600_NS11hip_rocprim26transform_input_iterator_tIlNS8_12zip_iteratorINS8_5tupleINS8_6detail15normal_iteratorINS8_10device_ptrIiEEEESH_NS8_9null_typeESI_SI_SI_SI_SI_SI_SI_EEEENS9_21zip_adj_not_predicateI22is_equal_div_10_uniqueIiEEEEEPllNS8_4plusIlEEEE10hipError_tPvRmT1_T2_T3_mT4_P12ihipStream_tbEUlT_E1_NS1_11comp_targetILNS1_3genE9ELNS1_11target_archE1100ELNS1_3gpuE3ELNS1_3repE0EEENS1_30default_config_static_selectorELNS0_4arch9wavefront6targetE1EEEvSW_ ; -- Begin function _ZN7rocprim17ROCPRIM_400000_NS6detail17trampoline_kernelINS0_14default_configENS1_22reduce_config_selectorIlEEZNS1_11reduce_implILb1ES3_N6thrust23THRUST_200600_302600_NS11hip_rocprim26transform_input_iterator_tIlNS8_12zip_iteratorINS8_5tupleINS8_6detail15normal_iteratorINS8_10device_ptrIiEEEESH_NS8_9null_typeESI_SI_SI_SI_SI_SI_SI_EEEENS9_21zip_adj_not_predicateI22is_equal_div_10_uniqueIiEEEEEPllNS8_4plusIlEEEE10hipError_tPvRmT1_T2_T3_mT4_P12ihipStream_tbEUlT_E1_NS1_11comp_targetILNS1_3genE9ELNS1_11target_archE1100ELNS1_3gpuE3ELNS1_3repE0EEENS1_30default_config_static_selectorELNS0_4arch9wavefront6targetE1EEEvSW_
	.globl	_ZN7rocprim17ROCPRIM_400000_NS6detail17trampoline_kernelINS0_14default_configENS1_22reduce_config_selectorIlEEZNS1_11reduce_implILb1ES3_N6thrust23THRUST_200600_302600_NS11hip_rocprim26transform_input_iterator_tIlNS8_12zip_iteratorINS8_5tupleINS8_6detail15normal_iteratorINS8_10device_ptrIiEEEESH_NS8_9null_typeESI_SI_SI_SI_SI_SI_SI_EEEENS9_21zip_adj_not_predicateI22is_equal_div_10_uniqueIiEEEEEPllNS8_4plusIlEEEE10hipError_tPvRmT1_T2_T3_mT4_P12ihipStream_tbEUlT_E1_NS1_11comp_targetILNS1_3genE9ELNS1_11target_archE1100ELNS1_3gpuE3ELNS1_3repE0EEENS1_30default_config_static_selectorELNS0_4arch9wavefront6targetE1EEEvSW_
	.p2align	8
	.type	_ZN7rocprim17ROCPRIM_400000_NS6detail17trampoline_kernelINS0_14default_configENS1_22reduce_config_selectorIlEEZNS1_11reduce_implILb1ES3_N6thrust23THRUST_200600_302600_NS11hip_rocprim26transform_input_iterator_tIlNS8_12zip_iteratorINS8_5tupleINS8_6detail15normal_iteratorINS8_10device_ptrIiEEEESH_NS8_9null_typeESI_SI_SI_SI_SI_SI_SI_EEEENS9_21zip_adj_not_predicateI22is_equal_div_10_uniqueIiEEEEEPllNS8_4plusIlEEEE10hipError_tPvRmT1_T2_T3_mT4_P12ihipStream_tbEUlT_E1_NS1_11comp_targetILNS1_3genE9ELNS1_11target_archE1100ELNS1_3gpuE3ELNS1_3repE0EEENS1_30default_config_static_selectorELNS0_4arch9wavefront6targetE1EEEvSW_,@function
_ZN7rocprim17ROCPRIM_400000_NS6detail17trampoline_kernelINS0_14default_configENS1_22reduce_config_selectorIlEEZNS1_11reduce_implILb1ES3_N6thrust23THRUST_200600_302600_NS11hip_rocprim26transform_input_iterator_tIlNS8_12zip_iteratorINS8_5tupleINS8_6detail15normal_iteratorINS8_10device_ptrIiEEEESH_NS8_9null_typeESI_SI_SI_SI_SI_SI_SI_EEEENS9_21zip_adj_not_predicateI22is_equal_div_10_uniqueIiEEEEEPllNS8_4plusIlEEEE10hipError_tPvRmT1_T2_T3_mT4_P12ihipStream_tbEUlT_E1_NS1_11comp_targetILNS1_3genE9ELNS1_11target_archE1100ELNS1_3gpuE3ELNS1_3repE0EEENS1_30default_config_static_selectorELNS0_4arch9wavefront6targetE1EEEvSW_: ; @_ZN7rocprim17ROCPRIM_400000_NS6detail17trampoline_kernelINS0_14default_configENS1_22reduce_config_selectorIlEEZNS1_11reduce_implILb1ES3_N6thrust23THRUST_200600_302600_NS11hip_rocprim26transform_input_iterator_tIlNS8_12zip_iteratorINS8_5tupleINS8_6detail15normal_iteratorINS8_10device_ptrIiEEEESH_NS8_9null_typeESI_SI_SI_SI_SI_SI_SI_EEEENS9_21zip_adj_not_predicateI22is_equal_div_10_uniqueIiEEEEEPllNS8_4plusIlEEEE10hipError_tPvRmT1_T2_T3_mT4_P12ihipStream_tbEUlT_E1_NS1_11comp_targetILNS1_3genE9ELNS1_11target_archE1100ELNS1_3gpuE3ELNS1_3repE0EEENS1_30default_config_static_selectorELNS0_4arch9wavefront6targetE1EEEvSW_
; %bb.0:
	.section	.rodata,"a",@progbits
	.p2align	6, 0x0
	.amdhsa_kernel _ZN7rocprim17ROCPRIM_400000_NS6detail17trampoline_kernelINS0_14default_configENS1_22reduce_config_selectorIlEEZNS1_11reduce_implILb1ES3_N6thrust23THRUST_200600_302600_NS11hip_rocprim26transform_input_iterator_tIlNS8_12zip_iteratorINS8_5tupleINS8_6detail15normal_iteratorINS8_10device_ptrIiEEEESH_NS8_9null_typeESI_SI_SI_SI_SI_SI_SI_EEEENS9_21zip_adj_not_predicateI22is_equal_div_10_uniqueIiEEEEEPllNS8_4plusIlEEEE10hipError_tPvRmT1_T2_T3_mT4_P12ihipStream_tbEUlT_E1_NS1_11comp_targetILNS1_3genE9ELNS1_11target_archE1100ELNS1_3gpuE3ELNS1_3repE0EEENS1_30default_config_static_selectorELNS0_4arch9wavefront6targetE1EEEvSW_
		.amdhsa_group_segment_fixed_size 0
		.amdhsa_private_segment_fixed_size 0
		.amdhsa_kernarg_size 64
		.amdhsa_user_sgpr_count 6
		.amdhsa_user_sgpr_private_segment_buffer 1
		.amdhsa_user_sgpr_dispatch_ptr 0
		.amdhsa_user_sgpr_queue_ptr 0
		.amdhsa_user_sgpr_kernarg_segment_ptr 1
		.amdhsa_user_sgpr_dispatch_id 0
		.amdhsa_user_sgpr_flat_scratch_init 0
		.amdhsa_user_sgpr_private_segment_size 0
		.amdhsa_uses_dynamic_stack 0
		.amdhsa_system_sgpr_private_segment_wavefront_offset 0
		.amdhsa_system_sgpr_workgroup_id_x 1
		.amdhsa_system_sgpr_workgroup_id_y 0
		.amdhsa_system_sgpr_workgroup_id_z 0
		.amdhsa_system_sgpr_workgroup_info 0
		.amdhsa_system_vgpr_workitem_id 0
		.amdhsa_next_free_vgpr 1
		.amdhsa_next_free_sgpr 0
		.amdhsa_reserve_vcc 0
		.amdhsa_reserve_flat_scratch 0
		.amdhsa_float_round_mode_32 0
		.amdhsa_float_round_mode_16_64 0
		.amdhsa_float_denorm_mode_32 3
		.amdhsa_float_denorm_mode_16_64 3
		.amdhsa_dx10_clamp 1
		.amdhsa_ieee_mode 1
		.amdhsa_fp16_overflow 0
		.amdhsa_exception_fp_ieee_invalid_op 0
		.amdhsa_exception_fp_denorm_src 0
		.amdhsa_exception_fp_ieee_div_zero 0
		.amdhsa_exception_fp_ieee_overflow 0
		.amdhsa_exception_fp_ieee_underflow 0
		.amdhsa_exception_fp_ieee_inexact 0
		.amdhsa_exception_int_div_zero 0
	.end_amdhsa_kernel
	.section	.text._ZN7rocprim17ROCPRIM_400000_NS6detail17trampoline_kernelINS0_14default_configENS1_22reduce_config_selectorIlEEZNS1_11reduce_implILb1ES3_N6thrust23THRUST_200600_302600_NS11hip_rocprim26transform_input_iterator_tIlNS8_12zip_iteratorINS8_5tupleINS8_6detail15normal_iteratorINS8_10device_ptrIiEEEESH_NS8_9null_typeESI_SI_SI_SI_SI_SI_SI_EEEENS9_21zip_adj_not_predicateI22is_equal_div_10_uniqueIiEEEEEPllNS8_4plusIlEEEE10hipError_tPvRmT1_T2_T3_mT4_P12ihipStream_tbEUlT_E1_NS1_11comp_targetILNS1_3genE9ELNS1_11target_archE1100ELNS1_3gpuE3ELNS1_3repE0EEENS1_30default_config_static_selectorELNS0_4arch9wavefront6targetE1EEEvSW_,"axG",@progbits,_ZN7rocprim17ROCPRIM_400000_NS6detail17trampoline_kernelINS0_14default_configENS1_22reduce_config_selectorIlEEZNS1_11reduce_implILb1ES3_N6thrust23THRUST_200600_302600_NS11hip_rocprim26transform_input_iterator_tIlNS8_12zip_iteratorINS8_5tupleINS8_6detail15normal_iteratorINS8_10device_ptrIiEEEESH_NS8_9null_typeESI_SI_SI_SI_SI_SI_SI_EEEENS9_21zip_adj_not_predicateI22is_equal_div_10_uniqueIiEEEEEPllNS8_4plusIlEEEE10hipError_tPvRmT1_T2_T3_mT4_P12ihipStream_tbEUlT_E1_NS1_11comp_targetILNS1_3genE9ELNS1_11target_archE1100ELNS1_3gpuE3ELNS1_3repE0EEENS1_30default_config_static_selectorELNS0_4arch9wavefront6targetE1EEEvSW_,comdat
.Lfunc_end993:
	.size	_ZN7rocprim17ROCPRIM_400000_NS6detail17trampoline_kernelINS0_14default_configENS1_22reduce_config_selectorIlEEZNS1_11reduce_implILb1ES3_N6thrust23THRUST_200600_302600_NS11hip_rocprim26transform_input_iterator_tIlNS8_12zip_iteratorINS8_5tupleINS8_6detail15normal_iteratorINS8_10device_ptrIiEEEESH_NS8_9null_typeESI_SI_SI_SI_SI_SI_SI_EEEENS9_21zip_adj_not_predicateI22is_equal_div_10_uniqueIiEEEEEPllNS8_4plusIlEEEE10hipError_tPvRmT1_T2_T3_mT4_P12ihipStream_tbEUlT_E1_NS1_11comp_targetILNS1_3genE9ELNS1_11target_archE1100ELNS1_3gpuE3ELNS1_3repE0EEENS1_30default_config_static_selectorELNS0_4arch9wavefront6targetE1EEEvSW_, .Lfunc_end993-_ZN7rocprim17ROCPRIM_400000_NS6detail17trampoline_kernelINS0_14default_configENS1_22reduce_config_selectorIlEEZNS1_11reduce_implILb1ES3_N6thrust23THRUST_200600_302600_NS11hip_rocprim26transform_input_iterator_tIlNS8_12zip_iteratorINS8_5tupleINS8_6detail15normal_iteratorINS8_10device_ptrIiEEEESH_NS8_9null_typeESI_SI_SI_SI_SI_SI_SI_EEEENS9_21zip_adj_not_predicateI22is_equal_div_10_uniqueIiEEEEEPllNS8_4plusIlEEEE10hipError_tPvRmT1_T2_T3_mT4_P12ihipStream_tbEUlT_E1_NS1_11comp_targetILNS1_3genE9ELNS1_11target_archE1100ELNS1_3gpuE3ELNS1_3repE0EEENS1_30default_config_static_selectorELNS0_4arch9wavefront6targetE1EEEvSW_
                                        ; -- End function
	.set _ZN7rocprim17ROCPRIM_400000_NS6detail17trampoline_kernelINS0_14default_configENS1_22reduce_config_selectorIlEEZNS1_11reduce_implILb1ES3_N6thrust23THRUST_200600_302600_NS11hip_rocprim26transform_input_iterator_tIlNS8_12zip_iteratorINS8_5tupleINS8_6detail15normal_iteratorINS8_10device_ptrIiEEEESH_NS8_9null_typeESI_SI_SI_SI_SI_SI_SI_EEEENS9_21zip_adj_not_predicateI22is_equal_div_10_uniqueIiEEEEEPllNS8_4plusIlEEEE10hipError_tPvRmT1_T2_T3_mT4_P12ihipStream_tbEUlT_E1_NS1_11comp_targetILNS1_3genE9ELNS1_11target_archE1100ELNS1_3gpuE3ELNS1_3repE0EEENS1_30default_config_static_selectorELNS0_4arch9wavefront6targetE1EEEvSW_.num_vgpr, 0
	.set _ZN7rocprim17ROCPRIM_400000_NS6detail17trampoline_kernelINS0_14default_configENS1_22reduce_config_selectorIlEEZNS1_11reduce_implILb1ES3_N6thrust23THRUST_200600_302600_NS11hip_rocprim26transform_input_iterator_tIlNS8_12zip_iteratorINS8_5tupleINS8_6detail15normal_iteratorINS8_10device_ptrIiEEEESH_NS8_9null_typeESI_SI_SI_SI_SI_SI_SI_EEEENS9_21zip_adj_not_predicateI22is_equal_div_10_uniqueIiEEEEEPllNS8_4plusIlEEEE10hipError_tPvRmT1_T2_T3_mT4_P12ihipStream_tbEUlT_E1_NS1_11comp_targetILNS1_3genE9ELNS1_11target_archE1100ELNS1_3gpuE3ELNS1_3repE0EEENS1_30default_config_static_selectorELNS0_4arch9wavefront6targetE1EEEvSW_.num_agpr, 0
	.set _ZN7rocprim17ROCPRIM_400000_NS6detail17trampoline_kernelINS0_14default_configENS1_22reduce_config_selectorIlEEZNS1_11reduce_implILb1ES3_N6thrust23THRUST_200600_302600_NS11hip_rocprim26transform_input_iterator_tIlNS8_12zip_iteratorINS8_5tupleINS8_6detail15normal_iteratorINS8_10device_ptrIiEEEESH_NS8_9null_typeESI_SI_SI_SI_SI_SI_SI_EEEENS9_21zip_adj_not_predicateI22is_equal_div_10_uniqueIiEEEEEPllNS8_4plusIlEEEE10hipError_tPvRmT1_T2_T3_mT4_P12ihipStream_tbEUlT_E1_NS1_11comp_targetILNS1_3genE9ELNS1_11target_archE1100ELNS1_3gpuE3ELNS1_3repE0EEENS1_30default_config_static_selectorELNS0_4arch9wavefront6targetE1EEEvSW_.numbered_sgpr, 0
	.set _ZN7rocprim17ROCPRIM_400000_NS6detail17trampoline_kernelINS0_14default_configENS1_22reduce_config_selectorIlEEZNS1_11reduce_implILb1ES3_N6thrust23THRUST_200600_302600_NS11hip_rocprim26transform_input_iterator_tIlNS8_12zip_iteratorINS8_5tupleINS8_6detail15normal_iteratorINS8_10device_ptrIiEEEESH_NS8_9null_typeESI_SI_SI_SI_SI_SI_SI_EEEENS9_21zip_adj_not_predicateI22is_equal_div_10_uniqueIiEEEEEPllNS8_4plusIlEEEE10hipError_tPvRmT1_T2_T3_mT4_P12ihipStream_tbEUlT_E1_NS1_11comp_targetILNS1_3genE9ELNS1_11target_archE1100ELNS1_3gpuE3ELNS1_3repE0EEENS1_30default_config_static_selectorELNS0_4arch9wavefront6targetE1EEEvSW_.num_named_barrier, 0
	.set _ZN7rocprim17ROCPRIM_400000_NS6detail17trampoline_kernelINS0_14default_configENS1_22reduce_config_selectorIlEEZNS1_11reduce_implILb1ES3_N6thrust23THRUST_200600_302600_NS11hip_rocprim26transform_input_iterator_tIlNS8_12zip_iteratorINS8_5tupleINS8_6detail15normal_iteratorINS8_10device_ptrIiEEEESH_NS8_9null_typeESI_SI_SI_SI_SI_SI_SI_EEEENS9_21zip_adj_not_predicateI22is_equal_div_10_uniqueIiEEEEEPllNS8_4plusIlEEEE10hipError_tPvRmT1_T2_T3_mT4_P12ihipStream_tbEUlT_E1_NS1_11comp_targetILNS1_3genE9ELNS1_11target_archE1100ELNS1_3gpuE3ELNS1_3repE0EEENS1_30default_config_static_selectorELNS0_4arch9wavefront6targetE1EEEvSW_.private_seg_size, 0
	.set _ZN7rocprim17ROCPRIM_400000_NS6detail17trampoline_kernelINS0_14default_configENS1_22reduce_config_selectorIlEEZNS1_11reduce_implILb1ES3_N6thrust23THRUST_200600_302600_NS11hip_rocprim26transform_input_iterator_tIlNS8_12zip_iteratorINS8_5tupleINS8_6detail15normal_iteratorINS8_10device_ptrIiEEEESH_NS8_9null_typeESI_SI_SI_SI_SI_SI_SI_EEEENS9_21zip_adj_not_predicateI22is_equal_div_10_uniqueIiEEEEEPllNS8_4plusIlEEEE10hipError_tPvRmT1_T2_T3_mT4_P12ihipStream_tbEUlT_E1_NS1_11comp_targetILNS1_3genE9ELNS1_11target_archE1100ELNS1_3gpuE3ELNS1_3repE0EEENS1_30default_config_static_selectorELNS0_4arch9wavefront6targetE1EEEvSW_.uses_vcc, 0
	.set _ZN7rocprim17ROCPRIM_400000_NS6detail17trampoline_kernelINS0_14default_configENS1_22reduce_config_selectorIlEEZNS1_11reduce_implILb1ES3_N6thrust23THRUST_200600_302600_NS11hip_rocprim26transform_input_iterator_tIlNS8_12zip_iteratorINS8_5tupleINS8_6detail15normal_iteratorINS8_10device_ptrIiEEEESH_NS8_9null_typeESI_SI_SI_SI_SI_SI_SI_EEEENS9_21zip_adj_not_predicateI22is_equal_div_10_uniqueIiEEEEEPllNS8_4plusIlEEEE10hipError_tPvRmT1_T2_T3_mT4_P12ihipStream_tbEUlT_E1_NS1_11comp_targetILNS1_3genE9ELNS1_11target_archE1100ELNS1_3gpuE3ELNS1_3repE0EEENS1_30default_config_static_selectorELNS0_4arch9wavefront6targetE1EEEvSW_.uses_flat_scratch, 0
	.set _ZN7rocprim17ROCPRIM_400000_NS6detail17trampoline_kernelINS0_14default_configENS1_22reduce_config_selectorIlEEZNS1_11reduce_implILb1ES3_N6thrust23THRUST_200600_302600_NS11hip_rocprim26transform_input_iterator_tIlNS8_12zip_iteratorINS8_5tupleINS8_6detail15normal_iteratorINS8_10device_ptrIiEEEESH_NS8_9null_typeESI_SI_SI_SI_SI_SI_SI_EEEENS9_21zip_adj_not_predicateI22is_equal_div_10_uniqueIiEEEEEPllNS8_4plusIlEEEE10hipError_tPvRmT1_T2_T3_mT4_P12ihipStream_tbEUlT_E1_NS1_11comp_targetILNS1_3genE9ELNS1_11target_archE1100ELNS1_3gpuE3ELNS1_3repE0EEENS1_30default_config_static_selectorELNS0_4arch9wavefront6targetE1EEEvSW_.has_dyn_sized_stack, 0
	.set _ZN7rocprim17ROCPRIM_400000_NS6detail17trampoline_kernelINS0_14default_configENS1_22reduce_config_selectorIlEEZNS1_11reduce_implILb1ES3_N6thrust23THRUST_200600_302600_NS11hip_rocprim26transform_input_iterator_tIlNS8_12zip_iteratorINS8_5tupleINS8_6detail15normal_iteratorINS8_10device_ptrIiEEEESH_NS8_9null_typeESI_SI_SI_SI_SI_SI_SI_EEEENS9_21zip_adj_not_predicateI22is_equal_div_10_uniqueIiEEEEEPllNS8_4plusIlEEEE10hipError_tPvRmT1_T2_T3_mT4_P12ihipStream_tbEUlT_E1_NS1_11comp_targetILNS1_3genE9ELNS1_11target_archE1100ELNS1_3gpuE3ELNS1_3repE0EEENS1_30default_config_static_selectorELNS0_4arch9wavefront6targetE1EEEvSW_.has_recursion, 0
	.set _ZN7rocprim17ROCPRIM_400000_NS6detail17trampoline_kernelINS0_14default_configENS1_22reduce_config_selectorIlEEZNS1_11reduce_implILb1ES3_N6thrust23THRUST_200600_302600_NS11hip_rocprim26transform_input_iterator_tIlNS8_12zip_iteratorINS8_5tupleINS8_6detail15normal_iteratorINS8_10device_ptrIiEEEESH_NS8_9null_typeESI_SI_SI_SI_SI_SI_SI_EEEENS9_21zip_adj_not_predicateI22is_equal_div_10_uniqueIiEEEEEPllNS8_4plusIlEEEE10hipError_tPvRmT1_T2_T3_mT4_P12ihipStream_tbEUlT_E1_NS1_11comp_targetILNS1_3genE9ELNS1_11target_archE1100ELNS1_3gpuE3ELNS1_3repE0EEENS1_30default_config_static_selectorELNS0_4arch9wavefront6targetE1EEEvSW_.has_indirect_call, 0
	.section	.AMDGPU.csdata,"",@progbits
; Kernel info:
; codeLenInByte = 0
; TotalNumSgprs: 4
; NumVgprs: 0
; ScratchSize: 0
; MemoryBound: 0
; FloatMode: 240
; IeeeMode: 1
; LDSByteSize: 0 bytes/workgroup (compile time only)
; SGPRBlocks: 0
; VGPRBlocks: 0
; NumSGPRsForWavesPerEU: 4
; NumVGPRsForWavesPerEU: 1
; Occupancy: 10
; WaveLimiterHint : 0
; COMPUTE_PGM_RSRC2:SCRATCH_EN: 0
; COMPUTE_PGM_RSRC2:USER_SGPR: 6
; COMPUTE_PGM_RSRC2:TRAP_HANDLER: 0
; COMPUTE_PGM_RSRC2:TGID_X_EN: 1
; COMPUTE_PGM_RSRC2:TGID_Y_EN: 0
; COMPUTE_PGM_RSRC2:TGID_Z_EN: 0
; COMPUTE_PGM_RSRC2:TIDIG_COMP_CNT: 0
	.section	.text._ZN7rocprim17ROCPRIM_400000_NS6detail17trampoline_kernelINS0_14default_configENS1_22reduce_config_selectorIlEEZNS1_11reduce_implILb1ES3_N6thrust23THRUST_200600_302600_NS11hip_rocprim26transform_input_iterator_tIlNS8_12zip_iteratorINS8_5tupleINS8_6detail15normal_iteratorINS8_10device_ptrIiEEEESH_NS8_9null_typeESI_SI_SI_SI_SI_SI_SI_EEEENS9_21zip_adj_not_predicateI22is_equal_div_10_uniqueIiEEEEEPllNS8_4plusIlEEEE10hipError_tPvRmT1_T2_T3_mT4_P12ihipStream_tbEUlT_E1_NS1_11comp_targetILNS1_3genE8ELNS1_11target_archE1030ELNS1_3gpuE2ELNS1_3repE0EEENS1_30default_config_static_selectorELNS0_4arch9wavefront6targetE1EEEvSW_,"axG",@progbits,_ZN7rocprim17ROCPRIM_400000_NS6detail17trampoline_kernelINS0_14default_configENS1_22reduce_config_selectorIlEEZNS1_11reduce_implILb1ES3_N6thrust23THRUST_200600_302600_NS11hip_rocprim26transform_input_iterator_tIlNS8_12zip_iteratorINS8_5tupleINS8_6detail15normal_iteratorINS8_10device_ptrIiEEEESH_NS8_9null_typeESI_SI_SI_SI_SI_SI_SI_EEEENS9_21zip_adj_not_predicateI22is_equal_div_10_uniqueIiEEEEEPllNS8_4plusIlEEEE10hipError_tPvRmT1_T2_T3_mT4_P12ihipStream_tbEUlT_E1_NS1_11comp_targetILNS1_3genE8ELNS1_11target_archE1030ELNS1_3gpuE2ELNS1_3repE0EEENS1_30default_config_static_selectorELNS0_4arch9wavefront6targetE1EEEvSW_,comdat
	.protected	_ZN7rocprim17ROCPRIM_400000_NS6detail17trampoline_kernelINS0_14default_configENS1_22reduce_config_selectorIlEEZNS1_11reduce_implILb1ES3_N6thrust23THRUST_200600_302600_NS11hip_rocprim26transform_input_iterator_tIlNS8_12zip_iteratorINS8_5tupleINS8_6detail15normal_iteratorINS8_10device_ptrIiEEEESH_NS8_9null_typeESI_SI_SI_SI_SI_SI_SI_EEEENS9_21zip_adj_not_predicateI22is_equal_div_10_uniqueIiEEEEEPllNS8_4plusIlEEEE10hipError_tPvRmT1_T2_T3_mT4_P12ihipStream_tbEUlT_E1_NS1_11comp_targetILNS1_3genE8ELNS1_11target_archE1030ELNS1_3gpuE2ELNS1_3repE0EEENS1_30default_config_static_selectorELNS0_4arch9wavefront6targetE1EEEvSW_ ; -- Begin function _ZN7rocprim17ROCPRIM_400000_NS6detail17trampoline_kernelINS0_14default_configENS1_22reduce_config_selectorIlEEZNS1_11reduce_implILb1ES3_N6thrust23THRUST_200600_302600_NS11hip_rocprim26transform_input_iterator_tIlNS8_12zip_iteratorINS8_5tupleINS8_6detail15normal_iteratorINS8_10device_ptrIiEEEESH_NS8_9null_typeESI_SI_SI_SI_SI_SI_SI_EEEENS9_21zip_adj_not_predicateI22is_equal_div_10_uniqueIiEEEEEPllNS8_4plusIlEEEE10hipError_tPvRmT1_T2_T3_mT4_P12ihipStream_tbEUlT_E1_NS1_11comp_targetILNS1_3genE8ELNS1_11target_archE1030ELNS1_3gpuE2ELNS1_3repE0EEENS1_30default_config_static_selectorELNS0_4arch9wavefront6targetE1EEEvSW_
	.globl	_ZN7rocprim17ROCPRIM_400000_NS6detail17trampoline_kernelINS0_14default_configENS1_22reduce_config_selectorIlEEZNS1_11reduce_implILb1ES3_N6thrust23THRUST_200600_302600_NS11hip_rocprim26transform_input_iterator_tIlNS8_12zip_iteratorINS8_5tupleINS8_6detail15normal_iteratorINS8_10device_ptrIiEEEESH_NS8_9null_typeESI_SI_SI_SI_SI_SI_SI_EEEENS9_21zip_adj_not_predicateI22is_equal_div_10_uniqueIiEEEEEPllNS8_4plusIlEEEE10hipError_tPvRmT1_T2_T3_mT4_P12ihipStream_tbEUlT_E1_NS1_11comp_targetILNS1_3genE8ELNS1_11target_archE1030ELNS1_3gpuE2ELNS1_3repE0EEENS1_30default_config_static_selectorELNS0_4arch9wavefront6targetE1EEEvSW_
	.p2align	8
	.type	_ZN7rocprim17ROCPRIM_400000_NS6detail17trampoline_kernelINS0_14default_configENS1_22reduce_config_selectorIlEEZNS1_11reduce_implILb1ES3_N6thrust23THRUST_200600_302600_NS11hip_rocprim26transform_input_iterator_tIlNS8_12zip_iteratorINS8_5tupleINS8_6detail15normal_iteratorINS8_10device_ptrIiEEEESH_NS8_9null_typeESI_SI_SI_SI_SI_SI_SI_EEEENS9_21zip_adj_not_predicateI22is_equal_div_10_uniqueIiEEEEEPllNS8_4plusIlEEEE10hipError_tPvRmT1_T2_T3_mT4_P12ihipStream_tbEUlT_E1_NS1_11comp_targetILNS1_3genE8ELNS1_11target_archE1030ELNS1_3gpuE2ELNS1_3repE0EEENS1_30default_config_static_selectorELNS0_4arch9wavefront6targetE1EEEvSW_,@function
_ZN7rocprim17ROCPRIM_400000_NS6detail17trampoline_kernelINS0_14default_configENS1_22reduce_config_selectorIlEEZNS1_11reduce_implILb1ES3_N6thrust23THRUST_200600_302600_NS11hip_rocprim26transform_input_iterator_tIlNS8_12zip_iteratorINS8_5tupleINS8_6detail15normal_iteratorINS8_10device_ptrIiEEEESH_NS8_9null_typeESI_SI_SI_SI_SI_SI_SI_EEEENS9_21zip_adj_not_predicateI22is_equal_div_10_uniqueIiEEEEEPllNS8_4plusIlEEEE10hipError_tPvRmT1_T2_T3_mT4_P12ihipStream_tbEUlT_E1_NS1_11comp_targetILNS1_3genE8ELNS1_11target_archE1030ELNS1_3gpuE2ELNS1_3repE0EEENS1_30default_config_static_selectorELNS0_4arch9wavefront6targetE1EEEvSW_: ; @_ZN7rocprim17ROCPRIM_400000_NS6detail17trampoline_kernelINS0_14default_configENS1_22reduce_config_selectorIlEEZNS1_11reduce_implILb1ES3_N6thrust23THRUST_200600_302600_NS11hip_rocprim26transform_input_iterator_tIlNS8_12zip_iteratorINS8_5tupleINS8_6detail15normal_iteratorINS8_10device_ptrIiEEEESH_NS8_9null_typeESI_SI_SI_SI_SI_SI_SI_EEEENS9_21zip_adj_not_predicateI22is_equal_div_10_uniqueIiEEEEEPllNS8_4plusIlEEEE10hipError_tPvRmT1_T2_T3_mT4_P12ihipStream_tbEUlT_E1_NS1_11comp_targetILNS1_3genE8ELNS1_11target_archE1030ELNS1_3gpuE2ELNS1_3repE0EEENS1_30default_config_static_selectorELNS0_4arch9wavefront6targetE1EEEvSW_
; %bb.0:
	.section	.rodata,"a",@progbits
	.p2align	6, 0x0
	.amdhsa_kernel _ZN7rocprim17ROCPRIM_400000_NS6detail17trampoline_kernelINS0_14default_configENS1_22reduce_config_selectorIlEEZNS1_11reduce_implILb1ES3_N6thrust23THRUST_200600_302600_NS11hip_rocprim26transform_input_iterator_tIlNS8_12zip_iteratorINS8_5tupleINS8_6detail15normal_iteratorINS8_10device_ptrIiEEEESH_NS8_9null_typeESI_SI_SI_SI_SI_SI_SI_EEEENS9_21zip_adj_not_predicateI22is_equal_div_10_uniqueIiEEEEEPllNS8_4plusIlEEEE10hipError_tPvRmT1_T2_T3_mT4_P12ihipStream_tbEUlT_E1_NS1_11comp_targetILNS1_3genE8ELNS1_11target_archE1030ELNS1_3gpuE2ELNS1_3repE0EEENS1_30default_config_static_selectorELNS0_4arch9wavefront6targetE1EEEvSW_
		.amdhsa_group_segment_fixed_size 0
		.amdhsa_private_segment_fixed_size 0
		.amdhsa_kernarg_size 64
		.amdhsa_user_sgpr_count 6
		.amdhsa_user_sgpr_private_segment_buffer 1
		.amdhsa_user_sgpr_dispatch_ptr 0
		.amdhsa_user_sgpr_queue_ptr 0
		.amdhsa_user_sgpr_kernarg_segment_ptr 1
		.amdhsa_user_sgpr_dispatch_id 0
		.amdhsa_user_sgpr_flat_scratch_init 0
		.amdhsa_user_sgpr_private_segment_size 0
		.amdhsa_uses_dynamic_stack 0
		.amdhsa_system_sgpr_private_segment_wavefront_offset 0
		.amdhsa_system_sgpr_workgroup_id_x 1
		.amdhsa_system_sgpr_workgroup_id_y 0
		.amdhsa_system_sgpr_workgroup_id_z 0
		.amdhsa_system_sgpr_workgroup_info 0
		.amdhsa_system_vgpr_workitem_id 0
		.amdhsa_next_free_vgpr 1
		.amdhsa_next_free_sgpr 0
		.amdhsa_reserve_vcc 0
		.amdhsa_reserve_flat_scratch 0
		.amdhsa_float_round_mode_32 0
		.amdhsa_float_round_mode_16_64 0
		.amdhsa_float_denorm_mode_32 3
		.amdhsa_float_denorm_mode_16_64 3
		.amdhsa_dx10_clamp 1
		.amdhsa_ieee_mode 1
		.amdhsa_fp16_overflow 0
		.amdhsa_exception_fp_ieee_invalid_op 0
		.amdhsa_exception_fp_denorm_src 0
		.amdhsa_exception_fp_ieee_div_zero 0
		.amdhsa_exception_fp_ieee_overflow 0
		.amdhsa_exception_fp_ieee_underflow 0
		.amdhsa_exception_fp_ieee_inexact 0
		.amdhsa_exception_int_div_zero 0
	.end_amdhsa_kernel
	.section	.text._ZN7rocprim17ROCPRIM_400000_NS6detail17trampoline_kernelINS0_14default_configENS1_22reduce_config_selectorIlEEZNS1_11reduce_implILb1ES3_N6thrust23THRUST_200600_302600_NS11hip_rocprim26transform_input_iterator_tIlNS8_12zip_iteratorINS8_5tupleINS8_6detail15normal_iteratorINS8_10device_ptrIiEEEESH_NS8_9null_typeESI_SI_SI_SI_SI_SI_SI_EEEENS9_21zip_adj_not_predicateI22is_equal_div_10_uniqueIiEEEEEPllNS8_4plusIlEEEE10hipError_tPvRmT1_T2_T3_mT4_P12ihipStream_tbEUlT_E1_NS1_11comp_targetILNS1_3genE8ELNS1_11target_archE1030ELNS1_3gpuE2ELNS1_3repE0EEENS1_30default_config_static_selectorELNS0_4arch9wavefront6targetE1EEEvSW_,"axG",@progbits,_ZN7rocprim17ROCPRIM_400000_NS6detail17trampoline_kernelINS0_14default_configENS1_22reduce_config_selectorIlEEZNS1_11reduce_implILb1ES3_N6thrust23THRUST_200600_302600_NS11hip_rocprim26transform_input_iterator_tIlNS8_12zip_iteratorINS8_5tupleINS8_6detail15normal_iteratorINS8_10device_ptrIiEEEESH_NS8_9null_typeESI_SI_SI_SI_SI_SI_SI_EEEENS9_21zip_adj_not_predicateI22is_equal_div_10_uniqueIiEEEEEPllNS8_4plusIlEEEE10hipError_tPvRmT1_T2_T3_mT4_P12ihipStream_tbEUlT_E1_NS1_11comp_targetILNS1_3genE8ELNS1_11target_archE1030ELNS1_3gpuE2ELNS1_3repE0EEENS1_30default_config_static_selectorELNS0_4arch9wavefront6targetE1EEEvSW_,comdat
.Lfunc_end994:
	.size	_ZN7rocprim17ROCPRIM_400000_NS6detail17trampoline_kernelINS0_14default_configENS1_22reduce_config_selectorIlEEZNS1_11reduce_implILb1ES3_N6thrust23THRUST_200600_302600_NS11hip_rocprim26transform_input_iterator_tIlNS8_12zip_iteratorINS8_5tupleINS8_6detail15normal_iteratorINS8_10device_ptrIiEEEESH_NS8_9null_typeESI_SI_SI_SI_SI_SI_SI_EEEENS9_21zip_adj_not_predicateI22is_equal_div_10_uniqueIiEEEEEPllNS8_4plusIlEEEE10hipError_tPvRmT1_T2_T3_mT4_P12ihipStream_tbEUlT_E1_NS1_11comp_targetILNS1_3genE8ELNS1_11target_archE1030ELNS1_3gpuE2ELNS1_3repE0EEENS1_30default_config_static_selectorELNS0_4arch9wavefront6targetE1EEEvSW_, .Lfunc_end994-_ZN7rocprim17ROCPRIM_400000_NS6detail17trampoline_kernelINS0_14default_configENS1_22reduce_config_selectorIlEEZNS1_11reduce_implILb1ES3_N6thrust23THRUST_200600_302600_NS11hip_rocprim26transform_input_iterator_tIlNS8_12zip_iteratorINS8_5tupleINS8_6detail15normal_iteratorINS8_10device_ptrIiEEEESH_NS8_9null_typeESI_SI_SI_SI_SI_SI_SI_EEEENS9_21zip_adj_not_predicateI22is_equal_div_10_uniqueIiEEEEEPllNS8_4plusIlEEEE10hipError_tPvRmT1_T2_T3_mT4_P12ihipStream_tbEUlT_E1_NS1_11comp_targetILNS1_3genE8ELNS1_11target_archE1030ELNS1_3gpuE2ELNS1_3repE0EEENS1_30default_config_static_selectorELNS0_4arch9wavefront6targetE1EEEvSW_
                                        ; -- End function
	.set _ZN7rocprim17ROCPRIM_400000_NS6detail17trampoline_kernelINS0_14default_configENS1_22reduce_config_selectorIlEEZNS1_11reduce_implILb1ES3_N6thrust23THRUST_200600_302600_NS11hip_rocprim26transform_input_iterator_tIlNS8_12zip_iteratorINS8_5tupleINS8_6detail15normal_iteratorINS8_10device_ptrIiEEEESH_NS8_9null_typeESI_SI_SI_SI_SI_SI_SI_EEEENS9_21zip_adj_not_predicateI22is_equal_div_10_uniqueIiEEEEEPllNS8_4plusIlEEEE10hipError_tPvRmT1_T2_T3_mT4_P12ihipStream_tbEUlT_E1_NS1_11comp_targetILNS1_3genE8ELNS1_11target_archE1030ELNS1_3gpuE2ELNS1_3repE0EEENS1_30default_config_static_selectorELNS0_4arch9wavefront6targetE1EEEvSW_.num_vgpr, 0
	.set _ZN7rocprim17ROCPRIM_400000_NS6detail17trampoline_kernelINS0_14default_configENS1_22reduce_config_selectorIlEEZNS1_11reduce_implILb1ES3_N6thrust23THRUST_200600_302600_NS11hip_rocprim26transform_input_iterator_tIlNS8_12zip_iteratorINS8_5tupleINS8_6detail15normal_iteratorINS8_10device_ptrIiEEEESH_NS8_9null_typeESI_SI_SI_SI_SI_SI_SI_EEEENS9_21zip_adj_not_predicateI22is_equal_div_10_uniqueIiEEEEEPllNS8_4plusIlEEEE10hipError_tPvRmT1_T2_T3_mT4_P12ihipStream_tbEUlT_E1_NS1_11comp_targetILNS1_3genE8ELNS1_11target_archE1030ELNS1_3gpuE2ELNS1_3repE0EEENS1_30default_config_static_selectorELNS0_4arch9wavefront6targetE1EEEvSW_.num_agpr, 0
	.set _ZN7rocprim17ROCPRIM_400000_NS6detail17trampoline_kernelINS0_14default_configENS1_22reduce_config_selectorIlEEZNS1_11reduce_implILb1ES3_N6thrust23THRUST_200600_302600_NS11hip_rocprim26transform_input_iterator_tIlNS8_12zip_iteratorINS8_5tupleINS8_6detail15normal_iteratorINS8_10device_ptrIiEEEESH_NS8_9null_typeESI_SI_SI_SI_SI_SI_SI_EEEENS9_21zip_adj_not_predicateI22is_equal_div_10_uniqueIiEEEEEPllNS8_4plusIlEEEE10hipError_tPvRmT1_T2_T3_mT4_P12ihipStream_tbEUlT_E1_NS1_11comp_targetILNS1_3genE8ELNS1_11target_archE1030ELNS1_3gpuE2ELNS1_3repE0EEENS1_30default_config_static_selectorELNS0_4arch9wavefront6targetE1EEEvSW_.numbered_sgpr, 0
	.set _ZN7rocprim17ROCPRIM_400000_NS6detail17trampoline_kernelINS0_14default_configENS1_22reduce_config_selectorIlEEZNS1_11reduce_implILb1ES3_N6thrust23THRUST_200600_302600_NS11hip_rocprim26transform_input_iterator_tIlNS8_12zip_iteratorINS8_5tupleINS8_6detail15normal_iteratorINS8_10device_ptrIiEEEESH_NS8_9null_typeESI_SI_SI_SI_SI_SI_SI_EEEENS9_21zip_adj_not_predicateI22is_equal_div_10_uniqueIiEEEEEPllNS8_4plusIlEEEE10hipError_tPvRmT1_T2_T3_mT4_P12ihipStream_tbEUlT_E1_NS1_11comp_targetILNS1_3genE8ELNS1_11target_archE1030ELNS1_3gpuE2ELNS1_3repE0EEENS1_30default_config_static_selectorELNS0_4arch9wavefront6targetE1EEEvSW_.num_named_barrier, 0
	.set _ZN7rocprim17ROCPRIM_400000_NS6detail17trampoline_kernelINS0_14default_configENS1_22reduce_config_selectorIlEEZNS1_11reduce_implILb1ES3_N6thrust23THRUST_200600_302600_NS11hip_rocprim26transform_input_iterator_tIlNS8_12zip_iteratorINS8_5tupleINS8_6detail15normal_iteratorINS8_10device_ptrIiEEEESH_NS8_9null_typeESI_SI_SI_SI_SI_SI_SI_EEEENS9_21zip_adj_not_predicateI22is_equal_div_10_uniqueIiEEEEEPllNS8_4plusIlEEEE10hipError_tPvRmT1_T2_T3_mT4_P12ihipStream_tbEUlT_E1_NS1_11comp_targetILNS1_3genE8ELNS1_11target_archE1030ELNS1_3gpuE2ELNS1_3repE0EEENS1_30default_config_static_selectorELNS0_4arch9wavefront6targetE1EEEvSW_.private_seg_size, 0
	.set _ZN7rocprim17ROCPRIM_400000_NS6detail17trampoline_kernelINS0_14default_configENS1_22reduce_config_selectorIlEEZNS1_11reduce_implILb1ES3_N6thrust23THRUST_200600_302600_NS11hip_rocprim26transform_input_iterator_tIlNS8_12zip_iteratorINS8_5tupleINS8_6detail15normal_iteratorINS8_10device_ptrIiEEEESH_NS8_9null_typeESI_SI_SI_SI_SI_SI_SI_EEEENS9_21zip_adj_not_predicateI22is_equal_div_10_uniqueIiEEEEEPllNS8_4plusIlEEEE10hipError_tPvRmT1_T2_T3_mT4_P12ihipStream_tbEUlT_E1_NS1_11comp_targetILNS1_3genE8ELNS1_11target_archE1030ELNS1_3gpuE2ELNS1_3repE0EEENS1_30default_config_static_selectorELNS0_4arch9wavefront6targetE1EEEvSW_.uses_vcc, 0
	.set _ZN7rocprim17ROCPRIM_400000_NS6detail17trampoline_kernelINS0_14default_configENS1_22reduce_config_selectorIlEEZNS1_11reduce_implILb1ES3_N6thrust23THRUST_200600_302600_NS11hip_rocprim26transform_input_iterator_tIlNS8_12zip_iteratorINS8_5tupleINS8_6detail15normal_iteratorINS8_10device_ptrIiEEEESH_NS8_9null_typeESI_SI_SI_SI_SI_SI_SI_EEEENS9_21zip_adj_not_predicateI22is_equal_div_10_uniqueIiEEEEEPllNS8_4plusIlEEEE10hipError_tPvRmT1_T2_T3_mT4_P12ihipStream_tbEUlT_E1_NS1_11comp_targetILNS1_3genE8ELNS1_11target_archE1030ELNS1_3gpuE2ELNS1_3repE0EEENS1_30default_config_static_selectorELNS0_4arch9wavefront6targetE1EEEvSW_.uses_flat_scratch, 0
	.set _ZN7rocprim17ROCPRIM_400000_NS6detail17trampoline_kernelINS0_14default_configENS1_22reduce_config_selectorIlEEZNS1_11reduce_implILb1ES3_N6thrust23THRUST_200600_302600_NS11hip_rocprim26transform_input_iterator_tIlNS8_12zip_iteratorINS8_5tupleINS8_6detail15normal_iteratorINS8_10device_ptrIiEEEESH_NS8_9null_typeESI_SI_SI_SI_SI_SI_SI_EEEENS9_21zip_adj_not_predicateI22is_equal_div_10_uniqueIiEEEEEPllNS8_4plusIlEEEE10hipError_tPvRmT1_T2_T3_mT4_P12ihipStream_tbEUlT_E1_NS1_11comp_targetILNS1_3genE8ELNS1_11target_archE1030ELNS1_3gpuE2ELNS1_3repE0EEENS1_30default_config_static_selectorELNS0_4arch9wavefront6targetE1EEEvSW_.has_dyn_sized_stack, 0
	.set _ZN7rocprim17ROCPRIM_400000_NS6detail17trampoline_kernelINS0_14default_configENS1_22reduce_config_selectorIlEEZNS1_11reduce_implILb1ES3_N6thrust23THRUST_200600_302600_NS11hip_rocprim26transform_input_iterator_tIlNS8_12zip_iteratorINS8_5tupleINS8_6detail15normal_iteratorINS8_10device_ptrIiEEEESH_NS8_9null_typeESI_SI_SI_SI_SI_SI_SI_EEEENS9_21zip_adj_not_predicateI22is_equal_div_10_uniqueIiEEEEEPllNS8_4plusIlEEEE10hipError_tPvRmT1_T2_T3_mT4_P12ihipStream_tbEUlT_E1_NS1_11comp_targetILNS1_3genE8ELNS1_11target_archE1030ELNS1_3gpuE2ELNS1_3repE0EEENS1_30default_config_static_selectorELNS0_4arch9wavefront6targetE1EEEvSW_.has_recursion, 0
	.set _ZN7rocprim17ROCPRIM_400000_NS6detail17trampoline_kernelINS0_14default_configENS1_22reduce_config_selectorIlEEZNS1_11reduce_implILb1ES3_N6thrust23THRUST_200600_302600_NS11hip_rocprim26transform_input_iterator_tIlNS8_12zip_iteratorINS8_5tupleINS8_6detail15normal_iteratorINS8_10device_ptrIiEEEESH_NS8_9null_typeESI_SI_SI_SI_SI_SI_SI_EEEENS9_21zip_adj_not_predicateI22is_equal_div_10_uniqueIiEEEEEPllNS8_4plusIlEEEE10hipError_tPvRmT1_T2_T3_mT4_P12ihipStream_tbEUlT_E1_NS1_11comp_targetILNS1_3genE8ELNS1_11target_archE1030ELNS1_3gpuE2ELNS1_3repE0EEENS1_30default_config_static_selectorELNS0_4arch9wavefront6targetE1EEEvSW_.has_indirect_call, 0
	.section	.AMDGPU.csdata,"",@progbits
; Kernel info:
; codeLenInByte = 0
; TotalNumSgprs: 4
; NumVgprs: 0
; ScratchSize: 0
; MemoryBound: 0
; FloatMode: 240
; IeeeMode: 1
; LDSByteSize: 0 bytes/workgroup (compile time only)
; SGPRBlocks: 0
; VGPRBlocks: 0
; NumSGPRsForWavesPerEU: 4
; NumVGPRsForWavesPerEU: 1
; Occupancy: 10
; WaveLimiterHint : 0
; COMPUTE_PGM_RSRC2:SCRATCH_EN: 0
; COMPUTE_PGM_RSRC2:USER_SGPR: 6
; COMPUTE_PGM_RSRC2:TRAP_HANDLER: 0
; COMPUTE_PGM_RSRC2:TGID_X_EN: 1
; COMPUTE_PGM_RSRC2:TGID_Y_EN: 0
; COMPUTE_PGM_RSRC2:TGID_Z_EN: 0
; COMPUTE_PGM_RSRC2:TIDIG_COMP_CNT: 0
	.section	.text._ZN7rocprim17ROCPRIM_400000_NS6detail17trampoline_kernelINS0_14default_configENS1_22reduce_config_selectorIlEEZNS1_11reduce_implILb1ES3_N6thrust23THRUST_200600_302600_NS11hip_rocprim26transform_input_iterator_tIlNS8_12zip_iteratorINS8_5tupleINS8_6detail15normal_iteratorINS8_10device_ptrIsEEEESH_NS8_9null_typeESI_SI_SI_SI_SI_SI_SI_EEEENS9_21zip_adj_not_predicateINS8_8equal_toIsEEEEEEPllNS8_4plusIlEEEE10hipError_tPvRmT1_T2_T3_mT4_P12ihipStream_tbEUlT_E0_NS1_11comp_targetILNS1_3genE0ELNS1_11target_archE4294967295ELNS1_3gpuE0ELNS1_3repE0EEENS1_30default_config_static_selectorELNS0_4arch9wavefront6targetE1EEEvSW_,"axG",@progbits,_ZN7rocprim17ROCPRIM_400000_NS6detail17trampoline_kernelINS0_14default_configENS1_22reduce_config_selectorIlEEZNS1_11reduce_implILb1ES3_N6thrust23THRUST_200600_302600_NS11hip_rocprim26transform_input_iterator_tIlNS8_12zip_iteratorINS8_5tupleINS8_6detail15normal_iteratorINS8_10device_ptrIsEEEESH_NS8_9null_typeESI_SI_SI_SI_SI_SI_SI_EEEENS9_21zip_adj_not_predicateINS8_8equal_toIsEEEEEEPllNS8_4plusIlEEEE10hipError_tPvRmT1_T2_T3_mT4_P12ihipStream_tbEUlT_E0_NS1_11comp_targetILNS1_3genE0ELNS1_11target_archE4294967295ELNS1_3gpuE0ELNS1_3repE0EEENS1_30default_config_static_selectorELNS0_4arch9wavefront6targetE1EEEvSW_,comdat
	.protected	_ZN7rocprim17ROCPRIM_400000_NS6detail17trampoline_kernelINS0_14default_configENS1_22reduce_config_selectorIlEEZNS1_11reduce_implILb1ES3_N6thrust23THRUST_200600_302600_NS11hip_rocprim26transform_input_iterator_tIlNS8_12zip_iteratorINS8_5tupleINS8_6detail15normal_iteratorINS8_10device_ptrIsEEEESH_NS8_9null_typeESI_SI_SI_SI_SI_SI_SI_EEEENS9_21zip_adj_not_predicateINS8_8equal_toIsEEEEEEPllNS8_4plusIlEEEE10hipError_tPvRmT1_T2_T3_mT4_P12ihipStream_tbEUlT_E0_NS1_11comp_targetILNS1_3genE0ELNS1_11target_archE4294967295ELNS1_3gpuE0ELNS1_3repE0EEENS1_30default_config_static_selectorELNS0_4arch9wavefront6targetE1EEEvSW_ ; -- Begin function _ZN7rocprim17ROCPRIM_400000_NS6detail17trampoline_kernelINS0_14default_configENS1_22reduce_config_selectorIlEEZNS1_11reduce_implILb1ES3_N6thrust23THRUST_200600_302600_NS11hip_rocprim26transform_input_iterator_tIlNS8_12zip_iteratorINS8_5tupleINS8_6detail15normal_iteratorINS8_10device_ptrIsEEEESH_NS8_9null_typeESI_SI_SI_SI_SI_SI_SI_EEEENS9_21zip_adj_not_predicateINS8_8equal_toIsEEEEEEPllNS8_4plusIlEEEE10hipError_tPvRmT1_T2_T3_mT4_P12ihipStream_tbEUlT_E0_NS1_11comp_targetILNS1_3genE0ELNS1_11target_archE4294967295ELNS1_3gpuE0ELNS1_3repE0EEENS1_30default_config_static_selectorELNS0_4arch9wavefront6targetE1EEEvSW_
	.globl	_ZN7rocprim17ROCPRIM_400000_NS6detail17trampoline_kernelINS0_14default_configENS1_22reduce_config_selectorIlEEZNS1_11reduce_implILb1ES3_N6thrust23THRUST_200600_302600_NS11hip_rocprim26transform_input_iterator_tIlNS8_12zip_iteratorINS8_5tupleINS8_6detail15normal_iteratorINS8_10device_ptrIsEEEESH_NS8_9null_typeESI_SI_SI_SI_SI_SI_SI_EEEENS9_21zip_adj_not_predicateINS8_8equal_toIsEEEEEEPllNS8_4plusIlEEEE10hipError_tPvRmT1_T2_T3_mT4_P12ihipStream_tbEUlT_E0_NS1_11comp_targetILNS1_3genE0ELNS1_11target_archE4294967295ELNS1_3gpuE0ELNS1_3repE0EEENS1_30default_config_static_selectorELNS0_4arch9wavefront6targetE1EEEvSW_
	.p2align	8
	.type	_ZN7rocprim17ROCPRIM_400000_NS6detail17trampoline_kernelINS0_14default_configENS1_22reduce_config_selectorIlEEZNS1_11reduce_implILb1ES3_N6thrust23THRUST_200600_302600_NS11hip_rocprim26transform_input_iterator_tIlNS8_12zip_iteratorINS8_5tupleINS8_6detail15normal_iteratorINS8_10device_ptrIsEEEESH_NS8_9null_typeESI_SI_SI_SI_SI_SI_SI_EEEENS9_21zip_adj_not_predicateINS8_8equal_toIsEEEEEEPllNS8_4plusIlEEEE10hipError_tPvRmT1_T2_T3_mT4_P12ihipStream_tbEUlT_E0_NS1_11comp_targetILNS1_3genE0ELNS1_11target_archE4294967295ELNS1_3gpuE0ELNS1_3repE0EEENS1_30default_config_static_selectorELNS0_4arch9wavefront6targetE1EEEvSW_,@function
_ZN7rocprim17ROCPRIM_400000_NS6detail17trampoline_kernelINS0_14default_configENS1_22reduce_config_selectorIlEEZNS1_11reduce_implILb1ES3_N6thrust23THRUST_200600_302600_NS11hip_rocprim26transform_input_iterator_tIlNS8_12zip_iteratorINS8_5tupleINS8_6detail15normal_iteratorINS8_10device_ptrIsEEEESH_NS8_9null_typeESI_SI_SI_SI_SI_SI_SI_EEEENS9_21zip_adj_not_predicateINS8_8equal_toIsEEEEEEPllNS8_4plusIlEEEE10hipError_tPvRmT1_T2_T3_mT4_P12ihipStream_tbEUlT_E0_NS1_11comp_targetILNS1_3genE0ELNS1_11target_archE4294967295ELNS1_3gpuE0ELNS1_3repE0EEENS1_30default_config_static_selectorELNS0_4arch9wavefront6targetE1EEEvSW_: ; @_ZN7rocprim17ROCPRIM_400000_NS6detail17trampoline_kernelINS0_14default_configENS1_22reduce_config_selectorIlEEZNS1_11reduce_implILb1ES3_N6thrust23THRUST_200600_302600_NS11hip_rocprim26transform_input_iterator_tIlNS8_12zip_iteratorINS8_5tupleINS8_6detail15normal_iteratorINS8_10device_ptrIsEEEESH_NS8_9null_typeESI_SI_SI_SI_SI_SI_SI_EEEENS9_21zip_adj_not_predicateINS8_8equal_toIsEEEEEEPllNS8_4plusIlEEEE10hipError_tPvRmT1_T2_T3_mT4_P12ihipStream_tbEUlT_E0_NS1_11comp_targetILNS1_3genE0ELNS1_11target_archE4294967295ELNS1_3gpuE0ELNS1_3repE0EEENS1_30default_config_static_selectorELNS0_4arch9wavefront6targetE1EEEvSW_
; %bb.0:
	.section	.rodata,"a",@progbits
	.p2align	6, 0x0
	.amdhsa_kernel _ZN7rocprim17ROCPRIM_400000_NS6detail17trampoline_kernelINS0_14default_configENS1_22reduce_config_selectorIlEEZNS1_11reduce_implILb1ES3_N6thrust23THRUST_200600_302600_NS11hip_rocprim26transform_input_iterator_tIlNS8_12zip_iteratorINS8_5tupleINS8_6detail15normal_iteratorINS8_10device_ptrIsEEEESH_NS8_9null_typeESI_SI_SI_SI_SI_SI_SI_EEEENS9_21zip_adj_not_predicateINS8_8equal_toIsEEEEEEPllNS8_4plusIlEEEE10hipError_tPvRmT1_T2_T3_mT4_P12ihipStream_tbEUlT_E0_NS1_11comp_targetILNS1_3genE0ELNS1_11target_archE4294967295ELNS1_3gpuE0ELNS1_3repE0EEENS1_30default_config_static_selectorELNS0_4arch9wavefront6targetE1EEEvSW_
		.amdhsa_group_segment_fixed_size 0
		.amdhsa_private_segment_fixed_size 0
		.amdhsa_kernarg_size 80
		.amdhsa_user_sgpr_count 6
		.amdhsa_user_sgpr_private_segment_buffer 1
		.amdhsa_user_sgpr_dispatch_ptr 0
		.amdhsa_user_sgpr_queue_ptr 0
		.amdhsa_user_sgpr_kernarg_segment_ptr 1
		.amdhsa_user_sgpr_dispatch_id 0
		.amdhsa_user_sgpr_flat_scratch_init 0
		.amdhsa_user_sgpr_private_segment_size 0
		.amdhsa_uses_dynamic_stack 0
		.amdhsa_system_sgpr_private_segment_wavefront_offset 0
		.amdhsa_system_sgpr_workgroup_id_x 1
		.amdhsa_system_sgpr_workgroup_id_y 0
		.amdhsa_system_sgpr_workgroup_id_z 0
		.amdhsa_system_sgpr_workgroup_info 0
		.amdhsa_system_vgpr_workitem_id 0
		.amdhsa_next_free_vgpr 1
		.amdhsa_next_free_sgpr 0
		.amdhsa_reserve_vcc 0
		.amdhsa_reserve_flat_scratch 0
		.amdhsa_float_round_mode_32 0
		.amdhsa_float_round_mode_16_64 0
		.amdhsa_float_denorm_mode_32 3
		.amdhsa_float_denorm_mode_16_64 3
		.amdhsa_dx10_clamp 1
		.amdhsa_ieee_mode 1
		.amdhsa_fp16_overflow 0
		.amdhsa_exception_fp_ieee_invalid_op 0
		.amdhsa_exception_fp_denorm_src 0
		.amdhsa_exception_fp_ieee_div_zero 0
		.amdhsa_exception_fp_ieee_overflow 0
		.amdhsa_exception_fp_ieee_underflow 0
		.amdhsa_exception_fp_ieee_inexact 0
		.amdhsa_exception_int_div_zero 0
	.end_amdhsa_kernel
	.section	.text._ZN7rocprim17ROCPRIM_400000_NS6detail17trampoline_kernelINS0_14default_configENS1_22reduce_config_selectorIlEEZNS1_11reduce_implILb1ES3_N6thrust23THRUST_200600_302600_NS11hip_rocprim26transform_input_iterator_tIlNS8_12zip_iteratorINS8_5tupleINS8_6detail15normal_iteratorINS8_10device_ptrIsEEEESH_NS8_9null_typeESI_SI_SI_SI_SI_SI_SI_EEEENS9_21zip_adj_not_predicateINS8_8equal_toIsEEEEEEPllNS8_4plusIlEEEE10hipError_tPvRmT1_T2_T3_mT4_P12ihipStream_tbEUlT_E0_NS1_11comp_targetILNS1_3genE0ELNS1_11target_archE4294967295ELNS1_3gpuE0ELNS1_3repE0EEENS1_30default_config_static_selectorELNS0_4arch9wavefront6targetE1EEEvSW_,"axG",@progbits,_ZN7rocprim17ROCPRIM_400000_NS6detail17trampoline_kernelINS0_14default_configENS1_22reduce_config_selectorIlEEZNS1_11reduce_implILb1ES3_N6thrust23THRUST_200600_302600_NS11hip_rocprim26transform_input_iterator_tIlNS8_12zip_iteratorINS8_5tupleINS8_6detail15normal_iteratorINS8_10device_ptrIsEEEESH_NS8_9null_typeESI_SI_SI_SI_SI_SI_SI_EEEENS9_21zip_adj_not_predicateINS8_8equal_toIsEEEEEEPllNS8_4plusIlEEEE10hipError_tPvRmT1_T2_T3_mT4_P12ihipStream_tbEUlT_E0_NS1_11comp_targetILNS1_3genE0ELNS1_11target_archE4294967295ELNS1_3gpuE0ELNS1_3repE0EEENS1_30default_config_static_selectorELNS0_4arch9wavefront6targetE1EEEvSW_,comdat
.Lfunc_end995:
	.size	_ZN7rocprim17ROCPRIM_400000_NS6detail17trampoline_kernelINS0_14default_configENS1_22reduce_config_selectorIlEEZNS1_11reduce_implILb1ES3_N6thrust23THRUST_200600_302600_NS11hip_rocprim26transform_input_iterator_tIlNS8_12zip_iteratorINS8_5tupleINS8_6detail15normal_iteratorINS8_10device_ptrIsEEEESH_NS8_9null_typeESI_SI_SI_SI_SI_SI_SI_EEEENS9_21zip_adj_not_predicateINS8_8equal_toIsEEEEEEPllNS8_4plusIlEEEE10hipError_tPvRmT1_T2_T3_mT4_P12ihipStream_tbEUlT_E0_NS1_11comp_targetILNS1_3genE0ELNS1_11target_archE4294967295ELNS1_3gpuE0ELNS1_3repE0EEENS1_30default_config_static_selectorELNS0_4arch9wavefront6targetE1EEEvSW_, .Lfunc_end995-_ZN7rocprim17ROCPRIM_400000_NS6detail17trampoline_kernelINS0_14default_configENS1_22reduce_config_selectorIlEEZNS1_11reduce_implILb1ES3_N6thrust23THRUST_200600_302600_NS11hip_rocprim26transform_input_iterator_tIlNS8_12zip_iteratorINS8_5tupleINS8_6detail15normal_iteratorINS8_10device_ptrIsEEEESH_NS8_9null_typeESI_SI_SI_SI_SI_SI_SI_EEEENS9_21zip_adj_not_predicateINS8_8equal_toIsEEEEEEPllNS8_4plusIlEEEE10hipError_tPvRmT1_T2_T3_mT4_P12ihipStream_tbEUlT_E0_NS1_11comp_targetILNS1_3genE0ELNS1_11target_archE4294967295ELNS1_3gpuE0ELNS1_3repE0EEENS1_30default_config_static_selectorELNS0_4arch9wavefront6targetE1EEEvSW_
                                        ; -- End function
	.set _ZN7rocprim17ROCPRIM_400000_NS6detail17trampoline_kernelINS0_14default_configENS1_22reduce_config_selectorIlEEZNS1_11reduce_implILb1ES3_N6thrust23THRUST_200600_302600_NS11hip_rocprim26transform_input_iterator_tIlNS8_12zip_iteratorINS8_5tupleINS8_6detail15normal_iteratorINS8_10device_ptrIsEEEESH_NS8_9null_typeESI_SI_SI_SI_SI_SI_SI_EEEENS9_21zip_adj_not_predicateINS8_8equal_toIsEEEEEEPllNS8_4plusIlEEEE10hipError_tPvRmT1_T2_T3_mT4_P12ihipStream_tbEUlT_E0_NS1_11comp_targetILNS1_3genE0ELNS1_11target_archE4294967295ELNS1_3gpuE0ELNS1_3repE0EEENS1_30default_config_static_selectorELNS0_4arch9wavefront6targetE1EEEvSW_.num_vgpr, 0
	.set _ZN7rocprim17ROCPRIM_400000_NS6detail17trampoline_kernelINS0_14default_configENS1_22reduce_config_selectorIlEEZNS1_11reduce_implILb1ES3_N6thrust23THRUST_200600_302600_NS11hip_rocprim26transform_input_iterator_tIlNS8_12zip_iteratorINS8_5tupleINS8_6detail15normal_iteratorINS8_10device_ptrIsEEEESH_NS8_9null_typeESI_SI_SI_SI_SI_SI_SI_EEEENS9_21zip_adj_not_predicateINS8_8equal_toIsEEEEEEPllNS8_4plusIlEEEE10hipError_tPvRmT1_T2_T3_mT4_P12ihipStream_tbEUlT_E0_NS1_11comp_targetILNS1_3genE0ELNS1_11target_archE4294967295ELNS1_3gpuE0ELNS1_3repE0EEENS1_30default_config_static_selectorELNS0_4arch9wavefront6targetE1EEEvSW_.num_agpr, 0
	.set _ZN7rocprim17ROCPRIM_400000_NS6detail17trampoline_kernelINS0_14default_configENS1_22reduce_config_selectorIlEEZNS1_11reduce_implILb1ES3_N6thrust23THRUST_200600_302600_NS11hip_rocprim26transform_input_iterator_tIlNS8_12zip_iteratorINS8_5tupleINS8_6detail15normal_iteratorINS8_10device_ptrIsEEEESH_NS8_9null_typeESI_SI_SI_SI_SI_SI_SI_EEEENS9_21zip_adj_not_predicateINS8_8equal_toIsEEEEEEPllNS8_4plusIlEEEE10hipError_tPvRmT1_T2_T3_mT4_P12ihipStream_tbEUlT_E0_NS1_11comp_targetILNS1_3genE0ELNS1_11target_archE4294967295ELNS1_3gpuE0ELNS1_3repE0EEENS1_30default_config_static_selectorELNS0_4arch9wavefront6targetE1EEEvSW_.numbered_sgpr, 0
	.set _ZN7rocprim17ROCPRIM_400000_NS6detail17trampoline_kernelINS0_14default_configENS1_22reduce_config_selectorIlEEZNS1_11reduce_implILb1ES3_N6thrust23THRUST_200600_302600_NS11hip_rocprim26transform_input_iterator_tIlNS8_12zip_iteratorINS8_5tupleINS8_6detail15normal_iteratorINS8_10device_ptrIsEEEESH_NS8_9null_typeESI_SI_SI_SI_SI_SI_SI_EEEENS9_21zip_adj_not_predicateINS8_8equal_toIsEEEEEEPllNS8_4plusIlEEEE10hipError_tPvRmT1_T2_T3_mT4_P12ihipStream_tbEUlT_E0_NS1_11comp_targetILNS1_3genE0ELNS1_11target_archE4294967295ELNS1_3gpuE0ELNS1_3repE0EEENS1_30default_config_static_selectorELNS0_4arch9wavefront6targetE1EEEvSW_.num_named_barrier, 0
	.set _ZN7rocprim17ROCPRIM_400000_NS6detail17trampoline_kernelINS0_14default_configENS1_22reduce_config_selectorIlEEZNS1_11reduce_implILb1ES3_N6thrust23THRUST_200600_302600_NS11hip_rocprim26transform_input_iterator_tIlNS8_12zip_iteratorINS8_5tupleINS8_6detail15normal_iteratorINS8_10device_ptrIsEEEESH_NS8_9null_typeESI_SI_SI_SI_SI_SI_SI_EEEENS9_21zip_adj_not_predicateINS8_8equal_toIsEEEEEEPllNS8_4plusIlEEEE10hipError_tPvRmT1_T2_T3_mT4_P12ihipStream_tbEUlT_E0_NS1_11comp_targetILNS1_3genE0ELNS1_11target_archE4294967295ELNS1_3gpuE0ELNS1_3repE0EEENS1_30default_config_static_selectorELNS0_4arch9wavefront6targetE1EEEvSW_.private_seg_size, 0
	.set _ZN7rocprim17ROCPRIM_400000_NS6detail17trampoline_kernelINS0_14default_configENS1_22reduce_config_selectorIlEEZNS1_11reduce_implILb1ES3_N6thrust23THRUST_200600_302600_NS11hip_rocprim26transform_input_iterator_tIlNS8_12zip_iteratorINS8_5tupleINS8_6detail15normal_iteratorINS8_10device_ptrIsEEEESH_NS8_9null_typeESI_SI_SI_SI_SI_SI_SI_EEEENS9_21zip_adj_not_predicateINS8_8equal_toIsEEEEEEPllNS8_4plusIlEEEE10hipError_tPvRmT1_T2_T3_mT4_P12ihipStream_tbEUlT_E0_NS1_11comp_targetILNS1_3genE0ELNS1_11target_archE4294967295ELNS1_3gpuE0ELNS1_3repE0EEENS1_30default_config_static_selectorELNS0_4arch9wavefront6targetE1EEEvSW_.uses_vcc, 0
	.set _ZN7rocprim17ROCPRIM_400000_NS6detail17trampoline_kernelINS0_14default_configENS1_22reduce_config_selectorIlEEZNS1_11reduce_implILb1ES3_N6thrust23THRUST_200600_302600_NS11hip_rocprim26transform_input_iterator_tIlNS8_12zip_iteratorINS8_5tupleINS8_6detail15normal_iteratorINS8_10device_ptrIsEEEESH_NS8_9null_typeESI_SI_SI_SI_SI_SI_SI_EEEENS9_21zip_adj_not_predicateINS8_8equal_toIsEEEEEEPllNS8_4plusIlEEEE10hipError_tPvRmT1_T2_T3_mT4_P12ihipStream_tbEUlT_E0_NS1_11comp_targetILNS1_3genE0ELNS1_11target_archE4294967295ELNS1_3gpuE0ELNS1_3repE0EEENS1_30default_config_static_selectorELNS0_4arch9wavefront6targetE1EEEvSW_.uses_flat_scratch, 0
	.set _ZN7rocprim17ROCPRIM_400000_NS6detail17trampoline_kernelINS0_14default_configENS1_22reduce_config_selectorIlEEZNS1_11reduce_implILb1ES3_N6thrust23THRUST_200600_302600_NS11hip_rocprim26transform_input_iterator_tIlNS8_12zip_iteratorINS8_5tupleINS8_6detail15normal_iteratorINS8_10device_ptrIsEEEESH_NS8_9null_typeESI_SI_SI_SI_SI_SI_SI_EEEENS9_21zip_adj_not_predicateINS8_8equal_toIsEEEEEEPllNS8_4plusIlEEEE10hipError_tPvRmT1_T2_T3_mT4_P12ihipStream_tbEUlT_E0_NS1_11comp_targetILNS1_3genE0ELNS1_11target_archE4294967295ELNS1_3gpuE0ELNS1_3repE0EEENS1_30default_config_static_selectorELNS0_4arch9wavefront6targetE1EEEvSW_.has_dyn_sized_stack, 0
	.set _ZN7rocprim17ROCPRIM_400000_NS6detail17trampoline_kernelINS0_14default_configENS1_22reduce_config_selectorIlEEZNS1_11reduce_implILb1ES3_N6thrust23THRUST_200600_302600_NS11hip_rocprim26transform_input_iterator_tIlNS8_12zip_iteratorINS8_5tupleINS8_6detail15normal_iteratorINS8_10device_ptrIsEEEESH_NS8_9null_typeESI_SI_SI_SI_SI_SI_SI_EEEENS9_21zip_adj_not_predicateINS8_8equal_toIsEEEEEEPllNS8_4plusIlEEEE10hipError_tPvRmT1_T2_T3_mT4_P12ihipStream_tbEUlT_E0_NS1_11comp_targetILNS1_3genE0ELNS1_11target_archE4294967295ELNS1_3gpuE0ELNS1_3repE0EEENS1_30default_config_static_selectorELNS0_4arch9wavefront6targetE1EEEvSW_.has_recursion, 0
	.set _ZN7rocprim17ROCPRIM_400000_NS6detail17trampoline_kernelINS0_14default_configENS1_22reduce_config_selectorIlEEZNS1_11reduce_implILb1ES3_N6thrust23THRUST_200600_302600_NS11hip_rocprim26transform_input_iterator_tIlNS8_12zip_iteratorINS8_5tupleINS8_6detail15normal_iteratorINS8_10device_ptrIsEEEESH_NS8_9null_typeESI_SI_SI_SI_SI_SI_SI_EEEENS9_21zip_adj_not_predicateINS8_8equal_toIsEEEEEEPllNS8_4plusIlEEEE10hipError_tPvRmT1_T2_T3_mT4_P12ihipStream_tbEUlT_E0_NS1_11comp_targetILNS1_3genE0ELNS1_11target_archE4294967295ELNS1_3gpuE0ELNS1_3repE0EEENS1_30default_config_static_selectorELNS0_4arch9wavefront6targetE1EEEvSW_.has_indirect_call, 0
	.section	.AMDGPU.csdata,"",@progbits
; Kernel info:
; codeLenInByte = 0
; TotalNumSgprs: 4
; NumVgprs: 0
; ScratchSize: 0
; MemoryBound: 0
; FloatMode: 240
; IeeeMode: 1
; LDSByteSize: 0 bytes/workgroup (compile time only)
; SGPRBlocks: 0
; VGPRBlocks: 0
; NumSGPRsForWavesPerEU: 4
; NumVGPRsForWavesPerEU: 1
; Occupancy: 10
; WaveLimiterHint : 0
; COMPUTE_PGM_RSRC2:SCRATCH_EN: 0
; COMPUTE_PGM_RSRC2:USER_SGPR: 6
; COMPUTE_PGM_RSRC2:TRAP_HANDLER: 0
; COMPUTE_PGM_RSRC2:TGID_X_EN: 1
; COMPUTE_PGM_RSRC2:TGID_Y_EN: 0
; COMPUTE_PGM_RSRC2:TGID_Z_EN: 0
; COMPUTE_PGM_RSRC2:TIDIG_COMP_CNT: 0
	.section	.text._ZN7rocprim17ROCPRIM_400000_NS6detail17trampoline_kernelINS0_14default_configENS1_22reduce_config_selectorIlEEZNS1_11reduce_implILb1ES3_N6thrust23THRUST_200600_302600_NS11hip_rocprim26transform_input_iterator_tIlNS8_12zip_iteratorINS8_5tupleINS8_6detail15normal_iteratorINS8_10device_ptrIsEEEESH_NS8_9null_typeESI_SI_SI_SI_SI_SI_SI_EEEENS9_21zip_adj_not_predicateINS8_8equal_toIsEEEEEEPllNS8_4plusIlEEEE10hipError_tPvRmT1_T2_T3_mT4_P12ihipStream_tbEUlT_E0_NS1_11comp_targetILNS1_3genE5ELNS1_11target_archE942ELNS1_3gpuE9ELNS1_3repE0EEENS1_30default_config_static_selectorELNS0_4arch9wavefront6targetE1EEEvSW_,"axG",@progbits,_ZN7rocprim17ROCPRIM_400000_NS6detail17trampoline_kernelINS0_14default_configENS1_22reduce_config_selectorIlEEZNS1_11reduce_implILb1ES3_N6thrust23THRUST_200600_302600_NS11hip_rocprim26transform_input_iterator_tIlNS8_12zip_iteratorINS8_5tupleINS8_6detail15normal_iteratorINS8_10device_ptrIsEEEESH_NS8_9null_typeESI_SI_SI_SI_SI_SI_SI_EEEENS9_21zip_adj_not_predicateINS8_8equal_toIsEEEEEEPllNS8_4plusIlEEEE10hipError_tPvRmT1_T2_T3_mT4_P12ihipStream_tbEUlT_E0_NS1_11comp_targetILNS1_3genE5ELNS1_11target_archE942ELNS1_3gpuE9ELNS1_3repE0EEENS1_30default_config_static_selectorELNS0_4arch9wavefront6targetE1EEEvSW_,comdat
	.protected	_ZN7rocprim17ROCPRIM_400000_NS6detail17trampoline_kernelINS0_14default_configENS1_22reduce_config_selectorIlEEZNS1_11reduce_implILb1ES3_N6thrust23THRUST_200600_302600_NS11hip_rocprim26transform_input_iterator_tIlNS8_12zip_iteratorINS8_5tupleINS8_6detail15normal_iteratorINS8_10device_ptrIsEEEESH_NS8_9null_typeESI_SI_SI_SI_SI_SI_SI_EEEENS9_21zip_adj_not_predicateINS8_8equal_toIsEEEEEEPllNS8_4plusIlEEEE10hipError_tPvRmT1_T2_T3_mT4_P12ihipStream_tbEUlT_E0_NS1_11comp_targetILNS1_3genE5ELNS1_11target_archE942ELNS1_3gpuE9ELNS1_3repE0EEENS1_30default_config_static_selectorELNS0_4arch9wavefront6targetE1EEEvSW_ ; -- Begin function _ZN7rocprim17ROCPRIM_400000_NS6detail17trampoline_kernelINS0_14default_configENS1_22reduce_config_selectorIlEEZNS1_11reduce_implILb1ES3_N6thrust23THRUST_200600_302600_NS11hip_rocprim26transform_input_iterator_tIlNS8_12zip_iteratorINS8_5tupleINS8_6detail15normal_iteratorINS8_10device_ptrIsEEEESH_NS8_9null_typeESI_SI_SI_SI_SI_SI_SI_EEEENS9_21zip_adj_not_predicateINS8_8equal_toIsEEEEEEPllNS8_4plusIlEEEE10hipError_tPvRmT1_T2_T3_mT4_P12ihipStream_tbEUlT_E0_NS1_11comp_targetILNS1_3genE5ELNS1_11target_archE942ELNS1_3gpuE9ELNS1_3repE0EEENS1_30default_config_static_selectorELNS0_4arch9wavefront6targetE1EEEvSW_
	.globl	_ZN7rocprim17ROCPRIM_400000_NS6detail17trampoline_kernelINS0_14default_configENS1_22reduce_config_selectorIlEEZNS1_11reduce_implILb1ES3_N6thrust23THRUST_200600_302600_NS11hip_rocprim26transform_input_iterator_tIlNS8_12zip_iteratorINS8_5tupleINS8_6detail15normal_iteratorINS8_10device_ptrIsEEEESH_NS8_9null_typeESI_SI_SI_SI_SI_SI_SI_EEEENS9_21zip_adj_not_predicateINS8_8equal_toIsEEEEEEPllNS8_4plusIlEEEE10hipError_tPvRmT1_T2_T3_mT4_P12ihipStream_tbEUlT_E0_NS1_11comp_targetILNS1_3genE5ELNS1_11target_archE942ELNS1_3gpuE9ELNS1_3repE0EEENS1_30default_config_static_selectorELNS0_4arch9wavefront6targetE1EEEvSW_
	.p2align	8
	.type	_ZN7rocprim17ROCPRIM_400000_NS6detail17trampoline_kernelINS0_14default_configENS1_22reduce_config_selectorIlEEZNS1_11reduce_implILb1ES3_N6thrust23THRUST_200600_302600_NS11hip_rocprim26transform_input_iterator_tIlNS8_12zip_iteratorINS8_5tupleINS8_6detail15normal_iteratorINS8_10device_ptrIsEEEESH_NS8_9null_typeESI_SI_SI_SI_SI_SI_SI_EEEENS9_21zip_adj_not_predicateINS8_8equal_toIsEEEEEEPllNS8_4plusIlEEEE10hipError_tPvRmT1_T2_T3_mT4_P12ihipStream_tbEUlT_E0_NS1_11comp_targetILNS1_3genE5ELNS1_11target_archE942ELNS1_3gpuE9ELNS1_3repE0EEENS1_30default_config_static_selectorELNS0_4arch9wavefront6targetE1EEEvSW_,@function
_ZN7rocprim17ROCPRIM_400000_NS6detail17trampoline_kernelINS0_14default_configENS1_22reduce_config_selectorIlEEZNS1_11reduce_implILb1ES3_N6thrust23THRUST_200600_302600_NS11hip_rocprim26transform_input_iterator_tIlNS8_12zip_iteratorINS8_5tupleINS8_6detail15normal_iteratorINS8_10device_ptrIsEEEESH_NS8_9null_typeESI_SI_SI_SI_SI_SI_SI_EEEENS9_21zip_adj_not_predicateINS8_8equal_toIsEEEEEEPllNS8_4plusIlEEEE10hipError_tPvRmT1_T2_T3_mT4_P12ihipStream_tbEUlT_E0_NS1_11comp_targetILNS1_3genE5ELNS1_11target_archE942ELNS1_3gpuE9ELNS1_3repE0EEENS1_30default_config_static_selectorELNS0_4arch9wavefront6targetE1EEEvSW_: ; @_ZN7rocprim17ROCPRIM_400000_NS6detail17trampoline_kernelINS0_14default_configENS1_22reduce_config_selectorIlEEZNS1_11reduce_implILb1ES3_N6thrust23THRUST_200600_302600_NS11hip_rocprim26transform_input_iterator_tIlNS8_12zip_iteratorINS8_5tupleINS8_6detail15normal_iteratorINS8_10device_ptrIsEEEESH_NS8_9null_typeESI_SI_SI_SI_SI_SI_SI_EEEENS9_21zip_adj_not_predicateINS8_8equal_toIsEEEEEEPllNS8_4plusIlEEEE10hipError_tPvRmT1_T2_T3_mT4_P12ihipStream_tbEUlT_E0_NS1_11comp_targetILNS1_3genE5ELNS1_11target_archE942ELNS1_3gpuE9ELNS1_3repE0EEENS1_30default_config_static_selectorELNS0_4arch9wavefront6targetE1EEEvSW_
; %bb.0:
	.section	.rodata,"a",@progbits
	.p2align	6, 0x0
	.amdhsa_kernel _ZN7rocprim17ROCPRIM_400000_NS6detail17trampoline_kernelINS0_14default_configENS1_22reduce_config_selectorIlEEZNS1_11reduce_implILb1ES3_N6thrust23THRUST_200600_302600_NS11hip_rocprim26transform_input_iterator_tIlNS8_12zip_iteratorINS8_5tupleINS8_6detail15normal_iteratorINS8_10device_ptrIsEEEESH_NS8_9null_typeESI_SI_SI_SI_SI_SI_SI_EEEENS9_21zip_adj_not_predicateINS8_8equal_toIsEEEEEEPllNS8_4plusIlEEEE10hipError_tPvRmT1_T2_T3_mT4_P12ihipStream_tbEUlT_E0_NS1_11comp_targetILNS1_3genE5ELNS1_11target_archE942ELNS1_3gpuE9ELNS1_3repE0EEENS1_30default_config_static_selectorELNS0_4arch9wavefront6targetE1EEEvSW_
		.amdhsa_group_segment_fixed_size 0
		.amdhsa_private_segment_fixed_size 0
		.amdhsa_kernarg_size 80
		.amdhsa_user_sgpr_count 6
		.amdhsa_user_sgpr_private_segment_buffer 1
		.amdhsa_user_sgpr_dispatch_ptr 0
		.amdhsa_user_sgpr_queue_ptr 0
		.amdhsa_user_sgpr_kernarg_segment_ptr 1
		.amdhsa_user_sgpr_dispatch_id 0
		.amdhsa_user_sgpr_flat_scratch_init 0
		.amdhsa_user_sgpr_private_segment_size 0
		.amdhsa_uses_dynamic_stack 0
		.amdhsa_system_sgpr_private_segment_wavefront_offset 0
		.amdhsa_system_sgpr_workgroup_id_x 1
		.amdhsa_system_sgpr_workgroup_id_y 0
		.amdhsa_system_sgpr_workgroup_id_z 0
		.amdhsa_system_sgpr_workgroup_info 0
		.amdhsa_system_vgpr_workitem_id 0
		.amdhsa_next_free_vgpr 1
		.amdhsa_next_free_sgpr 0
		.amdhsa_reserve_vcc 0
		.amdhsa_reserve_flat_scratch 0
		.amdhsa_float_round_mode_32 0
		.amdhsa_float_round_mode_16_64 0
		.amdhsa_float_denorm_mode_32 3
		.amdhsa_float_denorm_mode_16_64 3
		.amdhsa_dx10_clamp 1
		.amdhsa_ieee_mode 1
		.amdhsa_fp16_overflow 0
		.amdhsa_exception_fp_ieee_invalid_op 0
		.amdhsa_exception_fp_denorm_src 0
		.amdhsa_exception_fp_ieee_div_zero 0
		.amdhsa_exception_fp_ieee_overflow 0
		.amdhsa_exception_fp_ieee_underflow 0
		.amdhsa_exception_fp_ieee_inexact 0
		.amdhsa_exception_int_div_zero 0
	.end_amdhsa_kernel
	.section	.text._ZN7rocprim17ROCPRIM_400000_NS6detail17trampoline_kernelINS0_14default_configENS1_22reduce_config_selectorIlEEZNS1_11reduce_implILb1ES3_N6thrust23THRUST_200600_302600_NS11hip_rocprim26transform_input_iterator_tIlNS8_12zip_iteratorINS8_5tupleINS8_6detail15normal_iteratorINS8_10device_ptrIsEEEESH_NS8_9null_typeESI_SI_SI_SI_SI_SI_SI_EEEENS9_21zip_adj_not_predicateINS8_8equal_toIsEEEEEEPllNS8_4plusIlEEEE10hipError_tPvRmT1_T2_T3_mT4_P12ihipStream_tbEUlT_E0_NS1_11comp_targetILNS1_3genE5ELNS1_11target_archE942ELNS1_3gpuE9ELNS1_3repE0EEENS1_30default_config_static_selectorELNS0_4arch9wavefront6targetE1EEEvSW_,"axG",@progbits,_ZN7rocprim17ROCPRIM_400000_NS6detail17trampoline_kernelINS0_14default_configENS1_22reduce_config_selectorIlEEZNS1_11reduce_implILb1ES3_N6thrust23THRUST_200600_302600_NS11hip_rocprim26transform_input_iterator_tIlNS8_12zip_iteratorINS8_5tupleINS8_6detail15normal_iteratorINS8_10device_ptrIsEEEESH_NS8_9null_typeESI_SI_SI_SI_SI_SI_SI_EEEENS9_21zip_adj_not_predicateINS8_8equal_toIsEEEEEEPllNS8_4plusIlEEEE10hipError_tPvRmT1_T2_T3_mT4_P12ihipStream_tbEUlT_E0_NS1_11comp_targetILNS1_3genE5ELNS1_11target_archE942ELNS1_3gpuE9ELNS1_3repE0EEENS1_30default_config_static_selectorELNS0_4arch9wavefront6targetE1EEEvSW_,comdat
.Lfunc_end996:
	.size	_ZN7rocprim17ROCPRIM_400000_NS6detail17trampoline_kernelINS0_14default_configENS1_22reduce_config_selectorIlEEZNS1_11reduce_implILb1ES3_N6thrust23THRUST_200600_302600_NS11hip_rocprim26transform_input_iterator_tIlNS8_12zip_iteratorINS8_5tupleINS8_6detail15normal_iteratorINS8_10device_ptrIsEEEESH_NS8_9null_typeESI_SI_SI_SI_SI_SI_SI_EEEENS9_21zip_adj_not_predicateINS8_8equal_toIsEEEEEEPllNS8_4plusIlEEEE10hipError_tPvRmT1_T2_T3_mT4_P12ihipStream_tbEUlT_E0_NS1_11comp_targetILNS1_3genE5ELNS1_11target_archE942ELNS1_3gpuE9ELNS1_3repE0EEENS1_30default_config_static_selectorELNS0_4arch9wavefront6targetE1EEEvSW_, .Lfunc_end996-_ZN7rocprim17ROCPRIM_400000_NS6detail17trampoline_kernelINS0_14default_configENS1_22reduce_config_selectorIlEEZNS1_11reduce_implILb1ES3_N6thrust23THRUST_200600_302600_NS11hip_rocprim26transform_input_iterator_tIlNS8_12zip_iteratorINS8_5tupleINS8_6detail15normal_iteratorINS8_10device_ptrIsEEEESH_NS8_9null_typeESI_SI_SI_SI_SI_SI_SI_EEEENS9_21zip_adj_not_predicateINS8_8equal_toIsEEEEEEPllNS8_4plusIlEEEE10hipError_tPvRmT1_T2_T3_mT4_P12ihipStream_tbEUlT_E0_NS1_11comp_targetILNS1_3genE5ELNS1_11target_archE942ELNS1_3gpuE9ELNS1_3repE0EEENS1_30default_config_static_selectorELNS0_4arch9wavefront6targetE1EEEvSW_
                                        ; -- End function
	.set _ZN7rocprim17ROCPRIM_400000_NS6detail17trampoline_kernelINS0_14default_configENS1_22reduce_config_selectorIlEEZNS1_11reduce_implILb1ES3_N6thrust23THRUST_200600_302600_NS11hip_rocprim26transform_input_iterator_tIlNS8_12zip_iteratorINS8_5tupleINS8_6detail15normal_iteratorINS8_10device_ptrIsEEEESH_NS8_9null_typeESI_SI_SI_SI_SI_SI_SI_EEEENS9_21zip_adj_not_predicateINS8_8equal_toIsEEEEEEPllNS8_4plusIlEEEE10hipError_tPvRmT1_T2_T3_mT4_P12ihipStream_tbEUlT_E0_NS1_11comp_targetILNS1_3genE5ELNS1_11target_archE942ELNS1_3gpuE9ELNS1_3repE0EEENS1_30default_config_static_selectorELNS0_4arch9wavefront6targetE1EEEvSW_.num_vgpr, 0
	.set _ZN7rocprim17ROCPRIM_400000_NS6detail17trampoline_kernelINS0_14default_configENS1_22reduce_config_selectorIlEEZNS1_11reduce_implILb1ES3_N6thrust23THRUST_200600_302600_NS11hip_rocprim26transform_input_iterator_tIlNS8_12zip_iteratorINS8_5tupleINS8_6detail15normal_iteratorINS8_10device_ptrIsEEEESH_NS8_9null_typeESI_SI_SI_SI_SI_SI_SI_EEEENS9_21zip_adj_not_predicateINS8_8equal_toIsEEEEEEPllNS8_4plusIlEEEE10hipError_tPvRmT1_T2_T3_mT4_P12ihipStream_tbEUlT_E0_NS1_11comp_targetILNS1_3genE5ELNS1_11target_archE942ELNS1_3gpuE9ELNS1_3repE0EEENS1_30default_config_static_selectorELNS0_4arch9wavefront6targetE1EEEvSW_.num_agpr, 0
	.set _ZN7rocprim17ROCPRIM_400000_NS6detail17trampoline_kernelINS0_14default_configENS1_22reduce_config_selectorIlEEZNS1_11reduce_implILb1ES3_N6thrust23THRUST_200600_302600_NS11hip_rocprim26transform_input_iterator_tIlNS8_12zip_iteratorINS8_5tupleINS8_6detail15normal_iteratorINS8_10device_ptrIsEEEESH_NS8_9null_typeESI_SI_SI_SI_SI_SI_SI_EEEENS9_21zip_adj_not_predicateINS8_8equal_toIsEEEEEEPllNS8_4plusIlEEEE10hipError_tPvRmT1_T2_T3_mT4_P12ihipStream_tbEUlT_E0_NS1_11comp_targetILNS1_3genE5ELNS1_11target_archE942ELNS1_3gpuE9ELNS1_3repE0EEENS1_30default_config_static_selectorELNS0_4arch9wavefront6targetE1EEEvSW_.numbered_sgpr, 0
	.set _ZN7rocprim17ROCPRIM_400000_NS6detail17trampoline_kernelINS0_14default_configENS1_22reduce_config_selectorIlEEZNS1_11reduce_implILb1ES3_N6thrust23THRUST_200600_302600_NS11hip_rocprim26transform_input_iterator_tIlNS8_12zip_iteratorINS8_5tupleINS8_6detail15normal_iteratorINS8_10device_ptrIsEEEESH_NS8_9null_typeESI_SI_SI_SI_SI_SI_SI_EEEENS9_21zip_adj_not_predicateINS8_8equal_toIsEEEEEEPllNS8_4plusIlEEEE10hipError_tPvRmT1_T2_T3_mT4_P12ihipStream_tbEUlT_E0_NS1_11comp_targetILNS1_3genE5ELNS1_11target_archE942ELNS1_3gpuE9ELNS1_3repE0EEENS1_30default_config_static_selectorELNS0_4arch9wavefront6targetE1EEEvSW_.num_named_barrier, 0
	.set _ZN7rocprim17ROCPRIM_400000_NS6detail17trampoline_kernelINS0_14default_configENS1_22reduce_config_selectorIlEEZNS1_11reduce_implILb1ES3_N6thrust23THRUST_200600_302600_NS11hip_rocprim26transform_input_iterator_tIlNS8_12zip_iteratorINS8_5tupleINS8_6detail15normal_iteratorINS8_10device_ptrIsEEEESH_NS8_9null_typeESI_SI_SI_SI_SI_SI_SI_EEEENS9_21zip_adj_not_predicateINS8_8equal_toIsEEEEEEPllNS8_4plusIlEEEE10hipError_tPvRmT1_T2_T3_mT4_P12ihipStream_tbEUlT_E0_NS1_11comp_targetILNS1_3genE5ELNS1_11target_archE942ELNS1_3gpuE9ELNS1_3repE0EEENS1_30default_config_static_selectorELNS0_4arch9wavefront6targetE1EEEvSW_.private_seg_size, 0
	.set _ZN7rocprim17ROCPRIM_400000_NS6detail17trampoline_kernelINS0_14default_configENS1_22reduce_config_selectorIlEEZNS1_11reduce_implILb1ES3_N6thrust23THRUST_200600_302600_NS11hip_rocprim26transform_input_iterator_tIlNS8_12zip_iteratorINS8_5tupleINS8_6detail15normal_iteratorINS8_10device_ptrIsEEEESH_NS8_9null_typeESI_SI_SI_SI_SI_SI_SI_EEEENS9_21zip_adj_not_predicateINS8_8equal_toIsEEEEEEPllNS8_4plusIlEEEE10hipError_tPvRmT1_T2_T3_mT4_P12ihipStream_tbEUlT_E0_NS1_11comp_targetILNS1_3genE5ELNS1_11target_archE942ELNS1_3gpuE9ELNS1_3repE0EEENS1_30default_config_static_selectorELNS0_4arch9wavefront6targetE1EEEvSW_.uses_vcc, 0
	.set _ZN7rocprim17ROCPRIM_400000_NS6detail17trampoline_kernelINS0_14default_configENS1_22reduce_config_selectorIlEEZNS1_11reduce_implILb1ES3_N6thrust23THRUST_200600_302600_NS11hip_rocprim26transform_input_iterator_tIlNS8_12zip_iteratorINS8_5tupleINS8_6detail15normal_iteratorINS8_10device_ptrIsEEEESH_NS8_9null_typeESI_SI_SI_SI_SI_SI_SI_EEEENS9_21zip_adj_not_predicateINS8_8equal_toIsEEEEEEPllNS8_4plusIlEEEE10hipError_tPvRmT1_T2_T3_mT4_P12ihipStream_tbEUlT_E0_NS1_11comp_targetILNS1_3genE5ELNS1_11target_archE942ELNS1_3gpuE9ELNS1_3repE0EEENS1_30default_config_static_selectorELNS0_4arch9wavefront6targetE1EEEvSW_.uses_flat_scratch, 0
	.set _ZN7rocprim17ROCPRIM_400000_NS6detail17trampoline_kernelINS0_14default_configENS1_22reduce_config_selectorIlEEZNS1_11reduce_implILb1ES3_N6thrust23THRUST_200600_302600_NS11hip_rocprim26transform_input_iterator_tIlNS8_12zip_iteratorINS8_5tupleINS8_6detail15normal_iteratorINS8_10device_ptrIsEEEESH_NS8_9null_typeESI_SI_SI_SI_SI_SI_SI_EEEENS9_21zip_adj_not_predicateINS8_8equal_toIsEEEEEEPllNS8_4plusIlEEEE10hipError_tPvRmT1_T2_T3_mT4_P12ihipStream_tbEUlT_E0_NS1_11comp_targetILNS1_3genE5ELNS1_11target_archE942ELNS1_3gpuE9ELNS1_3repE0EEENS1_30default_config_static_selectorELNS0_4arch9wavefront6targetE1EEEvSW_.has_dyn_sized_stack, 0
	.set _ZN7rocprim17ROCPRIM_400000_NS6detail17trampoline_kernelINS0_14default_configENS1_22reduce_config_selectorIlEEZNS1_11reduce_implILb1ES3_N6thrust23THRUST_200600_302600_NS11hip_rocprim26transform_input_iterator_tIlNS8_12zip_iteratorINS8_5tupleINS8_6detail15normal_iteratorINS8_10device_ptrIsEEEESH_NS8_9null_typeESI_SI_SI_SI_SI_SI_SI_EEEENS9_21zip_adj_not_predicateINS8_8equal_toIsEEEEEEPllNS8_4plusIlEEEE10hipError_tPvRmT1_T2_T3_mT4_P12ihipStream_tbEUlT_E0_NS1_11comp_targetILNS1_3genE5ELNS1_11target_archE942ELNS1_3gpuE9ELNS1_3repE0EEENS1_30default_config_static_selectorELNS0_4arch9wavefront6targetE1EEEvSW_.has_recursion, 0
	.set _ZN7rocprim17ROCPRIM_400000_NS6detail17trampoline_kernelINS0_14default_configENS1_22reduce_config_selectorIlEEZNS1_11reduce_implILb1ES3_N6thrust23THRUST_200600_302600_NS11hip_rocprim26transform_input_iterator_tIlNS8_12zip_iteratorINS8_5tupleINS8_6detail15normal_iteratorINS8_10device_ptrIsEEEESH_NS8_9null_typeESI_SI_SI_SI_SI_SI_SI_EEEENS9_21zip_adj_not_predicateINS8_8equal_toIsEEEEEEPllNS8_4plusIlEEEE10hipError_tPvRmT1_T2_T3_mT4_P12ihipStream_tbEUlT_E0_NS1_11comp_targetILNS1_3genE5ELNS1_11target_archE942ELNS1_3gpuE9ELNS1_3repE0EEENS1_30default_config_static_selectorELNS0_4arch9wavefront6targetE1EEEvSW_.has_indirect_call, 0
	.section	.AMDGPU.csdata,"",@progbits
; Kernel info:
; codeLenInByte = 0
; TotalNumSgprs: 4
; NumVgprs: 0
; ScratchSize: 0
; MemoryBound: 0
; FloatMode: 240
; IeeeMode: 1
; LDSByteSize: 0 bytes/workgroup (compile time only)
; SGPRBlocks: 0
; VGPRBlocks: 0
; NumSGPRsForWavesPerEU: 4
; NumVGPRsForWavesPerEU: 1
; Occupancy: 10
; WaveLimiterHint : 0
; COMPUTE_PGM_RSRC2:SCRATCH_EN: 0
; COMPUTE_PGM_RSRC2:USER_SGPR: 6
; COMPUTE_PGM_RSRC2:TRAP_HANDLER: 0
; COMPUTE_PGM_RSRC2:TGID_X_EN: 1
; COMPUTE_PGM_RSRC2:TGID_Y_EN: 0
; COMPUTE_PGM_RSRC2:TGID_Z_EN: 0
; COMPUTE_PGM_RSRC2:TIDIG_COMP_CNT: 0
	.section	.text._ZN7rocprim17ROCPRIM_400000_NS6detail17trampoline_kernelINS0_14default_configENS1_22reduce_config_selectorIlEEZNS1_11reduce_implILb1ES3_N6thrust23THRUST_200600_302600_NS11hip_rocprim26transform_input_iterator_tIlNS8_12zip_iteratorINS8_5tupleINS8_6detail15normal_iteratorINS8_10device_ptrIsEEEESH_NS8_9null_typeESI_SI_SI_SI_SI_SI_SI_EEEENS9_21zip_adj_not_predicateINS8_8equal_toIsEEEEEEPllNS8_4plusIlEEEE10hipError_tPvRmT1_T2_T3_mT4_P12ihipStream_tbEUlT_E0_NS1_11comp_targetILNS1_3genE4ELNS1_11target_archE910ELNS1_3gpuE8ELNS1_3repE0EEENS1_30default_config_static_selectorELNS0_4arch9wavefront6targetE1EEEvSW_,"axG",@progbits,_ZN7rocprim17ROCPRIM_400000_NS6detail17trampoline_kernelINS0_14default_configENS1_22reduce_config_selectorIlEEZNS1_11reduce_implILb1ES3_N6thrust23THRUST_200600_302600_NS11hip_rocprim26transform_input_iterator_tIlNS8_12zip_iteratorINS8_5tupleINS8_6detail15normal_iteratorINS8_10device_ptrIsEEEESH_NS8_9null_typeESI_SI_SI_SI_SI_SI_SI_EEEENS9_21zip_adj_not_predicateINS8_8equal_toIsEEEEEEPllNS8_4plusIlEEEE10hipError_tPvRmT1_T2_T3_mT4_P12ihipStream_tbEUlT_E0_NS1_11comp_targetILNS1_3genE4ELNS1_11target_archE910ELNS1_3gpuE8ELNS1_3repE0EEENS1_30default_config_static_selectorELNS0_4arch9wavefront6targetE1EEEvSW_,comdat
	.protected	_ZN7rocprim17ROCPRIM_400000_NS6detail17trampoline_kernelINS0_14default_configENS1_22reduce_config_selectorIlEEZNS1_11reduce_implILb1ES3_N6thrust23THRUST_200600_302600_NS11hip_rocprim26transform_input_iterator_tIlNS8_12zip_iteratorINS8_5tupleINS8_6detail15normal_iteratorINS8_10device_ptrIsEEEESH_NS8_9null_typeESI_SI_SI_SI_SI_SI_SI_EEEENS9_21zip_adj_not_predicateINS8_8equal_toIsEEEEEEPllNS8_4plusIlEEEE10hipError_tPvRmT1_T2_T3_mT4_P12ihipStream_tbEUlT_E0_NS1_11comp_targetILNS1_3genE4ELNS1_11target_archE910ELNS1_3gpuE8ELNS1_3repE0EEENS1_30default_config_static_selectorELNS0_4arch9wavefront6targetE1EEEvSW_ ; -- Begin function _ZN7rocprim17ROCPRIM_400000_NS6detail17trampoline_kernelINS0_14default_configENS1_22reduce_config_selectorIlEEZNS1_11reduce_implILb1ES3_N6thrust23THRUST_200600_302600_NS11hip_rocprim26transform_input_iterator_tIlNS8_12zip_iteratorINS8_5tupleINS8_6detail15normal_iteratorINS8_10device_ptrIsEEEESH_NS8_9null_typeESI_SI_SI_SI_SI_SI_SI_EEEENS9_21zip_adj_not_predicateINS8_8equal_toIsEEEEEEPllNS8_4plusIlEEEE10hipError_tPvRmT1_T2_T3_mT4_P12ihipStream_tbEUlT_E0_NS1_11comp_targetILNS1_3genE4ELNS1_11target_archE910ELNS1_3gpuE8ELNS1_3repE0EEENS1_30default_config_static_selectorELNS0_4arch9wavefront6targetE1EEEvSW_
	.globl	_ZN7rocprim17ROCPRIM_400000_NS6detail17trampoline_kernelINS0_14default_configENS1_22reduce_config_selectorIlEEZNS1_11reduce_implILb1ES3_N6thrust23THRUST_200600_302600_NS11hip_rocprim26transform_input_iterator_tIlNS8_12zip_iteratorINS8_5tupleINS8_6detail15normal_iteratorINS8_10device_ptrIsEEEESH_NS8_9null_typeESI_SI_SI_SI_SI_SI_SI_EEEENS9_21zip_adj_not_predicateINS8_8equal_toIsEEEEEEPllNS8_4plusIlEEEE10hipError_tPvRmT1_T2_T3_mT4_P12ihipStream_tbEUlT_E0_NS1_11comp_targetILNS1_3genE4ELNS1_11target_archE910ELNS1_3gpuE8ELNS1_3repE0EEENS1_30default_config_static_selectorELNS0_4arch9wavefront6targetE1EEEvSW_
	.p2align	8
	.type	_ZN7rocprim17ROCPRIM_400000_NS6detail17trampoline_kernelINS0_14default_configENS1_22reduce_config_selectorIlEEZNS1_11reduce_implILb1ES3_N6thrust23THRUST_200600_302600_NS11hip_rocprim26transform_input_iterator_tIlNS8_12zip_iteratorINS8_5tupleINS8_6detail15normal_iteratorINS8_10device_ptrIsEEEESH_NS8_9null_typeESI_SI_SI_SI_SI_SI_SI_EEEENS9_21zip_adj_not_predicateINS8_8equal_toIsEEEEEEPllNS8_4plusIlEEEE10hipError_tPvRmT1_T2_T3_mT4_P12ihipStream_tbEUlT_E0_NS1_11comp_targetILNS1_3genE4ELNS1_11target_archE910ELNS1_3gpuE8ELNS1_3repE0EEENS1_30default_config_static_selectorELNS0_4arch9wavefront6targetE1EEEvSW_,@function
_ZN7rocprim17ROCPRIM_400000_NS6detail17trampoline_kernelINS0_14default_configENS1_22reduce_config_selectorIlEEZNS1_11reduce_implILb1ES3_N6thrust23THRUST_200600_302600_NS11hip_rocprim26transform_input_iterator_tIlNS8_12zip_iteratorINS8_5tupleINS8_6detail15normal_iteratorINS8_10device_ptrIsEEEESH_NS8_9null_typeESI_SI_SI_SI_SI_SI_SI_EEEENS9_21zip_adj_not_predicateINS8_8equal_toIsEEEEEEPllNS8_4plusIlEEEE10hipError_tPvRmT1_T2_T3_mT4_P12ihipStream_tbEUlT_E0_NS1_11comp_targetILNS1_3genE4ELNS1_11target_archE910ELNS1_3gpuE8ELNS1_3repE0EEENS1_30default_config_static_selectorELNS0_4arch9wavefront6targetE1EEEvSW_: ; @_ZN7rocprim17ROCPRIM_400000_NS6detail17trampoline_kernelINS0_14default_configENS1_22reduce_config_selectorIlEEZNS1_11reduce_implILb1ES3_N6thrust23THRUST_200600_302600_NS11hip_rocprim26transform_input_iterator_tIlNS8_12zip_iteratorINS8_5tupleINS8_6detail15normal_iteratorINS8_10device_ptrIsEEEESH_NS8_9null_typeESI_SI_SI_SI_SI_SI_SI_EEEENS9_21zip_adj_not_predicateINS8_8equal_toIsEEEEEEPllNS8_4plusIlEEEE10hipError_tPvRmT1_T2_T3_mT4_P12ihipStream_tbEUlT_E0_NS1_11comp_targetILNS1_3genE4ELNS1_11target_archE910ELNS1_3gpuE8ELNS1_3repE0EEENS1_30default_config_static_selectorELNS0_4arch9wavefront6targetE1EEEvSW_
; %bb.0:
	.section	.rodata,"a",@progbits
	.p2align	6, 0x0
	.amdhsa_kernel _ZN7rocprim17ROCPRIM_400000_NS6detail17trampoline_kernelINS0_14default_configENS1_22reduce_config_selectorIlEEZNS1_11reduce_implILb1ES3_N6thrust23THRUST_200600_302600_NS11hip_rocprim26transform_input_iterator_tIlNS8_12zip_iteratorINS8_5tupleINS8_6detail15normal_iteratorINS8_10device_ptrIsEEEESH_NS8_9null_typeESI_SI_SI_SI_SI_SI_SI_EEEENS9_21zip_adj_not_predicateINS8_8equal_toIsEEEEEEPllNS8_4plusIlEEEE10hipError_tPvRmT1_T2_T3_mT4_P12ihipStream_tbEUlT_E0_NS1_11comp_targetILNS1_3genE4ELNS1_11target_archE910ELNS1_3gpuE8ELNS1_3repE0EEENS1_30default_config_static_selectorELNS0_4arch9wavefront6targetE1EEEvSW_
		.amdhsa_group_segment_fixed_size 0
		.amdhsa_private_segment_fixed_size 0
		.amdhsa_kernarg_size 80
		.amdhsa_user_sgpr_count 6
		.amdhsa_user_sgpr_private_segment_buffer 1
		.amdhsa_user_sgpr_dispatch_ptr 0
		.amdhsa_user_sgpr_queue_ptr 0
		.amdhsa_user_sgpr_kernarg_segment_ptr 1
		.amdhsa_user_sgpr_dispatch_id 0
		.amdhsa_user_sgpr_flat_scratch_init 0
		.amdhsa_user_sgpr_private_segment_size 0
		.amdhsa_uses_dynamic_stack 0
		.amdhsa_system_sgpr_private_segment_wavefront_offset 0
		.amdhsa_system_sgpr_workgroup_id_x 1
		.amdhsa_system_sgpr_workgroup_id_y 0
		.amdhsa_system_sgpr_workgroup_id_z 0
		.amdhsa_system_sgpr_workgroup_info 0
		.amdhsa_system_vgpr_workitem_id 0
		.amdhsa_next_free_vgpr 1
		.amdhsa_next_free_sgpr 0
		.amdhsa_reserve_vcc 0
		.amdhsa_reserve_flat_scratch 0
		.amdhsa_float_round_mode_32 0
		.amdhsa_float_round_mode_16_64 0
		.amdhsa_float_denorm_mode_32 3
		.amdhsa_float_denorm_mode_16_64 3
		.amdhsa_dx10_clamp 1
		.amdhsa_ieee_mode 1
		.amdhsa_fp16_overflow 0
		.amdhsa_exception_fp_ieee_invalid_op 0
		.amdhsa_exception_fp_denorm_src 0
		.amdhsa_exception_fp_ieee_div_zero 0
		.amdhsa_exception_fp_ieee_overflow 0
		.amdhsa_exception_fp_ieee_underflow 0
		.amdhsa_exception_fp_ieee_inexact 0
		.amdhsa_exception_int_div_zero 0
	.end_amdhsa_kernel
	.section	.text._ZN7rocprim17ROCPRIM_400000_NS6detail17trampoline_kernelINS0_14default_configENS1_22reduce_config_selectorIlEEZNS1_11reduce_implILb1ES3_N6thrust23THRUST_200600_302600_NS11hip_rocprim26transform_input_iterator_tIlNS8_12zip_iteratorINS8_5tupleINS8_6detail15normal_iteratorINS8_10device_ptrIsEEEESH_NS8_9null_typeESI_SI_SI_SI_SI_SI_SI_EEEENS9_21zip_adj_not_predicateINS8_8equal_toIsEEEEEEPllNS8_4plusIlEEEE10hipError_tPvRmT1_T2_T3_mT4_P12ihipStream_tbEUlT_E0_NS1_11comp_targetILNS1_3genE4ELNS1_11target_archE910ELNS1_3gpuE8ELNS1_3repE0EEENS1_30default_config_static_selectorELNS0_4arch9wavefront6targetE1EEEvSW_,"axG",@progbits,_ZN7rocprim17ROCPRIM_400000_NS6detail17trampoline_kernelINS0_14default_configENS1_22reduce_config_selectorIlEEZNS1_11reduce_implILb1ES3_N6thrust23THRUST_200600_302600_NS11hip_rocprim26transform_input_iterator_tIlNS8_12zip_iteratorINS8_5tupleINS8_6detail15normal_iteratorINS8_10device_ptrIsEEEESH_NS8_9null_typeESI_SI_SI_SI_SI_SI_SI_EEEENS9_21zip_adj_not_predicateINS8_8equal_toIsEEEEEEPllNS8_4plusIlEEEE10hipError_tPvRmT1_T2_T3_mT4_P12ihipStream_tbEUlT_E0_NS1_11comp_targetILNS1_3genE4ELNS1_11target_archE910ELNS1_3gpuE8ELNS1_3repE0EEENS1_30default_config_static_selectorELNS0_4arch9wavefront6targetE1EEEvSW_,comdat
.Lfunc_end997:
	.size	_ZN7rocprim17ROCPRIM_400000_NS6detail17trampoline_kernelINS0_14default_configENS1_22reduce_config_selectorIlEEZNS1_11reduce_implILb1ES3_N6thrust23THRUST_200600_302600_NS11hip_rocprim26transform_input_iterator_tIlNS8_12zip_iteratorINS8_5tupleINS8_6detail15normal_iteratorINS8_10device_ptrIsEEEESH_NS8_9null_typeESI_SI_SI_SI_SI_SI_SI_EEEENS9_21zip_adj_not_predicateINS8_8equal_toIsEEEEEEPllNS8_4plusIlEEEE10hipError_tPvRmT1_T2_T3_mT4_P12ihipStream_tbEUlT_E0_NS1_11comp_targetILNS1_3genE4ELNS1_11target_archE910ELNS1_3gpuE8ELNS1_3repE0EEENS1_30default_config_static_selectorELNS0_4arch9wavefront6targetE1EEEvSW_, .Lfunc_end997-_ZN7rocprim17ROCPRIM_400000_NS6detail17trampoline_kernelINS0_14default_configENS1_22reduce_config_selectorIlEEZNS1_11reduce_implILb1ES3_N6thrust23THRUST_200600_302600_NS11hip_rocprim26transform_input_iterator_tIlNS8_12zip_iteratorINS8_5tupleINS8_6detail15normal_iteratorINS8_10device_ptrIsEEEESH_NS8_9null_typeESI_SI_SI_SI_SI_SI_SI_EEEENS9_21zip_adj_not_predicateINS8_8equal_toIsEEEEEEPllNS8_4plusIlEEEE10hipError_tPvRmT1_T2_T3_mT4_P12ihipStream_tbEUlT_E0_NS1_11comp_targetILNS1_3genE4ELNS1_11target_archE910ELNS1_3gpuE8ELNS1_3repE0EEENS1_30default_config_static_selectorELNS0_4arch9wavefront6targetE1EEEvSW_
                                        ; -- End function
	.set _ZN7rocprim17ROCPRIM_400000_NS6detail17trampoline_kernelINS0_14default_configENS1_22reduce_config_selectorIlEEZNS1_11reduce_implILb1ES3_N6thrust23THRUST_200600_302600_NS11hip_rocprim26transform_input_iterator_tIlNS8_12zip_iteratorINS8_5tupleINS8_6detail15normal_iteratorINS8_10device_ptrIsEEEESH_NS8_9null_typeESI_SI_SI_SI_SI_SI_SI_EEEENS9_21zip_adj_not_predicateINS8_8equal_toIsEEEEEEPllNS8_4plusIlEEEE10hipError_tPvRmT1_T2_T3_mT4_P12ihipStream_tbEUlT_E0_NS1_11comp_targetILNS1_3genE4ELNS1_11target_archE910ELNS1_3gpuE8ELNS1_3repE0EEENS1_30default_config_static_selectorELNS0_4arch9wavefront6targetE1EEEvSW_.num_vgpr, 0
	.set _ZN7rocprim17ROCPRIM_400000_NS6detail17trampoline_kernelINS0_14default_configENS1_22reduce_config_selectorIlEEZNS1_11reduce_implILb1ES3_N6thrust23THRUST_200600_302600_NS11hip_rocprim26transform_input_iterator_tIlNS8_12zip_iteratorINS8_5tupleINS8_6detail15normal_iteratorINS8_10device_ptrIsEEEESH_NS8_9null_typeESI_SI_SI_SI_SI_SI_SI_EEEENS9_21zip_adj_not_predicateINS8_8equal_toIsEEEEEEPllNS8_4plusIlEEEE10hipError_tPvRmT1_T2_T3_mT4_P12ihipStream_tbEUlT_E0_NS1_11comp_targetILNS1_3genE4ELNS1_11target_archE910ELNS1_3gpuE8ELNS1_3repE0EEENS1_30default_config_static_selectorELNS0_4arch9wavefront6targetE1EEEvSW_.num_agpr, 0
	.set _ZN7rocprim17ROCPRIM_400000_NS6detail17trampoline_kernelINS0_14default_configENS1_22reduce_config_selectorIlEEZNS1_11reduce_implILb1ES3_N6thrust23THRUST_200600_302600_NS11hip_rocprim26transform_input_iterator_tIlNS8_12zip_iteratorINS8_5tupleINS8_6detail15normal_iteratorINS8_10device_ptrIsEEEESH_NS8_9null_typeESI_SI_SI_SI_SI_SI_SI_EEEENS9_21zip_adj_not_predicateINS8_8equal_toIsEEEEEEPllNS8_4plusIlEEEE10hipError_tPvRmT1_T2_T3_mT4_P12ihipStream_tbEUlT_E0_NS1_11comp_targetILNS1_3genE4ELNS1_11target_archE910ELNS1_3gpuE8ELNS1_3repE0EEENS1_30default_config_static_selectorELNS0_4arch9wavefront6targetE1EEEvSW_.numbered_sgpr, 0
	.set _ZN7rocprim17ROCPRIM_400000_NS6detail17trampoline_kernelINS0_14default_configENS1_22reduce_config_selectorIlEEZNS1_11reduce_implILb1ES3_N6thrust23THRUST_200600_302600_NS11hip_rocprim26transform_input_iterator_tIlNS8_12zip_iteratorINS8_5tupleINS8_6detail15normal_iteratorINS8_10device_ptrIsEEEESH_NS8_9null_typeESI_SI_SI_SI_SI_SI_SI_EEEENS9_21zip_adj_not_predicateINS8_8equal_toIsEEEEEEPllNS8_4plusIlEEEE10hipError_tPvRmT1_T2_T3_mT4_P12ihipStream_tbEUlT_E0_NS1_11comp_targetILNS1_3genE4ELNS1_11target_archE910ELNS1_3gpuE8ELNS1_3repE0EEENS1_30default_config_static_selectorELNS0_4arch9wavefront6targetE1EEEvSW_.num_named_barrier, 0
	.set _ZN7rocprim17ROCPRIM_400000_NS6detail17trampoline_kernelINS0_14default_configENS1_22reduce_config_selectorIlEEZNS1_11reduce_implILb1ES3_N6thrust23THRUST_200600_302600_NS11hip_rocprim26transform_input_iterator_tIlNS8_12zip_iteratorINS8_5tupleINS8_6detail15normal_iteratorINS8_10device_ptrIsEEEESH_NS8_9null_typeESI_SI_SI_SI_SI_SI_SI_EEEENS9_21zip_adj_not_predicateINS8_8equal_toIsEEEEEEPllNS8_4plusIlEEEE10hipError_tPvRmT1_T2_T3_mT4_P12ihipStream_tbEUlT_E0_NS1_11comp_targetILNS1_3genE4ELNS1_11target_archE910ELNS1_3gpuE8ELNS1_3repE0EEENS1_30default_config_static_selectorELNS0_4arch9wavefront6targetE1EEEvSW_.private_seg_size, 0
	.set _ZN7rocprim17ROCPRIM_400000_NS6detail17trampoline_kernelINS0_14default_configENS1_22reduce_config_selectorIlEEZNS1_11reduce_implILb1ES3_N6thrust23THRUST_200600_302600_NS11hip_rocprim26transform_input_iterator_tIlNS8_12zip_iteratorINS8_5tupleINS8_6detail15normal_iteratorINS8_10device_ptrIsEEEESH_NS8_9null_typeESI_SI_SI_SI_SI_SI_SI_EEEENS9_21zip_adj_not_predicateINS8_8equal_toIsEEEEEEPllNS8_4plusIlEEEE10hipError_tPvRmT1_T2_T3_mT4_P12ihipStream_tbEUlT_E0_NS1_11comp_targetILNS1_3genE4ELNS1_11target_archE910ELNS1_3gpuE8ELNS1_3repE0EEENS1_30default_config_static_selectorELNS0_4arch9wavefront6targetE1EEEvSW_.uses_vcc, 0
	.set _ZN7rocprim17ROCPRIM_400000_NS6detail17trampoline_kernelINS0_14default_configENS1_22reduce_config_selectorIlEEZNS1_11reduce_implILb1ES3_N6thrust23THRUST_200600_302600_NS11hip_rocprim26transform_input_iterator_tIlNS8_12zip_iteratorINS8_5tupleINS8_6detail15normal_iteratorINS8_10device_ptrIsEEEESH_NS8_9null_typeESI_SI_SI_SI_SI_SI_SI_EEEENS9_21zip_adj_not_predicateINS8_8equal_toIsEEEEEEPllNS8_4plusIlEEEE10hipError_tPvRmT1_T2_T3_mT4_P12ihipStream_tbEUlT_E0_NS1_11comp_targetILNS1_3genE4ELNS1_11target_archE910ELNS1_3gpuE8ELNS1_3repE0EEENS1_30default_config_static_selectorELNS0_4arch9wavefront6targetE1EEEvSW_.uses_flat_scratch, 0
	.set _ZN7rocprim17ROCPRIM_400000_NS6detail17trampoline_kernelINS0_14default_configENS1_22reduce_config_selectorIlEEZNS1_11reduce_implILb1ES3_N6thrust23THRUST_200600_302600_NS11hip_rocprim26transform_input_iterator_tIlNS8_12zip_iteratorINS8_5tupleINS8_6detail15normal_iteratorINS8_10device_ptrIsEEEESH_NS8_9null_typeESI_SI_SI_SI_SI_SI_SI_EEEENS9_21zip_adj_not_predicateINS8_8equal_toIsEEEEEEPllNS8_4plusIlEEEE10hipError_tPvRmT1_T2_T3_mT4_P12ihipStream_tbEUlT_E0_NS1_11comp_targetILNS1_3genE4ELNS1_11target_archE910ELNS1_3gpuE8ELNS1_3repE0EEENS1_30default_config_static_selectorELNS0_4arch9wavefront6targetE1EEEvSW_.has_dyn_sized_stack, 0
	.set _ZN7rocprim17ROCPRIM_400000_NS6detail17trampoline_kernelINS0_14default_configENS1_22reduce_config_selectorIlEEZNS1_11reduce_implILb1ES3_N6thrust23THRUST_200600_302600_NS11hip_rocprim26transform_input_iterator_tIlNS8_12zip_iteratorINS8_5tupleINS8_6detail15normal_iteratorINS8_10device_ptrIsEEEESH_NS8_9null_typeESI_SI_SI_SI_SI_SI_SI_EEEENS9_21zip_adj_not_predicateINS8_8equal_toIsEEEEEEPllNS8_4plusIlEEEE10hipError_tPvRmT1_T2_T3_mT4_P12ihipStream_tbEUlT_E0_NS1_11comp_targetILNS1_3genE4ELNS1_11target_archE910ELNS1_3gpuE8ELNS1_3repE0EEENS1_30default_config_static_selectorELNS0_4arch9wavefront6targetE1EEEvSW_.has_recursion, 0
	.set _ZN7rocprim17ROCPRIM_400000_NS6detail17trampoline_kernelINS0_14default_configENS1_22reduce_config_selectorIlEEZNS1_11reduce_implILb1ES3_N6thrust23THRUST_200600_302600_NS11hip_rocprim26transform_input_iterator_tIlNS8_12zip_iteratorINS8_5tupleINS8_6detail15normal_iteratorINS8_10device_ptrIsEEEESH_NS8_9null_typeESI_SI_SI_SI_SI_SI_SI_EEEENS9_21zip_adj_not_predicateINS8_8equal_toIsEEEEEEPllNS8_4plusIlEEEE10hipError_tPvRmT1_T2_T3_mT4_P12ihipStream_tbEUlT_E0_NS1_11comp_targetILNS1_3genE4ELNS1_11target_archE910ELNS1_3gpuE8ELNS1_3repE0EEENS1_30default_config_static_selectorELNS0_4arch9wavefront6targetE1EEEvSW_.has_indirect_call, 0
	.section	.AMDGPU.csdata,"",@progbits
; Kernel info:
; codeLenInByte = 0
; TotalNumSgprs: 4
; NumVgprs: 0
; ScratchSize: 0
; MemoryBound: 0
; FloatMode: 240
; IeeeMode: 1
; LDSByteSize: 0 bytes/workgroup (compile time only)
; SGPRBlocks: 0
; VGPRBlocks: 0
; NumSGPRsForWavesPerEU: 4
; NumVGPRsForWavesPerEU: 1
; Occupancy: 10
; WaveLimiterHint : 0
; COMPUTE_PGM_RSRC2:SCRATCH_EN: 0
; COMPUTE_PGM_RSRC2:USER_SGPR: 6
; COMPUTE_PGM_RSRC2:TRAP_HANDLER: 0
; COMPUTE_PGM_RSRC2:TGID_X_EN: 1
; COMPUTE_PGM_RSRC2:TGID_Y_EN: 0
; COMPUTE_PGM_RSRC2:TGID_Z_EN: 0
; COMPUTE_PGM_RSRC2:TIDIG_COMP_CNT: 0
	.section	.text._ZN7rocprim17ROCPRIM_400000_NS6detail17trampoline_kernelINS0_14default_configENS1_22reduce_config_selectorIlEEZNS1_11reduce_implILb1ES3_N6thrust23THRUST_200600_302600_NS11hip_rocprim26transform_input_iterator_tIlNS8_12zip_iteratorINS8_5tupleINS8_6detail15normal_iteratorINS8_10device_ptrIsEEEESH_NS8_9null_typeESI_SI_SI_SI_SI_SI_SI_EEEENS9_21zip_adj_not_predicateINS8_8equal_toIsEEEEEEPllNS8_4plusIlEEEE10hipError_tPvRmT1_T2_T3_mT4_P12ihipStream_tbEUlT_E0_NS1_11comp_targetILNS1_3genE3ELNS1_11target_archE908ELNS1_3gpuE7ELNS1_3repE0EEENS1_30default_config_static_selectorELNS0_4arch9wavefront6targetE1EEEvSW_,"axG",@progbits,_ZN7rocprim17ROCPRIM_400000_NS6detail17trampoline_kernelINS0_14default_configENS1_22reduce_config_selectorIlEEZNS1_11reduce_implILb1ES3_N6thrust23THRUST_200600_302600_NS11hip_rocprim26transform_input_iterator_tIlNS8_12zip_iteratorINS8_5tupleINS8_6detail15normal_iteratorINS8_10device_ptrIsEEEESH_NS8_9null_typeESI_SI_SI_SI_SI_SI_SI_EEEENS9_21zip_adj_not_predicateINS8_8equal_toIsEEEEEEPllNS8_4plusIlEEEE10hipError_tPvRmT1_T2_T3_mT4_P12ihipStream_tbEUlT_E0_NS1_11comp_targetILNS1_3genE3ELNS1_11target_archE908ELNS1_3gpuE7ELNS1_3repE0EEENS1_30default_config_static_selectorELNS0_4arch9wavefront6targetE1EEEvSW_,comdat
	.protected	_ZN7rocprim17ROCPRIM_400000_NS6detail17trampoline_kernelINS0_14default_configENS1_22reduce_config_selectorIlEEZNS1_11reduce_implILb1ES3_N6thrust23THRUST_200600_302600_NS11hip_rocprim26transform_input_iterator_tIlNS8_12zip_iteratorINS8_5tupleINS8_6detail15normal_iteratorINS8_10device_ptrIsEEEESH_NS8_9null_typeESI_SI_SI_SI_SI_SI_SI_EEEENS9_21zip_adj_not_predicateINS8_8equal_toIsEEEEEEPllNS8_4plusIlEEEE10hipError_tPvRmT1_T2_T3_mT4_P12ihipStream_tbEUlT_E0_NS1_11comp_targetILNS1_3genE3ELNS1_11target_archE908ELNS1_3gpuE7ELNS1_3repE0EEENS1_30default_config_static_selectorELNS0_4arch9wavefront6targetE1EEEvSW_ ; -- Begin function _ZN7rocprim17ROCPRIM_400000_NS6detail17trampoline_kernelINS0_14default_configENS1_22reduce_config_selectorIlEEZNS1_11reduce_implILb1ES3_N6thrust23THRUST_200600_302600_NS11hip_rocprim26transform_input_iterator_tIlNS8_12zip_iteratorINS8_5tupleINS8_6detail15normal_iteratorINS8_10device_ptrIsEEEESH_NS8_9null_typeESI_SI_SI_SI_SI_SI_SI_EEEENS9_21zip_adj_not_predicateINS8_8equal_toIsEEEEEEPllNS8_4plusIlEEEE10hipError_tPvRmT1_T2_T3_mT4_P12ihipStream_tbEUlT_E0_NS1_11comp_targetILNS1_3genE3ELNS1_11target_archE908ELNS1_3gpuE7ELNS1_3repE0EEENS1_30default_config_static_selectorELNS0_4arch9wavefront6targetE1EEEvSW_
	.globl	_ZN7rocprim17ROCPRIM_400000_NS6detail17trampoline_kernelINS0_14default_configENS1_22reduce_config_selectorIlEEZNS1_11reduce_implILb1ES3_N6thrust23THRUST_200600_302600_NS11hip_rocprim26transform_input_iterator_tIlNS8_12zip_iteratorINS8_5tupleINS8_6detail15normal_iteratorINS8_10device_ptrIsEEEESH_NS8_9null_typeESI_SI_SI_SI_SI_SI_SI_EEEENS9_21zip_adj_not_predicateINS8_8equal_toIsEEEEEEPllNS8_4plusIlEEEE10hipError_tPvRmT1_T2_T3_mT4_P12ihipStream_tbEUlT_E0_NS1_11comp_targetILNS1_3genE3ELNS1_11target_archE908ELNS1_3gpuE7ELNS1_3repE0EEENS1_30default_config_static_selectorELNS0_4arch9wavefront6targetE1EEEvSW_
	.p2align	8
	.type	_ZN7rocprim17ROCPRIM_400000_NS6detail17trampoline_kernelINS0_14default_configENS1_22reduce_config_selectorIlEEZNS1_11reduce_implILb1ES3_N6thrust23THRUST_200600_302600_NS11hip_rocprim26transform_input_iterator_tIlNS8_12zip_iteratorINS8_5tupleINS8_6detail15normal_iteratorINS8_10device_ptrIsEEEESH_NS8_9null_typeESI_SI_SI_SI_SI_SI_SI_EEEENS9_21zip_adj_not_predicateINS8_8equal_toIsEEEEEEPllNS8_4plusIlEEEE10hipError_tPvRmT1_T2_T3_mT4_P12ihipStream_tbEUlT_E0_NS1_11comp_targetILNS1_3genE3ELNS1_11target_archE908ELNS1_3gpuE7ELNS1_3repE0EEENS1_30default_config_static_selectorELNS0_4arch9wavefront6targetE1EEEvSW_,@function
_ZN7rocprim17ROCPRIM_400000_NS6detail17trampoline_kernelINS0_14default_configENS1_22reduce_config_selectorIlEEZNS1_11reduce_implILb1ES3_N6thrust23THRUST_200600_302600_NS11hip_rocprim26transform_input_iterator_tIlNS8_12zip_iteratorINS8_5tupleINS8_6detail15normal_iteratorINS8_10device_ptrIsEEEESH_NS8_9null_typeESI_SI_SI_SI_SI_SI_SI_EEEENS9_21zip_adj_not_predicateINS8_8equal_toIsEEEEEEPllNS8_4plusIlEEEE10hipError_tPvRmT1_T2_T3_mT4_P12ihipStream_tbEUlT_E0_NS1_11comp_targetILNS1_3genE3ELNS1_11target_archE908ELNS1_3gpuE7ELNS1_3repE0EEENS1_30default_config_static_selectorELNS0_4arch9wavefront6targetE1EEEvSW_: ; @_ZN7rocprim17ROCPRIM_400000_NS6detail17trampoline_kernelINS0_14default_configENS1_22reduce_config_selectorIlEEZNS1_11reduce_implILb1ES3_N6thrust23THRUST_200600_302600_NS11hip_rocprim26transform_input_iterator_tIlNS8_12zip_iteratorINS8_5tupleINS8_6detail15normal_iteratorINS8_10device_ptrIsEEEESH_NS8_9null_typeESI_SI_SI_SI_SI_SI_SI_EEEENS9_21zip_adj_not_predicateINS8_8equal_toIsEEEEEEPllNS8_4plusIlEEEE10hipError_tPvRmT1_T2_T3_mT4_P12ihipStream_tbEUlT_E0_NS1_11comp_targetILNS1_3genE3ELNS1_11target_archE908ELNS1_3gpuE7ELNS1_3repE0EEENS1_30default_config_static_selectorELNS0_4arch9wavefront6targetE1EEEvSW_
; %bb.0:
	.section	.rodata,"a",@progbits
	.p2align	6, 0x0
	.amdhsa_kernel _ZN7rocprim17ROCPRIM_400000_NS6detail17trampoline_kernelINS0_14default_configENS1_22reduce_config_selectorIlEEZNS1_11reduce_implILb1ES3_N6thrust23THRUST_200600_302600_NS11hip_rocprim26transform_input_iterator_tIlNS8_12zip_iteratorINS8_5tupleINS8_6detail15normal_iteratorINS8_10device_ptrIsEEEESH_NS8_9null_typeESI_SI_SI_SI_SI_SI_SI_EEEENS9_21zip_adj_not_predicateINS8_8equal_toIsEEEEEEPllNS8_4plusIlEEEE10hipError_tPvRmT1_T2_T3_mT4_P12ihipStream_tbEUlT_E0_NS1_11comp_targetILNS1_3genE3ELNS1_11target_archE908ELNS1_3gpuE7ELNS1_3repE0EEENS1_30default_config_static_selectorELNS0_4arch9wavefront6targetE1EEEvSW_
		.amdhsa_group_segment_fixed_size 0
		.amdhsa_private_segment_fixed_size 0
		.amdhsa_kernarg_size 80
		.amdhsa_user_sgpr_count 6
		.amdhsa_user_sgpr_private_segment_buffer 1
		.amdhsa_user_sgpr_dispatch_ptr 0
		.amdhsa_user_sgpr_queue_ptr 0
		.amdhsa_user_sgpr_kernarg_segment_ptr 1
		.amdhsa_user_sgpr_dispatch_id 0
		.amdhsa_user_sgpr_flat_scratch_init 0
		.amdhsa_user_sgpr_private_segment_size 0
		.amdhsa_uses_dynamic_stack 0
		.amdhsa_system_sgpr_private_segment_wavefront_offset 0
		.amdhsa_system_sgpr_workgroup_id_x 1
		.amdhsa_system_sgpr_workgroup_id_y 0
		.amdhsa_system_sgpr_workgroup_id_z 0
		.amdhsa_system_sgpr_workgroup_info 0
		.amdhsa_system_vgpr_workitem_id 0
		.amdhsa_next_free_vgpr 1
		.amdhsa_next_free_sgpr 0
		.amdhsa_reserve_vcc 0
		.amdhsa_reserve_flat_scratch 0
		.amdhsa_float_round_mode_32 0
		.amdhsa_float_round_mode_16_64 0
		.amdhsa_float_denorm_mode_32 3
		.amdhsa_float_denorm_mode_16_64 3
		.amdhsa_dx10_clamp 1
		.amdhsa_ieee_mode 1
		.amdhsa_fp16_overflow 0
		.amdhsa_exception_fp_ieee_invalid_op 0
		.amdhsa_exception_fp_denorm_src 0
		.amdhsa_exception_fp_ieee_div_zero 0
		.amdhsa_exception_fp_ieee_overflow 0
		.amdhsa_exception_fp_ieee_underflow 0
		.amdhsa_exception_fp_ieee_inexact 0
		.amdhsa_exception_int_div_zero 0
	.end_amdhsa_kernel
	.section	.text._ZN7rocprim17ROCPRIM_400000_NS6detail17trampoline_kernelINS0_14default_configENS1_22reduce_config_selectorIlEEZNS1_11reduce_implILb1ES3_N6thrust23THRUST_200600_302600_NS11hip_rocprim26transform_input_iterator_tIlNS8_12zip_iteratorINS8_5tupleINS8_6detail15normal_iteratorINS8_10device_ptrIsEEEESH_NS8_9null_typeESI_SI_SI_SI_SI_SI_SI_EEEENS9_21zip_adj_not_predicateINS8_8equal_toIsEEEEEEPllNS8_4plusIlEEEE10hipError_tPvRmT1_T2_T3_mT4_P12ihipStream_tbEUlT_E0_NS1_11comp_targetILNS1_3genE3ELNS1_11target_archE908ELNS1_3gpuE7ELNS1_3repE0EEENS1_30default_config_static_selectorELNS0_4arch9wavefront6targetE1EEEvSW_,"axG",@progbits,_ZN7rocprim17ROCPRIM_400000_NS6detail17trampoline_kernelINS0_14default_configENS1_22reduce_config_selectorIlEEZNS1_11reduce_implILb1ES3_N6thrust23THRUST_200600_302600_NS11hip_rocprim26transform_input_iterator_tIlNS8_12zip_iteratorINS8_5tupleINS8_6detail15normal_iteratorINS8_10device_ptrIsEEEESH_NS8_9null_typeESI_SI_SI_SI_SI_SI_SI_EEEENS9_21zip_adj_not_predicateINS8_8equal_toIsEEEEEEPllNS8_4plusIlEEEE10hipError_tPvRmT1_T2_T3_mT4_P12ihipStream_tbEUlT_E0_NS1_11comp_targetILNS1_3genE3ELNS1_11target_archE908ELNS1_3gpuE7ELNS1_3repE0EEENS1_30default_config_static_selectorELNS0_4arch9wavefront6targetE1EEEvSW_,comdat
.Lfunc_end998:
	.size	_ZN7rocprim17ROCPRIM_400000_NS6detail17trampoline_kernelINS0_14default_configENS1_22reduce_config_selectorIlEEZNS1_11reduce_implILb1ES3_N6thrust23THRUST_200600_302600_NS11hip_rocprim26transform_input_iterator_tIlNS8_12zip_iteratorINS8_5tupleINS8_6detail15normal_iteratorINS8_10device_ptrIsEEEESH_NS8_9null_typeESI_SI_SI_SI_SI_SI_SI_EEEENS9_21zip_adj_not_predicateINS8_8equal_toIsEEEEEEPllNS8_4plusIlEEEE10hipError_tPvRmT1_T2_T3_mT4_P12ihipStream_tbEUlT_E0_NS1_11comp_targetILNS1_3genE3ELNS1_11target_archE908ELNS1_3gpuE7ELNS1_3repE0EEENS1_30default_config_static_selectorELNS0_4arch9wavefront6targetE1EEEvSW_, .Lfunc_end998-_ZN7rocprim17ROCPRIM_400000_NS6detail17trampoline_kernelINS0_14default_configENS1_22reduce_config_selectorIlEEZNS1_11reduce_implILb1ES3_N6thrust23THRUST_200600_302600_NS11hip_rocprim26transform_input_iterator_tIlNS8_12zip_iteratorINS8_5tupleINS8_6detail15normal_iteratorINS8_10device_ptrIsEEEESH_NS8_9null_typeESI_SI_SI_SI_SI_SI_SI_EEEENS9_21zip_adj_not_predicateINS8_8equal_toIsEEEEEEPllNS8_4plusIlEEEE10hipError_tPvRmT1_T2_T3_mT4_P12ihipStream_tbEUlT_E0_NS1_11comp_targetILNS1_3genE3ELNS1_11target_archE908ELNS1_3gpuE7ELNS1_3repE0EEENS1_30default_config_static_selectorELNS0_4arch9wavefront6targetE1EEEvSW_
                                        ; -- End function
	.set _ZN7rocprim17ROCPRIM_400000_NS6detail17trampoline_kernelINS0_14default_configENS1_22reduce_config_selectorIlEEZNS1_11reduce_implILb1ES3_N6thrust23THRUST_200600_302600_NS11hip_rocprim26transform_input_iterator_tIlNS8_12zip_iteratorINS8_5tupleINS8_6detail15normal_iteratorINS8_10device_ptrIsEEEESH_NS8_9null_typeESI_SI_SI_SI_SI_SI_SI_EEEENS9_21zip_adj_not_predicateINS8_8equal_toIsEEEEEEPllNS8_4plusIlEEEE10hipError_tPvRmT1_T2_T3_mT4_P12ihipStream_tbEUlT_E0_NS1_11comp_targetILNS1_3genE3ELNS1_11target_archE908ELNS1_3gpuE7ELNS1_3repE0EEENS1_30default_config_static_selectorELNS0_4arch9wavefront6targetE1EEEvSW_.num_vgpr, 0
	.set _ZN7rocprim17ROCPRIM_400000_NS6detail17trampoline_kernelINS0_14default_configENS1_22reduce_config_selectorIlEEZNS1_11reduce_implILb1ES3_N6thrust23THRUST_200600_302600_NS11hip_rocprim26transform_input_iterator_tIlNS8_12zip_iteratorINS8_5tupleINS8_6detail15normal_iteratorINS8_10device_ptrIsEEEESH_NS8_9null_typeESI_SI_SI_SI_SI_SI_SI_EEEENS9_21zip_adj_not_predicateINS8_8equal_toIsEEEEEEPllNS8_4plusIlEEEE10hipError_tPvRmT1_T2_T3_mT4_P12ihipStream_tbEUlT_E0_NS1_11comp_targetILNS1_3genE3ELNS1_11target_archE908ELNS1_3gpuE7ELNS1_3repE0EEENS1_30default_config_static_selectorELNS0_4arch9wavefront6targetE1EEEvSW_.num_agpr, 0
	.set _ZN7rocprim17ROCPRIM_400000_NS6detail17trampoline_kernelINS0_14default_configENS1_22reduce_config_selectorIlEEZNS1_11reduce_implILb1ES3_N6thrust23THRUST_200600_302600_NS11hip_rocprim26transform_input_iterator_tIlNS8_12zip_iteratorINS8_5tupleINS8_6detail15normal_iteratorINS8_10device_ptrIsEEEESH_NS8_9null_typeESI_SI_SI_SI_SI_SI_SI_EEEENS9_21zip_adj_not_predicateINS8_8equal_toIsEEEEEEPllNS8_4plusIlEEEE10hipError_tPvRmT1_T2_T3_mT4_P12ihipStream_tbEUlT_E0_NS1_11comp_targetILNS1_3genE3ELNS1_11target_archE908ELNS1_3gpuE7ELNS1_3repE0EEENS1_30default_config_static_selectorELNS0_4arch9wavefront6targetE1EEEvSW_.numbered_sgpr, 0
	.set _ZN7rocprim17ROCPRIM_400000_NS6detail17trampoline_kernelINS0_14default_configENS1_22reduce_config_selectorIlEEZNS1_11reduce_implILb1ES3_N6thrust23THRUST_200600_302600_NS11hip_rocprim26transform_input_iterator_tIlNS8_12zip_iteratorINS8_5tupleINS8_6detail15normal_iteratorINS8_10device_ptrIsEEEESH_NS8_9null_typeESI_SI_SI_SI_SI_SI_SI_EEEENS9_21zip_adj_not_predicateINS8_8equal_toIsEEEEEEPllNS8_4plusIlEEEE10hipError_tPvRmT1_T2_T3_mT4_P12ihipStream_tbEUlT_E0_NS1_11comp_targetILNS1_3genE3ELNS1_11target_archE908ELNS1_3gpuE7ELNS1_3repE0EEENS1_30default_config_static_selectorELNS0_4arch9wavefront6targetE1EEEvSW_.num_named_barrier, 0
	.set _ZN7rocprim17ROCPRIM_400000_NS6detail17trampoline_kernelINS0_14default_configENS1_22reduce_config_selectorIlEEZNS1_11reduce_implILb1ES3_N6thrust23THRUST_200600_302600_NS11hip_rocprim26transform_input_iterator_tIlNS8_12zip_iteratorINS8_5tupleINS8_6detail15normal_iteratorINS8_10device_ptrIsEEEESH_NS8_9null_typeESI_SI_SI_SI_SI_SI_SI_EEEENS9_21zip_adj_not_predicateINS8_8equal_toIsEEEEEEPllNS8_4plusIlEEEE10hipError_tPvRmT1_T2_T3_mT4_P12ihipStream_tbEUlT_E0_NS1_11comp_targetILNS1_3genE3ELNS1_11target_archE908ELNS1_3gpuE7ELNS1_3repE0EEENS1_30default_config_static_selectorELNS0_4arch9wavefront6targetE1EEEvSW_.private_seg_size, 0
	.set _ZN7rocprim17ROCPRIM_400000_NS6detail17trampoline_kernelINS0_14default_configENS1_22reduce_config_selectorIlEEZNS1_11reduce_implILb1ES3_N6thrust23THRUST_200600_302600_NS11hip_rocprim26transform_input_iterator_tIlNS8_12zip_iteratorINS8_5tupleINS8_6detail15normal_iteratorINS8_10device_ptrIsEEEESH_NS8_9null_typeESI_SI_SI_SI_SI_SI_SI_EEEENS9_21zip_adj_not_predicateINS8_8equal_toIsEEEEEEPllNS8_4plusIlEEEE10hipError_tPvRmT1_T2_T3_mT4_P12ihipStream_tbEUlT_E0_NS1_11comp_targetILNS1_3genE3ELNS1_11target_archE908ELNS1_3gpuE7ELNS1_3repE0EEENS1_30default_config_static_selectorELNS0_4arch9wavefront6targetE1EEEvSW_.uses_vcc, 0
	.set _ZN7rocprim17ROCPRIM_400000_NS6detail17trampoline_kernelINS0_14default_configENS1_22reduce_config_selectorIlEEZNS1_11reduce_implILb1ES3_N6thrust23THRUST_200600_302600_NS11hip_rocprim26transform_input_iterator_tIlNS8_12zip_iteratorINS8_5tupleINS8_6detail15normal_iteratorINS8_10device_ptrIsEEEESH_NS8_9null_typeESI_SI_SI_SI_SI_SI_SI_EEEENS9_21zip_adj_not_predicateINS8_8equal_toIsEEEEEEPllNS8_4plusIlEEEE10hipError_tPvRmT1_T2_T3_mT4_P12ihipStream_tbEUlT_E0_NS1_11comp_targetILNS1_3genE3ELNS1_11target_archE908ELNS1_3gpuE7ELNS1_3repE0EEENS1_30default_config_static_selectorELNS0_4arch9wavefront6targetE1EEEvSW_.uses_flat_scratch, 0
	.set _ZN7rocprim17ROCPRIM_400000_NS6detail17trampoline_kernelINS0_14default_configENS1_22reduce_config_selectorIlEEZNS1_11reduce_implILb1ES3_N6thrust23THRUST_200600_302600_NS11hip_rocprim26transform_input_iterator_tIlNS8_12zip_iteratorINS8_5tupleINS8_6detail15normal_iteratorINS8_10device_ptrIsEEEESH_NS8_9null_typeESI_SI_SI_SI_SI_SI_SI_EEEENS9_21zip_adj_not_predicateINS8_8equal_toIsEEEEEEPllNS8_4plusIlEEEE10hipError_tPvRmT1_T2_T3_mT4_P12ihipStream_tbEUlT_E0_NS1_11comp_targetILNS1_3genE3ELNS1_11target_archE908ELNS1_3gpuE7ELNS1_3repE0EEENS1_30default_config_static_selectorELNS0_4arch9wavefront6targetE1EEEvSW_.has_dyn_sized_stack, 0
	.set _ZN7rocprim17ROCPRIM_400000_NS6detail17trampoline_kernelINS0_14default_configENS1_22reduce_config_selectorIlEEZNS1_11reduce_implILb1ES3_N6thrust23THRUST_200600_302600_NS11hip_rocprim26transform_input_iterator_tIlNS8_12zip_iteratorINS8_5tupleINS8_6detail15normal_iteratorINS8_10device_ptrIsEEEESH_NS8_9null_typeESI_SI_SI_SI_SI_SI_SI_EEEENS9_21zip_adj_not_predicateINS8_8equal_toIsEEEEEEPllNS8_4plusIlEEEE10hipError_tPvRmT1_T2_T3_mT4_P12ihipStream_tbEUlT_E0_NS1_11comp_targetILNS1_3genE3ELNS1_11target_archE908ELNS1_3gpuE7ELNS1_3repE0EEENS1_30default_config_static_selectorELNS0_4arch9wavefront6targetE1EEEvSW_.has_recursion, 0
	.set _ZN7rocprim17ROCPRIM_400000_NS6detail17trampoline_kernelINS0_14default_configENS1_22reduce_config_selectorIlEEZNS1_11reduce_implILb1ES3_N6thrust23THRUST_200600_302600_NS11hip_rocprim26transform_input_iterator_tIlNS8_12zip_iteratorINS8_5tupleINS8_6detail15normal_iteratorINS8_10device_ptrIsEEEESH_NS8_9null_typeESI_SI_SI_SI_SI_SI_SI_EEEENS9_21zip_adj_not_predicateINS8_8equal_toIsEEEEEEPllNS8_4plusIlEEEE10hipError_tPvRmT1_T2_T3_mT4_P12ihipStream_tbEUlT_E0_NS1_11comp_targetILNS1_3genE3ELNS1_11target_archE908ELNS1_3gpuE7ELNS1_3repE0EEENS1_30default_config_static_selectorELNS0_4arch9wavefront6targetE1EEEvSW_.has_indirect_call, 0
	.section	.AMDGPU.csdata,"",@progbits
; Kernel info:
; codeLenInByte = 0
; TotalNumSgprs: 4
; NumVgprs: 0
; ScratchSize: 0
; MemoryBound: 0
; FloatMode: 240
; IeeeMode: 1
; LDSByteSize: 0 bytes/workgroup (compile time only)
; SGPRBlocks: 0
; VGPRBlocks: 0
; NumSGPRsForWavesPerEU: 4
; NumVGPRsForWavesPerEU: 1
; Occupancy: 10
; WaveLimiterHint : 0
; COMPUTE_PGM_RSRC2:SCRATCH_EN: 0
; COMPUTE_PGM_RSRC2:USER_SGPR: 6
; COMPUTE_PGM_RSRC2:TRAP_HANDLER: 0
; COMPUTE_PGM_RSRC2:TGID_X_EN: 1
; COMPUTE_PGM_RSRC2:TGID_Y_EN: 0
; COMPUTE_PGM_RSRC2:TGID_Z_EN: 0
; COMPUTE_PGM_RSRC2:TIDIG_COMP_CNT: 0
	.section	.text._ZN7rocprim17ROCPRIM_400000_NS6detail17trampoline_kernelINS0_14default_configENS1_22reduce_config_selectorIlEEZNS1_11reduce_implILb1ES3_N6thrust23THRUST_200600_302600_NS11hip_rocprim26transform_input_iterator_tIlNS8_12zip_iteratorINS8_5tupleINS8_6detail15normal_iteratorINS8_10device_ptrIsEEEESH_NS8_9null_typeESI_SI_SI_SI_SI_SI_SI_EEEENS9_21zip_adj_not_predicateINS8_8equal_toIsEEEEEEPllNS8_4plusIlEEEE10hipError_tPvRmT1_T2_T3_mT4_P12ihipStream_tbEUlT_E0_NS1_11comp_targetILNS1_3genE2ELNS1_11target_archE906ELNS1_3gpuE6ELNS1_3repE0EEENS1_30default_config_static_selectorELNS0_4arch9wavefront6targetE1EEEvSW_,"axG",@progbits,_ZN7rocprim17ROCPRIM_400000_NS6detail17trampoline_kernelINS0_14default_configENS1_22reduce_config_selectorIlEEZNS1_11reduce_implILb1ES3_N6thrust23THRUST_200600_302600_NS11hip_rocprim26transform_input_iterator_tIlNS8_12zip_iteratorINS8_5tupleINS8_6detail15normal_iteratorINS8_10device_ptrIsEEEESH_NS8_9null_typeESI_SI_SI_SI_SI_SI_SI_EEEENS9_21zip_adj_not_predicateINS8_8equal_toIsEEEEEEPllNS8_4plusIlEEEE10hipError_tPvRmT1_T2_T3_mT4_P12ihipStream_tbEUlT_E0_NS1_11comp_targetILNS1_3genE2ELNS1_11target_archE906ELNS1_3gpuE6ELNS1_3repE0EEENS1_30default_config_static_selectorELNS0_4arch9wavefront6targetE1EEEvSW_,comdat
	.protected	_ZN7rocprim17ROCPRIM_400000_NS6detail17trampoline_kernelINS0_14default_configENS1_22reduce_config_selectorIlEEZNS1_11reduce_implILb1ES3_N6thrust23THRUST_200600_302600_NS11hip_rocprim26transform_input_iterator_tIlNS8_12zip_iteratorINS8_5tupleINS8_6detail15normal_iteratorINS8_10device_ptrIsEEEESH_NS8_9null_typeESI_SI_SI_SI_SI_SI_SI_EEEENS9_21zip_adj_not_predicateINS8_8equal_toIsEEEEEEPllNS8_4plusIlEEEE10hipError_tPvRmT1_T2_T3_mT4_P12ihipStream_tbEUlT_E0_NS1_11comp_targetILNS1_3genE2ELNS1_11target_archE906ELNS1_3gpuE6ELNS1_3repE0EEENS1_30default_config_static_selectorELNS0_4arch9wavefront6targetE1EEEvSW_ ; -- Begin function _ZN7rocprim17ROCPRIM_400000_NS6detail17trampoline_kernelINS0_14default_configENS1_22reduce_config_selectorIlEEZNS1_11reduce_implILb1ES3_N6thrust23THRUST_200600_302600_NS11hip_rocprim26transform_input_iterator_tIlNS8_12zip_iteratorINS8_5tupleINS8_6detail15normal_iteratorINS8_10device_ptrIsEEEESH_NS8_9null_typeESI_SI_SI_SI_SI_SI_SI_EEEENS9_21zip_adj_not_predicateINS8_8equal_toIsEEEEEEPllNS8_4plusIlEEEE10hipError_tPvRmT1_T2_T3_mT4_P12ihipStream_tbEUlT_E0_NS1_11comp_targetILNS1_3genE2ELNS1_11target_archE906ELNS1_3gpuE6ELNS1_3repE0EEENS1_30default_config_static_selectorELNS0_4arch9wavefront6targetE1EEEvSW_
	.globl	_ZN7rocprim17ROCPRIM_400000_NS6detail17trampoline_kernelINS0_14default_configENS1_22reduce_config_selectorIlEEZNS1_11reduce_implILb1ES3_N6thrust23THRUST_200600_302600_NS11hip_rocprim26transform_input_iterator_tIlNS8_12zip_iteratorINS8_5tupleINS8_6detail15normal_iteratorINS8_10device_ptrIsEEEESH_NS8_9null_typeESI_SI_SI_SI_SI_SI_SI_EEEENS9_21zip_adj_not_predicateINS8_8equal_toIsEEEEEEPllNS8_4plusIlEEEE10hipError_tPvRmT1_T2_T3_mT4_P12ihipStream_tbEUlT_E0_NS1_11comp_targetILNS1_3genE2ELNS1_11target_archE906ELNS1_3gpuE6ELNS1_3repE0EEENS1_30default_config_static_selectorELNS0_4arch9wavefront6targetE1EEEvSW_
	.p2align	8
	.type	_ZN7rocprim17ROCPRIM_400000_NS6detail17trampoline_kernelINS0_14default_configENS1_22reduce_config_selectorIlEEZNS1_11reduce_implILb1ES3_N6thrust23THRUST_200600_302600_NS11hip_rocprim26transform_input_iterator_tIlNS8_12zip_iteratorINS8_5tupleINS8_6detail15normal_iteratorINS8_10device_ptrIsEEEESH_NS8_9null_typeESI_SI_SI_SI_SI_SI_SI_EEEENS9_21zip_adj_not_predicateINS8_8equal_toIsEEEEEEPllNS8_4plusIlEEEE10hipError_tPvRmT1_T2_T3_mT4_P12ihipStream_tbEUlT_E0_NS1_11comp_targetILNS1_3genE2ELNS1_11target_archE906ELNS1_3gpuE6ELNS1_3repE0EEENS1_30default_config_static_selectorELNS0_4arch9wavefront6targetE1EEEvSW_,@function
_ZN7rocprim17ROCPRIM_400000_NS6detail17trampoline_kernelINS0_14default_configENS1_22reduce_config_selectorIlEEZNS1_11reduce_implILb1ES3_N6thrust23THRUST_200600_302600_NS11hip_rocprim26transform_input_iterator_tIlNS8_12zip_iteratorINS8_5tupleINS8_6detail15normal_iteratorINS8_10device_ptrIsEEEESH_NS8_9null_typeESI_SI_SI_SI_SI_SI_SI_EEEENS9_21zip_adj_not_predicateINS8_8equal_toIsEEEEEEPllNS8_4plusIlEEEE10hipError_tPvRmT1_T2_T3_mT4_P12ihipStream_tbEUlT_E0_NS1_11comp_targetILNS1_3genE2ELNS1_11target_archE906ELNS1_3gpuE6ELNS1_3repE0EEENS1_30default_config_static_selectorELNS0_4arch9wavefront6targetE1EEEvSW_: ; @_ZN7rocprim17ROCPRIM_400000_NS6detail17trampoline_kernelINS0_14default_configENS1_22reduce_config_selectorIlEEZNS1_11reduce_implILb1ES3_N6thrust23THRUST_200600_302600_NS11hip_rocprim26transform_input_iterator_tIlNS8_12zip_iteratorINS8_5tupleINS8_6detail15normal_iteratorINS8_10device_ptrIsEEEESH_NS8_9null_typeESI_SI_SI_SI_SI_SI_SI_EEEENS9_21zip_adj_not_predicateINS8_8equal_toIsEEEEEEPllNS8_4plusIlEEEE10hipError_tPvRmT1_T2_T3_mT4_P12ihipStream_tbEUlT_E0_NS1_11comp_targetILNS1_3genE2ELNS1_11target_archE906ELNS1_3gpuE6ELNS1_3repE0EEENS1_30default_config_static_selectorELNS0_4arch9wavefront6targetE1EEEvSW_
; %bb.0:
	s_load_dwordx8 s[8:15], s[4:5], 0x18
	s_load_dwordx4 s[0:3], s[4:5], 0x0
	s_load_dwordx4 s[16:19], s[4:5], 0x38
	v_lshlrev_b32_e32 v6, 1, v0
	v_mbcnt_lo_u32_b32 v5, -1, 0
	s_waitcnt lgkmcnt(0)
	s_lshl_b64 s[4:5], s[8:9], 1
	s_add_u32 s0, s0, s4
	s_addc_u32 s1, s1, s5
	s_add_u32 s20, s2, s4
	s_addc_u32 s21, s3, s5
	s_lshl_b32 s4, s6, 9
	s_mov_b32 s5, 0
	s_lshr_b64 s[8:9], s[10:11], 9
	s_lshl_b64 s[2:3], s[4:5], 1
	s_add_u32 s0, s0, s2
	s_addc_u32 s1, s1, s3
	s_add_u32 s2, s20, s2
	s_mov_b32 s7, s5
	s_addc_u32 s3, s21, s3
	s_cmp_lg_u64 s[8:9], s[6:7]
	s_cbranch_scc0 .LBB999_6
; %bb.1:
	global_load_ushort v1, v6, s[0:1]
	global_load_ushort v2, v6, s[2:3]
	global_load_ushort v7, v6, s[2:3] offset:512
	global_load_ushort v8, v6, s[0:1] offset:512
	v_mov_b32_e32 v4, 0
	v_mbcnt_hi_u32_b32 v3, -1, v5
	s_waitcnt vmcnt(2)
	v_cmp_ne_u16_e32 vcc, v1, v2
	v_cndmask_b32_e64 v1, 0, 1, vcc
	s_waitcnt vmcnt(0)
	v_cmp_ne_u16_e32 vcc, v8, v7
	v_addc_co_u32_e32 v1, vcc, 0, v1, vcc
	v_mov_b32_dpp v9, v4 quad_perm:[1,0,3,2] row_mask:0xf bank_mask:0xf bound_ctrl:1
	s_nop 0
	v_mov_b32_dpp v2, v1 quad_perm:[1,0,3,2] row_mask:0xf bank_mask:0xf bound_ctrl:1
	v_add_co_u32_e32 v1, vcc, v1, v2
	v_addc_co_u32_e64 v2, s[8:9], 0, 0, vcc
	v_add_co_u32_e32 v7, vcc, 0, v1
	v_addc_co_u32_e32 v2, vcc, v9, v2, vcc
	v_mov_b32_dpp v1, v1 quad_perm:[2,3,0,1] row_mask:0xf bank_mask:0xf bound_ctrl:1
	v_add_co_u32_e32 v1, vcc, v7, v1
	v_mov_b32_dpp v8, v2 quad_perm:[2,3,0,1] row_mask:0xf bank_mask:0xf bound_ctrl:1
	v_addc_co_u32_e32 v2, vcc, 0, v2, vcc
	v_add_co_u32_e32 v7, vcc, 0, v1
	v_addc_co_u32_e32 v2, vcc, v2, v8, vcc
	v_mov_b32_dpp v1, v1 row_ror:4 row_mask:0xf bank_mask:0xf bound_ctrl:1
	v_add_co_u32_e32 v1, vcc, v7, v1
	v_mov_b32_dpp v8, v2 row_ror:4 row_mask:0xf bank_mask:0xf bound_ctrl:1
	v_addc_co_u32_e32 v2, vcc, 0, v2, vcc
	v_add_co_u32_e32 v7, vcc, 0, v1
	v_addc_co_u32_e32 v2, vcc, v2, v8, vcc
	v_mov_b32_dpp v1, v1 row_ror:8 row_mask:0xf bank_mask:0xf bound_ctrl:1
	v_add_co_u32_e32 v1, vcc, v7, v1
	v_mov_b32_dpp v8, v2 row_ror:8 row_mask:0xf bank_mask:0xf bound_ctrl:1
	v_addc_co_u32_e32 v2, vcc, 0, v2, vcc
	v_add_co_u32_e32 v7, vcc, 0, v1
	v_addc_co_u32_e32 v2, vcc, v2, v8, vcc
	v_mov_b32_dpp v1, v1 row_bcast:15 row_mask:0xf bank_mask:0xf bound_ctrl:1
	v_add_co_u32_e32 v1, vcc, v7, v1
	v_mov_b32_dpp v8, v2 row_bcast:15 row_mask:0xf bank_mask:0xf bound_ctrl:1
	v_addc_co_u32_e32 v2, vcc, 0, v2, vcc
	v_add_co_u32_e32 v7, vcc, 0, v1
	v_addc_co_u32_e32 v2, vcc, v2, v8, vcc
	v_mov_b32_dpp v1, v1 row_bcast:31 row_mask:0xf bank_mask:0xf bound_ctrl:1
	v_add_co_u32_e32 v1, vcc, v7, v1
	v_lshlrev_b32_e32 v4, 2, v3
	v_addc_co_u32_e32 v7, vcc, 0, v2, vcc
	v_or_b32_e32 v10, 0xfc, v4
	s_nop 0
	v_add_u32_dpp v2, v2, v7 row_bcast:31 row_mask:0xf bank_mask:0xf bound_ctrl:1
	ds_bpermute_b32 v1, v10, v1
	ds_bpermute_b32 v2, v10, v2
	v_cmp_eq_u32_e32 vcc, 0, v3
	s_and_saveexec_b64 s[8:9], vcc
	s_cbranch_execz .LBB999_3
; %bb.2:
	v_lshrrev_b32_e32 v7, 3, v0
	v_and_b32_e32 v7, 24, v7
	s_waitcnt lgkmcnt(0)
	ds_write_b64 v7, v[1:2]
.LBB999_3:
	s_or_b64 exec, exec, s[8:9]
	v_cmp_gt_u32_e32 vcc, 64, v0
	s_waitcnt lgkmcnt(0)
	s_barrier
	s_and_saveexec_b64 s[8:9], vcc
	s_cbranch_execz .LBB999_5
; %bb.4:
	v_and_b32_e32 v7, 3, v3
	v_lshlrev_b32_e32 v1, 3, v7
	ds_read_b64 v[1:2], v1
	v_cmp_ne_u32_e32 vcc, 3, v7
	v_addc_co_u32_e32 v3, vcc, 0, v3, vcc
	v_lshlrev_b32_e32 v3, 2, v3
	s_waitcnt lgkmcnt(0)
	ds_bpermute_b32 v7, v3, v1
	ds_bpermute_b32 v3, v3, v2
	v_or_b32_e32 v4, 8, v4
	s_waitcnt lgkmcnt(1)
	v_add_co_u32_e32 v1, vcc, v1, v7
	v_addc_co_u32_e32 v2, vcc, 0, v2, vcc
	ds_bpermute_b32 v7, v4, v1
	v_add_co_u32_e32 v1, vcc, 0, v1
	s_waitcnt lgkmcnt(1)
	v_addc_co_u32_e32 v2, vcc, v3, v2, vcc
	ds_bpermute_b32 v3, v4, v2
	s_waitcnt lgkmcnt(1)
	v_add_co_u32_e32 v1, vcc, v1, v7
	v_addc_co_u32_e32 v2, vcc, 0, v2, vcc
	v_add_co_u32_e32 v1, vcc, 0, v1
	s_waitcnt lgkmcnt(0)
	v_addc_co_u32_e32 v2, vcc, v2, v3, vcc
.LBB999_5:
	s_or_b64 exec, exec, s[8:9]
	s_branch .LBB999_28
.LBB999_6:
                                        ; implicit-def: $vgpr1_vgpr2
	s_cbranch_execz .LBB999_28
; %bb.7:
	s_sub_i32 s8, s10, s4
	v_mov_b32_e32 v1, 0
	v_cmp_gt_u32_e32 vcc, s8, v0
	v_mov_b32_e32 v2, v1
	v_mov_b32_e32 v3, v1
	;; [unrolled: 1-line block ×3, first 2 shown]
	s_and_saveexec_b64 s[4:5], vcc
	s_cbranch_execz .LBB999_9
; %bb.8:
	global_load_ushort v2, v6, s[0:1]
	global_load_ushort v3, v6, s[2:3]
	v_mov_b32_e32 v8, v1
	v_mov_b32_e32 v9, v1
	;; [unrolled: 1-line block ×3, first 2 shown]
	s_waitcnt vmcnt(0)
	v_cmp_ne_u16_e32 vcc, v2, v3
	v_cndmask_b32_e64 v2, 0, 1, vcc
	v_and_b32_e32 v7, 0xffff, v2
	v_mov_b32_e32 v1, v7
	v_mov_b32_e32 v2, v8
	;; [unrolled: 1-line block ×4, first 2 shown]
.LBB999_9:
	s_or_b64 exec, exec, s[4:5]
	v_or_b32_e32 v7, 0x100, v0
	v_cmp_gt_u32_e32 vcc, s8, v7
	s_and_saveexec_b64 s[4:5], vcc
	s_cbranch_execz .LBB999_11
; %bb.10:
	global_load_ushort v3, v6, s[0:1] offset:512
	global_load_ushort v4, v6, s[2:3] offset:512
	s_mov_b32 s2, 0
	s_waitcnt vmcnt(0)
	v_cmp_ne_u16_e64 s[0:1], v3, v4
	v_cndmask_b32_e64 v3, 0, 1, s[0:1]
	v_mov_b32_e32 v4, s2
.LBB999_11:
	s_or_b64 exec, exec, s[4:5]
	v_cndmask_b32_e32 v3, 0, v3, vcc
	v_cndmask_b32_e32 v4, 0, v4, vcc
	v_add_co_u32_e32 v1, vcc, v3, v1
	v_mbcnt_hi_u32_b32 v3, -1, v5
	v_addc_co_u32_e32 v2, vcc, v4, v2, vcc
	v_and_b32_e32 v4, 63, v3
	v_cmp_ne_u32_e32 vcc, 63, v4
	v_addc_co_u32_e32 v6, vcc, 0, v3, vcc
	v_lshlrev_b32_e32 v6, 2, v6
	ds_bpermute_b32 v8, v6, v1
	ds_bpermute_b32 v7, v6, v2
	s_min_u32 s2, s8, 0x100
	v_and_b32_e32 v5, 0xc0, v0
	v_sub_u32_e64 v5, s2, v5 clamp
	v_add_u32_e32 v6, 1, v4
	v_cmp_lt_u32_e32 vcc, v6, v5
	v_mov_b32_e32 v6, v1
	s_and_saveexec_b64 s[0:1], vcc
	s_cbranch_execz .LBB999_13
; %bb.12:
	s_waitcnt lgkmcnt(1)
	v_add_co_u32_e32 v6, vcc, v1, v8
	v_addc_co_u32_e32 v2, vcc, 0, v2, vcc
	v_add_co_u32_e32 v1, vcc, 0, v6
	s_waitcnt lgkmcnt(0)
	v_addc_co_u32_e32 v2, vcc, v7, v2, vcc
.LBB999_13:
	s_or_b64 exec, exec, s[0:1]
	v_cmp_gt_u32_e32 vcc, 62, v4
	s_waitcnt lgkmcnt(0)
	v_cndmask_b32_e64 v7, 0, 2, vcc
	v_add_lshl_u32 v7, v7, v3, 2
	ds_bpermute_b32 v8, v7, v6
	ds_bpermute_b32 v7, v7, v2
	v_add_u32_e32 v9, 2, v4
	v_cmp_lt_u32_e32 vcc, v9, v5
	s_and_saveexec_b64 s[0:1], vcc
	s_cbranch_execz .LBB999_15
; %bb.14:
	s_waitcnt lgkmcnt(1)
	v_add_co_u32_e32 v6, vcc, v1, v8
	v_addc_co_u32_e32 v2, vcc, 0, v2, vcc
	v_add_co_u32_e32 v1, vcc, 0, v6
	s_waitcnt lgkmcnt(0)
	v_addc_co_u32_e32 v2, vcc, v7, v2, vcc
.LBB999_15:
	s_or_b64 exec, exec, s[0:1]
	v_cmp_gt_u32_e32 vcc, 60, v4
	s_waitcnt lgkmcnt(0)
	v_cndmask_b32_e64 v7, 0, 4, vcc
	v_add_lshl_u32 v7, v7, v3, 2
	ds_bpermute_b32 v8, v7, v6
	ds_bpermute_b32 v7, v7, v2
	v_add_u32_e32 v9, 4, v4
	v_cmp_lt_u32_e32 vcc, v9, v5
	s_and_saveexec_b64 s[0:1], vcc
	s_cbranch_execz .LBB999_17
; %bb.16:
	s_waitcnt lgkmcnt(1)
	v_add_co_u32_e32 v6, vcc, v1, v8
	v_addc_co_u32_e32 v2, vcc, 0, v2, vcc
	v_add_co_u32_e32 v1, vcc, 0, v6
	s_waitcnt lgkmcnt(0)
	v_addc_co_u32_e32 v2, vcc, v7, v2, vcc
.LBB999_17:
	s_or_b64 exec, exec, s[0:1]
	v_cmp_gt_u32_e32 vcc, 56, v4
	s_waitcnt lgkmcnt(0)
	v_cndmask_b32_e64 v7, 0, 8, vcc
	v_add_lshl_u32 v7, v7, v3, 2
	ds_bpermute_b32 v8, v7, v6
	ds_bpermute_b32 v7, v7, v2
	v_add_u32_e32 v9, 8, v4
	v_cmp_lt_u32_e32 vcc, v9, v5
	s_and_saveexec_b64 s[0:1], vcc
	s_cbranch_execz .LBB999_19
; %bb.18:
	s_waitcnt lgkmcnt(1)
	v_add_co_u32_e32 v6, vcc, v1, v8
	v_addc_co_u32_e32 v2, vcc, 0, v2, vcc
	v_add_co_u32_e32 v1, vcc, 0, v6
	s_waitcnt lgkmcnt(0)
	v_addc_co_u32_e32 v2, vcc, v7, v2, vcc
.LBB999_19:
	s_or_b64 exec, exec, s[0:1]
	v_cmp_gt_u32_e32 vcc, 48, v4
	s_waitcnt lgkmcnt(0)
	v_cndmask_b32_e64 v7, 0, 16, vcc
	v_add_lshl_u32 v7, v7, v3, 2
	ds_bpermute_b32 v8, v7, v6
	ds_bpermute_b32 v7, v7, v2
	v_add_u32_e32 v9, 16, v4
	v_cmp_lt_u32_e32 vcc, v9, v5
	s_and_saveexec_b64 s[0:1], vcc
	s_cbranch_execz .LBB999_21
; %bb.20:
	s_waitcnt lgkmcnt(1)
	v_add_co_u32_e32 v6, vcc, v1, v8
	v_addc_co_u32_e32 v2, vcc, 0, v2, vcc
	v_add_co_u32_e32 v1, vcc, 0, v6
	s_waitcnt lgkmcnt(0)
	v_addc_co_u32_e32 v2, vcc, v7, v2, vcc
.LBB999_21:
	s_or_b64 exec, exec, s[0:1]
	s_waitcnt lgkmcnt(0)
	v_lshlrev_b32_e32 v7, 2, v3
	v_or_b32_e32 v8, 0x80, v7
	ds_bpermute_b32 v6, v8, v6
	ds_bpermute_b32 v8, v8, v2
	v_add_u32_e32 v4, 32, v4
	s_waitcnt lgkmcnt(1)
	v_add_co_u32_e32 v6, vcc, v1, v6
	v_addc_co_u32_e32 v9, vcc, 0, v2, vcc
	v_add_co_u32_e32 v6, vcc, 0, v6
	s_waitcnt lgkmcnt(0)
	v_addc_co_u32_e32 v8, vcc, v9, v8, vcc
	v_cmp_lt_u32_e32 vcc, v4, v5
	v_cndmask_b32_e32 v2, v2, v8, vcc
	v_cndmask_b32_e32 v1, v1, v6, vcc
	v_cmp_eq_u32_e32 vcc, 0, v3
	s_and_saveexec_b64 s[0:1], vcc
; %bb.22:
	v_lshrrev_b32_e32 v4, 3, v0
	v_and_b32_e32 v4, 24, v4
	ds_write_b64 v4, v[1:2] offset:32
; %bb.23:
	s_or_b64 exec, exec, s[0:1]
	v_cmp_gt_u32_e32 vcc, 4, v0
	s_waitcnt lgkmcnt(0)
	s_barrier
	s_and_saveexec_b64 s[0:1], vcc
	s_cbranch_execz .LBB999_27
; %bb.24:
	v_lshlrev_b32_e32 v1, 3, v3
	ds_read_b64 v[1:2], v1 offset:32
	v_and_b32_e32 v4, 3, v3
	v_cmp_ne_u32_e32 vcc, 3, v4
	v_addc_co_u32_e32 v3, vcc, 0, v3, vcc
	v_lshlrev_b32_e32 v3, 2, v3
	s_waitcnt lgkmcnt(0)
	ds_bpermute_b32 v6, v3, v1
	ds_bpermute_b32 v5, v3, v2
	s_add_i32 s2, s2, 63
	s_lshr_b32 s4, s2, 6
	v_add_u32_e32 v3, 1, v4
	v_cmp_gt_u32_e32 vcc, s4, v3
	v_mov_b32_e32 v3, v1
	s_and_saveexec_b64 s[2:3], vcc
	s_cbranch_execz .LBB999_26
; %bb.25:
	s_waitcnt lgkmcnt(1)
	v_add_co_u32_e32 v3, vcc, v1, v6
	v_addc_co_u32_e32 v2, vcc, 0, v2, vcc
	v_add_co_u32_e32 v1, vcc, 0, v3
	s_waitcnt lgkmcnt(0)
	v_addc_co_u32_e32 v2, vcc, v5, v2, vcc
.LBB999_26:
	s_or_b64 exec, exec, s[2:3]
	s_waitcnt lgkmcnt(0)
	v_or_b32_e32 v5, 8, v7
	ds_bpermute_b32 v3, v5, v3
	ds_bpermute_b32 v5, v5, v2
	v_add_u32_e32 v4, 2, v4
	s_waitcnt lgkmcnt(1)
	v_add_co_u32_e32 v3, vcc, v1, v3
	v_addc_co_u32_e32 v6, vcc, 0, v2, vcc
	v_add_co_u32_e32 v3, vcc, 0, v3
	s_waitcnt lgkmcnt(0)
	v_addc_co_u32_e32 v5, vcc, v6, v5, vcc
	v_cmp_gt_u32_e32 vcc, s4, v4
	v_cndmask_b32_e32 v2, v2, v5, vcc
	v_cndmask_b32_e32 v1, v1, v3, vcc
.LBB999_27:
	s_or_b64 exec, exec, s[0:1]
.LBB999_28:
	v_cmp_eq_u32_e32 vcc, 0, v0
	s_and_saveexec_b64 s[0:1], vcc
	s_cbranch_execnz .LBB999_30
; %bb.29:
	s_endpgm
.LBB999_30:
	s_mul_i32 s0, s16, s15
	s_mul_hi_u32 s1, s16, s14
	s_add_i32 s0, s1, s0
	s_mul_i32 s1, s17, s14
	s_add_i32 s1, s0, s1
	s_mul_i32 s0, s16, s14
	s_lshl_b64 s[0:1], s[0:1], 3
	s_add_u32 s2, s12, s0
	s_addc_u32 s3, s13, s1
	s_cmp_eq_u64 s[10:11], 0
	v_mov_b32_e32 v0, s19
	s_cselect_b64 vcc, -1, 0
	s_lshl_b64 s[0:1], s[6:7], 3
	v_cndmask_b32_e32 v2, v2, v0, vcc
	v_mov_b32_e32 v0, s18
	s_add_u32 s0, s2, s0
	v_cndmask_b32_e32 v1, v1, v0, vcc
	s_addc_u32 s1, s3, s1
	v_mov_b32_e32 v0, 0
	global_store_dwordx2 v0, v[1:2], s[0:1]
	s_endpgm
	.section	.rodata,"a",@progbits
	.p2align	6, 0x0
	.amdhsa_kernel _ZN7rocprim17ROCPRIM_400000_NS6detail17trampoline_kernelINS0_14default_configENS1_22reduce_config_selectorIlEEZNS1_11reduce_implILb1ES3_N6thrust23THRUST_200600_302600_NS11hip_rocprim26transform_input_iterator_tIlNS8_12zip_iteratorINS8_5tupleINS8_6detail15normal_iteratorINS8_10device_ptrIsEEEESH_NS8_9null_typeESI_SI_SI_SI_SI_SI_SI_EEEENS9_21zip_adj_not_predicateINS8_8equal_toIsEEEEEEPllNS8_4plusIlEEEE10hipError_tPvRmT1_T2_T3_mT4_P12ihipStream_tbEUlT_E0_NS1_11comp_targetILNS1_3genE2ELNS1_11target_archE906ELNS1_3gpuE6ELNS1_3repE0EEENS1_30default_config_static_selectorELNS0_4arch9wavefront6targetE1EEEvSW_
		.amdhsa_group_segment_fixed_size 64
		.amdhsa_private_segment_fixed_size 0
		.amdhsa_kernarg_size 80
		.amdhsa_user_sgpr_count 6
		.amdhsa_user_sgpr_private_segment_buffer 1
		.amdhsa_user_sgpr_dispatch_ptr 0
		.amdhsa_user_sgpr_queue_ptr 0
		.amdhsa_user_sgpr_kernarg_segment_ptr 1
		.amdhsa_user_sgpr_dispatch_id 0
		.amdhsa_user_sgpr_flat_scratch_init 0
		.amdhsa_user_sgpr_private_segment_size 0
		.amdhsa_uses_dynamic_stack 0
		.amdhsa_system_sgpr_private_segment_wavefront_offset 0
		.amdhsa_system_sgpr_workgroup_id_x 1
		.amdhsa_system_sgpr_workgroup_id_y 0
		.amdhsa_system_sgpr_workgroup_id_z 0
		.amdhsa_system_sgpr_workgroup_info 0
		.amdhsa_system_vgpr_workitem_id 0
		.amdhsa_next_free_vgpr 11
		.amdhsa_next_free_sgpr 22
		.amdhsa_reserve_vcc 1
		.amdhsa_reserve_flat_scratch 0
		.amdhsa_float_round_mode_32 0
		.amdhsa_float_round_mode_16_64 0
		.amdhsa_float_denorm_mode_32 3
		.amdhsa_float_denorm_mode_16_64 3
		.amdhsa_dx10_clamp 1
		.amdhsa_ieee_mode 1
		.amdhsa_fp16_overflow 0
		.amdhsa_exception_fp_ieee_invalid_op 0
		.amdhsa_exception_fp_denorm_src 0
		.amdhsa_exception_fp_ieee_div_zero 0
		.amdhsa_exception_fp_ieee_overflow 0
		.amdhsa_exception_fp_ieee_underflow 0
		.amdhsa_exception_fp_ieee_inexact 0
		.amdhsa_exception_int_div_zero 0
	.end_amdhsa_kernel
	.section	.text._ZN7rocprim17ROCPRIM_400000_NS6detail17trampoline_kernelINS0_14default_configENS1_22reduce_config_selectorIlEEZNS1_11reduce_implILb1ES3_N6thrust23THRUST_200600_302600_NS11hip_rocprim26transform_input_iterator_tIlNS8_12zip_iteratorINS8_5tupleINS8_6detail15normal_iteratorINS8_10device_ptrIsEEEESH_NS8_9null_typeESI_SI_SI_SI_SI_SI_SI_EEEENS9_21zip_adj_not_predicateINS8_8equal_toIsEEEEEEPllNS8_4plusIlEEEE10hipError_tPvRmT1_T2_T3_mT4_P12ihipStream_tbEUlT_E0_NS1_11comp_targetILNS1_3genE2ELNS1_11target_archE906ELNS1_3gpuE6ELNS1_3repE0EEENS1_30default_config_static_selectorELNS0_4arch9wavefront6targetE1EEEvSW_,"axG",@progbits,_ZN7rocprim17ROCPRIM_400000_NS6detail17trampoline_kernelINS0_14default_configENS1_22reduce_config_selectorIlEEZNS1_11reduce_implILb1ES3_N6thrust23THRUST_200600_302600_NS11hip_rocprim26transform_input_iterator_tIlNS8_12zip_iteratorINS8_5tupleINS8_6detail15normal_iteratorINS8_10device_ptrIsEEEESH_NS8_9null_typeESI_SI_SI_SI_SI_SI_SI_EEEENS9_21zip_adj_not_predicateINS8_8equal_toIsEEEEEEPllNS8_4plusIlEEEE10hipError_tPvRmT1_T2_T3_mT4_P12ihipStream_tbEUlT_E0_NS1_11comp_targetILNS1_3genE2ELNS1_11target_archE906ELNS1_3gpuE6ELNS1_3repE0EEENS1_30default_config_static_selectorELNS0_4arch9wavefront6targetE1EEEvSW_,comdat
.Lfunc_end999:
	.size	_ZN7rocprim17ROCPRIM_400000_NS6detail17trampoline_kernelINS0_14default_configENS1_22reduce_config_selectorIlEEZNS1_11reduce_implILb1ES3_N6thrust23THRUST_200600_302600_NS11hip_rocprim26transform_input_iterator_tIlNS8_12zip_iteratorINS8_5tupleINS8_6detail15normal_iteratorINS8_10device_ptrIsEEEESH_NS8_9null_typeESI_SI_SI_SI_SI_SI_SI_EEEENS9_21zip_adj_not_predicateINS8_8equal_toIsEEEEEEPllNS8_4plusIlEEEE10hipError_tPvRmT1_T2_T3_mT4_P12ihipStream_tbEUlT_E0_NS1_11comp_targetILNS1_3genE2ELNS1_11target_archE906ELNS1_3gpuE6ELNS1_3repE0EEENS1_30default_config_static_selectorELNS0_4arch9wavefront6targetE1EEEvSW_, .Lfunc_end999-_ZN7rocprim17ROCPRIM_400000_NS6detail17trampoline_kernelINS0_14default_configENS1_22reduce_config_selectorIlEEZNS1_11reduce_implILb1ES3_N6thrust23THRUST_200600_302600_NS11hip_rocprim26transform_input_iterator_tIlNS8_12zip_iteratorINS8_5tupleINS8_6detail15normal_iteratorINS8_10device_ptrIsEEEESH_NS8_9null_typeESI_SI_SI_SI_SI_SI_SI_EEEENS9_21zip_adj_not_predicateINS8_8equal_toIsEEEEEEPllNS8_4plusIlEEEE10hipError_tPvRmT1_T2_T3_mT4_P12ihipStream_tbEUlT_E0_NS1_11comp_targetILNS1_3genE2ELNS1_11target_archE906ELNS1_3gpuE6ELNS1_3repE0EEENS1_30default_config_static_selectorELNS0_4arch9wavefront6targetE1EEEvSW_
                                        ; -- End function
	.set _ZN7rocprim17ROCPRIM_400000_NS6detail17trampoline_kernelINS0_14default_configENS1_22reduce_config_selectorIlEEZNS1_11reduce_implILb1ES3_N6thrust23THRUST_200600_302600_NS11hip_rocprim26transform_input_iterator_tIlNS8_12zip_iteratorINS8_5tupleINS8_6detail15normal_iteratorINS8_10device_ptrIsEEEESH_NS8_9null_typeESI_SI_SI_SI_SI_SI_SI_EEEENS9_21zip_adj_not_predicateINS8_8equal_toIsEEEEEEPllNS8_4plusIlEEEE10hipError_tPvRmT1_T2_T3_mT4_P12ihipStream_tbEUlT_E0_NS1_11comp_targetILNS1_3genE2ELNS1_11target_archE906ELNS1_3gpuE6ELNS1_3repE0EEENS1_30default_config_static_selectorELNS0_4arch9wavefront6targetE1EEEvSW_.num_vgpr, 11
	.set _ZN7rocprim17ROCPRIM_400000_NS6detail17trampoline_kernelINS0_14default_configENS1_22reduce_config_selectorIlEEZNS1_11reduce_implILb1ES3_N6thrust23THRUST_200600_302600_NS11hip_rocprim26transform_input_iterator_tIlNS8_12zip_iteratorINS8_5tupleINS8_6detail15normal_iteratorINS8_10device_ptrIsEEEESH_NS8_9null_typeESI_SI_SI_SI_SI_SI_SI_EEEENS9_21zip_adj_not_predicateINS8_8equal_toIsEEEEEEPllNS8_4plusIlEEEE10hipError_tPvRmT1_T2_T3_mT4_P12ihipStream_tbEUlT_E0_NS1_11comp_targetILNS1_3genE2ELNS1_11target_archE906ELNS1_3gpuE6ELNS1_3repE0EEENS1_30default_config_static_selectorELNS0_4arch9wavefront6targetE1EEEvSW_.num_agpr, 0
	.set _ZN7rocprim17ROCPRIM_400000_NS6detail17trampoline_kernelINS0_14default_configENS1_22reduce_config_selectorIlEEZNS1_11reduce_implILb1ES3_N6thrust23THRUST_200600_302600_NS11hip_rocprim26transform_input_iterator_tIlNS8_12zip_iteratorINS8_5tupleINS8_6detail15normal_iteratorINS8_10device_ptrIsEEEESH_NS8_9null_typeESI_SI_SI_SI_SI_SI_SI_EEEENS9_21zip_adj_not_predicateINS8_8equal_toIsEEEEEEPllNS8_4plusIlEEEE10hipError_tPvRmT1_T2_T3_mT4_P12ihipStream_tbEUlT_E0_NS1_11comp_targetILNS1_3genE2ELNS1_11target_archE906ELNS1_3gpuE6ELNS1_3repE0EEENS1_30default_config_static_selectorELNS0_4arch9wavefront6targetE1EEEvSW_.numbered_sgpr, 22
	.set _ZN7rocprim17ROCPRIM_400000_NS6detail17trampoline_kernelINS0_14default_configENS1_22reduce_config_selectorIlEEZNS1_11reduce_implILb1ES3_N6thrust23THRUST_200600_302600_NS11hip_rocprim26transform_input_iterator_tIlNS8_12zip_iteratorINS8_5tupleINS8_6detail15normal_iteratorINS8_10device_ptrIsEEEESH_NS8_9null_typeESI_SI_SI_SI_SI_SI_SI_EEEENS9_21zip_adj_not_predicateINS8_8equal_toIsEEEEEEPllNS8_4plusIlEEEE10hipError_tPvRmT1_T2_T3_mT4_P12ihipStream_tbEUlT_E0_NS1_11comp_targetILNS1_3genE2ELNS1_11target_archE906ELNS1_3gpuE6ELNS1_3repE0EEENS1_30default_config_static_selectorELNS0_4arch9wavefront6targetE1EEEvSW_.num_named_barrier, 0
	.set _ZN7rocprim17ROCPRIM_400000_NS6detail17trampoline_kernelINS0_14default_configENS1_22reduce_config_selectorIlEEZNS1_11reduce_implILb1ES3_N6thrust23THRUST_200600_302600_NS11hip_rocprim26transform_input_iterator_tIlNS8_12zip_iteratorINS8_5tupleINS8_6detail15normal_iteratorINS8_10device_ptrIsEEEESH_NS8_9null_typeESI_SI_SI_SI_SI_SI_SI_EEEENS9_21zip_adj_not_predicateINS8_8equal_toIsEEEEEEPllNS8_4plusIlEEEE10hipError_tPvRmT1_T2_T3_mT4_P12ihipStream_tbEUlT_E0_NS1_11comp_targetILNS1_3genE2ELNS1_11target_archE906ELNS1_3gpuE6ELNS1_3repE0EEENS1_30default_config_static_selectorELNS0_4arch9wavefront6targetE1EEEvSW_.private_seg_size, 0
	.set _ZN7rocprim17ROCPRIM_400000_NS6detail17trampoline_kernelINS0_14default_configENS1_22reduce_config_selectorIlEEZNS1_11reduce_implILb1ES3_N6thrust23THRUST_200600_302600_NS11hip_rocprim26transform_input_iterator_tIlNS8_12zip_iteratorINS8_5tupleINS8_6detail15normal_iteratorINS8_10device_ptrIsEEEESH_NS8_9null_typeESI_SI_SI_SI_SI_SI_SI_EEEENS9_21zip_adj_not_predicateINS8_8equal_toIsEEEEEEPllNS8_4plusIlEEEE10hipError_tPvRmT1_T2_T3_mT4_P12ihipStream_tbEUlT_E0_NS1_11comp_targetILNS1_3genE2ELNS1_11target_archE906ELNS1_3gpuE6ELNS1_3repE0EEENS1_30default_config_static_selectorELNS0_4arch9wavefront6targetE1EEEvSW_.uses_vcc, 1
	.set _ZN7rocprim17ROCPRIM_400000_NS6detail17trampoline_kernelINS0_14default_configENS1_22reduce_config_selectorIlEEZNS1_11reduce_implILb1ES3_N6thrust23THRUST_200600_302600_NS11hip_rocprim26transform_input_iterator_tIlNS8_12zip_iteratorINS8_5tupleINS8_6detail15normal_iteratorINS8_10device_ptrIsEEEESH_NS8_9null_typeESI_SI_SI_SI_SI_SI_SI_EEEENS9_21zip_adj_not_predicateINS8_8equal_toIsEEEEEEPllNS8_4plusIlEEEE10hipError_tPvRmT1_T2_T3_mT4_P12ihipStream_tbEUlT_E0_NS1_11comp_targetILNS1_3genE2ELNS1_11target_archE906ELNS1_3gpuE6ELNS1_3repE0EEENS1_30default_config_static_selectorELNS0_4arch9wavefront6targetE1EEEvSW_.uses_flat_scratch, 0
	.set _ZN7rocprim17ROCPRIM_400000_NS6detail17trampoline_kernelINS0_14default_configENS1_22reduce_config_selectorIlEEZNS1_11reduce_implILb1ES3_N6thrust23THRUST_200600_302600_NS11hip_rocprim26transform_input_iterator_tIlNS8_12zip_iteratorINS8_5tupleINS8_6detail15normal_iteratorINS8_10device_ptrIsEEEESH_NS8_9null_typeESI_SI_SI_SI_SI_SI_SI_EEEENS9_21zip_adj_not_predicateINS8_8equal_toIsEEEEEEPllNS8_4plusIlEEEE10hipError_tPvRmT1_T2_T3_mT4_P12ihipStream_tbEUlT_E0_NS1_11comp_targetILNS1_3genE2ELNS1_11target_archE906ELNS1_3gpuE6ELNS1_3repE0EEENS1_30default_config_static_selectorELNS0_4arch9wavefront6targetE1EEEvSW_.has_dyn_sized_stack, 0
	.set _ZN7rocprim17ROCPRIM_400000_NS6detail17trampoline_kernelINS0_14default_configENS1_22reduce_config_selectorIlEEZNS1_11reduce_implILb1ES3_N6thrust23THRUST_200600_302600_NS11hip_rocprim26transform_input_iterator_tIlNS8_12zip_iteratorINS8_5tupleINS8_6detail15normal_iteratorINS8_10device_ptrIsEEEESH_NS8_9null_typeESI_SI_SI_SI_SI_SI_SI_EEEENS9_21zip_adj_not_predicateINS8_8equal_toIsEEEEEEPllNS8_4plusIlEEEE10hipError_tPvRmT1_T2_T3_mT4_P12ihipStream_tbEUlT_E0_NS1_11comp_targetILNS1_3genE2ELNS1_11target_archE906ELNS1_3gpuE6ELNS1_3repE0EEENS1_30default_config_static_selectorELNS0_4arch9wavefront6targetE1EEEvSW_.has_recursion, 0
	.set _ZN7rocprim17ROCPRIM_400000_NS6detail17trampoline_kernelINS0_14default_configENS1_22reduce_config_selectorIlEEZNS1_11reduce_implILb1ES3_N6thrust23THRUST_200600_302600_NS11hip_rocprim26transform_input_iterator_tIlNS8_12zip_iteratorINS8_5tupleINS8_6detail15normal_iteratorINS8_10device_ptrIsEEEESH_NS8_9null_typeESI_SI_SI_SI_SI_SI_SI_EEEENS9_21zip_adj_not_predicateINS8_8equal_toIsEEEEEEPllNS8_4plusIlEEEE10hipError_tPvRmT1_T2_T3_mT4_P12ihipStream_tbEUlT_E0_NS1_11comp_targetILNS1_3genE2ELNS1_11target_archE906ELNS1_3gpuE6ELNS1_3repE0EEENS1_30default_config_static_selectorELNS0_4arch9wavefront6targetE1EEEvSW_.has_indirect_call, 0
	.section	.AMDGPU.csdata,"",@progbits
; Kernel info:
; codeLenInByte = 1616
; TotalNumSgprs: 26
; NumVgprs: 11
; ScratchSize: 0
; MemoryBound: 0
; FloatMode: 240
; IeeeMode: 1
; LDSByteSize: 64 bytes/workgroup (compile time only)
; SGPRBlocks: 3
; VGPRBlocks: 2
; NumSGPRsForWavesPerEU: 26
; NumVGPRsForWavesPerEU: 11
; Occupancy: 10
; WaveLimiterHint : 0
; COMPUTE_PGM_RSRC2:SCRATCH_EN: 0
; COMPUTE_PGM_RSRC2:USER_SGPR: 6
; COMPUTE_PGM_RSRC2:TRAP_HANDLER: 0
; COMPUTE_PGM_RSRC2:TGID_X_EN: 1
; COMPUTE_PGM_RSRC2:TGID_Y_EN: 0
; COMPUTE_PGM_RSRC2:TGID_Z_EN: 0
; COMPUTE_PGM_RSRC2:TIDIG_COMP_CNT: 0
	.section	.text._ZN7rocprim17ROCPRIM_400000_NS6detail17trampoline_kernelINS0_14default_configENS1_22reduce_config_selectorIlEEZNS1_11reduce_implILb1ES3_N6thrust23THRUST_200600_302600_NS11hip_rocprim26transform_input_iterator_tIlNS8_12zip_iteratorINS8_5tupleINS8_6detail15normal_iteratorINS8_10device_ptrIsEEEESH_NS8_9null_typeESI_SI_SI_SI_SI_SI_SI_EEEENS9_21zip_adj_not_predicateINS8_8equal_toIsEEEEEEPllNS8_4plusIlEEEE10hipError_tPvRmT1_T2_T3_mT4_P12ihipStream_tbEUlT_E0_NS1_11comp_targetILNS1_3genE10ELNS1_11target_archE1201ELNS1_3gpuE5ELNS1_3repE0EEENS1_30default_config_static_selectorELNS0_4arch9wavefront6targetE1EEEvSW_,"axG",@progbits,_ZN7rocprim17ROCPRIM_400000_NS6detail17trampoline_kernelINS0_14default_configENS1_22reduce_config_selectorIlEEZNS1_11reduce_implILb1ES3_N6thrust23THRUST_200600_302600_NS11hip_rocprim26transform_input_iterator_tIlNS8_12zip_iteratorINS8_5tupleINS8_6detail15normal_iteratorINS8_10device_ptrIsEEEESH_NS8_9null_typeESI_SI_SI_SI_SI_SI_SI_EEEENS9_21zip_adj_not_predicateINS8_8equal_toIsEEEEEEPllNS8_4plusIlEEEE10hipError_tPvRmT1_T2_T3_mT4_P12ihipStream_tbEUlT_E0_NS1_11comp_targetILNS1_3genE10ELNS1_11target_archE1201ELNS1_3gpuE5ELNS1_3repE0EEENS1_30default_config_static_selectorELNS0_4arch9wavefront6targetE1EEEvSW_,comdat
	.protected	_ZN7rocprim17ROCPRIM_400000_NS6detail17trampoline_kernelINS0_14default_configENS1_22reduce_config_selectorIlEEZNS1_11reduce_implILb1ES3_N6thrust23THRUST_200600_302600_NS11hip_rocprim26transform_input_iterator_tIlNS8_12zip_iteratorINS8_5tupleINS8_6detail15normal_iteratorINS8_10device_ptrIsEEEESH_NS8_9null_typeESI_SI_SI_SI_SI_SI_SI_EEEENS9_21zip_adj_not_predicateINS8_8equal_toIsEEEEEEPllNS8_4plusIlEEEE10hipError_tPvRmT1_T2_T3_mT4_P12ihipStream_tbEUlT_E0_NS1_11comp_targetILNS1_3genE10ELNS1_11target_archE1201ELNS1_3gpuE5ELNS1_3repE0EEENS1_30default_config_static_selectorELNS0_4arch9wavefront6targetE1EEEvSW_ ; -- Begin function _ZN7rocprim17ROCPRIM_400000_NS6detail17trampoline_kernelINS0_14default_configENS1_22reduce_config_selectorIlEEZNS1_11reduce_implILb1ES3_N6thrust23THRUST_200600_302600_NS11hip_rocprim26transform_input_iterator_tIlNS8_12zip_iteratorINS8_5tupleINS8_6detail15normal_iteratorINS8_10device_ptrIsEEEESH_NS8_9null_typeESI_SI_SI_SI_SI_SI_SI_EEEENS9_21zip_adj_not_predicateINS8_8equal_toIsEEEEEEPllNS8_4plusIlEEEE10hipError_tPvRmT1_T2_T3_mT4_P12ihipStream_tbEUlT_E0_NS1_11comp_targetILNS1_3genE10ELNS1_11target_archE1201ELNS1_3gpuE5ELNS1_3repE0EEENS1_30default_config_static_selectorELNS0_4arch9wavefront6targetE1EEEvSW_
	.globl	_ZN7rocprim17ROCPRIM_400000_NS6detail17trampoline_kernelINS0_14default_configENS1_22reduce_config_selectorIlEEZNS1_11reduce_implILb1ES3_N6thrust23THRUST_200600_302600_NS11hip_rocprim26transform_input_iterator_tIlNS8_12zip_iteratorINS8_5tupleINS8_6detail15normal_iteratorINS8_10device_ptrIsEEEESH_NS8_9null_typeESI_SI_SI_SI_SI_SI_SI_EEEENS9_21zip_adj_not_predicateINS8_8equal_toIsEEEEEEPllNS8_4plusIlEEEE10hipError_tPvRmT1_T2_T3_mT4_P12ihipStream_tbEUlT_E0_NS1_11comp_targetILNS1_3genE10ELNS1_11target_archE1201ELNS1_3gpuE5ELNS1_3repE0EEENS1_30default_config_static_selectorELNS0_4arch9wavefront6targetE1EEEvSW_
	.p2align	8
	.type	_ZN7rocprim17ROCPRIM_400000_NS6detail17trampoline_kernelINS0_14default_configENS1_22reduce_config_selectorIlEEZNS1_11reduce_implILb1ES3_N6thrust23THRUST_200600_302600_NS11hip_rocprim26transform_input_iterator_tIlNS8_12zip_iteratorINS8_5tupleINS8_6detail15normal_iteratorINS8_10device_ptrIsEEEESH_NS8_9null_typeESI_SI_SI_SI_SI_SI_SI_EEEENS9_21zip_adj_not_predicateINS8_8equal_toIsEEEEEEPllNS8_4plusIlEEEE10hipError_tPvRmT1_T2_T3_mT4_P12ihipStream_tbEUlT_E0_NS1_11comp_targetILNS1_3genE10ELNS1_11target_archE1201ELNS1_3gpuE5ELNS1_3repE0EEENS1_30default_config_static_selectorELNS0_4arch9wavefront6targetE1EEEvSW_,@function
_ZN7rocprim17ROCPRIM_400000_NS6detail17trampoline_kernelINS0_14default_configENS1_22reduce_config_selectorIlEEZNS1_11reduce_implILb1ES3_N6thrust23THRUST_200600_302600_NS11hip_rocprim26transform_input_iterator_tIlNS8_12zip_iteratorINS8_5tupleINS8_6detail15normal_iteratorINS8_10device_ptrIsEEEESH_NS8_9null_typeESI_SI_SI_SI_SI_SI_SI_EEEENS9_21zip_adj_not_predicateINS8_8equal_toIsEEEEEEPllNS8_4plusIlEEEE10hipError_tPvRmT1_T2_T3_mT4_P12ihipStream_tbEUlT_E0_NS1_11comp_targetILNS1_3genE10ELNS1_11target_archE1201ELNS1_3gpuE5ELNS1_3repE0EEENS1_30default_config_static_selectorELNS0_4arch9wavefront6targetE1EEEvSW_: ; @_ZN7rocprim17ROCPRIM_400000_NS6detail17trampoline_kernelINS0_14default_configENS1_22reduce_config_selectorIlEEZNS1_11reduce_implILb1ES3_N6thrust23THRUST_200600_302600_NS11hip_rocprim26transform_input_iterator_tIlNS8_12zip_iteratorINS8_5tupleINS8_6detail15normal_iteratorINS8_10device_ptrIsEEEESH_NS8_9null_typeESI_SI_SI_SI_SI_SI_SI_EEEENS9_21zip_adj_not_predicateINS8_8equal_toIsEEEEEEPllNS8_4plusIlEEEE10hipError_tPvRmT1_T2_T3_mT4_P12ihipStream_tbEUlT_E0_NS1_11comp_targetILNS1_3genE10ELNS1_11target_archE1201ELNS1_3gpuE5ELNS1_3repE0EEENS1_30default_config_static_selectorELNS0_4arch9wavefront6targetE1EEEvSW_
; %bb.0:
	.section	.rodata,"a",@progbits
	.p2align	6, 0x0
	.amdhsa_kernel _ZN7rocprim17ROCPRIM_400000_NS6detail17trampoline_kernelINS0_14default_configENS1_22reduce_config_selectorIlEEZNS1_11reduce_implILb1ES3_N6thrust23THRUST_200600_302600_NS11hip_rocprim26transform_input_iterator_tIlNS8_12zip_iteratorINS8_5tupleINS8_6detail15normal_iteratorINS8_10device_ptrIsEEEESH_NS8_9null_typeESI_SI_SI_SI_SI_SI_SI_EEEENS9_21zip_adj_not_predicateINS8_8equal_toIsEEEEEEPllNS8_4plusIlEEEE10hipError_tPvRmT1_T2_T3_mT4_P12ihipStream_tbEUlT_E0_NS1_11comp_targetILNS1_3genE10ELNS1_11target_archE1201ELNS1_3gpuE5ELNS1_3repE0EEENS1_30default_config_static_selectorELNS0_4arch9wavefront6targetE1EEEvSW_
		.amdhsa_group_segment_fixed_size 0
		.amdhsa_private_segment_fixed_size 0
		.amdhsa_kernarg_size 80
		.amdhsa_user_sgpr_count 6
		.amdhsa_user_sgpr_private_segment_buffer 1
		.amdhsa_user_sgpr_dispatch_ptr 0
		.amdhsa_user_sgpr_queue_ptr 0
		.amdhsa_user_sgpr_kernarg_segment_ptr 1
		.amdhsa_user_sgpr_dispatch_id 0
		.amdhsa_user_sgpr_flat_scratch_init 0
		.amdhsa_user_sgpr_private_segment_size 0
		.amdhsa_uses_dynamic_stack 0
		.amdhsa_system_sgpr_private_segment_wavefront_offset 0
		.amdhsa_system_sgpr_workgroup_id_x 1
		.amdhsa_system_sgpr_workgroup_id_y 0
		.amdhsa_system_sgpr_workgroup_id_z 0
		.amdhsa_system_sgpr_workgroup_info 0
		.amdhsa_system_vgpr_workitem_id 0
		.amdhsa_next_free_vgpr 1
		.amdhsa_next_free_sgpr 0
		.amdhsa_reserve_vcc 0
		.amdhsa_reserve_flat_scratch 0
		.amdhsa_float_round_mode_32 0
		.amdhsa_float_round_mode_16_64 0
		.amdhsa_float_denorm_mode_32 3
		.amdhsa_float_denorm_mode_16_64 3
		.amdhsa_dx10_clamp 1
		.amdhsa_ieee_mode 1
		.amdhsa_fp16_overflow 0
		.amdhsa_exception_fp_ieee_invalid_op 0
		.amdhsa_exception_fp_denorm_src 0
		.amdhsa_exception_fp_ieee_div_zero 0
		.amdhsa_exception_fp_ieee_overflow 0
		.amdhsa_exception_fp_ieee_underflow 0
		.amdhsa_exception_fp_ieee_inexact 0
		.amdhsa_exception_int_div_zero 0
	.end_amdhsa_kernel
	.section	.text._ZN7rocprim17ROCPRIM_400000_NS6detail17trampoline_kernelINS0_14default_configENS1_22reduce_config_selectorIlEEZNS1_11reduce_implILb1ES3_N6thrust23THRUST_200600_302600_NS11hip_rocprim26transform_input_iterator_tIlNS8_12zip_iteratorINS8_5tupleINS8_6detail15normal_iteratorINS8_10device_ptrIsEEEESH_NS8_9null_typeESI_SI_SI_SI_SI_SI_SI_EEEENS9_21zip_adj_not_predicateINS8_8equal_toIsEEEEEEPllNS8_4plusIlEEEE10hipError_tPvRmT1_T2_T3_mT4_P12ihipStream_tbEUlT_E0_NS1_11comp_targetILNS1_3genE10ELNS1_11target_archE1201ELNS1_3gpuE5ELNS1_3repE0EEENS1_30default_config_static_selectorELNS0_4arch9wavefront6targetE1EEEvSW_,"axG",@progbits,_ZN7rocprim17ROCPRIM_400000_NS6detail17trampoline_kernelINS0_14default_configENS1_22reduce_config_selectorIlEEZNS1_11reduce_implILb1ES3_N6thrust23THRUST_200600_302600_NS11hip_rocprim26transform_input_iterator_tIlNS8_12zip_iteratorINS8_5tupleINS8_6detail15normal_iteratorINS8_10device_ptrIsEEEESH_NS8_9null_typeESI_SI_SI_SI_SI_SI_SI_EEEENS9_21zip_adj_not_predicateINS8_8equal_toIsEEEEEEPllNS8_4plusIlEEEE10hipError_tPvRmT1_T2_T3_mT4_P12ihipStream_tbEUlT_E0_NS1_11comp_targetILNS1_3genE10ELNS1_11target_archE1201ELNS1_3gpuE5ELNS1_3repE0EEENS1_30default_config_static_selectorELNS0_4arch9wavefront6targetE1EEEvSW_,comdat
.Lfunc_end1000:
	.size	_ZN7rocprim17ROCPRIM_400000_NS6detail17trampoline_kernelINS0_14default_configENS1_22reduce_config_selectorIlEEZNS1_11reduce_implILb1ES3_N6thrust23THRUST_200600_302600_NS11hip_rocprim26transform_input_iterator_tIlNS8_12zip_iteratorINS8_5tupleINS8_6detail15normal_iteratorINS8_10device_ptrIsEEEESH_NS8_9null_typeESI_SI_SI_SI_SI_SI_SI_EEEENS9_21zip_adj_not_predicateINS8_8equal_toIsEEEEEEPllNS8_4plusIlEEEE10hipError_tPvRmT1_T2_T3_mT4_P12ihipStream_tbEUlT_E0_NS1_11comp_targetILNS1_3genE10ELNS1_11target_archE1201ELNS1_3gpuE5ELNS1_3repE0EEENS1_30default_config_static_selectorELNS0_4arch9wavefront6targetE1EEEvSW_, .Lfunc_end1000-_ZN7rocprim17ROCPRIM_400000_NS6detail17trampoline_kernelINS0_14default_configENS1_22reduce_config_selectorIlEEZNS1_11reduce_implILb1ES3_N6thrust23THRUST_200600_302600_NS11hip_rocprim26transform_input_iterator_tIlNS8_12zip_iteratorINS8_5tupleINS8_6detail15normal_iteratorINS8_10device_ptrIsEEEESH_NS8_9null_typeESI_SI_SI_SI_SI_SI_SI_EEEENS9_21zip_adj_not_predicateINS8_8equal_toIsEEEEEEPllNS8_4plusIlEEEE10hipError_tPvRmT1_T2_T3_mT4_P12ihipStream_tbEUlT_E0_NS1_11comp_targetILNS1_3genE10ELNS1_11target_archE1201ELNS1_3gpuE5ELNS1_3repE0EEENS1_30default_config_static_selectorELNS0_4arch9wavefront6targetE1EEEvSW_
                                        ; -- End function
	.set _ZN7rocprim17ROCPRIM_400000_NS6detail17trampoline_kernelINS0_14default_configENS1_22reduce_config_selectorIlEEZNS1_11reduce_implILb1ES3_N6thrust23THRUST_200600_302600_NS11hip_rocprim26transform_input_iterator_tIlNS8_12zip_iteratorINS8_5tupleINS8_6detail15normal_iteratorINS8_10device_ptrIsEEEESH_NS8_9null_typeESI_SI_SI_SI_SI_SI_SI_EEEENS9_21zip_adj_not_predicateINS8_8equal_toIsEEEEEEPllNS8_4plusIlEEEE10hipError_tPvRmT1_T2_T3_mT4_P12ihipStream_tbEUlT_E0_NS1_11comp_targetILNS1_3genE10ELNS1_11target_archE1201ELNS1_3gpuE5ELNS1_3repE0EEENS1_30default_config_static_selectorELNS0_4arch9wavefront6targetE1EEEvSW_.num_vgpr, 0
	.set _ZN7rocprim17ROCPRIM_400000_NS6detail17trampoline_kernelINS0_14default_configENS1_22reduce_config_selectorIlEEZNS1_11reduce_implILb1ES3_N6thrust23THRUST_200600_302600_NS11hip_rocprim26transform_input_iterator_tIlNS8_12zip_iteratorINS8_5tupleINS8_6detail15normal_iteratorINS8_10device_ptrIsEEEESH_NS8_9null_typeESI_SI_SI_SI_SI_SI_SI_EEEENS9_21zip_adj_not_predicateINS8_8equal_toIsEEEEEEPllNS8_4plusIlEEEE10hipError_tPvRmT1_T2_T3_mT4_P12ihipStream_tbEUlT_E0_NS1_11comp_targetILNS1_3genE10ELNS1_11target_archE1201ELNS1_3gpuE5ELNS1_3repE0EEENS1_30default_config_static_selectorELNS0_4arch9wavefront6targetE1EEEvSW_.num_agpr, 0
	.set _ZN7rocprim17ROCPRIM_400000_NS6detail17trampoline_kernelINS0_14default_configENS1_22reduce_config_selectorIlEEZNS1_11reduce_implILb1ES3_N6thrust23THRUST_200600_302600_NS11hip_rocprim26transform_input_iterator_tIlNS8_12zip_iteratorINS8_5tupleINS8_6detail15normal_iteratorINS8_10device_ptrIsEEEESH_NS8_9null_typeESI_SI_SI_SI_SI_SI_SI_EEEENS9_21zip_adj_not_predicateINS8_8equal_toIsEEEEEEPllNS8_4plusIlEEEE10hipError_tPvRmT1_T2_T3_mT4_P12ihipStream_tbEUlT_E0_NS1_11comp_targetILNS1_3genE10ELNS1_11target_archE1201ELNS1_3gpuE5ELNS1_3repE0EEENS1_30default_config_static_selectorELNS0_4arch9wavefront6targetE1EEEvSW_.numbered_sgpr, 0
	.set _ZN7rocprim17ROCPRIM_400000_NS6detail17trampoline_kernelINS0_14default_configENS1_22reduce_config_selectorIlEEZNS1_11reduce_implILb1ES3_N6thrust23THRUST_200600_302600_NS11hip_rocprim26transform_input_iterator_tIlNS8_12zip_iteratorINS8_5tupleINS8_6detail15normal_iteratorINS8_10device_ptrIsEEEESH_NS8_9null_typeESI_SI_SI_SI_SI_SI_SI_EEEENS9_21zip_adj_not_predicateINS8_8equal_toIsEEEEEEPllNS8_4plusIlEEEE10hipError_tPvRmT1_T2_T3_mT4_P12ihipStream_tbEUlT_E0_NS1_11comp_targetILNS1_3genE10ELNS1_11target_archE1201ELNS1_3gpuE5ELNS1_3repE0EEENS1_30default_config_static_selectorELNS0_4arch9wavefront6targetE1EEEvSW_.num_named_barrier, 0
	.set _ZN7rocprim17ROCPRIM_400000_NS6detail17trampoline_kernelINS0_14default_configENS1_22reduce_config_selectorIlEEZNS1_11reduce_implILb1ES3_N6thrust23THRUST_200600_302600_NS11hip_rocprim26transform_input_iterator_tIlNS8_12zip_iteratorINS8_5tupleINS8_6detail15normal_iteratorINS8_10device_ptrIsEEEESH_NS8_9null_typeESI_SI_SI_SI_SI_SI_SI_EEEENS9_21zip_adj_not_predicateINS8_8equal_toIsEEEEEEPllNS8_4plusIlEEEE10hipError_tPvRmT1_T2_T3_mT4_P12ihipStream_tbEUlT_E0_NS1_11comp_targetILNS1_3genE10ELNS1_11target_archE1201ELNS1_3gpuE5ELNS1_3repE0EEENS1_30default_config_static_selectorELNS0_4arch9wavefront6targetE1EEEvSW_.private_seg_size, 0
	.set _ZN7rocprim17ROCPRIM_400000_NS6detail17trampoline_kernelINS0_14default_configENS1_22reduce_config_selectorIlEEZNS1_11reduce_implILb1ES3_N6thrust23THRUST_200600_302600_NS11hip_rocprim26transform_input_iterator_tIlNS8_12zip_iteratorINS8_5tupleINS8_6detail15normal_iteratorINS8_10device_ptrIsEEEESH_NS8_9null_typeESI_SI_SI_SI_SI_SI_SI_EEEENS9_21zip_adj_not_predicateINS8_8equal_toIsEEEEEEPllNS8_4plusIlEEEE10hipError_tPvRmT1_T2_T3_mT4_P12ihipStream_tbEUlT_E0_NS1_11comp_targetILNS1_3genE10ELNS1_11target_archE1201ELNS1_3gpuE5ELNS1_3repE0EEENS1_30default_config_static_selectorELNS0_4arch9wavefront6targetE1EEEvSW_.uses_vcc, 0
	.set _ZN7rocprim17ROCPRIM_400000_NS6detail17trampoline_kernelINS0_14default_configENS1_22reduce_config_selectorIlEEZNS1_11reduce_implILb1ES3_N6thrust23THRUST_200600_302600_NS11hip_rocprim26transform_input_iterator_tIlNS8_12zip_iteratorINS8_5tupleINS8_6detail15normal_iteratorINS8_10device_ptrIsEEEESH_NS8_9null_typeESI_SI_SI_SI_SI_SI_SI_EEEENS9_21zip_adj_not_predicateINS8_8equal_toIsEEEEEEPllNS8_4plusIlEEEE10hipError_tPvRmT1_T2_T3_mT4_P12ihipStream_tbEUlT_E0_NS1_11comp_targetILNS1_3genE10ELNS1_11target_archE1201ELNS1_3gpuE5ELNS1_3repE0EEENS1_30default_config_static_selectorELNS0_4arch9wavefront6targetE1EEEvSW_.uses_flat_scratch, 0
	.set _ZN7rocprim17ROCPRIM_400000_NS6detail17trampoline_kernelINS0_14default_configENS1_22reduce_config_selectorIlEEZNS1_11reduce_implILb1ES3_N6thrust23THRUST_200600_302600_NS11hip_rocprim26transform_input_iterator_tIlNS8_12zip_iteratorINS8_5tupleINS8_6detail15normal_iteratorINS8_10device_ptrIsEEEESH_NS8_9null_typeESI_SI_SI_SI_SI_SI_SI_EEEENS9_21zip_adj_not_predicateINS8_8equal_toIsEEEEEEPllNS8_4plusIlEEEE10hipError_tPvRmT1_T2_T3_mT4_P12ihipStream_tbEUlT_E0_NS1_11comp_targetILNS1_3genE10ELNS1_11target_archE1201ELNS1_3gpuE5ELNS1_3repE0EEENS1_30default_config_static_selectorELNS0_4arch9wavefront6targetE1EEEvSW_.has_dyn_sized_stack, 0
	.set _ZN7rocprim17ROCPRIM_400000_NS6detail17trampoline_kernelINS0_14default_configENS1_22reduce_config_selectorIlEEZNS1_11reduce_implILb1ES3_N6thrust23THRUST_200600_302600_NS11hip_rocprim26transform_input_iterator_tIlNS8_12zip_iteratorINS8_5tupleINS8_6detail15normal_iteratorINS8_10device_ptrIsEEEESH_NS8_9null_typeESI_SI_SI_SI_SI_SI_SI_EEEENS9_21zip_adj_not_predicateINS8_8equal_toIsEEEEEEPllNS8_4plusIlEEEE10hipError_tPvRmT1_T2_T3_mT4_P12ihipStream_tbEUlT_E0_NS1_11comp_targetILNS1_3genE10ELNS1_11target_archE1201ELNS1_3gpuE5ELNS1_3repE0EEENS1_30default_config_static_selectorELNS0_4arch9wavefront6targetE1EEEvSW_.has_recursion, 0
	.set _ZN7rocprim17ROCPRIM_400000_NS6detail17trampoline_kernelINS0_14default_configENS1_22reduce_config_selectorIlEEZNS1_11reduce_implILb1ES3_N6thrust23THRUST_200600_302600_NS11hip_rocprim26transform_input_iterator_tIlNS8_12zip_iteratorINS8_5tupleINS8_6detail15normal_iteratorINS8_10device_ptrIsEEEESH_NS8_9null_typeESI_SI_SI_SI_SI_SI_SI_EEEENS9_21zip_adj_not_predicateINS8_8equal_toIsEEEEEEPllNS8_4plusIlEEEE10hipError_tPvRmT1_T2_T3_mT4_P12ihipStream_tbEUlT_E0_NS1_11comp_targetILNS1_3genE10ELNS1_11target_archE1201ELNS1_3gpuE5ELNS1_3repE0EEENS1_30default_config_static_selectorELNS0_4arch9wavefront6targetE1EEEvSW_.has_indirect_call, 0
	.section	.AMDGPU.csdata,"",@progbits
; Kernel info:
; codeLenInByte = 0
; TotalNumSgprs: 4
; NumVgprs: 0
; ScratchSize: 0
; MemoryBound: 0
; FloatMode: 240
; IeeeMode: 1
; LDSByteSize: 0 bytes/workgroup (compile time only)
; SGPRBlocks: 0
; VGPRBlocks: 0
; NumSGPRsForWavesPerEU: 4
; NumVGPRsForWavesPerEU: 1
; Occupancy: 10
; WaveLimiterHint : 0
; COMPUTE_PGM_RSRC2:SCRATCH_EN: 0
; COMPUTE_PGM_RSRC2:USER_SGPR: 6
; COMPUTE_PGM_RSRC2:TRAP_HANDLER: 0
; COMPUTE_PGM_RSRC2:TGID_X_EN: 1
; COMPUTE_PGM_RSRC2:TGID_Y_EN: 0
; COMPUTE_PGM_RSRC2:TGID_Z_EN: 0
; COMPUTE_PGM_RSRC2:TIDIG_COMP_CNT: 0
	.section	.text._ZN7rocprim17ROCPRIM_400000_NS6detail17trampoline_kernelINS0_14default_configENS1_22reduce_config_selectorIlEEZNS1_11reduce_implILb1ES3_N6thrust23THRUST_200600_302600_NS11hip_rocprim26transform_input_iterator_tIlNS8_12zip_iteratorINS8_5tupleINS8_6detail15normal_iteratorINS8_10device_ptrIsEEEESH_NS8_9null_typeESI_SI_SI_SI_SI_SI_SI_EEEENS9_21zip_adj_not_predicateINS8_8equal_toIsEEEEEEPllNS8_4plusIlEEEE10hipError_tPvRmT1_T2_T3_mT4_P12ihipStream_tbEUlT_E0_NS1_11comp_targetILNS1_3genE10ELNS1_11target_archE1200ELNS1_3gpuE4ELNS1_3repE0EEENS1_30default_config_static_selectorELNS0_4arch9wavefront6targetE1EEEvSW_,"axG",@progbits,_ZN7rocprim17ROCPRIM_400000_NS6detail17trampoline_kernelINS0_14default_configENS1_22reduce_config_selectorIlEEZNS1_11reduce_implILb1ES3_N6thrust23THRUST_200600_302600_NS11hip_rocprim26transform_input_iterator_tIlNS8_12zip_iteratorINS8_5tupleINS8_6detail15normal_iteratorINS8_10device_ptrIsEEEESH_NS8_9null_typeESI_SI_SI_SI_SI_SI_SI_EEEENS9_21zip_adj_not_predicateINS8_8equal_toIsEEEEEEPllNS8_4plusIlEEEE10hipError_tPvRmT1_T2_T3_mT4_P12ihipStream_tbEUlT_E0_NS1_11comp_targetILNS1_3genE10ELNS1_11target_archE1200ELNS1_3gpuE4ELNS1_3repE0EEENS1_30default_config_static_selectorELNS0_4arch9wavefront6targetE1EEEvSW_,comdat
	.protected	_ZN7rocprim17ROCPRIM_400000_NS6detail17trampoline_kernelINS0_14default_configENS1_22reduce_config_selectorIlEEZNS1_11reduce_implILb1ES3_N6thrust23THRUST_200600_302600_NS11hip_rocprim26transform_input_iterator_tIlNS8_12zip_iteratorINS8_5tupleINS8_6detail15normal_iteratorINS8_10device_ptrIsEEEESH_NS8_9null_typeESI_SI_SI_SI_SI_SI_SI_EEEENS9_21zip_adj_not_predicateINS8_8equal_toIsEEEEEEPllNS8_4plusIlEEEE10hipError_tPvRmT1_T2_T3_mT4_P12ihipStream_tbEUlT_E0_NS1_11comp_targetILNS1_3genE10ELNS1_11target_archE1200ELNS1_3gpuE4ELNS1_3repE0EEENS1_30default_config_static_selectorELNS0_4arch9wavefront6targetE1EEEvSW_ ; -- Begin function _ZN7rocprim17ROCPRIM_400000_NS6detail17trampoline_kernelINS0_14default_configENS1_22reduce_config_selectorIlEEZNS1_11reduce_implILb1ES3_N6thrust23THRUST_200600_302600_NS11hip_rocprim26transform_input_iterator_tIlNS8_12zip_iteratorINS8_5tupleINS8_6detail15normal_iteratorINS8_10device_ptrIsEEEESH_NS8_9null_typeESI_SI_SI_SI_SI_SI_SI_EEEENS9_21zip_adj_not_predicateINS8_8equal_toIsEEEEEEPllNS8_4plusIlEEEE10hipError_tPvRmT1_T2_T3_mT4_P12ihipStream_tbEUlT_E0_NS1_11comp_targetILNS1_3genE10ELNS1_11target_archE1200ELNS1_3gpuE4ELNS1_3repE0EEENS1_30default_config_static_selectorELNS0_4arch9wavefront6targetE1EEEvSW_
	.globl	_ZN7rocprim17ROCPRIM_400000_NS6detail17trampoline_kernelINS0_14default_configENS1_22reduce_config_selectorIlEEZNS1_11reduce_implILb1ES3_N6thrust23THRUST_200600_302600_NS11hip_rocprim26transform_input_iterator_tIlNS8_12zip_iteratorINS8_5tupleINS8_6detail15normal_iteratorINS8_10device_ptrIsEEEESH_NS8_9null_typeESI_SI_SI_SI_SI_SI_SI_EEEENS9_21zip_adj_not_predicateINS8_8equal_toIsEEEEEEPllNS8_4plusIlEEEE10hipError_tPvRmT1_T2_T3_mT4_P12ihipStream_tbEUlT_E0_NS1_11comp_targetILNS1_3genE10ELNS1_11target_archE1200ELNS1_3gpuE4ELNS1_3repE0EEENS1_30default_config_static_selectorELNS0_4arch9wavefront6targetE1EEEvSW_
	.p2align	8
	.type	_ZN7rocprim17ROCPRIM_400000_NS6detail17trampoline_kernelINS0_14default_configENS1_22reduce_config_selectorIlEEZNS1_11reduce_implILb1ES3_N6thrust23THRUST_200600_302600_NS11hip_rocprim26transform_input_iterator_tIlNS8_12zip_iteratorINS8_5tupleINS8_6detail15normal_iteratorINS8_10device_ptrIsEEEESH_NS8_9null_typeESI_SI_SI_SI_SI_SI_SI_EEEENS9_21zip_adj_not_predicateINS8_8equal_toIsEEEEEEPllNS8_4plusIlEEEE10hipError_tPvRmT1_T2_T3_mT4_P12ihipStream_tbEUlT_E0_NS1_11comp_targetILNS1_3genE10ELNS1_11target_archE1200ELNS1_3gpuE4ELNS1_3repE0EEENS1_30default_config_static_selectorELNS0_4arch9wavefront6targetE1EEEvSW_,@function
_ZN7rocprim17ROCPRIM_400000_NS6detail17trampoline_kernelINS0_14default_configENS1_22reduce_config_selectorIlEEZNS1_11reduce_implILb1ES3_N6thrust23THRUST_200600_302600_NS11hip_rocprim26transform_input_iterator_tIlNS8_12zip_iteratorINS8_5tupleINS8_6detail15normal_iteratorINS8_10device_ptrIsEEEESH_NS8_9null_typeESI_SI_SI_SI_SI_SI_SI_EEEENS9_21zip_adj_not_predicateINS8_8equal_toIsEEEEEEPllNS8_4plusIlEEEE10hipError_tPvRmT1_T2_T3_mT4_P12ihipStream_tbEUlT_E0_NS1_11comp_targetILNS1_3genE10ELNS1_11target_archE1200ELNS1_3gpuE4ELNS1_3repE0EEENS1_30default_config_static_selectorELNS0_4arch9wavefront6targetE1EEEvSW_: ; @_ZN7rocprim17ROCPRIM_400000_NS6detail17trampoline_kernelINS0_14default_configENS1_22reduce_config_selectorIlEEZNS1_11reduce_implILb1ES3_N6thrust23THRUST_200600_302600_NS11hip_rocprim26transform_input_iterator_tIlNS8_12zip_iteratorINS8_5tupleINS8_6detail15normal_iteratorINS8_10device_ptrIsEEEESH_NS8_9null_typeESI_SI_SI_SI_SI_SI_SI_EEEENS9_21zip_adj_not_predicateINS8_8equal_toIsEEEEEEPllNS8_4plusIlEEEE10hipError_tPvRmT1_T2_T3_mT4_P12ihipStream_tbEUlT_E0_NS1_11comp_targetILNS1_3genE10ELNS1_11target_archE1200ELNS1_3gpuE4ELNS1_3repE0EEENS1_30default_config_static_selectorELNS0_4arch9wavefront6targetE1EEEvSW_
; %bb.0:
	.section	.rodata,"a",@progbits
	.p2align	6, 0x0
	.amdhsa_kernel _ZN7rocprim17ROCPRIM_400000_NS6detail17trampoline_kernelINS0_14default_configENS1_22reduce_config_selectorIlEEZNS1_11reduce_implILb1ES3_N6thrust23THRUST_200600_302600_NS11hip_rocprim26transform_input_iterator_tIlNS8_12zip_iteratorINS8_5tupleINS8_6detail15normal_iteratorINS8_10device_ptrIsEEEESH_NS8_9null_typeESI_SI_SI_SI_SI_SI_SI_EEEENS9_21zip_adj_not_predicateINS8_8equal_toIsEEEEEEPllNS8_4plusIlEEEE10hipError_tPvRmT1_T2_T3_mT4_P12ihipStream_tbEUlT_E0_NS1_11comp_targetILNS1_3genE10ELNS1_11target_archE1200ELNS1_3gpuE4ELNS1_3repE0EEENS1_30default_config_static_selectorELNS0_4arch9wavefront6targetE1EEEvSW_
		.amdhsa_group_segment_fixed_size 0
		.amdhsa_private_segment_fixed_size 0
		.amdhsa_kernarg_size 80
		.amdhsa_user_sgpr_count 6
		.amdhsa_user_sgpr_private_segment_buffer 1
		.amdhsa_user_sgpr_dispatch_ptr 0
		.amdhsa_user_sgpr_queue_ptr 0
		.amdhsa_user_sgpr_kernarg_segment_ptr 1
		.amdhsa_user_sgpr_dispatch_id 0
		.amdhsa_user_sgpr_flat_scratch_init 0
		.amdhsa_user_sgpr_private_segment_size 0
		.amdhsa_uses_dynamic_stack 0
		.amdhsa_system_sgpr_private_segment_wavefront_offset 0
		.amdhsa_system_sgpr_workgroup_id_x 1
		.amdhsa_system_sgpr_workgroup_id_y 0
		.amdhsa_system_sgpr_workgroup_id_z 0
		.amdhsa_system_sgpr_workgroup_info 0
		.amdhsa_system_vgpr_workitem_id 0
		.amdhsa_next_free_vgpr 1
		.amdhsa_next_free_sgpr 0
		.amdhsa_reserve_vcc 0
		.amdhsa_reserve_flat_scratch 0
		.amdhsa_float_round_mode_32 0
		.amdhsa_float_round_mode_16_64 0
		.amdhsa_float_denorm_mode_32 3
		.amdhsa_float_denorm_mode_16_64 3
		.amdhsa_dx10_clamp 1
		.amdhsa_ieee_mode 1
		.amdhsa_fp16_overflow 0
		.amdhsa_exception_fp_ieee_invalid_op 0
		.amdhsa_exception_fp_denorm_src 0
		.amdhsa_exception_fp_ieee_div_zero 0
		.amdhsa_exception_fp_ieee_overflow 0
		.amdhsa_exception_fp_ieee_underflow 0
		.amdhsa_exception_fp_ieee_inexact 0
		.amdhsa_exception_int_div_zero 0
	.end_amdhsa_kernel
	.section	.text._ZN7rocprim17ROCPRIM_400000_NS6detail17trampoline_kernelINS0_14default_configENS1_22reduce_config_selectorIlEEZNS1_11reduce_implILb1ES3_N6thrust23THRUST_200600_302600_NS11hip_rocprim26transform_input_iterator_tIlNS8_12zip_iteratorINS8_5tupleINS8_6detail15normal_iteratorINS8_10device_ptrIsEEEESH_NS8_9null_typeESI_SI_SI_SI_SI_SI_SI_EEEENS9_21zip_adj_not_predicateINS8_8equal_toIsEEEEEEPllNS8_4plusIlEEEE10hipError_tPvRmT1_T2_T3_mT4_P12ihipStream_tbEUlT_E0_NS1_11comp_targetILNS1_3genE10ELNS1_11target_archE1200ELNS1_3gpuE4ELNS1_3repE0EEENS1_30default_config_static_selectorELNS0_4arch9wavefront6targetE1EEEvSW_,"axG",@progbits,_ZN7rocprim17ROCPRIM_400000_NS6detail17trampoline_kernelINS0_14default_configENS1_22reduce_config_selectorIlEEZNS1_11reduce_implILb1ES3_N6thrust23THRUST_200600_302600_NS11hip_rocprim26transform_input_iterator_tIlNS8_12zip_iteratorINS8_5tupleINS8_6detail15normal_iteratorINS8_10device_ptrIsEEEESH_NS8_9null_typeESI_SI_SI_SI_SI_SI_SI_EEEENS9_21zip_adj_not_predicateINS8_8equal_toIsEEEEEEPllNS8_4plusIlEEEE10hipError_tPvRmT1_T2_T3_mT4_P12ihipStream_tbEUlT_E0_NS1_11comp_targetILNS1_3genE10ELNS1_11target_archE1200ELNS1_3gpuE4ELNS1_3repE0EEENS1_30default_config_static_selectorELNS0_4arch9wavefront6targetE1EEEvSW_,comdat
.Lfunc_end1001:
	.size	_ZN7rocprim17ROCPRIM_400000_NS6detail17trampoline_kernelINS0_14default_configENS1_22reduce_config_selectorIlEEZNS1_11reduce_implILb1ES3_N6thrust23THRUST_200600_302600_NS11hip_rocprim26transform_input_iterator_tIlNS8_12zip_iteratorINS8_5tupleINS8_6detail15normal_iteratorINS8_10device_ptrIsEEEESH_NS8_9null_typeESI_SI_SI_SI_SI_SI_SI_EEEENS9_21zip_adj_not_predicateINS8_8equal_toIsEEEEEEPllNS8_4plusIlEEEE10hipError_tPvRmT1_T2_T3_mT4_P12ihipStream_tbEUlT_E0_NS1_11comp_targetILNS1_3genE10ELNS1_11target_archE1200ELNS1_3gpuE4ELNS1_3repE0EEENS1_30default_config_static_selectorELNS0_4arch9wavefront6targetE1EEEvSW_, .Lfunc_end1001-_ZN7rocprim17ROCPRIM_400000_NS6detail17trampoline_kernelINS0_14default_configENS1_22reduce_config_selectorIlEEZNS1_11reduce_implILb1ES3_N6thrust23THRUST_200600_302600_NS11hip_rocprim26transform_input_iterator_tIlNS8_12zip_iteratorINS8_5tupleINS8_6detail15normal_iteratorINS8_10device_ptrIsEEEESH_NS8_9null_typeESI_SI_SI_SI_SI_SI_SI_EEEENS9_21zip_adj_not_predicateINS8_8equal_toIsEEEEEEPllNS8_4plusIlEEEE10hipError_tPvRmT1_T2_T3_mT4_P12ihipStream_tbEUlT_E0_NS1_11comp_targetILNS1_3genE10ELNS1_11target_archE1200ELNS1_3gpuE4ELNS1_3repE0EEENS1_30default_config_static_selectorELNS0_4arch9wavefront6targetE1EEEvSW_
                                        ; -- End function
	.set _ZN7rocprim17ROCPRIM_400000_NS6detail17trampoline_kernelINS0_14default_configENS1_22reduce_config_selectorIlEEZNS1_11reduce_implILb1ES3_N6thrust23THRUST_200600_302600_NS11hip_rocprim26transform_input_iterator_tIlNS8_12zip_iteratorINS8_5tupleINS8_6detail15normal_iteratorINS8_10device_ptrIsEEEESH_NS8_9null_typeESI_SI_SI_SI_SI_SI_SI_EEEENS9_21zip_adj_not_predicateINS8_8equal_toIsEEEEEEPllNS8_4plusIlEEEE10hipError_tPvRmT1_T2_T3_mT4_P12ihipStream_tbEUlT_E0_NS1_11comp_targetILNS1_3genE10ELNS1_11target_archE1200ELNS1_3gpuE4ELNS1_3repE0EEENS1_30default_config_static_selectorELNS0_4arch9wavefront6targetE1EEEvSW_.num_vgpr, 0
	.set _ZN7rocprim17ROCPRIM_400000_NS6detail17trampoline_kernelINS0_14default_configENS1_22reduce_config_selectorIlEEZNS1_11reduce_implILb1ES3_N6thrust23THRUST_200600_302600_NS11hip_rocprim26transform_input_iterator_tIlNS8_12zip_iteratorINS8_5tupleINS8_6detail15normal_iteratorINS8_10device_ptrIsEEEESH_NS8_9null_typeESI_SI_SI_SI_SI_SI_SI_EEEENS9_21zip_adj_not_predicateINS8_8equal_toIsEEEEEEPllNS8_4plusIlEEEE10hipError_tPvRmT1_T2_T3_mT4_P12ihipStream_tbEUlT_E0_NS1_11comp_targetILNS1_3genE10ELNS1_11target_archE1200ELNS1_3gpuE4ELNS1_3repE0EEENS1_30default_config_static_selectorELNS0_4arch9wavefront6targetE1EEEvSW_.num_agpr, 0
	.set _ZN7rocprim17ROCPRIM_400000_NS6detail17trampoline_kernelINS0_14default_configENS1_22reduce_config_selectorIlEEZNS1_11reduce_implILb1ES3_N6thrust23THRUST_200600_302600_NS11hip_rocprim26transform_input_iterator_tIlNS8_12zip_iteratorINS8_5tupleINS8_6detail15normal_iteratorINS8_10device_ptrIsEEEESH_NS8_9null_typeESI_SI_SI_SI_SI_SI_SI_EEEENS9_21zip_adj_not_predicateINS8_8equal_toIsEEEEEEPllNS8_4plusIlEEEE10hipError_tPvRmT1_T2_T3_mT4_P12ihipStream_tbEUlT_E0_NS1_11comp_targetILNS1_3genE10ELNS1_11target_archE1200ELNS1_3gpuE4ELNS1_3repE0EEENS1_30default_config_static_selectorELNS0_4arch9wavefront6targetE1EEEvSW_.numbered_sgpr, 0
	.set _ZN7rocprim17ROCPRIM_400000_NS6detail17trampoline_kernelINS0_14default_configENS1_22reduce_config_selectorIlEEZNS1_11reduce_implILb1ES3_N6thrust23THRUST_200600_302600_NS11hip_rocprim26transform_input_iterator_tIlNS8_12zip_iteratorINS8_5tupleINS8_6detail15normal_iteratorINS8_10device_ptrIsEEEESH_NS8_9null_typeESI_SI_SI_SI_SI_SI_SI_EEEENS9_21zip_adj_not_predicateINS8_8equal_toIsEEEEEEPllNS8_4plusIlEEEE10hipError_tPvRmT1_T2_T3_mT4_P12ihipStream_tbEUlT_E0_NS1_11comp_targetILNS1_3genE10ELNS1_11target_archE1200ELNS1_3gpuE4ELNS1_3repE0EEENS1_30default_config_static_selectorELNS0_4arch9wavefront6targetE1EEEvSW_.num_named_barrier, 0
	.set _ZN7rocprim17ROCPRIM_400000_NS6detail17trampoline_kernelINS0_14default_configENS1_22reduce_config_selectorIlEEZNS1_11reduce_implILb1ES3_N6thrust23THRUST_200600_302600_NS11hip_rocprim26transform_input_iterator_tIlNS8_12zip_iteratorINS8_5tupleINS8_6detail15normal_iteratorINS8_10device_ptrIsEEEESH_NS8_9null_typeESI_SI_SI_SI_SI_SI_SI_EEEENS9_21zip_adj_not_predicateINS8_8equal_toIsEEEEEEPllNS8_4plusIlEEEE10hipError_tPvRmT1_T2_T3_mT4_P12ihipStream_tbEUlT_E0_NS1_11comp_targetILNS1_3genE10ELNS1_11target_archE1200ELNS1_3gpuE4ELNS1_3repE0EEENS1_30default_config_static_selectorELNS0_4arch9wavefront6targetE1EEEvSW_.private_seg_size, 0
	.set _ZN7rocprim17ROCPRIM_400000_NS6detail17trampoline_kernelINS0_14default_configENS1_22reduce_config_selectorIlEEZNS1_11reduce_implILb1ES3_N6thrust23THRUST_200600_302600_NS11hip_rocprim26transform_input_iterator_tIlNS8_12zip_iteratorINS8_5tupleINS8_6detail15normal_iteratorINS8_10device_ptrIsEEEESH_NS8_9null_typeESI_SI_SI_SI_SI_SI_SI_EEEENS9_21zip_adj_not_predicateINS8_8equal_toIsEEEEEEPllNS8_4plusIlEEEE10hipError_tPvRmT1_T2_T3_mT4_P12ihipStream_tbEUlT_E0_NS1_11comp_targetILNS1_3genE10ELNS1_11target_archE1200ELNS1_3gpuE4ELNS1_3repE0EEENS1_30default_config_static_selectorELNS0_4arch9wavefront6targetE1EEEvSW_.uses_vcc, 0
	.set _ZN7rocprim17ROCPRIM_400000_NS6detail17trampoline_kernelINS0_14default_configENS1_22reduce_config_selectorIlEEZNS1_11reduce_implILb1ES3_N6thrust23THRUST_200600_302600_NS11hip_rocprim26transform_input_iterator_tIlNS8_12zip_iteratorINS8_5tupleINS8_6detail15normal_iteratorINS8_10device_ptrIsEEEESH_NS8_9null_typeESI_SI_SI_SI_SI_SI_SI_EEEENS9_21zip_adj_not_predicateINS8_8equal_toIsEEEEEEPllNS8_4plusIlEEEE10hipError_tPvRmT1_T2_T3_mT4_P12ihipStream_tbEUlT_E0_NS1_11comp_targetILNS1_3genE10ELNS1_11target_archE1200ELNS1_3gpuE4ELNS1_3repE0EEENS1_30default_config_static_selectorELNS0_4arch9wavefront6targetE1EEEvSW_.uses_flat_scratch, 0
	.set _ZN7rocprim17ROCPRIM_400000_NS6detail17trampoline_kernelINS0_14default_configENS1_22reduce_config_selectorIlEEZNS1_11reduce_implILb1ES3_N6thrust23THRUST_200600_302600_NS11hip_rocprim26transform_input_iterator_tIlNS8_12zip_iteratorINS8_5tupleINS8_6detail15normal_iteratorINS8_10device_ptrIsEEEESH_NS8_9null_typeESI_SI_SI_SI_SI_SI_SI_EEEENS9_21zip_adj_not_predicateINS8_8equal_toIsEEEEEEPllNS8_4plusIlEEEE10hipError_tPvRmT1_T2_T3_mT4_P12ihipStream_tbEUlT_E0_NS1_11comp_targetILNS1_3genE10ELNS1_11target_archE1200ELNS1_3gpuE4ELNS1_3repE0EEENS1_30default_config_static_selectorELNS0_4arch9wavefront6targetE1EEEvSW_.has_dyn_sized_stack, 0
	.set _ZN7rocprim17ROCPRIM_400000_NS6detail17trampoline_kernelINS0_14default_configENS1_22reduce_config_selectorIlEEZNS1_11reduce_implILb1ES3_N6thrust23THRUST_200600_302600_NS11hip_rocprim26transform_input_iterator_tIlNS8_12zip_iteratorINS8_5tupleINS8_6detail15normal_iteratorINS8_10device_ptrIsEEEESH_NS8_9null_typeESI_SI_SI_SI_SI_SI_SI_EEEENS9_21zip_adj_not_predicateINS8_8equal_toIsEEEEEEPllNS8_4plusIlEEEE10hipError_tPvRmT1_T2_T3_mT4_P12ihipStream_tbEUlT_E0_NS1_11comp_targetILNS1_3genE10ELNS1_11target_archE1200ELNS1_3gpuE4ELNS1_3repE0EEENS1_30default_config_static_selectorELNS0_4arch9wavefront6targetE1EEEvSW_.has_recursion, 0
	.set _ZN7rocprim17ROCPRIM_400000_NS6detail17trampoline_kernelINS0_14default_configENS1_22reduce_config_selectorIlEEZNS1_11reduce_implILb1ES3_N6thrust23THRUST_200600_302600_NS11hip_rocprim26transform_input_iterator_tIlNS8_12zip_iteratorINS8_5tupleINS8_6detail15normal_iteratorINS8_10device_ptrIsEEEESH_NS8_9null_typeESI_SI_SI_SI_SI_SI_SI_EEEENS9_21zip_adj_not_predicateINS8_8equal_toIsEEEEEEPllNS8_4plusIlEEEE10hipError_tPvRmT1_T2_T3_mT4_P12ihipStream_tbEUlT_E0_NS1_11comp_targetILNS1_3genE10ELNS1_11target_archE1200ELNS1_3gpuE4ELNS1_3repE0EEENS1_30default_config_static_selectorELNS0_4arch9wavefront6targetE1EEEvSW_.has_indirect_call, 0
	.section	.AMDGPU.csdata,"",@progbits
; Kernel info:
; codeLenInByte = 0
; TotalNumSgprs: 4
; NumVgprs: 0
; ScratchSize: 0
; MemoryBound: 0
; FloatMode: 240
; IeeeMode: 1
; LDSByteSize: 0 bytes/workgroup (compile time only)
; SGPRBlocks: 0
; VGPRBlocks: 0
; NumSGPRsForWavesPerEU: 4
; NumVGPRsForWavesPerEU: 1
; Occupancy: 10
; WaveLimiterHint : 0
; COMPUTE_PGM_RSRC2:SCRATCH_EN: 0
; COMPUTE_PGM_RSRC2:USER_SGPR: 6
; COMPUTE_PGM_RSRC2:TRAP_HANDLER: 0
; COMPUTE_PGM_RSRC2:TGID_X_EN: 1
; COMPUTE_PGM_RSRC2:TGID_Y_EN: 0
; COMPUTE_PGM_RSRC2:TGID_Z_EN: 0
; COMPUTE_PGM_RSRC2:TIDIG_COMP_CNT: 0
	.section	.text._ZN7rocprim17ROCPRIM_400000_NS6detail17trampoline_kernelINS0_14default_configENS1_22reduce_config_selectorIlEEZNS1_11reduce_implILb1ES3_N6thrust23THRUST_200600_302600_NS11hip_rocprim26transform_input_iterator_tIlNS8_12zip_iteratorINS8_5tupleINS8_6detail15normal_iteratorINS8_10device_ptrIsEEEESH_NS8_9null_typeESI_SI_SI_SI_SI_SI_SI_EEEENS9_21zip_adj_not_predicateINS8_8equal_toIsEEEEEEPllNS8_4plusIlEEEE10hipError_tPvRmT1_T2_T3_mT4_P12ihipStream_tbEUlT_E0_NS1_11comp_targetILNS1_3genE9ELNS1_11target_archE1100ELNS1_3gpuE3ELNS1_3repE0EEENS1_30default_config_static_selectorELNS0_4arch9wavefront6targetE1EEEvSW_,"axG",@progbits,_ZN7rocprim17ROCPRIM_400000_NS6detail17trampoline_kernelINS0_14default_configENS1_22reduce_config_selectorIlEEZNS1_11reduce_implILb1ES3_N6thrust23THRUST_200600_302600_NS11hip_rocprim26transform_input_iterator_tIlNS8_12zip_iteratorINS8_5tupleINS8_6detail15normal_iteratorINS8_10device_ptrIsEEEESH_NS8_9null_typeESI_SI_SI_SI_SI_SI_SI_EEEENS9_21zip_adj_not_predicateINS8_8equal_toIsEEEEEEPllNS8_4plusIlEEEE10hipError_tPvRmT1_T2_T3_mT4_P12ihipStream_tbEUlT_E0_NS1_11comp_targetILNS1_3genE9ELNS1_11target_archE1100ELNS1_3gpuE3ELNS1_3repE0EEENS1_30default_config_static_selectorELNS0_4arch9wavefront6targetE1EEEvSW_,comdat
	.protected	_ZN7rocprim17ROCPRIM_400000_NS6detail17trampoline_kernelINS0_14default_configENS1_22reduce_config_selectorIlEEZNS1_11reduce_implILb1ES3_N6thrust23THRUST_200600_302600_NS11hip_rocprim26transform_input_iterator_tIlNS8_12zip_iteratorINS8_5tupleINS8_6detail15normal_iteratorINS8_10device_ptrIsEEEESH_NS8_9null_typeESI_SI_SI_SI_SI_SI_SI_EEEENS9_21zip_adj_not_predicateINS8_8equal_toIsEEEEEEPllNS8_4plusIlEEEE10hipError_tPvRmT1_T2_T3_mT4_P12ihipStream_tbEUlT_E0_NS1_11comp_targetILNS1_3genE9ELNS1_11target_archE1100ELNS1_3gpuE3ELNS1_3repE0EEENS1_30default_config_static_selectorELNS0_4arch9wavefront6targetE1EEEvSW_ ; -- Begin function _ZN7rocprim17ROCPRIM_400000_NS6detail17trampoline_kernelINS0_14default_configENS1_22reduce_config_selectorIlEEZNS1_11reduce_implILb1ES3_N6thrust23THRUST_200600_302600_NS11hip_rocprim26transform_input_iterator_tIlNS8_12zip_iteratorINS8_5tupleINS8_6detail15normal_iteratorINS8_10device_ptrIsEEEESH_NS8_9null_typeESI_SI_SI_SI_SI_SI_SI_EEEENS9_21zip_adj_not_predicateINS8_8equal_toIsEEEEEEPllNS8_4plusIlEEEE10hipError_tPvRmT1_T2_T3_mT4_P12ihipStream_tbEUlT_E0_NS1_11comp_targetILNS1_3genE9ELNS1_11target_archE1100ELNS1_3gpuE3ELNS1_3repE0EEENS1_30default_config_static_selectorELNS0_4arch9wavefront6targetE1EEEvSW_
	.globl	_ZN7rocprim17ROCPRIM_400000_NS6detail17trampoline_kernelINS0_14default_configENS1_22reduce_config_selectorIlEEZNS1_11reduce_implILb1ES3_N6thrust23THRUST_200600_302600_NS11hip_rocprim26transform_input_iterator_tIlNS8_12zip_iteratorINS8_5tupleINS8_6detail15normal_iteratorINS8_10device_ptrIsEEEESH_NS8_9null_typeESI_SI_SI_SI_SI_SI_SI_EEEENS9_21zip_adj_not_predicateINS8_8equal_toIsEEEEEEPllNS8_4plusIlEEEE10hipError_tPvRmT1_T2_T3_mT4_P12ihipStream_tbEUlT_E0_NS1_11comp_targetILNS1_3genE9ELNS1_11target_archE1100ELNS1_3gpuE3ELNS1_3repE0EEENS1_30default_config_static_selectorELNS0_4arch9wavefront6targetE1EEEvSW_
	.p2align	8
	.type	_ZN7rocprim17ROCPRIM_400000_NS6detail17trampoline_kernelINS0_14default_configENS1_22reduce_config_selectorIlEEZNS1_11reduce_implILb1ES3_N6thrust23THRUST_200600_302600_NS11hip_rocprim26transform_input_iterator_tIlNS8_12zip_iteratorINS8_5tupleINS8_6detail15normal_iteratorINS8_10device_ptrIsEEEESH_NS8_9null_typeESI_SI_SI_SI_SI_SI_SI_EEEENS9_21zip_adj_not_predicateINS8_8equal_toIsEEEEEEPllNS8_4plusIlEEEE10hipError_tPvRmT1_T2_T3_mT4_P12ihipStream_tbEUlT_E0_NS1_11comp_targetILNS1_3genE9ELNS1_11target_archE1100ELNS1_3gpuE3ELNS1_3repE0EEENS1_30default_config_static_selectorELNS0_4arch9wavefront6targetE1EEEvSW_,@function
_ZN7rocprim17ROCPRIM_400000_NS6detail17trampoline_kernelINS0_14default_configENS1_22reduce_config_selectorIlEEZNS1_11reduce_implILb1ES3_N6thrust23THRUST_200600_302600_NS11hip_rocprim26transform_input_iterator_tIlNS8_12zip_iteratorINS8_5tupleINS8_6detail15normal_iteratorINS8_10device_ptrIsEEEESH_NS8_9null_typeESI_SI_SI_SI_SI_SI_SI_EEEENS9_21zip_adj_not_predicateINS8_8equal_toIsEEEEEEPllNS8_4plusIlEEEE10hipError_tPvRmT1_T2_T3_mT4_P12ihipStream_tbEUlT_E0_NS1_11comp_targetILNS1_3genE9ELNS1_11target_archE1100ELNS1_3gpuE3ELNS1_3repE0EEENS1_30default_config_static_selectorELNS0_4arch9wavefront6targetE1EEEvSW_: ; @_ZN7rocprim17ROCPRIM_400000_NS6detail17trampoline_kernelINS0_14default_configENS1_22reduce_config_selectorIlEEZNS1_11reduce_implILb1ES3_N6thrust23THRUST_200600_302600_NS11hip_rocprim26transform_input_iterator_tIlNS8_12zip_iteratorINS8_5tupleINS8_6detail15normal_iteratorINS8_10device_ptrIsEEEESH_NS8_9null_typeESI_SI_SI_SI_SI_SI_SI_EEEENS9_21zip_adj_not_predicateINS8_8equal_toIsEEEEEEPllNS8_4plusIlEEEE10hipError_tPvRmT1_T2_T3_mT4_P12ihipStream_tbEUlT_E0_NS1_11comp_targetILNS1_3genE9ELNS1_11target_archE1100ELNS1_3gpuE3ELNS1_3repE0EEENS1_30default_config_static_selectorELNS0_4arch9wavefront6targetE1EEEvSW_
; %bb.0:
	.section	.rodata,"a",@progbits
	.p2align	6, 0x0
	.amdhsa_kernel _ZN7rocprim17ROCPRIM_400000_NS6detail17trampoline_kernelINS0_14default_configENS1_22reduce_config_selectorIlEEZNS1_11reduce_implILb1ES3_N6thrust23THRUST_200600_302600_NS11hip_rocprim26transform_input_iterator_tIlNS8_12zip_iteratorINS8_5tupleINS8_6detail15normal_iteratorINS8_10device_ptrIsEEEESH_NS8_9null_typeESI_SI_SI_SI_SI_SI_SI_EEEENS9_21zip_adj_not_predicateINS8_8equal_toIsEEEEEEPllNS8_4plusIlEEEE10hipError_tPvRmT1_T2_T3_mT4_P12ihipStream_tbEUlT_E0_NS1_11comp_targetILNS1_3genE9ELNS1_11target_archE1100ELNS1_3gpuE3ELNS1_3repE0EEENS1_30default_config_static_selectorELNS0_4arch9wavefront6targetE1EEEvSW_
		.amdhsa_group_segment_fixed_size 0
		.amdhsa_private_segment_fixed_size 0
		.amdhsa_kernarg_size 80
		.amdhsa_user_sgpr_count 6
		.amdhsa_user_sgpr_private_segment_buffer 1
		.amdhsa_user_sgpr_dispatch_ptr 0
		.amdhsa_user_sgpr_queue_ptr 0
		.amdhsa_user_sgpr_kernarg_segment_ptr 1
		.amdhsa_user_sgpr_dispatch_id 0
		.amdhsa_user_sgpr_flat_scratch_init 0
		.amdhsa_user_sgpr_private_segment_size 0
		.amdhsa_uses_dynamic_stack 0
		.amdhsa_system_sgpr_private_segment_wavefront_offset 0
		.amdhsa_system_sgpr_workgroup_id_x 1
		.amdhsa_system_sgpr_workgroup_id_y 0
		.amdhsa_system_sgpr_workgroup_id_z 0
		.amdhsa_system_sgpr_workgroup_info 0
		.amdhsa_system_vgpr_workitem_id 0
		.amdhsa_next_free_vgpr 1
		.amdhsa_next_free_sgpr 0
		.amdhsa_reserve_vcc 0
		.amdhsa_reserve_flat_scratch 0
		.amdhsa_float_round_mode_32 0
		.amdhsa_float_round_mode_16_64 0
		.amdhsa_float_denorm_mode_32 3
		.amdhsa_float_denorm_mode_16_64 3
		.amdhsa_dx10_clamp 1
		.amdhsa_ieee_mode 1
		.amdhsa_fp16_overflow 0
		.amdhsa_exception_fp_ieee_invalid_op 0
		.amdhsa_exception_fp_denorm_src 0
		.amdhsa_exception_fp_ieee_div_zero 0
		.amdhsa_exception_fp_ieee_overflow 0
		.amdhsa_exception_fp_ieee_underflow 0
		.amdhsa_exception_fp_ieee_inexact 0
		.amdhsa_exception_int_div_zero 0
	.end_amdhsa_kernel
	.section	.text._ZN7rocprim17ROCPRIM_400000_NS6detail17trampoline_kernelINS0_14default_configENS1_22reduce_config_selectorIlEEZNS1_11reduce_implILb1ES3_N6thrust23THRUST_200600_302600_NS11hip_rocprim26transform_input_iterator_tIlNS8_12zip_iteratorINS8_5tupleINS8_6detail15normal_iteratorINS8_10device_ptrIsEEEESH_NS8_9null_typeESI_SI_SI_SI_SI_SI_SI_EEEENS9_21zip_adj_not_predicateINS8_8equal_toIsEEEEEEPllNS8_4plusIlEEEE10hipError_tPvRmT1_T2_T3_mT4_P12ihipStream_tbEUlT_E0_NS1_11comp_targetILNS1_3genE9ELNS1_11target_archE1100ELNS1_3gpuE3ELNS1_3repE0EEENS1_30default_config_static_selectorELNS0_4arch9wavefront6targetE1EEEvSW_,"axG",@progbits,_ZN7rocprim17ROCPRIM_400000_NS6detail17trampoline_kernelINS0_14default_configENS1_22reduce_config_selectorIlEEZNS1_11reduce_implILb1ES3_N6thrust23THRUST_200600_302600_NS11hip_rocprim26transform_input_iterator_tIlNS8_12zip_iteratorINS8_5tupleINS8_6detail15normal_iteratorINS8_10device_ptrIsEEEESH_NS8_9null_typeESI_SI_SI_SI_SI_SI_SI_EEEENS9_21zip_adj_not_predicateINS8_8equal_toIsEEEEEEPllNS8_4plusIlEEEE10hipError_tPvRmT1_T2_T3_mT4_P12ihipStream_tbEUlT_E0_NS1_11comp_targetILNS1_3genE9ELNS1_11target_archE1100ELNS1_3gpuE3ELNS1_3repE0EEENS1_30default_config_static_selectorELNS0_4arch9wavefront6targetE1EEEvSW_,comdat
.Lfunc_end1002:
	.size	_ZN7rocprim17ROCPRIM_400000_NS6detail17trampoline_kernelINS0_14default_configENS1_22reduce_config_selectorIlEEZNS1_11reduce_implILb1ES3_N6thrust23THRUST_200600_302600_NS11hip_rocprim26transform_input_iterator_tIlNS8_12zip_iteratorINS8_5tupleINS8_6detail15normal_iteratorINS8_10device_ptrIsEEEESH_NS8_9null_typeESI_SI_SI_SI_SI_SI_SI_EEEENS9_21zip_adj_not_predicateINS8_8equal_toIsEEEEEEPllNS8_4plusIlEEEE10hipError_tPvRmT1_T2_T3_mT4_P12ihipStream_tbEUlT_E0_NS1_11comp_targetILNS1_3genE9ELNS1_11target_archE1100ELNS1_3gpuE3ELNS1_3repE0EEENS1_30default_config_static_selectorELNS0_4arch9wavefront6targetE1EEEvSW_, .Lfunc_end1002-_ZN7rocprim17ROCPRIM_400000_NS6detail17trampoline_kernelINS0_14default_configENS1_22reduce_config_selectorIlEEZNS1_11reduce_implILb1ES3_N6thrust23THRUST_200600_302600_NS11hip_rocprim26transform_input_iterator_tIlNS8_12zip_iteratorINS8_5tupleINS8_6detail15normal_iteratorINS8_10device_ptrIsEEEESH_NS8_9null_typeESI_SI_SI_SI_SI_SI_SI_EEEENS9_21zip_adj_not_predicateINS8_8equal_toIsEEEEEEPllNS8_4plusIlEEEE10hipError_tPvRmT1_T2_T3_mT4_P12ihipStream_tbEUlT_E0_NS1_11comp_targetILNS1_3genE9ELNS1_11target_archE1100ELNS1_3gpuE3ELNS1_3repE0EEENS1_30default_config_static_selectorELNS0_4arch9wavefront6targetE1EEEvSW_
                                        ; -- End function
	.set _ZN7rocprim17ROCPRIM_400000_NS6detail17trampoline_kernelINS0_14default_configENS1_22reduce_config_selectorIlEEZNS1_11reduce_implILb1ES3_N6thrust23THRUST_200600_302600_NS11hip_rocprim26transform_input_iterator_tIlNS8_12zip_iteratorINS8_5tupleINS8_6detail15normal_iteratorINS8_10device_ptrIsEEEESH_NS8_9null_typeESI_SI_SI_SI_SI_SI_SI_EEEENS9_21zip_adj_not_predicateINS8_8equal_toIsEEEEEEPllNS8_4plusIlEEEE10hipError_tPvRmT1_T2_T3_mT4_P12ihipStream_tbEUlT_E0_NS1_11comp_targetILNS1_3genE9ELNS1_11target_archE1100ELNS1_3gpuE3ELNS1_3repE0EEENS1_30default_config_static_selectorELNS0_4arch9wavefront6targetE1EEEvSW_.num_vgpr, 0
	.set _ZN7rocprim17ROCPRIM_400000_NS6detail17trampoline_kernelINS0_14default_configENS1_22reduce_config_selectorIlEEZNS1_11reduce_implILb1ES3_N6thrust23THRUST_200600_302600_NS11hip_rocprim26transform_input_iterator_tIlNS8_12zip_iteratorINS8_5tupleINS8_6detail15normal_iteratorINS8_10device_ptrIsEEEESH_NS8_9null_typeESI_SI_SI_SI_SI_SI_SI_EEEENS9_21zip_adj_not_predicateINS8_8equal_toIsEEEEEEPllNS8_4plusIlEEEE10hipError_tPvRmT1_T2_T3_mT4_P12ihipStream_tbEUlT_E0_NS1_11comp_targetILNS1_3genE9ELNS1_11target_archE1100ELNS1_3gpuE3ELNS1_3repE0EEENS1_30default_config_static_selectorELNS0_4arch9wavefront6targetE1EEEvSW_.num_agpr, 0
	.set _ZN7rocprim17ROCPRIM_400000_NS6detail17trampoline_kernelINS0_14default_configENS1_22reduce_config_selectorIlEEZNS1_11reduce_implILb1ES3_N6thrust23THRUST_200600_302600_NS11hip_rocprim26transform_input_iterator_tIlNS8_12zip_iteratorINS8_5tupleINS8_6detail15normal_iteratorINS8_10device_ptrIsEEEESH_NS8_9null_typeESI_SI_SI_SI_SI_SI_SI_EEEENS9_21zip_adj_not_predicateINS8_8equal_toIsEEEEEEPllNS8_4plusIlEEEE10hipError_tPvRmT1_T2_T3_mT4_P12ihipStream_tbEUlT_E0_NS1_11comp_targetILNS1_3genE9ELNS1_11target_archE1100ELNS1_3gpuE3ELNS1_3repE0EEENS1_30default_config_static_selectorELNS0_4arch9wavefront6targetE1EEEvSW_.numbered_sgpr, 0
	.set _ZN7rocprim17ROCPRIM_400000_NS6detail17trampoline_kernelINS0_14default_configENS1_22reduce_config_selectorIlEEZNS1_11reduce_implILb1ES3_N6thrust23THRUST_200600_302600_NS11hip_rocprim26transform_input_iterator_tIlNS8_12zip_iteratorINS8_5tupleINS8_6detail15normal_iteratorINS8_10device_ptrIsEEEESH_NS8_9null_typeESI_SI_SI_SI_SI_SI_SI_EEEENS9_21zip_adj_not_predicateINS8_8equal_toIsEEEEEEPllNS8_4plusIlEEEE10hipError_tPvRmT1_T2_T3_mT4_P12ihipStream_tbEUlT_E0_NS1_11comp_targetILNS1_3genE9ELNS1_11target_archE1100ELNS1_3gpuE3ELNS1_3repE0EEENS1_30default_config_static_selectorELNS0_4arch9wavefront6targetE1EEEvSW_.num_named_barrier, 0
	.set _ZN7rocprim17ROCPRIM_400000_NS6detail17trampoline_kernelINS0_14default_configENS1_22reduce_config_selectorIlEEZNS1_11reduce_implILb1ES3_N6thrust23THRUST_200600_302600_NS11hip_rocprim26transform_input_iterator_tIlNS8_12zip_iteratorINS8_5tupleINS8_6detail15normal_iteratorINS8_10device_ptrIsEEEESH_NS8_9null_typeESI_SI_SI_SI_SI_SI_SI_EEEENS9_21zip_adj_not_predicateINS8_8equal_toIsEEEEEEPllNS8_4plusIlEEEE10hipError_tPvRmT1_T2_T3_mT4_P12ihipStream_tbEUlT_E0_NS1_11comp_targetILNS1_3genE9ELNS1_11target_archE1100ELNS1_3gpuE3ELNS1_3repE0EEENS1_30default_config_static_selectorELNS0_4arch9wavefront6targetE1EEEvSW_.private_seg_size, 0
	.set _ZN7rocprim17ROCPRIM_400000_NS6detail17trampoline_kernelINS0_14default_configENS1_22reduce_config_selectorIlEEZNS1_11reduce_implILb1ES3_N6thrust23THRUST_200600_302600_NS11hip_rocprim26transform_input_iterator_tIlNS8_12zip_iteratorINS8_5tupleINS8_6detail15normal_iteratorINS8_10device_ptrIsEEEESH_NS8_9null_typeESI_SI_SI_SI_SI_SI_SI_EEEENS9_21zip_adj_not_predicateINS8_8equal_toIsEEEEEEPllNS8_4plusIlEEEE10hipError_tPvRmT1_T2_T3_mT4_P12ihipStream_tbEUlT_E0_NS1_11comp_targetILNS1_3genE9ELNS1_11target_archE1100ELNS1_3gpuE3ELNS1_3repE0EEENS1_30default_config_static_selectorELNS0_4arch9wavefront6targetE1EEEvSW_.uses_vcc, 0
	.set _ZN7rocprim17ROCPRIM_400000_NS6detail17trampoline_kernelINS0_14default_configENS1_22reduce_config_selectorIlEEZNS1_11reduce_implILb1ES3_N6thrust23THRUST_200600_302600_NS11hip_rocprim26transform_input_iterator_tIlNS8_12zip_iteratorINS8_5tupleINS8_6detail15normal_iteratorINS8_10device_ptrIsEEEESH_NS8_9null_typeESI_SI_SI_SI_SI_SI_SI_EEEENS9_21zip_adj_not_predicateINS8_8equal_toIsEEEEEEPllNS8_4plusIlEEEE10hipError_tPvRmT1_T2_T3_mT4_P12ihipStream_tbEUlT_E0_NS1_11comp_targetILNS1_3genE9ELNS1_11target_archE1100ELNS1_3gpuE3ELNS1_3repE0EEENS1_30default_config_static_selectorELNS0_4arch9wavefront6targetE1EEEvSW_.uses_flat_scratch, 0
	.set _ZN7rocprim17ROCPRIM_400000_NS6detail17trampoline_kernelINS0_14default_configENS1_22reduce_config_selectorIlEEZNS1_11reduce_implILb1ES3_N6thrust23THRUST_200600_302600_NS11hip_rocprim26transform_input_iterator_tIlNS8_12zip_iteratorINS8_5tupleINS8_6detail15normal_iteratorINS8_10device_ptrIsEEEESH_NS8_9null_typeESI_SI_SI_SI_SI_SI_SI_EEEENS9_21zip_adj_not_predicateINS8_8equal_toIsEEEEEEPllNS8_4plusIlEEEE10hipError_tPvRmT1_T2_T3_mT4_P12ihipStream_tbEUlT_E0_NS1_11comp_targetILNS1_3genE9ELNS1_11target_archE1100ELNS1_3gpuE3ELNS1_3repE0EEENS1_30default_config_static_selectorELNS0_4arch9wavefront6targetE1EEEvSW_.has_dyn_sized_stack, 0
	.set _ZN7rocprim17ROCPRIM_400000_NS6detail17trampoline_kernelINS0_14default_configENS1_22reduce_config_selectorIlEEZNS1_11reduce_implILb1ES3_N6thrust23THRUST_200600_302600_NS11hip_rocprim26transform_input_iterator_tIlNS8_12zip_iteratorINS8_5tupleINS8_6detail15normal_iteratorINS8_10device_ptrIsEEEESH_NS8_9null_typeESI_SI_SI_SI_SI_SI_SI_EEEENS9_21zip_adj_not_predicateINS8_8equal_toIsEEEEEEPllNS8_4plusIlEEEE10hipError_tPvRmT1_T2_T3_mT4_P12ihipStream_tbEUlT_E0_NS1_11comp_targetILNS1_3genE9ELNS1_11target_archE1100ELNS1_3gpuE3ELNS1_3repE0EEENS1_30default_config_static_selectorELNS0_4arch9wavefront6targetE1EEEvSW_.has_recursion, 0
	.set _ZN7rocprim17ROCPRIM_400000_NS6detail17trampoline_kernelINS0_14default_configENS1_22reduce_config_selectorIlEEZNS1_11reduce_implILb1ES3_N6thrust23THRUST_200600_302600_NS11hip_rocprim26transform_input_iterator_tIlNS8_12zip_iteratorINS8_5tupleINS8_6detail15normal_iteratorINS8_10device_ptrIsEEEESH_NS8_9null_typeESI_SI_SI_SI_SI_SI_SI_EEEENS9_21zip_adj_not_predicateINS8_8equal_toIsEEEEEEPllNS8_4plusIlEEEE10hipError_tPvRmT1_T2_T3_mT4_P12ihipStream_tbEUlT_E0_NS1_11comp_targetILNS1_3genE9ELNS1_11target_archE1100ELNS1_3gpuE3ELNS1_3repE0EEENS1_30default_config_static_selectorELNS0_4arch9wavefront6targetE1EEEvSW_.has_indirect_call, 0
	.section	.AMDGPU.csdata,"",@progbits
; Kernel info:
; codeLenInByte = 0
; TotalNumSgprs: 4
; NumVgprs: 0
; ScratchSize: 0
; MemoryBound: 0
; FloatMode: 240
; IeeeMode: 1
; LDSByteSize: 0 bytes/workgroup (compile time only)
; SGPRBlocks: 0
; VGPRBlocks: 0
; NumSGPRsForWavesPerEU: 4
; NumVGPRsForWavesPerEU: 1
; Occupancy: 10
; WaveLimiterHint : 0
; COMPUTE_PGM_RSRC2:SCRATCH_EN: 0
; COMPUTE_PGM_RSRC2:USER_SGPR: 6
; COMPUTE_PGM_RSRC2:TRAP_HANDLER: 0
; COMPUTE_PGM_RSRC2:TGID_X_EN: 1
; COMPUTE_PGM_RSRC2:TGID_Y_EN: 0
; COMPUTE_PGM_RSRC2:TGID_Z_EN: 0
; COMPUTE_PGM_RSRC2:TIDIG_COMP_CNT: 0
	.section	.text._ZN7rocprim17ROCPRIM_400000_NS6detail17trampoline_kernelINS0_14default_configENS1_22reduce_config_selectorIlEEZNS1_11reduce_implILb1ES3_N6thrust23THRUST_200600_302600_NS11hip_rocprim26transform_input_iterator_tIlNS8_12zip_iteratorINS8_5tupleINS8_6detail15normal_iteratorINS8_10device_ptrIsEEEESH_NS8_9null_typeESI_SI_SI_SI_SI_SI_SI_EEEENS9_21zip_adj_not_predicateINS8_8equal_toIsEEEEEEPllNS8_4plusIlEEEE10hipError_tPvRmT1_T2_T3_mT4_P12ihipStream_tbEUlT_E0_NS1_11comp_targetILNS1_3genE8ELNS1_11target_archE1030ELNS1_3gpuE2ELNS1_3repE0EEENS1_30default_config_static_selectorELNS0_4arch9wavefront6targetE1EEEvSW_,"axG",@progbits,_ZN7rocprim17ROCPRIM_400000_NS6detail17trampoline_kernelINS0_14default_configENS1_22reduce_config_selectorIlEEZNS1_11reduce_implILb1ES3_N6thrust23THRUST_200600_302600_NS11hip_rocprim26transform_input_iterator_tIlNS8_12zip_iteratorINS8_5tupleINS8_6detail15normal_iteratorINS8_10device_ptrIsEEEESH_NS8_9null_typeESI_SI_SI_SI_SI_SI_SI_EEEENS9_21zip_adj_not_predicateINS8_8equal_toIsEEEEEEPllNS8_4plusIlEEEE10hipError_tPvRmT1_T2_T3_mT4_P12ihipStream_tbEUlT_E0_NS1_11comp_targetILNS1_3genE8ELNS1_11target_archE1030ELNS1_3gpuE2ELNS1_3repE0EEENS1_30default_config_static_selectorELNS0_4arch9wavefront6targetE1EEEvSW_,comdat
	.protected	_ZN7rocprim17ROCPRIM_400000_NS6detail17trampoline_kernelINS0_14default_configENS1_22reduce_config_selectorIlEEZNS1_11reduce_implILb1ES3_N6thrust23THRUST_200600_302600_NS11hip_rocprim26transform_input_iterator_tIlNS8_12zip_iteratorINS8_5tupleINS8_6detail15normal_iteratorINS8_10device_ptrIsEEEESH_NS8_9null_typeESI_SI_SI_SI_SI_SI_SI_EEEENS9_21zip_adj_not_predicateINS8_8equal_toIsEEEEEEPllNS8_4plusIlEEEE10hipError_tPvRmT1_T2_T3_mT4_P12ihipStream_tbEUlT_E0_NS1_11comp_targetILNS1_3genE8ELNS1_11target_archE1030ELNS1_3gpuE2ELNS1_3repE0EEENS1_30default_config_static_selectorELNS0_4arch9wavefront6targetE1EEEvSW_ ; -- Begin function _ZN7rocprim17ROCPRIM_400000_NS6detail17trampoline_kernelINS0_14default_configENS1_22reduce_config_selectorIlEEZNS1_11reduce_implILb1ES3_N6thrust23THRUST_200600_302600_NS11hip_rocprim26transform_input_iterator_tIlNS8_12zip_iteratorINS8_5tupleINS8_6detail15normal_iteratorINS8_10device_ptrIsEEEESH_NS8_9null_typeESI_SI_SI_SI_SI_SI_SI_EEEENS9_21zip_adj_not_predicateINS8_8equal_toIsEEEEEEPllNS8_4plusIlEEEE10hipError_tPvRmT1_T2_T3_mT4_P12ihipStream_tbEUlT_E0_NS1_11comp_targetILNS1_3genE8ELNS1_11target_archE1030ELNS1_3gpuE2ELNS1_3repE0EEENS1_30default_config_static_selectorELNS0_4arch9wavefront6targetE1EEEvSW_
	.globl	_ZN7rocprim17ROCPRIM_400000_NS6detail17trampoline_kernelINS0_14default_configENS1_22reduce_config_selectorIlEEZNS1_11reduce_implILb1ES3_N6thrust23THRUST_200600_302600_NS11hip_rocprim26transform_input_iterator_tIlNS8_12zip_iteratorINS8_5tupleINS8_6detail15normal_iteratorINS8_10device_ptrIsEEEESH_NS8_9null_typeESI_SI_SI_SI_SI_SI_SI_EEEENS9_21zip_adj_not_predicateINS8_8equal_toIsEEEEEEPllNS8_4plusIlEEEE10hipError_tPvRmT1_T2_T3_mT4_P12ihipStream_tbEUlT_E0_NS1_11comp_targetILNS1_3genE8ELNS1_11target_archE1030ELNS1_3gpuE2ELNS1_3repE0EEENS1_30default_config_static_selectorELNS0_4arch9wavefront6targetE1EEEvSW_
	.p2align	8
	.type	_ZN7rocprim17ROCPRIM_400000_NS6detail17trampoline_kernelINS0_14default_configENS1_22reduce_config_selectorIlEEZNS1_11reduce_implILb1ES3_N6thrust23THRUST_200600_302600_NS11hip_rocprim26transform_input_iterator_tIlNS8_12zip_iteratorINS8_5tupleINS8_6detail15normal_iteratorINS8_10device_ptrIsEEEESH_NS8_9null_typeESI_SI_SI_SI_SI_SI_SI_EEEENS9_21zip_adj_not_predicateINS8_8equal_toIsEEEEEEPllNS8_4plusIlEEEE10hipError_tPvRmT1_T2_T3_mT4_P12ihipStream_tbEUlT_E0_NS1_11comp_targetILNS1_3genE8ELNS1_11target_archE1030ELNS1_3gpuE2ELNS1_3repE0EEENS1_30default_config_static_selectorELNS0_4arch9wavefront6targetE1EEEvSW_,@function
_ZN7rocprim17ROCPRIM_400000_NS6detail17trampoline_kernelINS0_14default_configENS1_22reduce_config_selectorIlEEZNS1_11reduce_implILb1ES3_N6thrust23THRUST_200600_302600_NS11hip_rocprim26transform_input_iterator_tIlNS8_12zip_iteratorINS8_5tupleINS8_6detail15normal_iteratorINS8_10device_ptrIsEEEESH_NS8_9null_typeESI_SI_SI_SI_SI_SI_SI_EEEENS9_21zip_adj_not_predicateINS8_8equal_toIsEEEEEEPllNS8_4plusIlEEEE10hipError_tPvRmT1_T2_T3_mT4_P12ihipStream_tbEUlT_E0_NS1_11comp_targetILNS1_3genE8ELNS1_11target_archE1030ELNS1_3gpuE2ELNS1_3repE0EEENS1_30default_config_static_selectorELNS0_4arch9wavefront6targetE1EEEvSW_: ; @_ZN7rocprim17ROCPRIM_400000_NS6detail17trampoline_kernelINS0_14default_configENS1_22reduce_config_selectorIlEEZNS1_11reduce_implILb1ES3_N6thrust23THRUST_200600_302600_NS11hip_rocprim26transform_input_iterator_tIlNS8_12zip_iteratorINS8_5tupleINS8_6detail15normal_iteratorINS8_10device_ptrIsEEEESH_NS8_9null_typeESI_SI_SI_SI_SI_SI_SI_EEEENS9_21zip_adj_not_predicateINS8_8equal_toIsEEEEEEPllNS8_4plusIlEEEE10hipError_tPvRmT1_T2_T3_mT4_P12ihipStream_tbEUlT_E0_NS1_11comp_targetILNS1_3genE8ELNS1_11target_archE1030ELNS1_3gpuE2ELNS1_3repE0EEENS1_30default_config_static_selectorELNS0_4arch9wavefront6targetE1EEEvSW_
; %bb.0:
	.section	.rodata,"a",@progbits
	.p2align	6, 0x0
	.amdhsa_kernel _ZN7rocprim17ROCPRIM_400000_NS6detail17trampoline_kernelINS0_14default_configENS1_22reduce_config_selectorIlEEZNS1_11reduce_implILb1ES3_N6thrust23THRUST_200600_302600_NS11hip_rocprim26transform_input_iterator_tIlNS8_12zip_iteratorINS8_5tupleINS8_6detail15normal_iteratorINS8_10device_ptrIsEEEESH_NS8_9null_typeESI_SI_SI_SI_SI_SI_SI_EEEENS9_21zip_adj_not_predicateINS8_8equal_toIsEEEEEEPllNS8_4plusIlEEEE10hipError_tPvRmT1_T2_T3_mT4_P12ihipStream_tbEUlT_E0_NS1_11comp_targetILNS1_3genE8ELNS1_11target_archE1030ELNS1_3gpuE2ELNS1_3repE0EEENS1_30default_config_static_selectorELNS0_4arch9wavefront6targetE1EEEvSW_
		.amdhsa_group_segment_fixed_size 0
		.amdhsa_private_segment_fixed_size 0
		.amdhsa_kernarg_size 80
		.amdhsa_user_sgpr_count 6
		.amdhsa_user_sgpr_private_segment_buffer 1
		.amdhsa_user_sgpr_dispatch_ptr 0
		.amdhsa_user_sgpr_queue_ptr 0
		.amdhsa_user_sgpr_kernarg_segment_ptr 1
		.amdhsa_user_sgpr_dispatch_id 0
		.amdhsa_user_sgpr_flat_scratch_init 0
		.amdhsa_user_sgpr_private_segment_size 0
		.amdhsa_uses_dynamic_stack 0
		.amdhsa_system_sgpr_private_segment_wavefront_offset 0
		.amdhsa_system_sgpr_workgroup_id_x 1
		.amdhsa_system_sgpr_workgroup_id_y 0
		.amdhsa_system_sgpr_workgroup_id_z 0
		.amdhsa_system_sgpr_workgroup_info 0
		.amdhsa_system_vgpr_workitem_id 0
		.amdhsa_next_free_vgpr 1
		.amdhsa_next_free_sgpr 0
		.amdhsa_reserve_vcc 0
		.amdhsa_reserve_flat_scratch 0
		.amdhsa_float_round_mode_32 0
		.amdhsa_float_round_mode_16_64 0
		.amdhsa_float_denorm_mode_32 3
		.amdhsa_float_denorm_mode_16_64 3
		.amdhsa_dx10_clamp 1
		.amdhsa_ieee_mode 1
		.amdhsa_fp16_overflow 0
		.amdhsa_exception_fp_ieee_invalid_op 0
		.amdhsa_exception_fp_denorm_src 0
		.amdhsa_exception_fp_ieee_div_zero 0
		.amdhsa_exception_fp_ieee_overflow 0
		.amdhsa_exception_fp_ieee_underflow 0
		.amdhsa_exception_fp_ieee_inexact 0
		.amdhsa_exception_int_div_zero 0
	.end_amdhsa_kernel
	.section	.text._ZN7rocprim17ROCPRIM_400000_NS6detail17trampoline_kernelINS0_14default_configENS1_22reduce_config_selectorIlEEZNS1_11reduce_implILb1ES3_N6thrust23THRUST_200600_302600_NS11hip_rocprim26transform_input_iterator_tIlNS8_12zip_iteratorINS8_5tupleINS8_6detail15normal_iteratorINS8_10device_ptrIsEEEESH_NS8_9null_typeESI_SI_SI_SI_SI_SI_SI_EEEENS9_21zip_adj_not_predicateINS8_8equal_toIsEEEEEEPllNS8_4plusIlEEEE10hipError_tPvRmT1_T2_T3_mT4_P12ihipStream_tbEUlT_E0_NS1_11comp_targetILNS1_3genE8ELNS1_11target_archE1030ELNS1_3gpuE2ELNS1_3repE0EEENS1_30default_config_static_selectorELNS0_4arch9wavefront6targetE1EEEvSW_,"axG",@progbits,_ZN7rocprim17ROCPRIM_400000_NS6detail17trampoline_kernelINS0_14default_configENS1_22reduce_config_selectorIlEEZNS1_11reduce_implILb1ES3_N6thrust23THRUST_200600_302600_NS11hip_rocprim26transform_input_iterator_tIlNS8_12zip_iteratorINS8_5tupleINS8_6detail15normal_iteratorINS8_10device_ptrIsEEEESH_NS8_9null_typeESI_SI_SI_SI_SI_SI_SI_EEEENS9_21zip_adj_not_predicateINS8_8equal_toIsEEEEEEPllNS8_4plusIlEEEE10hipError_tPvRmT1_T2_T3_mT4_P12ihipStream_tbEUlT_E0_NS1_11comp_targetILNS1_3genE8ELNS1_11target_archE1030ELNS1_3gpuE2ELNS1_3repE0EEENS1_30default_config_static_selectorELNS0_4arch9wavefront6targetE1EEEvSW_,comdat
.Lfunc_end1003:
	.size	_ZN7rocprim17ROCPRIM_400000_NS6detail17trampoline_kernelINS0_14default_configENS1_22reduce_config_selectorIlEEZNS1_11reduce_implILb1ES3_N6thrust23THRUST_200600_302600_NS11hip_rocprim26transform_input_iterator_tIlNS8_12zip_iteratorINS8_5tupleINS8_6detail15normal_iteratorINS8_10device_ptrIsEEEESH_NS8_9null_typeESI_SI_SI_SI_SI_SI_SI_EEEENS9_21zip_adj_not_predicateINS8_8equal_toIsEEEEEEPllNS8_4plusIlEEEE10hipError_tPvRmT1_T2_T3_mT4_P12ihipStream_tbEUlT_E0_NS1_11comp_targetILNS1_3genE8ELNS1_11target_archE1030ELNS1_3gpuE2ELNS1_3repE0EEENS1_30default_config_static_selectorELNS0_4arch9wavefront6targetE1EEEvSW_, .Lfunc_end1003-_ZN7rocprim17ROCPRIM_400000_NS6detail17trampoline_kernelINS0_14default_configENS1_22reduce_config_selectorIlEEZNS1_11reduce_implILb1ES3_N6thrust23THRUST_200600_302600_NS11hip_rocprim26transform_input_iterator_tIlNS8_12zip_iteratorINS8_5tupleINS8_6detail15normal_iteratorINS8_10device_ptrIsEEEESH_NS8_9null_typeESI_SI_SI_SI_SI_SI_SI_EEEENS9_21zip_adj_not_predicateINS8_8equal_toIsEEEEEEPllNS8_4plusIlEEEE10hipError_tPvRmT1_T2_T3_mT4_P12ihipStream_tbEUlT_E0_NS1_11comp_targetILNS1_3genE8ELNS1_11target_archE1030ELNS1_3gpuE2ELNS1_3repE0EEENS1_30default_config_static_selectorELNS0_4arch9wavefront6targetE1EEEvSW_
                                        ; -- End function
	.set _ZN7rocprim17ROCPRIM_400000_NS6detail17trampoline_kernelINS0_14default_configENS1_22reduce_config_selectorIlEEZNS1_11reduce_implILb1ES3_N6thrust23THRUST_200600_302600_NS11hip_rocprim26transform_input_iterator_tIlNS8_12zip_iteratorINS8_5tupleINS8_6detail15normal_iteratorINS8_10device_ptrIsEEEESH_NS8_9null_typeESI_SI_SI_SI_SI_SI_SI_EEEENS9_21zip_adj_not_predicateINS8_8equal_toIsEEEEEEPllNS8_4plusIlEEEE10hipError_tPvRmT1_T2_T3_mT4_P12ihipStream_tbEUlT_E0_NS1_11comp_targetILNS1_3genE8ELNS1_11target_archE1030ELNS1_3gpuE2ELNS1_3repE0EEENS1_30default_config_static_selectorELNS0_4arch9wavefront6targetE1EEEvSW_.num_vgpr, 0
	.set _ZN7rocprim17ROCPRIM_400000_NS6detail17trampoline_kernelINS0_14default_configENS1_22reduce_config_selectorIlEEZNS1_11reduce_implILb1ES3_N6thrust23THRUST_200600_302600_NS11hip_rocprim26transform_input_iterator_tIlNS8_12zip_iteratorINS8_5tupleINS8_6detail15normal_iteratorINS8_10device_ptrIsEEEESH_NS8_9null_typeESI_SI_SI_SI_SI_SI_SI_EEEENS9_21zip_adj_not_predicateINS8_8equal_toIsEEEEEEPllNS8_4plusIlEEEE10hipError_tPvRmT1_T2_T3_mT4_P12ihipStream_tbEUlT_E0_NS1_11comp_targetILNS1_3genE8ELNS1_11target_archE1030ELNS1_3gpuE2ELNS1_3repE0EEENS1_30default_config_static_selectorELNS0_4arch9wavefront6targetE1EEEvSW_.num_agpr, 0
	.set _ZN7rocprim17ROCPRIM_400000_NS6detail17trampoline_kernelINS0_14default_configENS1_22reduce_config_selectorIlEEZNS1_11reduce_implILb1ES3_N6thrust23THRUST_200600_302600_NS11hip_rocprim26transform_input_iterator_tIlNS8_12zip_iteratorINS8_5tupleINS8_6detail15normal_iteratorINS8_10device_ptrIsEEEESH_NS8_9null_typeESI_SI_SI_SI_SI_SI_SI_EEEENS9_21zip_adj_not_predicateINS8_8equal_toIsEEEEEEPllNS8_4plusIlEEEE10hipError_tPvRmT1_T2_T3_mT4_P12ihipStream_tbEUlT_E0_NS1_11comp_targetILNS1_3genE8ELNS1_11target_archE1030ELNS1_3gpuE2ELNS1_3repE0EEENS1_30default_config_static_selectorELNS0_4arch9wavefront6targetE1EEEvSW_.numbered_sgpr, 0
	.set _ZN7rocprim17ROCPRIM_400000_NS6detail17trampoline_kernelINS0_14default_configENS1_22reduce_config_selectorIlEEZNS1_11reduce_implILb1ES3_N6thrust23THRUST_200600_302600_NS11hip_rocprim26transform_input_iterator_tIlNS8_12zip_iteratorINS8_5tupleINS8_6detail15normal_iteratorINS8_10device_ptrIsEEEESH_NS8_9null_typeESI_SI_SI_SI_SI_SI_SI_EEEENS9_21zip_adj_not_predicateINS8_8equal_toIsEEEEEEPllNS8_4plusIlEEEE10hipError_tPvRmT1_T2_T3_mT4_P12ihipStream_tbEUlT_E0_NS1_11comp_targetILNS1_3genE8ELNS1_11target_archE1030ELNS1_3gpuE2ELNS1_3repE0EEENS1_30default_config_static_selectorELNS0_4arch9wavefront6targetE1EEEvSW_.num_named_barrier, 0
	.set _ZN7rocprim17ROCPRIM_400000_NS6detail17trampoline_kernelINS0_14default_configENS1_22reduce_config_selectorIlEEZNS1_11reduce_implILb1ES3_N6thrust23THRUST_200600_302600_NS11hip_rocprim26transform_input_iterator_tIlNS8_12zip_iteratorINS8_5tupleINS8_6detail15normal_iteratorINS8_10device_ptrIsEEEESH_NS8_9null_typeESI_SI_SI_SI_SI_SI_SI_EEEENS9_21zip_adj_not_predicateINS8_8equal_toIsEEEEEEPllNS8_4plusIlEEEE10hipError_tPvRmT1_T2_T3_mT4_P12ihipStream_tbEUlT_E0_NS1_11comp_targetILNS1_3genE8ELNS1_11target_archE1030ELNS1_3gpuE2ELNS1_3repE0EEENS1_30default_config_static_selectorELNS0_4arch9wavefront6targetE1EEEvSW_.private_seg_size, 0
	.set _ZN7rocprim17ROCPRIM_400000_NS6detail17trampoline_kernelINS0_14default_configENS1_22reduce_config_selectorIlEEZNS1_11reduce_implILb1ES3_N6thrust23THRUST_200600_302600_NS11hip_rocprim26transform_input_iterator_tIlNS8_12zip_iteratorINS8_5tupleINS8_6detail15normal_iteratorINS8_10device_ptrIsEEEESH_NS8_9null_typeESI_SI_SI_SI_SI_SI_SI_EEEENS9_21zip_adj_not_predicateINS8_8equal_toIsEEEEEEPllNS8_4plusIlEEEE10hipError_tPvRmT1_T2_T3_mT4_P12ihipStream_tbEUlT_E0_NS1_11comp_targetILNS1_3genE8ELNS1_11target_archE1030ELNS1_3gpuE2ELNS1_3repE0EEENS1_30default_config_static_selectorELNS0_4arch9wavefront6targetE1EEEvSW_.uses_vcc, 0
	.set _ZN7rocprim17ROCPRIM_400000_NS6detail17trampoline_kernelINS0_14default_configENS1_22reduce_config_selectorIlEEZNS1_11reduce_implILb1ES3_N6thrust23THRUST_200600_302600_NS11hip_rocprim26transform_input_iterator_tIlNS8_12zip_iteratorINS8_5tupleINS8_6detail15normal_iteratorINS8_10device_ptrIsEEEESH_NS8_9null_typeESI_SI_SI_SI_SI_SI_SI_EEEENS9_21zip_adj_not_predicateINS8_8equal_toIsEEEEEEPllNS8_4plusIlEEEE10hipError_tPvRmT1_T2_T3_mT4_P12ihipStream_tbEUlT_E0_NS1_11comp_targetILNS1_3genE8ELNS1_11target_archE1030ELNS1_3gpuE2ELNS1_3repE0EEENS1_30default_config_static_selectorELNS0_4arch9wavefront6targetE1EEEvSW_.uses_flat_scratch, 0
	.set _ZN7rocprim17ROCPRIM_400000_NS6detail17trampoline_kernelINS0_14default_configENS1_22reduce_config_selectorIlEEZNS1_11reduce_implILb1ES3_N6thrust23THRUST_200600_302600_NS11hip_rocprim26transform_input_iterator_tIlNS8_12zip_iteratorINS8_5tupleINS8_6detail15normal_iteratorINS8_10device_ptrIsEEEESH_NS8_9null_typeESI_SI_SI_SI_SI_SI_SI_EEEENS9_21zip_adj_not_predicateINS8_8equal_toIsEEEEEEPllNS8_4plusIlEEEE10hipError_tPvRmT1_T2_T3_mT4_P12ihipStream_tbEUlT_E0_NS1_11comp_targetILNS1_3genE8ELNS1_11target_archE1030ELNS1_3gpuE2ELNS1_3repE0EEENS1_30default_config_static_selectorELNS0_4arch9wavefront6targetE1EEEvSW_.has_dyn_sized_stack, 0
	.set _ZN7rocprim17ROCPRIM_400000_NS6detail17trampoline_kernelINS0_14default_configENS1_22reduce_config_selectorIlEEZNS1_11reduce_implILb1ES3_N6thrust23THRUST_200600_302600_NS11hip_rocprim26transform_input_iterator_tIlNS8_12zip_iteratorINS8_5tupleINS8_6detail15normal_iteratorINS8_10device_ptrIsEEEESH_NS8_9null_typeESI_SI_SI_SI_SI_SI_SI_EEEENS9_21zip_adj_not_predicateINS8_8equal_toIsEEEEEEPllNS8_4plusIlEEEE10hipError_tPvRmT1_T2_T3_mT4_P12ihipStream_tbEUlT_E0_NS1_11comp_targetILNS1_3genE8ELNS1_11target_archE1030ELNS1_3gpuE2ELNS1_3repE0EEENS1_30default_config_static_selectorELNS0_4arch9wavefront6targetE1EEEvSW_.has_recursion, 0
	.set _ZN7rocprim17ROCPRIM_400000_NS6detail17trampoline_kernelINS0_14default_configENS1_22reduce_config_selectorIlEEZNS1_11reduce_implILb1ES3_N6thrust23THRUST_200600_302600_NS11hip_rocprim26transform_input_iterator_tIlNS8_12zip_iteratorINS8_5tupleINS8_6detail15normal_iteratorINS8_10device_ptrIsEEEESH_NS8_9null_typeESI_SI_SI_SI_SI_SI_SI_EEEENS9_21zip_adj_not_predicateINS8_8equal_toIsEEEEEEPllNS8_4plusIlEEEE10hipError_tPvRmT1_T2_T3_mT4_P12ihipStream_tbEUlT_E0_NS1_11comp_targetILNS1_3genE8ELNS1_11target_archE1030ELNS1_3gpuE2ELNS1_3repE0EEENS1_30default_config_static_selectorELNS0_4arch9wavefront6targetE1EEEvSW_.has_indirect_call, 0
	.section	.AMDGPU.csdata,"",@progbits
; Kernel info:
; codeLenInByte = 0
; TotalNumSgprs: 4
; NumVgprs: 0
; ScratchSize: 0
; MemoryBound: 0
; FloatMode: 240
; IeeeMode: 1
; LDSByteSize: 0 bytes/workgroup (compile time only)
; SGPRBlocks: 0
; VGPRBlocks: 0
; NumSGPRsForWavesPerEU: 4
; NumVGPRsForWavesPerEU: 1
; Occupancy: 10
; WaveLimiterHint : 0
; COMPUTE_PGM_RSRC2:SCRATCH_EN: 0
; COMPUTE_PGM_RSRC2:USER_SGPR: 6
; COMPUTE_PGM_RSRC2:TRAP_HANDLER: 0
; COMPUTE_PGM_RSRC2:TGID_X_EN: 1
; COMPUTE_PGM_RSRC2:TGID_Y_EN: 0
; COMPUTE_PGM_RSRC2:TGID_Z_EN: 0
; COMPUTE_PGM_RSRC2:TIDIG_COMP_CNT: 0
	.section	.text._ZN7rocprim17ROCPRIM_400000_NS6detail17trampoline_kernelINS0_14default_configENS1_22reduce_config_selectorIlEEZNS1_11reduce_implILb1ES3_N6thrust23THRUST_200600_302600_NS11hip_rocprim26transform_input_iterator_tIlNS8_12zip_iteratorINS8_5tupleINS8_6detail15normal_iteratorINS8_10device_ptrIsEEEESH_NS8_9null_typeESI_SI_SI_SI_SI_SI_SI_EEEENS9_21zip_adj_not_predicateINS8_8equal_toIsEEEEEEPllNS8_4plusIlEEEE10hipError_tPvRmT1_T2_T3_mT4_P12ihipStream_tbEUlT_E1_NS1_11comp_targetILNS1_3genE0ELNS1_11target_archE4294967295ELNS1_3gpuE0ELNS1_3repE0EEENS1_30default_config_static_selectorELNS0_4arch9wavefront6targetE1EEEvSW_,"axG",@progbits,_ZN7rocprim17ROCPRIM_400000_NS6detail17trampoline_kernelINS0_14default_configENS1_22reduce_config_selectorIlEEZNS1_11reduce_implILb1ES3_N6thrust23THRUST_200600_302600_NS11hip_rocprim26transform_input_iterator_tIlNS8_12zip_iteratorINS8_5tupleINS8_6detail15normal_iteratorINS8_10device_ptrIsEEEESH_NS8_9null_typeESI_SI_SI_SI_SI_SI_SI_EEEENS9_21zip_adj_not_predicateINS8_8equal_toIsEEEEEEPllNS8_4plusIlEEEE10hipError_tPvRmT1_T2_T3_mT4_P12ihipStream_tbEUlT_E1_NS1_11comp_targetILNS1_3genE0ELNS1_11target_archE4294967295ELNS1_3gpuE0ELNS1_3repE0EEENS1_30default_config_static_selectorELNS0_4arch9wavefront6targetE1EEEvSW_,comdat
	.protected	_ZN7rocprim17ROCPRIM_400000_NS6detail17trampoline_kernelINS0_14default_configENS1_22reduce_config_selectorIlEEZNS1_11reduce_implILb1ES3_N6thrust23THRUST_200600_302600_NS11hip_rocprim26transform_input_iterator_tIlNS8_12zip_iteratorINS8_5tupleINS8_6detail15normal_iteratorINS8_10device_ptrIsEEEESH_NS8_9null_typeESI_SI_SI_SI_SI_SI_SI_EEEENS9_21zip_adj_not_predicateINS8_8equal_toIsEEEEEEPllNS8_4plusIlEEEE10hipError_tPvRmT1_T2_T3_mT4_P12ihipStream_tbEUlT_E1_NS1_11comp_targetILNS1_3genE0ELNS1_11target_archE4294967295ELNS1_3gpuE0ELNS1_3repE0EEENS1_30default_config_static_selectorELNS0_4arch9wavefront6targetE1EEEvSW_ ; -- Begin function _ZN7rocprim17ROCPRIM_400000_NS6detail17trampoline_kernelINS0_14default_configENS1_22reduce_config_selectorIlEEZNS1_11reduce_implILb1ES3_N6thrust23THRUST_200600_302600_NS11hip_rocprim26transform_input_iterator_tIlNS8_12zip_iteratorINS8_5tupleINS8_6detail15normal_iteratorINS8_10device_ptrIsEEEESH_NS8_9null_typeESI_SI_SI_SI_SI_SI_SI_EEEENS9_21zip_adj_not_predicateINS8_8equal_toIsEEEEEEPllNS8_4plusIlEEEE10hipError_tPvRmT1_T2_T3_mT4_P12ihipStream_tbEUlT_E1_NS1_11comp_targetILNS1_3genE0ELNS1_11target_archE4294967295ELNS1_3gpuE0ELNS1_3repE0EEENS1_30default_config_static_selectorELNS0_4arch9wavefront6targetE1EEEvSW_
	.globl	_ZN7rocprim17ROCPRIM_400000_NS6detail17trampoline_kernelINS0_14default_configENS1_22reduce_config_selectorIlEEZNS1_11reduce_implILb1ES3_N6thrust23THRUST_200600_302600_NS11hip_rocprim26transform_input_iterator_tIlNS8_12zip_iteratorINS8_5tupleINS8_6detail15normal_iteratorINS8_10device_ptrIsEEEESH_NS8_9null_typeESI_SI_SI_SI_SI_SI_SI_EEEENS9_21zip_adj_not_predicateINS8_8equal_toIsEEEEEEPllNS8_4plusIlEEEE10hipError_tPvRmT1_T2_T3_mT4_P12ihipStream_tbEUlT_E1_NS1_11comp_targetILNS1_3genE0ELNS1_11target_archE4294967295ELNS1_3gpuE0ELNS1_3repE0EEENS1_30default_config_static_selectorELNS0_4arch9wavefront6targetE1EEEvSW_
	.p2align	8
	.type	_ZN7rocprim17ROCPRIM_400000_NS6detail17trampoline_kernelINS0_14default_configENS1_22reduce_config_selectorIlEEZNS1_11reduce_implILb1ES3_N6thrust23THRUST_200600_302600_NS11hip_rocprim26transform_input_iterator_tIlNS8_12zip_iteratorINS8_5tupleINS8_6detail15normal_iteratorINS8_10device_ptrIsEEEESH_NS8_9null_typeESI_SI_SI_SI_SI_SI_SI_EEEENS9_21zip_adj_not_predicateINS8_8equal_toIsEEEEEEPllNS8_4plusIlEEEE10hipError_tPvRmT1_T2_T3_mT4_P12ihipStream_tbEUlT_E1_NS1_11comp_targetILNS1_3genE0ELNS1_11target_archE4294967295ELNS1_3gpuE0ELNS1_3repE0EEENS1_30default_config_static_selectorELNS0_4arch9wavefront6targetE1EEEvSW_,@function
_ZN7rocprim17ROCPRIM_400000_NS6detail17trampoline_kernelINS0_14default_configENS1_22reduce_config_selectorIlEEZNS1_11reduce_implILb1ES3_N6thrust23THRUST_200600_302600_NS11hip_rocprim26transform_input_iterator_tIlNS8_12zip_iteratorINS8_5tupleINS8_6detail15normal_iteratorINS8_10device_ptrIsEEEESH_NS8_9null_typeESI_SI_SI_SI_SI_SI_SI_EEEENS9_21zip_adj_not_predicateINS8_8equal_toIsEEEEEEPllNS8_4plusIlEEEE10hipError_tPvRmT1_T2_T3_mT4_P12ihipStream_tbEUlT_E1_NS1_11comp_targetILNS1_3genE0ELNS1_11target_archE4294967295ELNS1_3gpuE0ELNS1_3repE0EEENS1_30default_config_static_selectorELNS0_4arch9wavefront6targetE1EEEvSW_: ; @_ZN7rocprim17ROCPRIM_400000_NS6detail17trampoline_kernelINS0_14default_configENS1_22reduce_config_selectorIlEEZNS1_11reduce_implILb1ES3_N6thrust23THRUST_200600_302600_NS11hip_rocprim26transform_input_iterator_tIlNS8_12zip_iteratorINS8_5tupleINS8_6detail15normal_iteratorINS8_10device_ptrIsEEEESH_NS8_9null_typeESI_SI_SI_SI_SI_SI_SI_EEEENS9_21zip_adj_not_predicateINS8_8equal_toIsEEEEEEPllNS8_4plusIlEEEE10hipError_tPvRmT1_T2_T3_mT4_P12ihipStream_tbEUlT_E1_NS1_11comp_targetILNS1_3genE0ELNS1_11target_archE4294967295ELNS1_3gpuE0ELNS1_3repE0EEENS1_30default_config_static_selectorELNS0_4arch9wavefront6targetE1EEEvSW_
; %bb.0:
	.section	.rodata,"a",@progbits
	.p2align	6, 0x0
	.amdhsa_kernel _ZN7rocprim17ROCPRIM_400000_NS6detail17trampoline_kernelINS0_14default_configENS1_22reduce_config_selectorIlEEZNS1_11reduce_implILb1ES3_N6thrust23THRUST_200600_302600_NS11hip_rocprim26transform_input_iterator_tIlNS8_12zip_iteratorINS8_5tupleINS8_6detail15normal_iteratorINS8_10device_ptrIsEEEESH_NS8_9null_typeESI_SI_SI_SI_SI_SI_SI_EEEENS9_21zip_adj_not_predicateINS8_8equal_toIsEEEEEEPllNS8_4plusIlEEEE10hipError_tPvRmT1_T2_T3_mT4_P12ihipStream_tbEUlT_E1_NS1_11comp_targetILNS1_3genE0ELNS1_11target_archE4294967295ELNS1_3gpuE0ELNS1_3repE0EEENS1_30default_config_static_selectorELNS0_4arch9wavefront6targetE1EEEvSW_
		.amdhsa_group_segment_fixed_size 0
		.amdhsa_private_segment_fixed_size 0
		.amdhsa_kernarg_size 64
		.amdhsa_user_sgpr_count 6
		.amdhsa_user_sgpr_private_segment_buffer 1
		.amdhsa_user_sgpr_dispatch_ptr 0
		.amdhsa_user_sgpr_queue_ptr 0
		.amdhsa_user_sgpr_kernarg_segment_ptr 1
		.amdhsa_user_sgpr_dispatch_id 0
		.amdhsa_user_sgpr_flat_scratch_init 0
		.amdhsa_user_sgpr_private_segment_size 0
		.amdhsa_uses_dynamic_stack 0
		.amdhsa_system_sgpr_private_segment_wavefront_offset 0
		.amdhsa_system_sgpr_workgroup_id_x 1
		.amdhsa_system_sgpr_workgroup_id_y 0
		.amdhsa_system_sgpr_workgroup_id_z 0
		.amdhsa_system_sgpr_workgroup_info 0
		.amdhsa_system_vgpr_workitem_id 0
		.amdhsa_next_free_vgpr 1
		.amdhsa_next_free_sgpr 0
		.amdhsa_reserve_vcc 0
		.amdhsa_reserve_flat_scratch 0
		.amdhsa_float_round_mode_32 0
		.amdhsa_float_round_mode_16_64 0
		.amdhsa_float_denorm_mode_32 3
		.amdhsa_float_denorm_mode_16_64 3
		.amdhsa_dx10_clamp 1
		.amdhsa_ieee_mode 1
		.amdhsa_fp16_overflow 0
		.amdhsa_exception_fp_ieee_invalid_op 0
		.amdhsa_exception_fp_denorm_src 0
		.amdhsa_exception_fp_ieee_div_zero 0
		.amdhsa_exception_fp_ieee_overflow 0
		.amdhsa_exception_fp_ieee_underflow 0
		.amdhsa_exception_fp_ieee_inexact 0
		.amdhsa_exception_int_div_zero 0
	.end_amdhsa_kernel
	.section	.text._ZN7rocprim17ROCPRIM_400000_NS6detail17trampoline_kernelINS0_14default_configENS1_22reduce_config_selectorIlEEZNS1_11reduce_implILb1ES3_N6thrust23THRUST_200600_302600_NS11hip_rocprim26transform_input_iterator_tIlNS8_12zip_iteratorINS8_5tupleINS8_6detail15normal_iteratorINS8_10device_ptrIsEEEESH_NS8_9null_typeESI_SI_SI_SI_SI_SI_SI_EEEENS9_21zip_adj_not_predicateINS8_8equal_toIsEEEEEEPllNS8_4plusIlEEEE10hipError_tPvRmT1_T2_T3_mT4_P12ihipStream_tbEUlT_E1_NS1_11comp_targetILNS1_3genE0ELNS1_11target_archE4294967295ELNS1_3gpuE0ELNS1_3repE0EEENS1_30default_config_static_selectorELNS0_4arch9wavefront6targetE1EEEvSW_,"axG",@progbits,_ZN7rocprim17ROCPRIM_400000_NS6detail17trampoline_kernelINS0_14default_configENS1_22reduce_config_selectorIlEEZNS1_11reduce_implILb1ES3_N6thrust23THRUST_200600_302600_NS11hip_rocprim26transform_input_iterator_tIlNS8_12zip_iteratorINS8_5tupleINS8_6detail15normal_iteratorINS8_10device_ptrIsEEEESH_NS8_9null_typeESI_SI_SI_SI_SI_SI_SI_EEEENS9_21zip_adj_not_predicateINS8_8equal_toIsEEEEEEPllNS8_4plusIlEEEE10hipError_tPvRmT1_T2_T3_mT4_P12ihipStream_tbEUlT_E1_NS1_11comp_targetILNS1_3genE0ELNS1_11target_archE4294967295ELNS1_3gpuE0ELNS1_3repE0EEENS1_30default_config_static_selectorELNS0_4arch9wavefront6targetE1EEEvSW_,comdat
.Lfunc_end1004:
	.size	_ZN7rocprim17ROCPRIM_400000_NS6detail17trampoline_kernelINS0_14default_configENS1_22reduce_config_selectorIlEEZNS1_11reduce_implILb1ES3_N6thrust23THRUST_200600_302600_NS11hip_rocprim26transform_input_iterator_tIlNS8_12zip_iteratorINS8_5tupleINS8_6detail15normal_iteratorINS8_10device_ptrIsEEEESH_NS8_9null_typeESI_SI_SI_SI_SI_SI_SI_EEEENS9_21zip_adj_not_predicateINS8_8equal_toIsEEEEEEPllNS8_4plusIlEEEE10hipError_tPvRmT1_T2_T3_mT4_P12ihipStream_tbEUlT_E1_NS1_11comp_targetILNS1_3genE0ELNS1_11target_archE4294967295ELNS1_3gpuE0ELNS1_3repE0EEENS1_30default_config_static_selectorELNS0_4arch9wavefront6targetE1EEEvSW_, .Lfunc_end1004-_ZN7rocprim17ROCPRIM_400000_NS6detail17trampoline_kernelINS0_14default_configENS1_22reduce_config_selectorIlEEZNS1_11reduce_implILb1ES3_N6thrust23THRUST_200600_302600_NS11hip_rocprim26transform_input_iterator_tIlNS8_12zip_iteratorINS8_5tupleINS8_6detail15normal_iteratorINS8_10device_ptrIsEEEESH_NS8_9null_typeESI_SI_SI_SI_SI_SI_SI_EEEENS9_21zip_adj_not_predicateINS8_8equal_toIsEEEEEEPllNS8_4plusIlEEEE10hipError_tPvRmT1_T2_T3_mT4_P12ihipStream_tbEUlT_E1_NS1_11comp_targetILNS1_3genE0ELNS1_11target_archE4294967295ELNS1_3gpuE0ELNS1_3repE0EEENS1_30default_config_static_selectorELNS0_4arch9wavefront6targetE1EEEvSW_
                                        ; -- End function
	.set _ZN7rocprim17ROCPRIM_400000_NS6detail17trampoline_kernelINS0_14default_configENS1_22reduce_config_selectorIlEEZNS1_11reduce_implILb1ES3_N6thrust23THRUST_200600_302600_NS11hip_rocprim26transform_input_iterator_tIlNS8_12zip_iteratorINS8_5tupleINS8_6detail15normal_iteratorINS8_10device_ptrIsEEEESH_NS8_9null_typeESI_SI_SI_SI_SI_SI_SI_EEEENS9_21zip_adj_not_predicateINS8_8equal_toIsEEEEEEPllNS8_4plusIlEEEE10hipError_tPvRmT1_T2_T3_mT4_P12ihipStream_tbEUlT_E1_NS1_11comp_targetILNS1_3genE0ELNS1_11target_archE4294967295ELNS1_3gpuE0ELNS1_3repE0EEENS1_30default_config_static_selectorELNS0_4arch9wavefront6targetE1EEEvSW_.num_vgpr, 0
	.set _ZN7rocprim17ROCPRIM_400000_NS6detail17trampoline_kernelINS0_14default_configENS1_22reduce_config_selectorIlEEZNS1_11reduce_implILb1ES3_N6thrust23THRUST_200600_302600_NS11hip_rocprim26transform_input_iterator_tIlNS8_12zip_iteratorINS8_5tupleINS8_6detail15normal_iteratorINS8_10device_ptrIsEEEESH_NS8_9null_typeESI_SI_SI_SI_SI_SI_SI_EEEENS9_21zip_adj_not_predicateINS8_8equal_toIsEEEEEEPllNS8_4plusIlEEEE10hipError_tPvRmT1_T2_T3_mT4_P12ihipStream_tbEUlT_E1_NS1_11comp_targetILNS1_3genE0ELNS1_11target_archE4294967295ELNS1_3gpuE0ELNS1_3repE0EEENS1_30default_config_static_selectorELNS0_4arch9wavefront6targetE1EEEvSW_.num_agpr, 0
	.set _ZN7rocprim17ROCPRIM_400000_NS6detail17trampoline_kernelINS0_14default_configENS1_22reduce_config_selectorIlEEZNS1_11reduce_implILb1ES3_N6thrust23THRUST_200600_302600_NS11hip_rocprim26transform_input_iterator_tIlNS8_12zip_iteratorINS8_5tupleINS8_6detail15normal_iteratorINS8_10device_ptrIsEEEESH_NS8_9null_typeESI_SI_SI_SI_SI_SI_SI_EEEENS9_21zip_adj_not_predicateINS8_8equal_toIsEEEEEEPllNS8_4plusIlEEEE10hipError_tPvRmT1_T2_T3_mT4_P12ihipStream_tbEUlT_E1_NS1_11comp_targetILNS1_3genE0ELNS1_11target_archE4294967295ELNS1_3gpuE0ELNS1_3repE0EEENS1_30default_config_static_selectorELNS0_4arch9wavefront6targetE1EEEvSW_.numbered_sgpr, 0
	.set _ZN7rocprim17ROCPRIM_400000_NS6detail17trampoline_kernelINS0_14default_configENS1_22reduce_config_selectorIlEEZNS1_11reduce_implILb1ES3_N6thrust23THRUST_200600_302600_NS11hip_rocprim26transform_input_iterator_tIlNS8_12zip_iteratorINS8_5tupleINS8_6detail15normal_iteratorINS8_10device_ptrIsEEEESH_NS8_9null_typeESI_SI_SI_SI_SI_SI_SI_EEEENS9_21zip_adj_not_predicateINS8_8equal_toIsEEEEEEPllNS8_4plusIlEEEE10hipError_tPvRmT1_T2_T3_mT4_P12ihipStream_tbEUlT_E1_NS1_11comp_targetILNS1_3genE0ELNS1_11target_archE4294967295ELNS1_3gpuE0ELNS1_3repE0EEENS1_30default_config_static_selectorELNS0_4arch9wavefront6targetE1EEEvSW_.num_named_barrier, 0
	.set _ZN7rocprim17ROCPRIM_400000_NS6detail17trampoline_kernelINS0_14default_configENS1_22reduce_config_selectorIlEEZNS1_11reduce_implILb1ES3_N6thrust23THRUST_200600_302600_NS11hip_rocprim26transform_input_iterator_tIlNS8_12zip_iteratorINS8_5tupleINS8_6detail15normal_iteratorINS8_10device_ptrIsEEEESH_NS8_9null_typeESI_SI_SI_SI_SI_SI_SI_EEEENS9_21zip_adj_not_predicateINS8_8equal_toIsEEEEEEPllNS8_4plusIlEEEE10hipError_tPvRmT1_T2_T3_mT4_P12ihipStream_tbEUlT_E1_NS1_11comp_targetILNS1_3genE0ELNS1_11target_archE4294967295ELNS1_3gpuE0ELNS1_3repE0EEENS1_30default_config_static_selectorELNS0_4arch9wavefront6targetE1EEEvSW_.private_seg_size, 0
	.set _ZN7rocprim17ROCPRIM_400000_NS6detail17trampoline_kernelINS0_14default_configENS1_22reduce_config_selectorIlEEZNS1_11reduce_implILb1ES3_N6thrust23THRUST_200600_302600_NS11hip_rocprim26transform_input_iterator_tIlNS8_12zip_iteratorINS8_5tupleINS8_6detail15normal_iteratorINS8_10device_ptrIsEEEESH_NS8_9null_typeESI_SI_SI_SI_SI_SI_SI_EEEENS9_21zip_adj_not_predicateINS8_8equal_toIsEEEEEEPllNS8_4plusIlEEEE10hipError_tPvRmT1_T2_T3_mT4_P12ihipStream_tbEUlT_E1_NS1_11comp_targetILNS1_3genE0ELNS1_11target_archE4294967295ELNS1_3gpuE0ELNS1_3repE0EEENS1_30default_config_static_selectorELNS0_4arch9wavefront6targetE1EEEvSW_.uses_vcc, 0
	.set _ZN7rocprim17ROCPRIM_400000_NS6detail17trampoline_kernelINS0_14default_configENS1_22reduce_config_selectorIlEEZNS1_11reduce_implILb1ES3_N6thrust23THRUST_200600_302600_NS11hip_rocprim26transform_input_iterator_tIlNS8_12zip_iteratorINS8_5tupleINS8_6detail15normal_iteratorINS8_10device_ptrIsEEEESH_NS8_9null_typeESI_SI_SI_SI_SI_SI_SI_EEEENS9_21zip_adj_not_predicateINS8_8equal_toIsEEEEEEPllNS8_4plusIlEEEE10hipError_tPvRmT1_T2_T3_mT4_P12ihipStream_tbEUlT_E1_NS1_11comp_targetILNS1_3genE0ELNS1_11target_archE4294967295ELNS1_3gpuE0ELNS1_3repE0EEENS1_30default_config_static_selectorELNS0_4arch9wavefront6targetE1EEEvSW_.uses_flat_scratch, 0
	.set _ZN7rocprim17ROCPRIM_400000_NS6detail17trampoline_kernelINS0_14default_configENS1_22reduce_config_selectorIlEEZNS1_11reduce_implILb1ES3_N6thrust23THRUST_200600_302600_NS11hip_rocprim26transform_input_iterator_tIlNS8_12zip_iteratorINS8_5tupleINS8_6detail15normal_iteratorINS8_10device_ptrIsEEEESH_NS8_9null_typeESI_SI_SI_SI_SI_SI_SI_EEEENS9_21zip_adj_not_predicateINS8_8equal_toIsEEEEEEPllNS8_4plusIlEEEE10hipError_tPvRmT1_T2_T3_mT4_P12ihipStream_tbEUlT_E1_NS1_11comp_targetILNS1_3genE0ELNS1_11target_archE4294967295ELNS1_3gpuE0ELNS1_3repE0EEENS1_30default_config_static_selectorELNS0_4arch9wavefront6targetE1EEEvSW_.has_dyn_sized_stack, 0
	.set _ZN7rocprim17ROCPRIM_400000_NS6detail17trampoline_kernelINS0_14default_configENS1_22reduce_config_selectorIlEEZNS1_11reduce_implILb1ES3_N6thrust23THRUST_200600_302600_NS11hip_rocprim26transform_input_iterator_tIlNS8_12zip_iteratorINS8_5tupleINS8_6detail15normal_iteratorINS8_10device_ptrIsEEEESH_NS8_9null_typeESI_SI_SI_SI_SI_SI_SI_EEEENS9_21zip_adj_not_predicateINS8_8equal_toIsEEEEEEPllNS8_4plusIlEEEE10hipError_tPvRmT1_T2_T3_mT4_P12ihipStream_tbEUlT_E1_NS1_11comp_targetILNS1_3genE0ELNS1_11target_archE4294967295ELNS1_3gpuE0ELNS1_3repE0EEENS1_30default_config_static_selectorELNS0_4arch9wavefront6targetE1EEEvSW_.has_recursion, 0
	.set _ZN7rocprim17ROCPRIM_400000_NS6detail17trampoline_kernelINS0_14default_configENS1_22reduce_config_selectorIlEEZNS1_11reduce_implILb1ES3_N6thrust23THRUST_200600_302600_NS11hip_rocprim26transform_input_iterator_tIlNS8_12zip_iteratorINS8_5tupleINS8_6detail15normal_iteratorINS8_10device_ptrIsEEEESH_NS8_9null_typeESI_SI_SI_SI_SI_SI_SI_EEEENS9_21zip_adj_not_predicateINS8_8equal_toIsEEEEEEPllNS8_4plusIlEEEE10hipError_tPvRmT1_T2_T3_mT4_P12ihipStream_tbEUlT_E1_NS1_11comp_targetILNS1_3genE0ELNS1_11target_archE4294967295ELNS1_3gpuE0ELNS1_3repE0EEENS1_30default_config_static_selectorELNS0_4arch9wavefront6targetE1EEEvSW_.has_indirect_call, 0
	.section	.AMDGPU.csdata,"",@progbits
; Kernel info:
; codeLenInByte = 0
; TotalNumSgprs: 4
; NumVgprs: 0
; ScratchSize: 0
; MemoryBound: 0
; FloatMode: 240
; IeeeMode: 1
; LDSByteSize: 0 bytes/workgroup (compile time only)
; SGPRBlocks: 0
; VGPRBlocks: 0
; NumSGPRsForWavesPerEU: 4
; NumVGPRsForWavesPerEU: 1
; Occupancy: 10
; WaveLimiterHint : 0
; COMPUTE_PGM_RSRC2:SCRATCH_EN: 0
; COMPUTE_PGM_RSRC2:USER_SGPR: 6
; COMPUTE_PGM_RSRC2:TRAP_HANDLER: 0
; COMPUTE_PGM_RSRC2:TGID_X_EN: 1
; COMPUTE_PGM_RSRC2:TGID_Y_EN: 0
; COMPUTE_PGM_RSRC2:TGID_Z_EN: 0
; COMPUTE_PGM_RSRC2:TIDIG_COMP_CNT: 0
	.section	.text._ZN7rocprim17ROCPRIM_400000_NS6detail17trampoline_kernelINS0_14default_configENS1_22reduce_config_selectorIlEEZNS1_11reduce_implILb1ES3_N6thrust23THRUST_200600_302600_NS11hip_rocprim26transform_input_iterator_tIlNS8_12zip_iteratorINS8_5tupleINS8_6detail15normal_iteratorINS8_10device_ptrIsEEEESH_NS8_9null_typeESI_SI_SI_SI_SI_SI_SI_EEEENS9_21zip_adj_not_predicateINS8_8equal_toIsEEEEEEPllNS8_4plusIlEEEE10hipError_tPvRmT1_T2_T3_mT4_P12ihipStream_tbEUlT_E1_NS1_11comp_targetILNS1_3genE5ELNS1_11target_archE942ELNS1_3gpuE9ELNS1_3repE0EEENS1_30default_config_static_selectorELNS0_4arch9wavefront6targetE1EEEvSW_,"axG",@progbits,_ZN7rocprim17ROCPRIM_400000_NS6detail17trampoline_kernelINS0_14default_configENS1_22reduce_config_selectorIlEEZNS1_11reduce_implILb1ES3_N6thrust23THRUST_200600_302600_NS11hip_rocprim26transform_input_iterator_tIlNS8_12zip_iteratorINS8_5tupleINS8_6detail15normal_iteratorINS8_10device_ptrIsEEEESH_NS8_9null_typeESI_SI_SI_SI_SI_SI_SI_EEEENS9_21zip_adj_not_predicateINS8_8equal_toIsEEEEEEPllNS8_4plusIlEEEE10hipError_tPvRmT1_T2_T3_mT4_P12ihipStream_tbEUlT_E1_NS1_11comp_targetILNS1_3genE5ELNS1_11target_archE942ELNS1_3gpuE9ELNS1_3repE0EEENS1_30default_config_static_selectorELNS0_4arch9wavefront6targetE1EEEvSW_,comdat
	.protected	_ZN7rocprim17ROCPRIM_400000_NS6detail17trampoline_kernelINS0_14default_configENS1_22reduce_config_selectorIlEEZNS1_11reduce_implILb1ES3_N6thrust23THRUST_200600_302600_NS11hip_rocprim26transform_input_iterator_tIlNS8_12zip_iteratorINS8_5tupleINS8_6detail15normal_iteratorINS8_10device_ptrIsEEEESH_NS8_9null_typeESI_SI_SI_SI_SI_SI_SI_EEEENS9_21zip_adj_not_predicateINS8_8equal_toIsEEEEEEPllNS8_4plusIlEEEE10hipError_tPvRmT1_T2_T3_mT4_P12ihipStream_tbEUlT_E1_NS1_11comp_targetILNS1_3genE5ELNS1_11target_archE942ELNS1_3gpuE9ELNS1_3repE0EEENS1_30default_config_static_selectorELNS0_4arch9wavefront6targetE1EEEvSW_ ; -- Begin function _ZN7rocprim17ROCPRIM_400000_NS6detail17trampoline_kernelINS0_14default_configENS1_22reduce_config_selectorIlEEZNS1_11reduce_implILb1ES3_N6thrust23THRUST_200600_302600_NS11hip_rocprim26transform_input_iterator_tIlNS8_12zip_iteratorINS8_5tupleINS8_6detail15normal_iteratorINS8_10device_ptrIsEEEESH_NS8_9null_typeESI_SI_SI_SI_SI_SI_SI_EEEENS9_21zip_adj_not_predicateINS8_8equal_toIsEEEEEEPllNS8_4plusIlEEEE10hipError_tPvRmT1_T2_T3_mT4_P12ihipStream_tbEUlT_E1_NS1_11comp_targetILNS1_3genE5ELNS1_11target_archE942ELNS1_3gpuE9ELNS1_3repE0EEENS1_30default_config_static_selectorELNS0_4arch9wavefront6targetE1EEEvSW_
	.globl	_ZN7rocprim17ROCPRIM_400000_NS6detail17trampoline_kernelINS0_14default_configENS1_22reduce_config_selectorIlEEZNS1_11reduce_implILb1ES3_N6thrust23THRUST_200600_302600_NS11hip_rocprim26transform_input_iterator_tIlNS8_12zip_iteratorINS8_5tupleINS8_6detail15normal_iteratorINS8_10device_ptrIsEEEESH_NS8_9null_typeESI_SI_SI_SI_SI_SI_SI_EEEENS9_21zip_adj_not_predicateINS8_8equal_toIsEEEEEEPllNS8_4plusIlEEEE10hipError_tPvRmT1_T2_T3_mT4_P12ihipStream_tbEUlT_E1_NS1_11comp_targetILNS1_3genE5ELNS1_11target_archE942ELNS1_3gpuE9ELNS1_3repE0EEENS1_30default_config_static_selectorELNS0_4arch9wavefront6targetE1EEEvSW_
	.p2align	8
	.type	_ZN7rocprim17ROCPRIM_400000_NS6detail17trampoline_kernelINS0_14default_configENS1_22reduce_config_selectorIlEEZNS1_11reduce_implILb1ES3_N6thrust23THRUST_200600_302600_NS11hip_rocprim26transform_input_iterator_tIlNS8_12zip_iteratorINS8_5tupleINS8_6detail15normal_iteratorINS8_10device_ptrIsEEEESH_NS8_9null_typeESI_SI_SI_SI_SI_SI_SI_EEEENS9_21zip_adj_not_predicateINS8_8equal_toIsEEEEEEPllNS8_4plusIlEEEE10hipError_tPvRmT1_T2_T3_mT4_P12ihipStream_tbEUlT_E1_NS1_11comp_targetILNS1_3genE5ELNS1_11target_archE942ELNS1_3gpuE9ELNS1_3repE0EEENS1_30default_config_static_selectorELNS0_4arch9wavefront6targetE1EEEvSW_,@function
_ZN7rocprim17ROCPRIM_400000_NS6detail17trampoline_kernelINS0_14default_configENS1_22reduce_config_selectorIlEEZNS1_11reduce_implILb1ES3_N6thrust23THRUST_200600_302600_NS11hip_rocprim26transform_input_iterator_tIlNS8_12zip_iteratorINS8_5tupleINS8_6detail15normal_iteratorINS8_10device_ptrIsEEEESH_NS8_9null_typeESI_SI_SI_SI_SI_SI_SI_EEEENS9_21zip_adj_not_predicateINS8_8equal_toIsEEEEEEPllNS8_4plusIlEEEE10hipError_tPvRmT1_T2_T3_mT4_P12ihipStream_tbEUlT_E1_NS1_11comp_targetILNS1_3genE5ELNS1_11target_archE942ELNS1_3gpuE9ELNS1_3repE0EEENS1_30default_config_static_selectorELNS0_4arch9wavefront6targetE1EEEvSW_: ; @_ZN7rocprim17ROCPRIM_400000_NS6detail17trampoline_kernelINS0_14default_configENS1_22reduce_config_selectorIlEEZNS1_11reduce_implILb1ES3_N6thrust23THRUST_200600_302600_NS11hip_rocprim26transform_input_iterator_tIlNS8_12zip_iteratorINS8_5tupleINS8_6detail15normal_iteratorINS8_10device_ptrIsEEEESH_NS8_9null_typeESI_SI_SI_SI_SI_SI_SI_EEEENS9_21zip_adj_not_predicateINS8_8equal_toIsEEEEEEPllNS8_4plusIlEEEE10hipError_tPvRmT1_T2_T3_mT4_P12ihipStream_tbEUlT_E1_NS1_11comp_targetILNS1_3genE5ELNS1_11target_archE942ELNS1_3gpuE9ELNS1_3repE0EEENS1_30default_config_static_selectorELNS0_4arch9wavefront6targetE1EEEvSW_
; %bb.0:
	.section	.rodata,"a",@progbits
	.p2align	6, 0x0
	.amdhsa_kernel _ZN7rocprim17ROCPRIM_400000_NS6detail17trampoline_kernelINS0_14default_configENS1_22reduce_config_selectorIlEEZNS1_11reduce_implILb1ES3_N6thrust23THRUST_200600_302600_NS11hip_rocprim26transform_input_iterator_tIlNS8_12zip_iteratorINS8_5tupleINS8_6detail15normal_iteratorINS8_10device_ptrIsEEEESH_NS8_9null_typeESI_SI_SI_SI_SI_SI_SI_EEEENS9_21zip_adj_not_predicateINS8_8equal_toIsEEEEEEPllNS8_4plusIlEEEE10hipError_tPvRmT1_T2_T3_mT4_P12ihipStream_tbEUlT_E1_NS1_11comp_targetILNS1_3genE5ELNS1_11target_archE942ELNS1_3gpuE9ELNS1_3repE0EEENS1_30default_config_static_selectorELNS0_4arch9wavefront6targetE1EEEvSW_
		.amdhsa_group_segment_fixed_size 0
		.amdhsa_private_segment_fixed_size 0
		.amdhsa_kernarg_size 64
		.amdhsa_user_sgpr_count 6
		.amdhsa_user_sgpr_private_segment_buffer 1
		.amdhsa_user_sgpr_dispatch_ptr 0
		.amdhsa_user_sgpr_queue_ptr 0
		.amdhsa_user_sgpr_kernarg_segment_ptr 1
		.amdhsa_user_sgpr_dispatch_id 0
		.amdhsa_user_sgpr_flat_scratch_init 0
		.amdhsa_user_sgpr_private_segment_size 0
		.amdhsa_uses_dynamic_stack 0
		.amdhsa_system_sgpr_private_segment_wavefront_offset 0
		.amdhsa_system_sgpr_workgroup_id_x 1
		.amdhsa_system_sgpr_workgroup_id_y 0
		.amdhsa_system_sgpr_workgroup_id_z 0
		.amdhsa_system_sgpr_workgroup_info 0
		.amdhsa_system_vgpr_workitem_id 0
		.amdhsa_next_free_vgpr 1
		.amdhsa_next_free_sgpr 0
		.amdhsa_reserve_vcc 0
		.amdhsa_reserve_flat_scratch 0
		.amdhsa_float_round_mode_32 0
		.amdhsa_float_round_mode_16_64 0
		.amdhsa_float_denorm_mode_32 3
		.amdhsa_float_denorm_mode_16_64 3
		.amdhsa_dx10_clamp 1
		.amdhsa_ieee_mode 1
		.amdhsa_fp16_overflow 0
		.amdhsa_exception_fp_ieee_invalid_op 0
		.amdhsa_exception_fp_denorm_src 0
		.amdhsa_exception_fp_ieee_div_zero 0
		.amdhsa_exception_fp_ieee_overflow 0
		.amdhsa_exception_fp_ieee_underflow 0
		.amdhsa_exception_fp_ieee_inexact 0
		.amdhsa_exception_int_div_zero 0
	.end_amdhsa_kernel
	.section	.text._ZN7rocprim17ROCPRIM_400000_NS6detail17trampoline_kernelINS0_14default_configENS1_22reduce_config_selectorIlEEZNS1_11reduce_implILb1ES3_N6thrust23THRUST_200600_302600_NS11hip_rocprim26transform_input_iterator_tIlNS8_12zip_iteratorINS8_5tupleINS8_6detail15normal_iteratorINS8_10device_ptrIsEEEESH_NS8_9null_typeESI_SI_SI_SI_SI_SI_SI_EEEENS9_21zip_adj_not_predicateINS8_8equal_toIsEEEEEEPllNS8_4plusIlEEEE10hipError_tPvRmT1_T2_T3_mT4_P12ihipStream_tbEUlT_E1_NS1_11comp_targetILNS1_3genE5ELNS1_11target_archE942ELNS1_3gpuE9ELNS1_3repE0EEENS1_30default_config_static_selectorELNS0_4arch9wavefront6targetE1EEEvSW_,"axG",@progbits,_ZN7rocprim17ROCPRIM_400000_NS6detail17trampoline_kernelINS0_14default_configENS1_22reduce_config_selectorIlEEZNS1_11reduce_implILb1ES3_N6thrust23THRUST_200600_302600_NS11hip_rocprim26transform_input_iterator_tIlNS8_12zip_iteratorINS8_5tupleINS8_6detail15normal_iteratorINS8_10device_ptrIsEEEESH_NS8_9null_typeESI_SI_SI_SI_SI_SI_SI_EEEENS9_21zip_adj_not_predicateINS8_8equal_toIsEEEEEEPllNS8_4plusIlEEEE10hipError_tPvRmT1_T2_T3_mT4_P12ihipStream_tbEUlT_E1_NS1_11comp_targetILNS1_3genE5ELNS1_11target_archE942ELNS1_3gpuE9ELNS1_3repE0EEENS1_30default_config_static_selectorELNS0_4arch9wavefront6targetE1EEEvSW_,comdat
.Lfunc_end1005:
	.size	_ZN7rocprim17ROCPRIM_400000_NS6detail17trampoline_kernelINS0_14default_configENS1_22reduce_config_selectorIlEEZNS1_11reduce_implILb1ES3_N6thrust23THRUST_200600_302600_NS11hip_rocprim26transform_input_iterator_tIlNS8_12zip_iteratorINS8_5tupleINS8_6detail15normal_iteratorINS8_10device_ptrIsEEEESH_NS8_9null_typeESI_SI_SI_SI_SI_SI_SI_EEEENS9_21zip_adj_not_predicateINS8_8equal_toIsEEEEEEPllNS8_4plusIlEEEE10hipError_tPvRmT1_T2_T3_mT4_P12ihipStream_tbEUlT_E1_NS1_11comp_targetILNS1_3genE5ELNS1_11target_archE942ELNS1_3gpuE9ELNS1_3repE0EEENS1_30default_config_static_selectorELNS0_4arch9wavefront6targetE1EEEvSW_, .Lfunc_end1005-_ZN7rocprim17ROCPRIM_400000_NS6detail17trampoline_kernelINS0_14default_configENS1_22reduce_config_selectorIlEEZNS1_11reduce_implILb1ES3_N6thrust23THRUST_200600_302600_NS11hip_rocprim26transform_input_iterator_tIlNS8_12zip_iteratorINS8_5tupleINS8_6detail15normal_iteratorINS8_10device_ptrIsEEEESH_NS8_9null_typeESI_SI_SI_SI_SI_SI_SI_EEEENS9_21zip_adj_not_predicateINS8_8equal_toIsEEEEEEPllNS8_4plusIlEEEE10hipError_tPvRmT1_T2_T3_mT4_P12ihipStream_tbEUlT_E1_NS1_11comp_targetILNS1_3genE5ELNS1_11target_archE942ELNS1_3gpuE9ELNS1_3repE0EEENS1_30default_config_static_selectorELNS0_4arch9wavefront6targetE1EEEvSW_
                                        ; -- End function
	.set _ZN7rocprim17ROCPRIM_400000_NS6detail17trampoline_kernelINS0_14default_configENS1_22reduce_config_selectorIlEEZNS1_11reduce_implILb1ES3_N6thrust23THRUST_200600_302600_NS11hip_rocprim26transform_input_iterator_tIlNS8_12zip_iteratorINS8_5tupleINS8_6detail15normal_iteratorINS8_10device_ptrIsEEEESH_NS8_9null_typeESI_SI_SI_SI_SI_SI_SI_EEEENS9_21zip_adj_not_predicateINS8_8equal_toIsEEEEEEPllNS8_4plusIlEEEE10hipError_tPvRmT1_T2_T3_mT4_P12ihipStream_tbEUlT_E1_NS1_11comp_targetILNS1_3genE5ELNS1_11target_archE942ELNS1_3gpuE9ELNS1_3repE0EEENS1_30default_config_static_selectorELNS0_4arch9wavefront6targetE1EEEvSW_.num_vgpr, 0
	.set _ZN7rocprim17ROCPRIM_400000_NS6detail17trampoline_kernelINS0_14default_configENS1_22reduce_config_selectorIlEEZNS1_11reduce_implILb1ES3_N6thrust23THRUST_200600_302600_NS11hip_rocprim26transform_input_iterator_tIlNS8_12zip_iteratorINS8_5tupleINS8_6detail15normal_iteratorINS8_10device_ptrIsEEEESH_NS8_9null_typeESI_SI_SI_SI_SI_SI_SI_EEEENS9_21zip_adj_not_predicateINS8_8equal_toIsEEEEEEPllNS8_4plusIlEEEE10hipError_tPvRmT1_T2_T3_mT4_P12ihipStream_tbEUlT_E1_NS1_11comp_targetILNS1_3genE5ELNS1_11target_archE942ELNS1_3gpuE9ELNS1_3repE0EEENS1_30default_config_static_selectorELNS0_4arch9wavefront6targetE1EEEvSW_.num_agpr, 0
	.set _ZN7rocprim17ROCPRIM_400000_NS6detail17trampoline_kernelINS0_14default_configENS1_22reduce_config_selectorIlEEZNS1_11reduce_implILb1ES3_N6thrust23THRUST_200600_302600_NS11hip_rocprim26transform_input_iterator_tIlNS8_12zip_iteratorINS8_5tupleINS8_6detail15normal_iteratorINS8_10device_ptrIsEEEESH_NS8_9null_typeESI_SI_SI_SI_SI_SI_SI_EEEENS9_21zip_adj_not_predicateINS8_8equal_toIsEEEEEEPllNS8_4plusIlEEEE10hipError_tPvRmT1_T2_T3_mT4_P12ihipStream_tbEUlT_E1_NS1_11comp_targetILNS1_3genE5ELNS1_11target_archE942ELNS1_3gpuE9ELNS1_3repE0EEENS1_30default_config_static_selectorELNS0_4arch9wavefront6targetE1EEEvSW_.numbered_sgpr, 0
	.set _ZN7rocprim17ROCPRIM_400000_NS6detail17trampoline_kernelINS0_14default_configENS1_22reduce_config_selectorIlEEZNS1_11reduce_implILb1ES3_N6thrust23THRUST_200600_302600_NS11hip_rocprim26transform_input_iterator_tIlNS8_12zip_iteratorINS8_5tupleINS8_6detail15normal_iteratorINS8_10device_ptrIsEEEESH_NS8_9null_typeESI_SI_SI_SI_SI_SI_SI_EEEENS9_21zip_adj_not_predicateINS8_8equal_toIsEEEEEEPllNS8_4plusIlEEEE10hipError_tPvRmT1_T2_T3_mT4_P12ihipStream_tbEUlT_E1_NS1_11comp_targetILNS1_3genE5ELNS1_11target_archE942ELNS1_3gpuE9ELNS1_3repE0EEENS1_30default_config_static_selectorELNS0_4arch9wavefront6targetE1EEEvSW_.num_named_barrier, 0
	.set _ZN7rocprim17ROCPRIM_400000_NS6detail17trampoline_kernelINS0_14default_configENS1_22reduce_config_selectorIlEEZNS1_11reduce_implILb1ES3_N6thrust23THRUST_200600_302600_NS11hip_rocprim26transform_input_iterator_tIlNS8_12zip_iteratorINS8_5tupleINS8_6detail15normal_iteratorINS8_10device_ptrIsEEEESH_NS8_9null_typeESI_SI_SI_SI_SI_SI_SI_EEEENS9_21zip_adj_not_predicateINS8_8equal_toIsEEEEEEPllNS8_4plusIlEEEE10hipError_tPvRmT1_T2_T3_mT4_P12ihipStream_tbEUlT_E1_NS1_11comp_targetILNS1_3genE5ELNS1_11target_archE942ELNS1_3gpuE9ELNS1_3repE0EEENS1_30default_config_static_selectorELNS0_4arch9wavefront6targetE1EEEvSW_.private_seg_size, 0
	.set _ZN7rocprim17ROCPRIM_400000_NS6detail17trampoline_kernelINS0_14default_configENS1_22reduce_config_selectorIlEEZNS1_11reduce_implILb1ES3_N6thrust23THRUST_200600_302600_NS11hip_rocprim26transform_input_iterator_tIlNS8_12zip_iteratorINS8_5tupleINS8_6detail15normal_iteratorINS8_10device_ptrIsEEEESH_NS8_9null_typeESI_SI_SI_SI_SI_SI_SI_EEEENS9_21zip_adj_not_predicateINS8_8equal_toIsEEEEEEPllNS8_4plusIlEEEE10hipError_tPvRmT1_T2_T3_mT4_P12ihipStream_tbEUlT_E1_NS1_11comp_targetILNS1_3genE5ELNS1_11target_archE942ELNS1_3gpuE9ELNS1_3repE0EEENS1_30default_config_static_selectorELNS0_4arch9wavefront6targetE1EEEvSW_.uses_vcc, 0
	.set _ZN7rocprim17ROCPRIM_400000_NS6detail17trampoline_kernelINS0_14default_configENS1_22reduce_config_selectorIlEEZNS1_11reduce_implILb1ES3_N6thrust23THRUST_200600_302600_NS11hip_rocprim26transform_input_iterator_tIlNS8_12zip_iteratorINS8_5tupleINS8_6detail15normal_iteratorINS8_10device_ptrIsEEEESH_NS8_9null_typeESI_SI_SI_SI_SI_SI_SI_EEEENS9_21zip_adj_not_predicateINS8_8equal_toIsEEEEEEPllNS8_4plusIlEEEE10hipError_tPvRmT1_T2_T3_mT4_P12ihipStream_tbEUlT_E1_NS1_11comp_targetILNS1_3genE5ELNS1_11target_archE942ELNS1_3gpuE9ELNS1_3repE0EEENS1_30default_config_static_selectorELNS0_4arch9wavefront6targetE1EEEvSW_.uses_flat_scratch, 0
	.set _ZN7rocprim17ROCPRIM_400000_NS6detail17trampoline_kernelINS0_14default_configENS1_22reduce_config_selectorIlEEZNS1_11reduce_implILb1ES3_N6thrust23THRUST_200600_302600_NS11hip_rocprim26transform_input_iterator_tIlNS8_12zip_iteratorINS8_5tupleINS8_6detail15normal_iteratorINS8_10device_ptrIsEEEESH_NS8_9null_typeESI_SI_SI_SI_SI_SI_SI_EEEENS9_21zip_adj_not_predicateINS8_8equal_toIsEEEEEEPllNS8_4plusIlEEEE10hipError_tPvRmT1_T2_T3_mT4_P12ihipStream_tbEUlT_E1_NS1_11comp_targetILNS1_3genE5ELNS1_11target_archE942ELNS1_3gpuE9ELNS1_3repE0EEENS1_30default_config_static_selectorELNS0_4arch9wavefront6targetE1EEEvSW_.has_dyn_sized_stack, 0
	.set _ZN7rocprim17ROCPRIM_400000_NS6detail17trampoline_kernelINS0_14default_configENS1_22reduce_config_selectorIlEEZNS1_11reduce_implILb1ES3_N6thrust23THRUST_200600_302600_NS11hip_rocprim26transform_input_iterator_tIlNS8_12zip_iteratorINS8_5tupleINS8_6detail15normal_iteratorINS8_10device_ptrIsEEEESH_NS8_9null_typeESI_SI_SI_SI_SI_SI_SI_EEEENS9_21zip_adj_not_predicateINS8_8equal_toIsEEEEEEPllNS8_4plusIlEEEE10hipError_tPvRmT1_T2_T3_mT4_P12ihipStream_tbEUlT_E1_NS1_11comp_targetILNS1_3genE5ELNS1_11target_archE942ELNS1_3gpuE9ELNS1_3repE0EEENS1_30default_config_static_selectorELNS0_4arch9wavefront6targetE1EEEvSW_.has_recursion, 0
	.set _ZN7rocprim17ROCPRIM_400000_NS6detail17trampoline_kernelINS0_14default_configENS1_22reduce_config_selectorIlEEZNS1_11reduce_implILb1ES3_N6thrust23THRUST_200600_302600_NS11hip_rocprim26transform_input_iterator_tIlNS8_12zip_iteratorINS8_5tupleINS8_6detail15normal_iteratorINS8_10device_ptrIsEEEESH_NS8_9null_typeESI_SI_SI_SI_SI_SI_SI_EEEENS9_21zip_adj_not_predicateINS8_8equal_toIsEEEEEEPllNS8_4plusIlEEEE10hipError_tPvRmT1_T2_T3_mT4_P12ihipStream_tbEUlT_E1_NS1_11comp_targetILNS1_3genE5ELNS1_11target_archE942ELNS1_3gpuE9ELNS1_3repE0EEENS1_30default_config_static_selectorELNS0_4arch9wavefront6targetE1EEEvSW_.has_indirect_call, 0
	.section	.AMDGPU.csdata,"",@progbits
; Kernel info:
; codeLenInByte = 0
; TotalNumSgprs: 4
; NumVgprs: 0
; ScratchSize: 0
; MemoryBound: 0
; FloatMode: 240
; IeeeMode: 1
; LDSByteSize: 0 bytes/workgroup (compile time only)
; SGPRBlocks: 0
; VGPRBlocks: 0
; NumSGPRsForWavesPerEU: 4
; NumVGPRsForWavesPerEU: 1
; Occupancy: 10
; WaveLimiterHint : 0
; COMPUTE_PGM_RSRC2:SCRATCH_EN: 0
; COMPUTE_PGM_RSRC2:USER_SGPR: 6
; COMPUTE_PGM_RSRC2:TRAP_HANDLER: 0
; COMPUTE_PGM_RSRC2:TGID_X_EN: 1
; COMPUTE_PGM_RSRC2:TGID_Y_EN: 0
; COMPUTE_PGM_RSRC2:TGID_Z_EN: 0
; COMPUTE_PGM_RSRC2:TIDIG_COMP_CNT: 0
	.section	.text._ZN7rocprim17ROCPRIM_400000_NS6detail17trampoline_kernelINS0_14default_configENS1_22reduce_config_selectorIlEEZNS1_11reduce_implILb1ES3_N6thrust23THRUST_200600_302600_NS11hip_rocprim26transform_input_iterator_tIlNS8_12zip_iteratorINS8_5tupleINS8_6detail15normal_iteratorINS8_10device_ptrIsEEEESH_NS8_9null_typeESI_SI_SI_SI_SI_SI_SI_EEEENS9_21zip_adj_not_predicateINS8_8equal_toIsEEEEEEPllNS8_4plusIlEEEE10hipError_tPvRmT1_T2_T3_mT4_P12ihipStream_tbEUlT_E1_NS1_11comp_targetILNS1_3genE4ELNS1_11target_archE910ELNS1_3gpuE8ELNS1_3repE0EEENS1_30default_config_static_selectorELNS0_4arch9wavefront6targetE1EEEvSW_,"axG",@progbits,_ZN7rocprim17ROCPRIM_400000_NS6detail17trampoline_kernelINS0_14default_configENS1_22reduce_config_selectorIlEEZNS1_11reduce_implILb1ES3_N6thrust23THRUST_200600_302600_NS11hip_rocprim26transform_input_iterator_tIlNS8_12zip_iteratorINS8_5tupleINS8_6detail15normal_iteratorINS8_10device_ptrIsEEEESH_NS8_9null_typeESI_SI_SI_SI_SI_SI_SI_EEEENS9_21zip_adj_not_predicateINS8_8equal_toIsEEEEEEPllNS8_4plusIlEEEE10hipError_tPvRmT1_T2_T3_mT4_P12ihipStream_tbEUlT_E1_NS1_11comp_targetILNS1_3genE4ELNS1_11target_archE910ELNS1_3gpuE8ELNS1_3repE0EEENS1_30default_config_static_selectorELNS0_4arch9wavefront6targetE1EEEvSW_,comdat
	.protected	_ZN7rocprim17ROCPRIM_400000_NS6detail17trampoline_kernelINS0_14default_configENS1_22reduce_config_selectorIlEEZNS1_11reduce_implILb1ES3_N6thrust23THRUST_200600_302600_NS11hip_rocprim26transform_input_iterator_tIlNS8_12zip_iteratorINS8_5tupleINS8_6detail15normal_iteratorINS8_10device_ptrIsEEEESH_NS8_9null_typeESI_SI_SI_SI_SI_SI_SI_EEEENS9_21zip_adj_not_predicateINS8_8equal_toIsEEEEEEPllNS8_4plusIlEEEE10hipError_tPvRmT1_T2_T3_mT4_P12ihipStream_tbEUlT_E1_NS1_11comp_targetILNS1_3genE4ELNS1_11target_archE910ELNS1_3gpuE8ELNS1_3repE0EEENS1_30default_config_static_selectorELNS0_4arch9wavefront6targetE1EEEvSW_ ; -- Begin function _ZN7rocprim17ROCPRIM_400000_NS6detail17trampoline_kernelINS0_14default_configENS1_22reduce_config_selectorIlEEZNS1_11reduce_implILb1ES3_N6thrust23THRUST_200600_302600_NS11hip_rocprim26transform_input_iterator_tIlNS8_12zip_iteratorINS8_5tupleINS8_6detail15normal_iteratorINS8_10device_ptrIsEEEESH_NS8_9null_typeESI_SI_SI_SI_SI_SI_SI_EEEENS9_21zip_adj_not_predicateINS8_8equal_toIsEEEEEEPllNS8_4plusIlEEEE10hipError_tPvRmT1_T2_T3_mT4_P12ihipStream_tbEUlT_E1_NS1_11comp_targetILNS1_3genE4ELNS1_11target_archE910ELNS1_3gpuE8ELNS1_3repE0EEENS1_30default_config_static_selectorELNS0_4arch9wavefront6targetE1EEEvSW_
	.globl	_ZN7rocprim17ROCPRIM_400000_NS6detail17trampoline_kernelINS0_14default_configENS1_22reduce_config_selectorIlEEZNS1_11reduce_implILb1ES3_N6thrust23THRUST_200600_302600_NS11hip_rocprim26transform_input_iterator_tIlNS8_12zip_iteratorINS8_5tupleINS8_6detail15normal_iteratorINS8_10device_ptrIsEEEESH_NS8_9null_typeESI_SI_SI_SI_SI_SI_SI_EEEENS9_21zip_adj_not_predicateINS8_8equal_toIsEEEEEEPllNS8_4plusIlEEEE10hipError_tPvRmT1_T2_T3_mT4_P12ihipStream_tbEUlT_E1_NS1_11comp_targetILNS1_3genE4ELNS1_11target_archE910ELNS1_3gpuE8ELNS1_3repE0EEENS1_30default_config_static_selectorELNS0_4arch9wavefront6targetE1EEEvSW_
	.p2align	8
	.type	_ZN7rocprim17ROCPRIM_400000_NS6detail17trampoline_kernelINS0_14default_configENS1_22reduce_config_selectorIlEEZNS1_11reduce_implILb1ES3_N6thrust23THRUST_200600_302600_NS11hip_rocprim26transform_input_iterator_tIlNS8_12zip_iteratorINS8_5tupleINS8_6detail15normal_iteratorINS8_10device_ptrIsEEEESH_NS8_9null_typeESI_SI_SI_SI_SI_SI_SI_EEEENS9_21zip_adj_not_predicateINS8_8equal_toIsEEEEEEPllNS8_4plusIlEEEE10hipError_tPvRmT1_T2_T3_mT4_P12ihipStream_tbEUlT_E1_NS1_11comp_targetILNS1_3genE4ELNS1_11target_archE910ELNS1_3gpuE8ELNS1_3repE0EEENS1_30default_config_static_selectorELNS0_4arch9wavefront6targetE1EEEvSW_,@function
_ZN7rocprim17ROCPRIM_400000_NS6detail17trampoline_kernelINS0_14default_configENS1_22reduce_config_selectorIlEEZNS1_11reduce_implILb1ES3_N6thrust23THRUST_200600_302600_NS11hip_rocprim26transform_input_iterator_tIlNS8_12zip_iteratorINS8_5tupleINS8_6detail15normal_iteratorINS8_10device_ptrIsEEEESH_NS8_9null_typeESI_SI_SI_SI_SI_SI_SI_EEEENS9_21zip_adj_not_predicateINS8_8equal_toIsEEEEEEPllNS8_4plusIlEEEE10hipError_tPvRmT1_T2_T3_mT4_P12ihipStream_tbEUlT_E1_NS1_11comp_targetILNS1_3genE4ELNS1_11target_archE910ELNS1_3gpuE8ELNS1_3repE0EEENS1_30default_config_static_selectorELNS0_4arch9wavefront6targetE1EEEvSW_: ; @_ZN7rocprim17ROCPRIM_400000_NS6detail17trampoline_kernelINS0_14default_configENS1_22reduce_config_selectorIlEEZNS1_11reduce_implILb1ES3_N6thrust23THRUST_200600_302600_NS11hip_rocprim26transform_input_iterator_tIlNS8_12zip_iteratorINS8_5tupleINS8_6detail15normal_iteratorINS8_10device_ptrIsEEEESH_NS8_9null_typeESI_SI_SI_SI_SI_SI_SI_EEEENS9_21zip_adj_not_predicateINS8_8equal_toIsEEEEEEPllNS8_4plusIlEEEE10hipError_tPvRmT1_T2_T3_mT4_P12ihipStream_tbEUlT_E1_NS1_11comp_targetILNS1_3genE4ELNS1_11target_archE910ELNS1_3gpuE8ELNS1_3repE0EEENS1_30default_config_static_selectorELNS0_4arch9wavefront6targetE1EEEvSW_
; %bb.0:
	.section	.rodata,"a",@progbits
	.p2align	6, 0x0
	.amdhsa_kernel _ZN7rocprim17ROCPRIM_400000_NS6detail17trampoline_kernelINS0_14default_configENS1_22reduce_config_selectorIlEEZNS1_11reduce_implILb1ES3_N6thrust23THRUST_200600_302600_NS11hip_rocprim26transform_input_iterator_tIlNS8_12zip_iteratorINS8_5tupleINS8_6detail15normal_iteratorINS8_10device_ptrIsEEEESH_NS8_9null_typeESI_SI_SI_SI_SI_SI_SI_EEEENS9_21zip_adj_not_predicateINS8_8equal_toIsEEEEEEPllNS8_4plusIlEEEE10hipError_tPvRmT1_T2_T3_mT4_P12ihipStream_tbEUlT_E1_NS1_11comp_targetILNS1_3genE4ELNS1_11target_archE910ELNS1_3gpuE8ELNS1_3repE0EEENS1_30default_config_static_selectorELNS0_4arch9wavefront6targetE1EEEvSW_
		.amdhsa_group_segment_fixed_size 0
		.amdhsa_private_segment_fixed_size 0
		.amdhsa_kernarg_size 64
		.amdhsa_user_sgpr_count 6
		.amdhsa_user_sgpr_private_segment_buffer 1
		.amdhsa_user_sgpr_dispatch_ptr 0
		.amdhsa_user_sgpr_queue_ptr 0
		.amdhsa_user_sgpr_kernarg_segment_ptr 1
		.amdhsa_user_sgpr_dispatch_id 0
		.amdhsa_user_sgpr_flat_scratch_init 0
		.amdhsa_user_sgpr_private_segment_size 0
		.amdhsa_uses_dynamic_stack 0
		.amdhsa_system_sgpr_private_segment_wavefront_offset 0
		.amdhsa_system_sgpr_workgroup_id_x 1
		.amdhsa_system_sgpr_workgroup_id_y 0
		.amdhsa_system_sgpr_workgroup_id_z 0
		.amdhsa_system_sgpr_workgroup_info 0
		.amdhsa_system_vgpr_workitem_id 0
		.amdhsa_next_free_vgpr 1
		.amdhsa_next_free_sgpr 0
		.amdhsa_reserve_vcc 0
		.amdhsa_reserve_flat_scratch 0
		.amdhsa_float_round_mode_32 0
		.amdhsa_float_round_mode_16_64 0
		.amdhsa_float_denorm_mode_32 3
		.amdhsa_float_denorm_mode_16_64 3
		.amdhsa_dx10_clamp 1
		.amdhsa_ieee_mode 1
		.amdhsa_fp16_overflow 0
		.amdhsa_exception_fp_ieee_invalid_op 0
		.amdhsa_exception_fp_denorm_src 0
		.amdhsa_exception_fp_ieee_div_zero 0
		.amdhsa_exception_fp_ieee_overflow 0
		.amdhsa_exception_fp_ieee_underflow 0
		.amdhsa_exception_fp_ieee_inexact 0
		.amdhsa_exception_int_div_zero 0
	.end_amdhsa_kernel
	.section	.text._ZN7rocprim17ROCPRIM_400000_NS6detail17trampoline_kernelINS0_14default_configENS1_22reduce_config_selectorIlEEZNS1_11reduce_implILb1ES3_N6thrust23THRUST_200600_302600_NS11hip_rocprim26transform_input_iterator_tIlNS8_12zip_iteratorINS8_5tupleINS8_6detail15normal_iteratorINS8_10device_ptrIsEEEESH_NS8_9null_typeESI_SI_SI_SI_SI_SI_SI_EEEENS9_21zip_adj_not_predicateINS8_8equal_toIsEEEEEEPllNS8_4plusIlEEEE10hipError_tPvRmT1_T2_T3_mT4_P12ihipStream_tbEUlT_E1_NS1_11comp_targetILNS1_3genE4ELNS1_11target_archE910ELNS1_3gpuE8ELNS1_3repE0EEENS1_30default_config_static_selectorELNS0_4arch9wavefront6targetE1EEEvSW_,"axG",@progbits,_ZN7rocprim17ROCPRIM_400000_NS6detail17trampoline_kernelINS0_14default_configENS1_22reduce_config_selectorIlEEZNS1_11reduce_implILb1ES3_N6thrust23THRUST_200600_302600_NS11hip_rocprim26transform_input_iterator_tIlNS8_12zip_iteratorINS8_5tupleINS8_6detail15normal_iteratorINS8_10device_ptrIsEEEESH_NS8_9null_typeESI_SI_SI_SI_SI_SI_SI_EEEENS9_21zip_adj_not_predicateINS8_8equal_toIsEEEEEEPllNS8_4plusIlEEEE10hipError_tPvRmT1_T2_T3_mT4_P12ihipStream_tbEUlT_E1_NS1_11comp_targetILNS1_3genE4ELNS1_11target_archE910ELNS1_3gpuE8ELNS1_3repE0EEENS1_30default_config_static_selectorELNS0_4arch9wavefront6targetE1EEEvSW_,comdat
.Lfunc_end1006:
	.size	_ZN7rocprim17ROCPRIM_400000_NS6detail17trampoline_kernelINS0_14default_configENS1_22reduce_config_selectorIlEEZNS1_11reduce_implILb1ES3_N6thrust23THRUST_200600_302600_NS11hip_rocprim26transform_input_iterator_tIlNS8_12zip_iteratorINS8_5tupleINS8_6detail15normal_iteratorINS8_10device_ptrIsEEEESH_NS8_9null_typeESI_SI_SI_SI_SI_SI_SI_EEEENS9_21zip_adj_not_predicateINS8_8equal_toIsEEEEEEPllNS8_4plusIlEEEE10hipError_tPvRmT1_T2_T3_mT4_P12ihipStream_tbEUlT_E1_NS1_11comp_targetILNS1_3genE4ELNS1_11target_archE910ELNS1_3gpuE8ELNS1_3repE0EEENS1_30default_config_static_selectorELNS0_4arch9wavefront6targetE1EEEvSW_, .Lfunc_end1006-_ZN7rocprim17ROCPRIM_400000_NS6detail17trampoline_kernelINS0_14default_configENS1_22reduce_config_selectorIlEEZNS1_11reduce_implILb1ES3_N6thrust23THRUST_200600_302600_NS11hip_rocprim26transform_input_iterator_tIlNS8_12zip_iteratorINS8_5tupleINS8_6detail15normal_iteratorINS8_10device_ptrIsEEEESH_NS8_9null_typeESI_SI_SI_SI_SI_SI_SI_EEEENS9_21zip_adj_not_predicateINS8_8equal_toIsEEEEEEPllNS8_4plusIlEEEE10hipError_tPvRmT1_T2_T3_mT4_P12ihipStream_tbEUlT_E1_NS1_11comp_targetILNS1_3genE4ELNS1_11target_archE910ELNS1_3gpuE8ELNS1_3repE0EEENS1_30default_config_static_selectorELNS0_4arch9wavefront6targetE1EEEvSW_
                                        ; -- End function
	.set _ZN7rocprim17ROCPRIM_400000_NS6detail17trampoline_kernelINS0_14default_configENS1_22reduce_config_selectorIlEEZNS1_11reduce_implILb1ES3_N6thrust23THRUST_200600_302600_NS11hip_rocprim26transform_input_iterator_tIlNS8_12zip_iteratorINS8_5tupleINS8_6detail15normal_iteratorINS8_10device_ptrIsEEEESH_NS8_9null_typeESI_SI_SI_SI_SI_SI_SI_EEEENS9_21zip_adj_not_predicateINS8_8equal_toIsEEEEEEPllNS8_4plusIlEEEE10hipError_tPvRmT1_T2_T3_mT4_P12ihipStream_tbEUlT_E1_NS1_11comp_targetILNS1_3genE4ELNS1_11target_archE910ELNS1_3gpuE8ELNS1_3repE0EEENS1_30default_config_static_selectorELNS0_4arch9wavefront6targetE1EEEvSW_.num_vgpr, 0
	.set _ZN7rocprim17ROCPRIM_400000_NS6detail17trampoline_kernelINS0_14default_configENS1_22reduce_config_selectorIlEEZNS1_11reduce_implILb1ES3_N6thrust23THRUST_200600_302600_NS11hip_rocprim26transform_input_iterator_tIlNS8_12zip_iteratorINS8_5tupleINS8_6detail15normal_iteratorINS8_10device_ptrIsEEEESH_NS8_9null_typeESI_SI_SI_SI_SI_SI_SI_EEEENS9_21zip_adj_not_predicateINS8_8equal_toIsEEEEEEPllNS8_4plusIlEEEE10hipError_tPvRmT1_T2_T3_mT4_P12ihipStream_tbEUlT_E1_NS1_11comp_targetILNS1_3genE4ELNS1_11target_archE910ELNS1_3gpuE8ELNS1_3repE0EEENS1_30default_config_static_selectorELNS0_4arch9wavefront6targetE1EEEvSW_.num_agpr, 0
	.set _ZN7rocprim17ROCPRIM_400000_NS6detail17trampoline_kernelINS0_14default_configENS1_22reduce_config_selectorIlEEZNS1_11reduce_implILb1ES3_N6thrust23THRUST_200600_302600_NS11hip_rocprim26transform_input_iterator_tIlNS8_12zip_iteratorINS8_5tupleINS8_6detail15normal_iteratorINS8_10device_ptrIsEEEESH_NS8_9null_typeESI_SI_SI_SI_SI_SI_SI_EEEENS9_21zip_adj_not_predicateINS8_8equal_toIsEEEEEEPllNS8_4plusIlEEEE10hipError_tPvRmT1_T2_T3_mT4_P12ihipStream_tbEUlT_E1_NS1_11comp_targetILNS1_3genE4ELNS1_11target_archE910ELNS1_3gpuE8ELNS1_3repE0EEENS1_30default_config_static_selectorELNS0_4arch9wavefront6targetE1EEEvSW_.numbered_sgpr, 0
	.set _ZN7rocprim17ROCPRIM_400000_NS6detail17trampoline_kernelINS0_14default_configENS1_22reduce_config_selectorIlEEZNS1_11reduce_implILb1ES3_N6thrust23THRUST_200600_302600_NS11hip_rocprim26transform_input_iterator_tIlNS8_12zip_iteratorINS8_5tupleINS8_6detail15normal_iteratorINS8_10device_ptrIsEEEESH_NS8_9null_typeESI_SI_SI_SI_SI_SI_SI_EEEENS9_21zip_adj_not_predicateINS8_8equal_toIsEEEEEEPllNS8_4plusIlEEEE10hipError_tPvRmT1_T2_T3_mT4_P12ihipStream_tbEUlT_E1_NS1_11comp_targetILNS1_3genE4ELNS1_11target_archE910ELNS1_3gpuE8ELNS1_3repE0EEENS1_30default_config_static_selectorELNS0_4arch9wavefront6targetE1EEEvSW_.num_named_barrier, 0
	.set _ZN7rocprim17ROCPRIM_400000_NS6detail17trampoline_kernelINS0_14default_configENS1_22reduce_config_selectorIlEEZNS1_11reduce_implILb1ES3_N6thrust23THRUST_200600_302600_NS11hip_rocprim26transform_input_iterator_tIlNS8_12zip_iteratorINS8_5tupleINS8_6detail15normal_iteratorINS8_10device_ptrIsEEEESH_NS8_9null_typeESI_SI_SI_SI_SI_SI_SI_EEEENS9_21zip_adj_not_predicateINS8_8equal_toIsEEEEEEPllNS8_4plusIlEEEE10hipError_tPvRmT1_T2_T3_mT4_P12ihipStream_tbEUlT_E1_NS1_11comp_targetILNS1_3genE4ELNS1_11target_archE910ELNS1_3gpuE8ELNS1_3repE0EEENS1_30default_config_static_selectorELNS0_4arch9wavefront6targetE1EEEvSW_.private_seg_size, 0
	.set _ZN7rocprim17ROCPRIM_400000_NS6detail17trampoline_kernelINS0_14default_configENS1_22reduce_config_selectorIlEEZNS1_11reduce_implILb1ES3_N6thrust23THRUST_200600_302600_NS11hip_rocprim26transform_input_iterator_tIlNS8_12zip_iteratorINS8_5tupleINS8_6detail15normal_iteratorINS8_10device_ptrIsEEEESH_NS8_9null_typeESI_SI_SI_SI_SI_SI_SI_EEEENS9_21zip_adj_not_predicateINS8_8equal_toIsEEEEEEPllNS8_4plusIlEEEE10hipError_tPvRmT1_T2_T3_mT4_P12ihipStream_tbEUlT_E1_NS1_11comp_targetILNS1_3genE4ELNS1_11target_archE910ELNS1_3gpuE8ELNS1_3repE0EEENS1_30default_config_static_selectorELNS0_4arch9wavefront6targetE1EEEvSW_.uses_vcc, 0
	.set _ZN7rocprim17ROCPRIM_400000_NS6detail17trampoline_kernelINS0_14default_configENS1_22reduce_config_selectorIlEEZNS1_11reduce_implILb1ES3_N6thrust23THRUST_200600_302600_NS11hip_rocprim26transform_input_iterator_tIlNS8_12zip_iteratorINS8_5tupleINS8_6detail15normal_iteratorINS8_10device_ptrIsEEEESH_NS8_9null_typeESI_SI_SI_SI_SI_SI_SI_EEEENS9_21zip_adj_not_predicateINS8_8equal_toIsEEEEEEPllNS8_4plusIlEEEE10hipError_tPvRmT1_T2_T3_mT4_P12ihipStream_tbEUlT_E1_NS1_11comp_targetILNS1_3genE4ELNS1_11target_archE910ELNS1_3gpuE8ELNS1_3repE0EEENS1_30default_config_static_selectorELNS0_4arch9wavefront6targetE1EEEvSW_.uses_flat_scratch, 0
	.set _ZN7rocprim17ROCPRIM_400000_NS6detail17trampoline_kernelINS0_14default_configENS1_22reduce_config_selectorIlEEZNS1_11reduce_implILb1ES3_N6thrust23THRUST_200600_302600_NS11hip_rocprim26transform_input_iterator_tIlNS8_12zip_iteratorINS8_5tupleINS8_6detail15normal_iteratorINS8_10device_ptrIsEEEESH_NS8_9null_typeESI_SI_SI_SI_SI_SI_SI_EEEENS9_21zip_adj_not_predicateINS8_8equal_toIsEEEEEEPllNS8_4plusIlEEEE10hipError_tPvRmT1_T2_T3_mT4_P12ihipStream_tbEUlT_E1_NS1_11comp_targetILNS1_3genE4ELNS1_11target_archE910ELNS1_3gpuE8ELNS1_3repE0EEENS1_30default_config_static_selectorELNS0_4arch9wavefront6targetE1EEEvSW_.has_dyn_sized_stack, 0
	.set _ZN7rocprim17ROCPRIM_400000_NS6detail17trampoline_kernelINS0_14default_configENS1_22reduce_config_selectorIlEEZNS1_11reduce_implILb1ES3_N6thrust23THRUST_200600_302600_NS11hip_rocprim26transform_input_iterator_tIlNS8_12zip_iteratorINS8_5tupleINS8_6detail15normal_iteratorINS8_10device_ptrIsEEEESH_NS8_9null_typeESI_SI_SI_SI_SI_SI_SI_EEEENS9_21zip_adj_not_predicateINS8_8equal_toIsEEEEEEPllNS8_4plusIlEEEE10hipError_tPvRmT1_T2_T3_mT4_P12ihipStream_tbEUlT_E1_NS1_11comp_targetILNS1_3genE4ELNS1_11target_archE910ELNS1_3gpuE8ELNS1_3repE0EEENS1_30default_config_static_selectorELNS0_4arch9wavefront6targetE1EEEvSW_.has_recursion, 0
	.set _ZN7rocprim17ROCPRIM_400000_NS6detail17trampoline_kernelINS0_14default_configENS1_22reduce_config_selectorIlEEZNS1_11reduce_implILb1ES3_N6thrust23THRUST_200600_302600_NS11hip_rocprim26transform_input_iterator_tIlNS8_12zip_iteratorINS8_5tupleINS8_6detail15normal_iteratorINS8_10device_ptrIsEEEESH_NS8_9null_typeESI_SI_SI_SI_SI_SI_SI_EEEENS9_21zip_adj_not_predicateINS8_8equal_toIsEEEEEEPllNS8_4plusIlEEEE10hipError_tPvRmT1_T2_T3_mT4_P12ihipStream_tbEUlT_E1_NS1_11comp_targetILNS1_3genE4ELNS1_11target_archE910ELNS1_3gpuE8ELNS1_3repE0EEENS1_30default_config_static_selectorELNS0_4arch9wavefront6targetE1EEEvSW_.has_indirect_call, 0
	.section	.AMDGPU.csdata,"",@progbits
; Kernel info:
; codeLenInByte = 0
; TotalNumSgprs: 4
; NumVgprs: 0
; ScratchSize: 0
; MemoryBound: 0
; FloatMode: 240
; IeeeMode: 1
; LDSByteSize: 0 bytes/workgroup (compile time only)
; SGPRBlocks: 0
; VGPRBlocks: 0
; NumSGPRsForWavesPerEU: 4
; NumVGPRsForWavesPerEU: 1
; Occupancy: 10
; WaveLimiterHint : 0
; COMPUTE_PGM_RSRC2:SCRATCH_EN: 0
; COMPUTE_PGM_RSRC2:USER_SGPR: 6
; COMPUTE_PGM_RSRC2:TRAP_HANDLER: 0
; COMPUTE_PGM_RSRC2:TGID_X_EN: 1
; COMPUTE_PGM_RSRC2:TGID_Y_EN: 0
; COMPUTE_PGM_RSRC2:TGID_Z_EN: 0
; COMPUTE_PGM_RSRC2:TIDIG_COMP_CNT: 0
	.section	.text._ZN7rocprim17ROCPRIM_400000_NS6detail17trampoline_kernelINS0_14default_configENS1_22reduce_config_selectorIlEEZNS1_11reduce_implILb1ES3_N6thrust23THRUST_200600_302600_NS11hip_rocprim26transform_input_iterator_tIlNS8_12zip_iteratorINS8_5tupleINS8_6detail15normal_iteratorINS8_10device_ptrIsEEEESH_NS8_9null_typeESI_SI_SI_SI_SI_SI_SI_EEEENS9_21zip_adj_not_predicateINS8_8equal_toIsEEEEEEPllNS8_4plusIlEEEE10hipError_tPvRmT1_T2_T3_mT4_P12ihipStream_tbEUlT_E1_NS1_11comp_targetILNS1_3genE3ELNS1_11target_archE908ELNS1_3gpuE7ELNS1_3repE0EEENS1_30default_config_static_selectorELNS0_4arch9wavefront6targetE1EEEvSW_,"axG",@progbits,_ZN7rocprim17ROCPRIM_400000_NS6detail17trampoline_kernelINS0_14default_configENS1_22reduce_config_selectorIlEEZNS1_11reduce_implILb1ES3_N6thrust23THRUST_200600_302600_NS11hip_rocprim26transform_input_iterator_tIlNS8_12zip_iteratorINS8_5tupleINS8_6detail15normal_iteratorINS8_10device_ptrIsEEEESH_NS8_9null_typeESI_SI_SI_SI_SI_SI_SI_EEEENS9_21zip_adj_not_predicateINS8_8equal_toIsEEEEEEPllNS8_4plusIlEEEE10hipError_tPvRmT1_T2_T3_mT4_P12ihipStream_tbEUlT_E1_NS1_11comp_targetILNS1_3genE3ELNS1_11target_archE908ELNS1_3gpuE7ELNS1_3repE0EEENS1_30default_config_static_selectorELNS0_4arch9wavefront6targetE1EEEvSW_,comdat
	.protected	_ZN7rocprim17ROCPRIM_400000_NS6detail17trampoline_kernelINS0_14default_configENS1_22reduce_config_selectorIlEEZNS1_11reduce_implILb1ES3_N6thrust23THRUST_200600_302600_NS11hip_rocprim26transform_input_iterator_tIlNS8_12zip_iteratorINS8_5tupleINS8_6detail15normal_iteratorINS8_10device_ptrIsEEEESH_NS8_9null_typeESI_SI_SI_SI_SI_SI_SI_EEEENS9_21zip_adj_not_predicateINS8_8equal_toIsEEEEEEPllNS8_4plusIlEEEE10hipError_tPvRmT1_T2_T3_mT4_P12ihipStream_tbEUlT_E1_NS1_11comp_targetILNS1_3genE3ELNS1_11target_archE908ELNS1_3gpuE7ELNS1_3repE0EEENS1_30default_config_static_selectorELNS0_4arch9wavefront6targetE1EEEvSW_ ; -- Begin function _ZN7rocprim17ROCPRIM_400000_NS6detail17trampoline_kernelINS0_14default_configENS1_22reduce_config_selectorIlEEZNS1_11reduce_implILb1ES3_N6thrust23THRUST_200600_302600_NS11hip_rocprim26transform_input_iterator_tIlNS8_12zip_iteratorINS8_5tupleINS8_6detail15normal_iteratorINS8_10device_ptrIsEEEESH_NS8_9null_typeESI_SI_SI_SI_SI_SI_SI_EEEENS9_21zip_adj_not_predicateINS8_8equal_toIsEEEEEEPllNS8_4plusIlEEEE10hipError_tPvRmT1_T2_T3_mT4_P12ihipStream_tbEUlT_E1_NS1_11comp_targetILNS1_3genE3ELNS1_11target_archE908ELNS1_3gpuE7ELNS1_3repE0EEENS1_30default_config_static_selectorELNS0_4arch9wavefront6targetE1EEEvSW_
	.globl	_ZN7rocprim17ROCPRIM_400000_NS6detail17trampoline_kernelINS0_14default_configENS1_22reduce_config_selectorIlEEZNS1_11reduce_implILb1ES3_N6thrust23THRUST_200600_302600_NS11hip_rocprim26transform_input_iterator_tIlNS8_12zip_iteratorINS8_5tupleINS8_6detail15normal_iteratorINS8_10device_ptrIsEEEESH_NS8_9null_typeESI_SI_SI_SI_SI_SI_SI_EEEENS9_21zip_adj_not_predicateINS8_8equal_toIsEEEEEEPllNS8_4plusIlEEEE10hipError_tPvRmT1_T2_T3_mT4_P12ihipStream_tbEUlT_E1_NS1_11comp_targetILNS1_3genE3ELNS1_11target_archE908ELNS1_3gpuE7ELNS1_3repE0EEENS1_30default_config_static_selectorELNS0_4arch9wavefront6targetE1EEEvSW_
	.p2align	8
	.type	_ZN7rocprim17ROCPRIM_400000_NS6detail17trampoline_kernelINS0_14default_configENS1_22reduce_config_selectorIlEEZNS1_11reduce_implILb1ES3_N6thrust23THRUST_200600_302600_NS11hip_rocprim26transform_input_iterator_tIlNS8_12zip_iteratorINS8_5tupleINS8_6detail15normal_iteratorINS8_10device_ptrIsEEEESH_NS8_9null_typeESI_SI_SI_SI_SI_SI_SI_EEEENS9_21zip_adj_not_predicateINS8_8equal_toIsEEEEEEPllNS8_4plusIlEEEE10hipError_tPvRmT1_T2_T3_mT4_P12ihipStream_tbEUlT_E1_NS1_11comp_targetILNS1_3genE3ELNS1_11target_archE908ELNS1_3gpuE7ELNS1_3repE0EEENS1_30default_config_static_selectorELNS0_4arch9wavefront6targetE1EEEvSW_,@function
_ZN7rocprim17ROCPRIM_400000_NS6detail17trampoline_kernelINS0_14default_configENS1_22reduce_config_selectorIlEEZNS1_11reduce_implILb1ES3_N6thrust23THRUST_200600_302600_NS11hip_rocprim26transform_input_iterator_tIlNS8_12zip_iteratorINS8_5tupleINS8_6detail15normal_iteratorINS8_10device_ptrIsEEEESH_NS8_9null_typeESI_SI_SI_SI_SI_SI_SI_EEEENS9_21zip_adj_not_predicateINS8_8equal_toIsEEEEEEPllNS8_4plusIlEEEE10hipError_tPvRmT1_T2_T3_mT4_P12ihipStream_tbEUlT_E1_NS1_11comp_targetILNS1_3genE3ELNS1_11target_archE908ELNS1_3gpuE7ELNS1_3repE0EEENS1_30default_config_static_selectorELNS0_4arch9wavefront6targetE1EEEvSW_: ; @_ZN7rocprim17ROCPRIM_400000_NS6detail17trampoline_kernelINS0_14default_configENS1_22reduce_config_selectorIlEEZNS1_11reduce_implILb1ES3_N6thrust23THRUST_200600_302600_NS11hip_rocprim26transform_input_iterator_tIlNS8_12zip_iteratorINS8_5tupleINS8_6detail15normal_iteratorINS8_10device_ptrIsEEEESH_NS8_9null_typeESI_SI_SI_SI_SI_SI_SI_EEEENS9_21zip_adj_not_predicateINS8_8equal_toIsEEEEEEPllNS8_4plusIlEEEE10hipError_tPvRmT1_T2_T3_mT4_P12ihipStream_tbEUlT_E1_NS1_11comp_targetILNS1_3genE3ELNS1_11target_archE908ELNS1_3gpuE7ELNS1_3repE0EEENS1_30default_config_static_selectorELNS0_4arch9wavefront6targetE1EEEvSW_
; %bb.0:
	.section	.rodata,"a",@progbits
	.p2align	6, 0x0
	.amdhsa_kernel _ZN7rocprim17ROCPRIM_400000_NS6detail17trampoline_kernelINS0_14default_configENS1_22reduce_config_selectorIlEEZNS1_11reduce_implILb1ES3_N6thrust23THRUST_200600_302600_NS11hip_rocprim26transform_input_iterator_tIlNS8_12zip_iteratorINS8_5tupleINS8_6detail15normal_iteratorINS8_10device_ptrIsEEEESH_NS8_9null_typeESI_SI_SI_SI_SI_SI_SI_EEEENS9_21zip_adj_not_predicateINS8_8equal_toIsEEEEEEPllNS8_4plusIlEEEE10hipError_tPvRmT1_T2_T3_mT4_P12ihipStream_tbEUlT_E1_NS1_11comp_targetILNS1_3genE3ELNS1_11target_archE908ELNS1_3gpuE7ELNS1_3repE0EEENS1_30default_config_static_selectorELNS0_4arch9wavefront6targetE1EEEvSW_
		.amdhsa_group_segment_fixed_size 0
		.amdhsa_private_segment_fixed_size 0
		.amdhsa_kernarg_size 64
		.amdhsa_user_sgpr_count 6
		.amdhsa_user_sgpr_private_segment_buffer 1
		.amdhsa_user_sgpr_dispatch_ptr 0
		.amdhsa_user_sgpr_queue_ptr 0
		.amdhsa_user_sgpr_kernarg_segment_ptr 1
		.amdhsa_user_sgpr_dispatch_id 0
		.amdhsa_user_sgpr_flat_scratch_init 0
		.amdhsa_user_sgpr_private_segment_size 0
		.amdhsa_uses_dynamic_stack 0
		.amdhsa_system_sgpr_private_segment_wavefront_offset 0
		.amdhsa_system_sgpr_workgroup_id_x 1
		.amdhsa_system_sgpr_workgroup_id_y 0
		.amdhsa_system_sgpr_workgroup_id_z 0
		.amdhsa_system_sgpr_workgroup_info 0
		.amdhsa_system_vgpr_workitem_id 0
		.amdhsa_next_free_vgpr 1
		.amdhsa_next_free_sgpr 0
		.amdhsa_reserve_vcc 0
		.amdhsa_reserve_flat_scratch 0
		.amdhsa_float_round_mode_32 0
		.amdhsa_float_round_mode_16_64 0
		.amdhsa_float_denorm_mode_32 3
		.amdhsa_float_denorm_mode_16_64 3
		.amdhsa_dx10_clamp 1
		.amdhsa_ieee_mode 1
		.amdhsa_fp16_overflow 0
		.amdhsa_exception_fp_ieee_invalid_op 0
		.amdhsa_exception_fp_denorm_src 0
		.amdhsa_exception_fp_ieee_div_zero 0
		.amdhsa_exception_fp_ieee_overflow 0
		.amdhsa_exception_fp_ieee_underflow 0
		.amdhsa_exception_fp_ieee_inexact 0
		.amdhsa_exception_int_div_zero 0
	.end_amdhsa_kernel
	.section	.text._ZN7rocprim17ROCPRIM_400000_NS6detail17trampoline_kernelINS0_14default_configENS1_22reduce_config_selectorIlEEZNS1_11reduce_implILb1ES3_N6thrust23THRUST_200600_302600_NS11hip_rocprim26transform_input_iterator_tIlNS8_12zip_iteratorINS8_5tupleINS8_6detail15normal_iteratorINS8_10device_ptrIsEEEESH_NS8_9null_typeESI_SI_SI_SI_SI_SI_SI_EEEENS9_21zip_adj_not_predicateINS8_8equal_toIsEEEEEEPllNS8_4plusIlEEEE10hipError_tPvRmT1_T2_T3_mT4_P12ihipStream_tbEUlT_E1_NS1_11comp_targetILNS1_3genE3ELNS1_11target_archE908ELNS1_3gpuE7ELNS1_3repE0EEENS1_30default_config_static_selectorELNS0_4arch9wavefront6targetE1EEEvSW_,"axG",@progbits,_ZN7rocprim17ROCPRIM_400000_NS6detail17trampoline_kernelINS0_14default_configENS1_22reduce_config_selectorIlEEZNS1_11reduce_implILb1ES3_N6thrust23THRUST_200600_302600_NS11hip_rocprim26transform_input_iterator_tIlNS8_12zip_iteratorINS8_5tupleINS8_6detail15normal_iteratorINS8_10device_ptrIsEEEESH_NS8_9null_typeESI_SI_SI_SI_SI_SI_SI_EEEENS9_21zip_adj_not_predicateINS8_8equal_toIsEEEEEEPllNS8_4plusIlEEEE10hipError_tPvRmT1_T2_T3_mT4_P12ihipStream_tbEUlT_E1_NS1_11comp_targetILNS1_3genE3ELNS1_11target_archE908ELNS1_3gpuE7ELNS1_3repE0EEENS1_30default_config_static_selectorELNS0_4arch9wavefront6targetE1EEEvSW_,comdat
.Lfunc_end1007:
	.size	_ZN7rocprim17ROCPRIM_400000_NS6detail17trampoline_kernelINS0_14default_configENS1_22reduce_config_selectorIlEEZNS1_11reduce_implILb1ES3_N6thrust23THRUST_200600_302600_NS11hip_rocprim26transform_input_iterator_tIlNS8_12zip_iteratorINS8_5tupleINS8_6detail15normal_iteratorINS8_10device_ptrIsEEEESH_NS8_9null_typeESI_SI_SI_SI_SI_SI_SI_EEEENS9_21zip_adj_not_predicateINS8_8equal_toIsEEEEEEPllNS8_4plusIlEEEE10hipError_tPvRmT1_T2_T3_mT4_P12ihipStream_tbEUlT_E1_NS1_11comp_targetILNS1_3genE3ELNS1_11target_archE908ELNS1_3gpuE7ELNS1_3repE0EEENS1_30default_config_static_selectorELNS0_4arch9wavefront6targetE1EEEvSW_, .Lfunc_end1007-_ZN7rocprim17ROCPRIM_400000_NS6detail17trampoline_kernelINS0_14default_configENS1_22reduce_config_selectorIlEEZNS1_11reduce_implILb1ES3_N6thrust23THRUST_200600_302600_NS11hip_rocprim26transform_input_iterator_tIlNS8_12zip_iteratorINS8_5tupleINS8_6detail15normal_iteratorINS8_10device_ptrIsEEEESH_NS8_9null_typeESI_SI_SI_SI_SI_SI_SI_EEEENS9_21zip_adj_not_predicateINS8_8equal_toIsEEEEEEPllNS8_4plusIlEEEE10hipError_tPvRmT1_T2_T3_mT4_P12ihipStream_tbEUlT_E1_NS1_11comp_targetILNS1_3genE3ELNS1_11target_archE908ELNS1_3gpuE7ELNS1_3repE0EEENS1_30default_config_static_selectorELNS0_4arch9wavefront6targetE1EEEvSW_
                                        ; -- End function
	.set _ZN7rocprim17ROCPRIM_400000_NS6detail17trampoline_kernelINS0_14default_configENS1_22reduce_config_selectorIlEEZNS1_11reduce_implILb1ES3_N6thrust23THRUST_200600_302600_NS11hip_rocprim26transform_input_iterator_tIlNS8_12zip_iteratorINS8_5tupleINS8_6detail15normal_iteratorINS8_10device_ptrIsEEEESH_NS8_9null_typeESI_SI_SI_SI_SI_SI_SI_EEEENS9_21zip_adj_not_predicateINS8_8equal_toIsEEEEEEPllNS8_4plusIlEEEE10hipError_tPvRmT1_T2_T3_mT4_P12ihipStream_tbEUlT_E1_NS1_11comp_targetILNS1_3genE3ELNS1_11target_archE908ELNS1_3gpuE7ELNS1_3repE0EEENS1_30default_config_static_selectorELNS0_4arch9wavefront6targetE1EEEvSW_.num_vgpr, 0
	.set _ZN7rocprim17ROCPRIM_400000_NS6detail17trampoline_kernelINS0_14default_configENS1_22reduce_config_selectorIlEEZNS1_11reduce_implILb1ES3_N6thrust23THRUST_200600_302600_NS11hip_rocprim26transform_input_iterator_tIlNS8_12zip_iteratorINS8_5tupleINS8_6detail15normal_iteratorINS8_10device_ptrIsEEEESH_NS8_9null_typeESI_SI_SI_SI_SI_SI_SI_EEEENS9_21zip_adj_not_predicateINS8_8equal_toIsEEEEEEPllNS8_4plusIlEEEE10hipError_tPvRmT1_T2_T3_mT4_P12ihipStream_tbEUlT_E1_NS1_11comp_targetILNS1_3genE3ELNS1_11target_archE908ELNS1_3gpuE7ELNS1_3repE0EEENS1_30default_config_static_selectorELNS0_4arch9wavefront6targetE1EEEvSW_.num_agpr, 0
	.set _ZN7rocprim17ROCPRIM_400000_NS6detail17trampoline_kernelINS0_14default_configENS1_22reduce_config_selectorIlEEZNS1_11reduce_implILb1ES3_N6thrust23THRUST_200600_302600_NS11hip_rocprim26transform_input_iterator_tIlNS8_12zip_iteratorINS8_5tupleINS8_6detail15normal_iteratorINS8_10device_ptrIsEEEESH_NS8_9null_typeESI_SI_SI_SI_SI_SI_SI_EEEENS9_21zip_adj_not_predicateINS8_8equal_toIsEEEEEEPllNS8_4plusIlEEEE10hipError_tPvRmT1_T2_T3_mT4_P12ihipStream_tbEUlT_E1_NS1_11comp_targetILNS1_3genE3ELNS1_11target_archE908ELNS1_3gpuE7ELNS1_3repE0EEENS1_30default_config_static_selectorELNS0_4arch9wavefront6targetE1EEEvSW_.numbered_sgpr, 0
	.set _ZN7rocprim17ROCPRIM_400000_NS6detail17trampoline_kernelINS0_14default_configENS1_22reduce_config_selectorIlEEZNS1_11reduce_implILb1ES3_N6thrust23THRUST_200600_302600_NS11hip_rocprim26transform_input_iterator_tIlNS8_12zip_iteratorINS8_5tupleINS8_6detail15normal_iteratorINS8_10device_ptrIsEEEESH_NS8_9null_typeESI_SI_SI_SI_SI_SI_SI_EEEENS9_21zip_adj_not_predicateINS8_8equal_toIsEEEEEEPllNS8_4plusIlEEEE10hipError_tPvRmT1_T2_T3_mT4_P12ihipStream_tbEUlT_E1_NS1_11comp_targetILNS1_3genE3ELNS1_11target_archE908ELNS1_3gpuE7ELNS1_3repE0EEENS1_30default_config_static_selectorELNS0_4arch9wavefront6targetE1EEEvSW_.num_named_barrier, 0
	.set _ZN7rocprim17ROCPRIM_400000_NS6detail17trampoline_kernelINS0_14default_configENS1_22reduce_config_selectorIlEEZNS1_11reduce_implILb1ES3_N6thrust23THRUST_200600_302600_NS11hip_rocprim26transform_input_iterator_tIlNS8_12zip_iteratorINS8_5tupleINS8_6detail15normal_iteratorINS8_10device_ptrIsEEEESH_NS8_9null_typeESI_SI_SI_SI_SI_SI_SI_EEEENS9_21zip_adj_not_predicateINS8_8equal_toIsEEEEEEPllNS8_4plusIlEEEE10hipError_tPvRmT1_T2_T3_mT4_P12ihipStream_tbEUlT_E1_NS1_11comp_targetILNS1_3genE3ELNS1_11target_archE908ELNS1_3gpuE7ELNS1_3repE0EEENS1_30default_config_static_selectorELNS0_4arch9wavefront6targetE1EEEvSW_.private_seg_size, 0
	.set _ZN7rocprim17ROCPRIM_400000_NS6detail17trampoline_kernelINS0_14default_configENS1_22reduce_config_selectorIlEEZNS1_11reduce_implILb1ES3_N6thrust23THRUST_200600_302600_NS11hip_rocprim26transform_input_iterator_tIlNS8_12zip_iteratorINS8_5tupleINS8_6detail15normal_iteratorINS8_10device_ptrIsEEEESH_NS8_9null_typeESI_SI_SI_SI_SI_SI_SI_EEEENS9_21zip_adj_not_predicateINS8_8equal_toIsEEEEEEPllNS8_4plusIlEEEE10hipError_tPvRmT1_T2_T3_mT4_P12ihipStream_tbEUlT_E1_NS1_11comp_targetILNS1_3genE3ELNS1_11target_archE908ELNS1_3gpuE7ELNS1_3repE0EEENS1_30default_config_static_selectorELNS0_4arch9wavefront6targetE1EEEvSW_.uses_vcc, 0
	.set _ZN7rocprim17ROCPRIM_400000_NS6detail17trampoline_kernelINS0_14default_configENS1_22reduce_config_selectorIlEEZNS1_11reduce_implILb1ES3_N6thrust23THRUST_200600_302600_NS11hip_rocprim26transform_input_iterator_tIlNS8_12zip_iteratorINS8_5tupleINS8_6detail15normal_iteratorINS8_10device_ptrIsEEEESH_NS8_9null_typeESI_SI_SI_SI_SI_SI_SI_EEEENS9_21zip_adj_not_predicateINS8_8equal_toIsEEEEEEPllNS8_4plusIlEEEE10hipError_tPvRmT1_T2_T3_mT4_P12ihipStream_tbEUlT_E1_NS1_11comp_targetILNS1_3genE3ELNS1_11target_archE908ELNS1_3gpuE7ELNS1_3repE0EEENS1_30default_config_static_selectorELNS0_4arch9wavefront6targetE1EEEvSW_.uses_flat_scratch, 0
	.set _ZN7rocprim17ROCPRIM_400000_NS6detail17trampoline_kernelINS0_14default_configENS1_22reduce_config_selectorIlEEZNS1_11reduce_implILb1ES3_N6thrust23THRUST_200600_302600_NS11hip_rocprim26transform_input_iterator_tIlNS8_12zip_iteratorINS8_5tupleINS8_6detail15normal_iteratorINS8_10device_ptrIsEEEESH_NS8_9null_typeESI_SI_SI_SI_SI_SI_SI_EEEENS9_21zip_adj_not_predicateINS8_8equal_toIsEEEEEEPllNS8_4plusIlEEEE10hipError_tPvRmT1_T2_T3_mT4_P12ihipStream_tbEUlT_E1_NS1_11comp_targetILNS1_3genE3ELNS1_11target_archE908ELNS1_3gpuE7ELNS1_3repE0EEENS1_30default_config_static_selectorELNS0_4arch9wavefront6targetE1EEEvSW_.has_dyn_sized_stack, 0
	.set _ZN7rocprim17ROCPRIM_400000_NS6detail17trampoline_kernelINS0_14default_configENS1_22reduce_config_selectorIlEEZNS1_11reduce_implILb1ES3_N6thrust23THRUST_200600_302600_NS11hip_rocprim26transform_input_iterator_tIlNS8_12zip_iteratorINS8_5tupleINS8_6detail15normal_iteratorINS8_10device_ptrIsEEEESH_NS8_9null_typeESI_SI_SI_SI_SI_SI_SI_EEEENS9_21zip_adj_not_predicateINS8_8equal_toIsEEEEEEPllNS8_4plusIlEEEE10hipError_tPvRmT1_T2_T3_mT4_P12ihipStream_tbEUlT_E1_NS1_11comp_targetILNS1_3genE3ELNS1_11target_archE908ELNS1_3gpuE7ELNS1_3repE0EEENS1_30default_config_static_selectorELNS0_4arch9wavefront6targetE1EEEvSW_.has_recursion, 0
	.set _ZN7rocprim17ROCPRIM_400000_NS6detail17trampoline_kernelINS0_14default_configENS1_22reduce_config_selectorIlEEZNS1_11reduce_implILb1ES3_N6thrust23THRUST_200600_302600_NS11hip_rocprim26transform_input_iterator_tIlNS8_12zip_iteratorINS8_5tupleINS8_6detail15normal_iteratorINS8_10device_ptrIsEEEESH_NS8_9null_typeESI_SI_SI_SI_SI_SI_SI_EEEENS9_21zip_adj_not_predicateINS8_8equal_toIsEEEEEEPllNS8_4plusIlEEEE10hipError_tPvRmT1_T2_T3_mT4_P12ihipStream_tbEUlT_E1_NS1_11comp_targetILNS1_3genE3ELNS1_11target_archE908ELNS1_3gpuE7ELNS1_3repE0EEENS1_30default_config_static_selectorELNS0_4arch9wavefront6targetE1EEEvSW_.has_indirect_call, 0
	.section	.AMDGPU.csdata,"",@progbits
; Kernel info:
; codeLenInByte = 0
; TotalNumSgprs: 4
; NumVgprs: 0
; ScratchSize: 0
; MemoryBound: 0
; FloatMode: 240
; IeeeMode: 1
; LDSByteSize: 0 bytes/workgroup (compile time only)
; SGPRBlocks: 0
; VGPRBlocks: 0
; NumSGPRsForWavesPerEU: 4
; NumVGPRsForWavesPerEU: 1
; Occupancy: 10
; WaveLimiterHint : 0
; COMPUTE_PGM_RSRC2:SCRATCH_EN: 0
; COMPUTE_PGM_RSRC2:USER_SGPR: 6
; COMPUTE_PGM_RSRC2:TRAP_HANDLER: 0
; COMPUTE_PGM_RSRC2:TGID_X_EN: 1
; COMPUTE_PGM_RSRC2:TGID_Y_EN: 0
; COMPUTE_PGM_RSRC2:TGID_Z_EN: 0
; COMPUTE_PGM_RSRC2:TIDIG_COMP_CNT: 0
	.section	.text._ZN7rocprim17ROCPRIM_400000_NS6detail17trampoline_kernelINS0_14default_configENS1_22reduce_config_selectorIlEEZNS1_11reduce_implILb1ES3_N6thrust23THRUST_200600_302600_NS11hip_rocprim26transform_input_iterator_tIlNS8_12zip_iteratorINS8_5tupleINS8_6detail15normal_iteratorINS8_10device_ptrIsEEEESH_NS8_9null_typeESI_SI_SI_SI_SI_SI_SI_EEEENS9_21zip_adj_not_predicateINS8_8equal_toIsEEEEEEPllNS8_4plusIlEEEE10hipError_tPvRmT1_T2_T3_mT4_P12ihipStream_tbEUlT_E1_NS1_11comp_targetILNS1_3genE2ELNS1_11target_archE906ELNS1_3gpuE6ELNS1_3repE0EEENS1_30default_config_static_selectorELNS0_4arch9wavefront6targetE1EEEvSW_,"axG",@progbits,_ZN7rocprim17ROCPRIM_400000_NS6detail17trampoline_kernelINS0_14default_configENS1_22reduce_config_selectorIlEEZNS1_11reduce_implILb1ES3_N6thrust23THRUST_200600_302600_NS11hip_rocprim26transform_input_iterator_tIlNS8_12zip_iteratorINS8_5tupleINS8_6detail15normal_iteratorINS8_10device_ptrIsEEEESH_NS8_9null_typeESI_SI_SI_SI_SI_SI_SI_EEEENS9_21zip_adj_not_predicateINS8_8equal_toIsEEEEEEPllNS8_4plusIlEEEE10hipError_tPvRmT1_T2_T3_mT4_P12ihipStream_tbEUlT_E1_NS1_11comp_targetILNS1_3genE2ELNS1_11target_archE906ELNS1_3gpuE6ELNS1_3repE0EEENS1_30default_config_static_selectorELNS0_4arch9wavefront6targetE1EEEvSW_,comdat
	.protected	_ZN7rocprim17ROCPRIM_400000_NS6detail17trampoline_kernelINS0_14default_configENS1_22reduce_config_selectorIlEEZNS1_11reduce_implILb1ES3_N6thrust23THRUST_200600_302600_NS11hip_rocprim26transform_input_iterator_tIlNS8_12zip_iteratorINS8_5tupleINS8_6detail15normal_iteratorINS8_10device_ptrIsEEEESH_NS8_9null_typeESI_SI_SI_SI_SI_SI_SI_EEEENS9_21zip_adj_not_predicateINS8_8equal_toIsEEEEEEPllNS8_4plusIlEEEE10hipError_tPvRmT1_T2_T3_mT4_P12ihipStream_tbEUlT_E1_NS1_11comp_targetILNS1_3genE2ELNS1_11target_archE906ELNS1_3gpuE6ELNS1_3repE0EEENS1_30default_config_static_selectorELNS0_4arch9wavefront6targetE1EEEvSW_ ; -- Begin function _ZN7rocprim17ROCPRIM_400000_NS6detail17trampoline_kernelINS0_14default_configENS1_22reduce_config_selectorIlEEZNS1_11reduce_implILb1ES3_N6thrust23THRUST_200600_302600_NS11hip_rocprim26transform_input_iterator_tIlNS8_12zip_iteratorINS8_5tupleINS8_6detail15normal_iteratorINS8_10device_ptrIsEEEESH_NS8_9null_typeESI_SI_SI_SI_SI_SI_SI_EEEENS9_21zip_adj_not_predicateINS8_8equal_toIsEEEEEEPllNS8_4plusIlEEEE10hipError_tPvRmT1_T2_T3_mT4_P12ihipStream_tbEUlT_E1_NS1_11comp_targetILNS1_3genE2ELNS1_11target_archE906ELNS1_3gpuE6ELNS1_3repE0EEENS1_30default_config_static_selectorELNS0_4arch9wavefront6targetE1EEEvSW_
	.globl	_ZN7rocprim17ROCPRIM_400000_NS6detail17trampoline_kernelINS0_14default_configENS1_22reduce_config_selectorIlEEZNS1_11reduce_implILb1ES3_N6thrust23THRUST_200600_302600_NS11hip_rocprim26transform_input_iterator_tIlNS8_12zip_iteratorINS8_5tupleINS8_6detail15normal_iteratorINS8_10device_ptrIsEEEESH_NS8_9null_typeESI_SI_SI_SI_SI_SI_SI_EEEENS9_21zip_adj_not_predicateINS8_8equal_toIsEEEEEEPllNS8_4plusIlEEEE10hipError_tPvRmT1_T2_T3_mT4_P12ihipStream_tbEUlT_E1_NS1_11comp_targetILNS1_3genE2ELNS1_11target_archE906ELNS1_3gpuE6ELNS1_3repE0EEENS1_30default_config_static_selectorELNS0_4arch9wavefront6targetE1EEEvSW_
	.p2align	8
	.type	_ZN7rocprim17ROCPRIM_400000_NS6detail17trampoline_kernelINS0_14default_configENS1_22reduce_config_selectorIlEEZNS1_11reduce_implILb1ES3_N6thrust23THRUST_200600_302600_NS11hip_rocprim26transform_input_iterator_tIlNS8_12zip_iteratorINS8_5tupleINS8_6detail15normal_iteratorINS8_10device_ptrIsEEEESH_NS8_9null_typeESI_SI_SI_SI_SI_SI_SI_EEEENS9_21zip_adj_not_predicateINS8_8equal_toIsEEEEEEPllNS8_4plusIlEEEE10hipError_tPvRmT1_T2_T3_mT4_P12ihipStream_tbEUlT_E1_NS1_11comp_targetILNS1_3genE2ELNS1_11target_archE906ELNS1_3gpuE6ELNS1_3repE0EEENS1_30default_config_static_selectorELNS0_4arch9wavefront6targetE1EEEvSW_,@function
_ZN7rocprim17ROCPRIM_400000_NS6detail17trampoline_kernelINS0_14default_configENS1_22reduce_config_selectorIlEEZNS1_11reduce_implILb1ES3_N6thrust23THRUST_200600_302600_NS11hip_rocprim26transform_input_iterator_tIlNS8_12zip_iteratorINS8_5tupleINS8_6detail15normal_iteratorINS8_10device_ptrIsEEEESH_NS8_9null_typeESI_SI_SI_SI_SI_SI_SI_EEEENS9_21zip_adj_not_predicateINS8_8equal_toIsEEEEEEPllNS8_4plusIlEEEE10hipError_tPvRmT1_T2_T3_mT4_P12ihipStream_tbEUlT_E1_NS1_11comp_targetILNS1_3genE2ELNS1_11target_archE906ELNS1_3gpuE6ELNS1_3repE0EEENS1_30default_config_static_selectorELNS0_4arch9wavefront6targetE1EEEvSW_: ; @_ZN7rocprim17ROCPRIM_400000_NS6detail17trampoline_kernelINS0_14default_configENS1_22reduce_config_selectorIlEEZNS1_11reduce_implILb1ES3_N6thrust23THRUST_200600_302600_NS11hip_rocprim26transform_input_iterator_tIlNS8_12zip_iteratorINS8_5tupleINS8_6detail15normal_iteratorINS8_10device_ptrIsEEEESH_NS8_9null_typeESI_SI_SI_SI_SI_SI_SI_EEEENS9_21zip_adj_not_predicateINS8_8equal_toIsEEEEEEPllNS8_4plusIlEEEE10hipError_tPvRmT1_T2_T3_mT4_P12ihipStream_tbEUlT_E1_NS1_11comp_targetILNS1_3genE2ELNS1_11target_archE906ELNS1_3gpuE6ELNS1_3repE0EEENS1_30default_config_static_selectorELNS0_4arch9wavefront6targetE1EEEvSW_
; %bb.0:
	s_load_dword s30, s[4:5], 0x4
	s_load_dwordx4 s[24:27], s[4:5], 0x8
	s_load_dwordx4 s[20:23], s[4:5], 0x20
	s_waitcnt lgkmcnt(0)
	s_cmp_lt_i32 s30, 4
	s_cbranch_scc1 .LBB1008_10
; %bb.1:
	s_cmp_gt_i32 s30, 7
	s_cbranch_scc0 .LBB1008_11
; %bb.2:
	s_cmp_gt_i32 s30, 15
	s_cbranch_scc0 .LBB1008_12
; %bb.3:
	s_mov_b64 s[2:3], 0
	s_cmp_eq_u32 s30, 16
	s_mov_b64 s[0:1], 0
                                        ; implicit-def: $vgpr1_vgpr2
                                        ; implicit-def: $vgpr3_vgpr4
	s_cbranch_scc0 .LBB1008_13
; %bb.4:
	s_mov_b32 s7, 0
	s_lshl_b32 s12, s6, 12
	s_mov_b32 s13, s7
	s_lshr_b64 s[0:1], s[20:21], 12
	s_lshl_b64 s[10:11], s[12:13], 1
	s_add_u32 s8, s24, s10
	s_addc_u32 s9, s25, s11
	s_add_u32 s10, s26, s10
	s_addc_u32 s11, s27, s11
	s_cmp_lg_u64 s[0:1], s[6:7]
	s_cbranch_scc0 .LBB1008_21
; %bb.5:
	v_lshlrev_b32_e32 v5, 1, v0
	global_load_ushort v6, v5, s[8:9] offset:2048
	global_load_ushort v7, v5, s[10:11] offset:2048
	v_mov_b32_e32 v1, s9
	v_add_co_u32_e32 v3, vcc, s8, v5
	v_addc_co_u32_e32 v4, vcc, 0, v1, vcc
	v_mov_b32_e32 v2, s11
	v_add_co_u32_e32 v8, vcc, s10, v5
	global_load_ushort v10, v5, s[8:9] offset:2560
	global_load_ushort v11, v5, s[8:9] offset:3072
	;; [unrolled: 1-line block ×4, first 2 shown]
	global_load_ushort v14, v5, s[8:9]
	global_load_ushort v15, v5, s[8:9] offset:512
	global_load_ushort v16, v5, s[10:11] offset:2560
	;; [unrolled: 1-line block ×7, first 2 shown]
	global_load_ushort v22, v5, s[10:11]
	s_movk_i32 s0, 0x1000
	v_addc_co_u32_e32 v9, vcc, 0, v2, vcc
	v_add_co_u32_e32 v1, vcc, s0, v3
	v_addc_co_u32_e32 v2, vcc, 0, v4, vcc
	v_add_co_u32_e32 v3, vcc, s0, v8
	v_addc_co_u32_e32 v4, vcc, 0, v9, vcc
	global_load_ushort v8, v[3:4], off
	global_load_ushort v9, v[1:2], off
	global_load_ushort v23, v[1:2], off offset:512
	global_load_ushort v24, v[1:2], off offset:1024
	;; [unrolled: 1-line block ×8, first 2 shown]
	s_waitcnt vmcnt(23)
	v_cmp_ne_u16_e32 vcc, v6, v7
	global_load_ushort v6, v[1:2], off offset:2048
	global_load_ushort v7, v[1:2], off offset:2560
	;; [unrolled: 1-line block ×6, first 2 shown]
	global_load_ushort v35, v5, s[8:9] offset:1024
	v_cndmask_b32_e64 v3, 0, 1, vcc
	s_waitcnt vmcnt(23)
	v_cmp_ne_u16_e32 vcc, v10, v16
	v_cndmask_b32_e64 v4, 0, 1, vcc
	s_waitcnt vmcnt(22)
	v_cmp_ne_u16_e32 vcc, v11, v17
	;; [unrolled: 3-line block ×6, first 2 shown]
	v_cndmask_b32_e64 v8, 0, 1, vcc
	v_cmp_ne_u16_e64 s[0:1], v13, v19
	v_cndmask_b32_e64 v2, 0, 1, s[0:1]
	s_waitcnt vmcnt(11)
	v_cmp_ne_u16_e32 vcc, v23, v26
	v_cndmask_b32_e64 v9, 0, 1, vcc
	s_waitcnt vmcnt(10)
	v_cmp_ne_u16_e32 vcc, v24, v27
	v_cndmask_b32_e64 v13, 0, 1, vcc
	;; [unrolled: 3-line block ×3, first 2 shown]
	v_mov_b32_e32 v1, 0
	s_waitcnt vmcnt(6)
	v_cmp_ne_u16_e32 vcc, v6, v29
	v_cndmask_b32_e64 v6, 0, 1, vcc
	s_waitcnt vmcnt(5)
	v_cmp_ne_u16_e32 vcc, v7, v30
	v_cndmask_b32_e64 v7, 0, 1, vcc
	;; [unrolled: 3-line block ×4, first 2 shown]
	s_waitcnt vmcnt(0)
	v_cmp_ne_u16_e32 vcc, v35, v21
	v_addc_co_u32_e32 v11, vcc, v11, v12, vcc
	v_add_co_u32_e32 v2, vcc, v11, v2
	v_addc_co_u32_e64 v11, s[0:1], 0, 0, vcc
	v_add_co_u32_e32 v2, vcc, v2, v3
	v_addc_co_u32_e32 v3, vcc, 0, v11, vcc
	v_add_co_u32_e32 v2, vcc, v2, v4
	v_addc_co_u32_e32 v3, vcc, 0, v3, vcc
	;; [unrolled: 2-line block ×12, first 2 shown]
	s_nop 0
	v_mov_b32_dpp v5, v2 quad_perm:[1,0,3,2] row_mask:0xf bank_mask:0xf bound_ctrl:1
	v_add_co_u32_e32 v2, vcc, v2, v5
	v_addc_co_u32_e32 v4, vcc, 0, v4, vcc
	v_mov_b32_dpp v1, v1 quad_perm:[1,0,3,2] row_mask:0xf bank_mask:0xf bound_ctrl:1
	v_add_co_u32_e32 v5, vcc, 0, v2
	v_addc_co_u32_e32 v1, vcc, v1, v4, vcc
	v_mov_b32_dpp v2, v2 quad_perm:[2,3,0,1] row_mask:0xf bank_mask:0xf bound_ctrl:1
	v_add_co_u32_e32 v2, vcc, v5, v2
	v_mov_b32_dpp v4, v1 quad_perm:[2,3,0,1] row_mask:0xf bank_mask:0xf bound_ctrl:1
	v_addc_co_u32_e32 v1, vcc, 0, v1, vcc
	v_add_co_u32_e32 v5, vcc, 0, v2
	v_addc_co_u32_e32 v1, vcc, v1, v4, vcc
	v_mov_b32_dpp v2, v2 row_ror:4 row_mask:0xf bank_mask:0xf bound_ctrl:1
	v_add_co_u32_e32 v2, vcc, v5, v2
	v_mov_b32_dpp v4, v1 row_ror:4 row_mask:0xf bank_mask:0xf bound_ctrl:1
	v_addc_co_u32_e32 v1, vcc, 0, v1, vcc
	v_add_co_u32_e32 v5, vcc, 0, v2
	v_addc_co_u32_e32 v1, vcc, v1, v4, vcc
	v_mov_b32_dpp v2, v2 row_ror:8 row_mask:0xf bank_mask:0xf bound_ctrl:1
	v_add_co_u32_e32 v2, vcc, v5, v2
	v_mov_b32_dpp v4, v1 row_ror:8 row_mask:0xf bank_mask:0xf bound_ctrl:1
	v_addc_co_u32_e32 v1, vcc, 0, v1, vcc
	v_add_co_u32_e32 v5, vcc, 0, v2
	v_addc_co_u32_e32 v1, vcc, v1, v4, vcc
	v_mov_b32_dpp v2, v2 row_bcast:15 row_mask:0xf bank_mask:0xf bound_ctrl:1
	v_add_co_u32_e32 v2, vcc, v5, v2
	v_mov_b32_dpp v4, v1 row_bcast:15 row_mask:0xf bank_mask:0xf bound_ctrl:1
	v_addc_co_u32_e32 v1, vcc, 0, v1, vcc
	v_add_co_u32_e32 v5, vcc, 0, v2
	v_addc_co_u32_e32 v1, vcc, v1, v4, vcc
	v_mov_b32_dpp v2, v2 row_bcast:31 row_mask:0xf bank_mask:0xf bound_ctrl:1
	v_mbcnt_lo_u32_b32 v3, -1, 0
	v_add_co_u32_e32 v2, vcc, v5, v2
	v_mbcnt_hi_u32_b32 v3, -1, v3
	v_addc_co_u32_e32 v4, vcc, 0, v1, vcc
	v_cmp_eq_u32_e32 vcc, 0, v3
	s_nop 0
	v_add_u32_dpp v5, v1, v4 row_bcast:31 row_mask:0xf bank_mask:0xf bound_ctrl:1
	v_lshlrev_b32_e32 v4, 2, v3
	v_or_b32_e32 v6, 0xfc, v4
	ds_bpermute_b32 v1, v6, v2
	ds_bpermute_b32 v2, v6, v5
	s_and_saveexec_b64 s[0:1], vcc
	s_cbranch_execz .LBB1008_7
; %bb.6:
	v_lshrrev_b32_e32 v5, 3, v0
	v_and_b32_e32 v5, 24, v5
	s_waitcnt lgkmcnt(0)
	ds_write_b64 v5, v[1:2]
.LBB1008_7:
	s_or_b64 exec, exec, s[0:1]
	v_cmp_gt_u32_e32 vcc, 64, v0
	s_waitcnt lgkmcnt(0)
	s_barrier
	s_and_saveexec_b64 s[0:1], vcc
	s_cbranch_execz .LBB1008_9
; %bb.8:
	v_and_b32_e32 v5, 3, v3
	v_lshlrev_b32_e32 v1, 3, v5
	ds_read_b64 v[1:2], v1
	v_cmp_ne_u32_e32 vcc, 3, v5
	v_addc_co_u32_e32 v3, vcc, 0, v3, vcc
	v_lshlrev_b32_e32 v3, 2, v3
	s_waitcnt lgkmcnt(0)
	ds_bpermute_b32 v5, v3, v1
	ds_bpermute_b32 v3, v3, v2
	v_or_b32_e32 v4, 8, v4
	s_waitcnt lgkmcnt(1)
	v_add_co_u32_e32 v1, vcc, v1, v5
	v_addc_co_u32_e32 v2, vcc, 0, v2, vcc
	ds_bpermute_b32 v5, v4, v1
	v_add_co_u32_e32 v1, vcc, 0, v1
	s_waitcnt lgkmcnt(1)
	v_addc_co_u32_e32 v2, vcc, v3, v2, vcc
	ds_bpermute_b32 v3, v4, v2
	s_waitcnt lgkmcnt(1)
	v_add_co_u32_e32 v1, vcc, v1, v5
	v_addc_co_u32_e32 v2, vcc, 0, v2, vcc
	v_add_co_u32_e32 v1, vcc, 0, v1
	s_waitcnt lgkmcnt(0)
	v_addc_co_u32_e32 v2, vcc, v2, v3, vcc
.LBB1008_9:
	s_or_b64 exec, exec, s[0:1]
	s_mov_b64 s[0:1], 0
	s_branch .LBB1008_22
.LBB1008_10:
	s_mov_b64 s[0:1], 0
                                        ; implicit-def: $vgpr1_vgpr2
                                        ; implicit-def: $vgpr3_vgpr4
	s_cbranch_execnz .LBB1008_145
	s_branch .LBB1008_206
.LBB1008_11:
	s_mov_b64 s[0:1], 0
                                        ; implicit-def: $vgpr1_vgpr2
                                        ; implicit-def: $vgpr3_vgpr4
	s_cbranch_execnz .LBB1008_110
	s_branch .LBB1008_144
.LBB1008_12:
	s_mov_b64 s[2:3], -1
	s_mov_b64 s[0:1], 0
                                        ; implicit-def: $vgpr1_vgpr2
                                        ; implicit-def: $vgpr3_vgpr4
.LBB1008_13:
	s_and_b64 vcc, exec, s[2:3]
	s_cbranch_vccz .LBB1008_109
.LBB1008_14:
	s_cmp_eq_u32 s30, 8
                                        ; implicit-def: $vgpr1_vgpr2
                                        ; implicit-def: $vgpr3_vgpr4
	s_cbranch_scc0 .LBB1008_109
; %bb.15:
	s_mov_b32 s7, 0
	s_lshl_b32 s0, s6, 11
	s_mov_b32 s1, s7
	s_lshr_b64 s[2:3], s[20:21], 11
	s_lshl_b64 s[8:9], s[0:1], 1
	s_add_u32 s16, s24, s8
	s_addc_u32 s17, s25, s9
	s_add_u32 s18, s26, s8
	s_addc_u32 s19, s27, s9
	s_cmp_lg_u64 s[2:3], s[6:7]
	s_cbranch_scc0 .LBB1008_73
; %bb.16:
	v_lshlrev_b32_e32 v1, 1, v0
	global_load_ushort v2, v1, s[18:19] offset:1536
	global_load_ushort v4, v1, s[16:17] offset:1536
	;; [unrolled: 1-line block ×12, first 2 shown]
	global_load_ushort v15, v1, s[18:19]
	global_load_ushort v16, v1, s[16:17]
	global_load_ushort v17, v1, s[16:17] offset:1024
	s_nop 0
	global_load_ushort v1, v1, s[18:19] offset:1024
	v_mov_b32_e32 v18, 0
	v_mbcnt_lo_u32_b32 v3, -1, 0
	v_mbcnt_hi_u32_b32 v3, -1, v3
	v_mov_b32_dpp v18, v18 quad_perm:[1,0,3,2] row_mask:0xf bank_mask:0xf bound_ctrl:1
	s_waitcnt vmcnt(14)
	v_cmp_ne_u16_e32 vcc, v4, v2
	v_cndmask_b32_e64 v2, 0, 1, vcc
	s_waitcnt vmcnt(12)
	v_cmp_ne_u16_e32 vcc, v5, v6
	v_cndmask_b32_e64 v4, 0, 1, vcc
	;; [unrolled: 3-line block ×7, first 2 shown]
	s_waitcnt vmcnt(0)
	v_cmp_ne_u16_e32 vcc, v17, v1
	v_addc_co_u32_e32 v1, vcc, v8, v9, vcc
	v_add_co_u32_e32 v1, vcc, v1, v2
	v_addc_co_u32_e64 v2, s[2:3], 0, 0, vcc
	v_add_co_u32_e32 v1, vcc, v1, v4
	v_addc_co_u32_e32 v2, vcc, 0, v2, vcc
	v_add_co_u32_e32 v1, vcc, v1, v5
	v_addc_co_u32_e32 v2, vcc, 0, v2, vcc
	;; [unrolled: 2-line block ×4, first 2 shown]
	s_nop 0
	v_mov_b32_dpp v4, v1 quad_perm:[1,0,3,2] row_mask:0xf bank_mask:0xf bound_ctrl:1
	v_add_co_u32_e32 v1, vcc, v1, v4
	v_addc_co_u32_e32 v2, vcc, 0, v2, vcc
	v_add_co_u32_e32 v4, vcc, 0, v1
	v_addc_co_u32_e32 v2, vcc, v18, v2, vcc
	v_mov_b32_dpp v1, v1 quad_perm:[2,3,0,1] row_mask:0xf bank_mask:0xf bound_ctrl:1
	v_add_co_u32_e32 v1, vcc, v4, v1
	v_mov_b32_dpp v5, v2 quad_perm:[2,3,0,1] row_mask:0xf bank_mask:0xf bound_ctrl:1
	v_addc_co_u32_e32 v2, vcc, 0, v2, vcc
	v_add_co_u32_e32 v4, vcc, 0, v1
	v_addc_co_u32_e32 v2, vcc, v2, v5, vcc
	v_mov_b32_dpp v1, v1 row_ror:4 row_mask:0xf bank_mask:0xf bound_ctrl:1
	v_add_co_u32_e32 v1, vcc, v4, v1
	v_mov_b32_dpp v5, v2 row_ror:4 row_mask:0xf bank_mask:0xf bound_ctrl:1
	v_addc_co_u32_e32 v2, vcc, 0, v2, vcc
	v_add_co_u32_e32 v4, vcc, 0, v1
	v_addc_co_u32_e32 v2, vcc, v2, v5, vcc
	v_mov_b32_dpp v1, v1 row_ror:8 row_mask:0xf bank_mask:0xf bound_ctrl:1
	v_add_co_u32_e32 v1, vcc, v4, v1
	v_mov_b32_dpp v5, v2 row_ror:8 row_mask:0xf bank_mask:0xf bound_ctrl:1
	v_addc_co_u32_e32 v2, vcc, 0, v2, vcc
	v_add_co_u32_e32 v4, vcc, 0, v1
	v_addc_co_u32_e32 v2, vcc, v2, v5, vcc
	v_mov_b32_dpp v1, v1 row_bcast:15 row_mask:0xf bank_mask:0xf bound_ctrl:1
	v_add_co_u32_e32 v1, vcc, v4, v1
	v_mov_b32_dpp v5, v2 row_bcast:15 row_mask:0xf bank_mask:0xf bound_ctrl:1
	v_addc_co_u32_e32 v2, vcc, 0, v2, vcc
	v_add_co_u32_e32 v4, vcc, 0, v1
	v_addc_co_u32_e32 v2, vcc, v2, v5, vcc
	v_mov_b32_dpp v1, v1 row_bcast:31 row_mask:0xf bank_mask:0xf bound_ctrl:1
	v_add_co_u32_e32 v1, vcc, v4, v1
	v_addc_co_u32_e32 v4, vcc, 0, v2, vcc
	v_cmp_eq_u32_e32 vcc, 0, v3
	s_nop 0
	v_add_u32_dpp v2, v2, v4 row_bcast:31 row_mask:0xf bank_mask:0xf bound_ctrl:1
	v_lshlrev_b32_e32 v4, 2, v3
	v_or_b32_e32 v5, 0xfc, v4
	ds_bpermute_b32 v1, v5, v1
	ds_bpermute_b32 v2, v5, v2
	s_and_saveexec_b64 s[2:3], vcc
	s_cbranch_execz .LBB1008_18
; %bb.17:
	v_lshrrev_b32_e32 v5, 3, v0
	v_and_b32_e32 v5, 24, v5
	s_waitcnt lgkmcnt(0)
	ds_write_b64 v5, v[1:2] offset:128
.LBB1008_18:
	s_or_b64 exec, exec, s[2:3]
	v_cmp_gt_u32_e32 vcc, 64, v0
	s_waitcnt lgkmcnt(0)
	s_barrier
	s_and_saveexec_b64 s[2:3], vcc
	s_cbranch_execz .LBB1008_20
; %bb.19:
	v_and_b32_e32 v5, 3, v3
	v_lshlrev_b32_e32 v1, 3, v5
	ds_read_b64 v[1:2], v1 offset:128
	v_cmp_ne_u32_e32 vcc, 3, v5
	v_addc_co_u32_e32 v3, vcc, 0, v3, vcc
	v_lshlrev_b32_e32 v3, 2, v3
	s_waitcnt lgkmcnt(0)
	ds_bpermute_b32 v5, v3, v1
	ds_bpermute_b32 v3, v3, v2
	v_or_b32_e32 v4, 8, v4
	s_waitcnt lgkmcnt(1)
	v_add_co_u32_e32 v1, vcc, v1, v5
	v_addc_co_u32_e32 v2, vcc, 0, v2, vcc
	ds_bpermute_b32 v5, v4, v1
	v_add_co_u32_e32 v1, vcc, 0, v1
	s_waitcnt lgkmcnt(1)
	v_addc_co_u32_e32 v2, vcc, v3, v2, vcc
	ds_bpermute_b32 v3, v4, v2
	s_waitcnt lgkmcnt(1)
	v_add_co_u32_e32 v1, vcc, v1, v5
	v_addc_co_u32_e32 v2, vcc, 0, v2, vcc
	v_add_co_u32_e32 v1, vcc, 0, v1
	s_waitcnt lgkmcnt(0)
	v_addc_co_u32_e32 v2, vcc, v2, v3, vcc
.LBB1008_20:
	s_or_b64 exec, exec, s[2:3]
	s_mov_b64 s[2:3], 0
	s_branch .LBB1008_74
.LBB1008_21:
	s_mov_b64 s[0:1], -1
                                        ; implicit-def: $vgpr1_vgpr2
.LBB1008_22:
	s_and_b64 vcc, exec, s[0:1]
	s_cbranch_vccz .LBB1008_72
; %bb.23:
	s_sub_i32 s12, s20, s12
	v_cmp_gt_u32_e32 vcc, s12, v0
                                        ; implicit-def: $vgpr1_vgpr2
	s_and_saveexec_b64 s[0:1], vcc
	s_cbranch_execz .LBB1008_25
; %bb.24:
	v_lshlrev_b32_e32 v1, 1, v0
	global_load_ushort v2, v1, s[8:9]
	global_load_ushort v3, v1, s[10:11]
	s_mov_b32 s13, 0
	s_waitcnt vmcnt(0)
	v_cmp_ne_u16_e32 vcc, v2, v3
	v_cndmask_b32_e64 v1, 0, 1, vcc
	v_mov_b32_e32 v2, s13
.LBB1008_25:
	s_or_b64 exec, exec, s[0:1]
	v_or_b32_e32 v7, 0x100, v0
	v_mov_b32_e32 v3, 0
	v_mov_b32_e32 v5, 0
	v_mov_b32_e32 v4, 0
	v_mov_b32_e32 v6, 0
	v_cmp_gt_u32_e32 vcc, s12, v7
	s_and_saveexec_b64 s[0:1], vcc
	s_cbranch_execz .LBB1008_27
; %bb.26:
	v_lshlrev_b32_e32 v5, 1, v0
	global_load_ushort v6, v5, s[8:9] offset:512
	global_load_ushort v7, v5, s[10:11] offset:512
	s_mov_b32 s13, 0
	s_waitcnt vmcnt(0)
	v_cmp_ne_u16_e32 vcc, v6, v7
	v_cndmask_b32_e64 v5, 0, 1, vcc
	v_mov_b32_e32 v6, s13
.LBB1008_27:
	s_or_b64 exec, exec, s[0:1]
	v_or_b32_e32 v7, 0x200, v0
	v_cmp_gt_u32_e32 vcc, s12, v7
	s_and_saveexec_b64 s[0:1], vcc
	s_cbranch_execz .LBB1008_29
; %bb.28:
	v_lshlrev_b32_e32 v3, 1, v0
	global_load_ushort v4, v3, s[8:9] offset:1024
	global_load_ushort v7, v3, s[10:11] offset:1024
	s_mov_b32 s13, 0
	s_waitcnt vmcnt(0)
	v_cmp_ne_u16_e32 vcc, v4, v7
	v_cndmask_b32_e64 v3, 0, 1, vcc
	v_mov_b32_e32 v4, s13
.LBB1008_29:
	s_or_b64 exec, exec, s[0:1]
	v_or_b32_e32 v11, 0x300, v0
	v_mov_b32_e32 v7, 0
	v_mov_b32_e32 v9, 0
	v_mov_b32_e32 v8, 0
	v_mov_b32_e32 v10, 0
	v_cmp_gt_u32_e32 vcc, s12, v11
	s_and_saveexec_b64 s[0:1], vcc
	s_cbranch_execz .LBB1008_31
; %bb.30:
	v_lshlrev_b32_e32 v9, 1, v0
	global_load_ushort v10, v9, s[8:9] offset:1536
	global_load_ushort v11, v9, s[10:11] offset:1536
	s_mov_b32 s13, 0
	s_waitcnt vmcnt(0)
	v_cmp_ne_u16_e32 vcc, v10, v11
	v_cndmask_b32_e64 v9, 0, 1, vcc
	v_mov_b32_e32 v10, s13
.LBB1008_31:
	s_or_b64 exec, exec, s[0:1]
	v_or_b32_e32 v11, 0x400, v0
	v_cmp_gt_u32_e32 vcc, s12, v11
	s_and_saveexec_b64 s[0:1], vcc
	s_cbranch_execz .LBB1008_33
; %bb.32:
	v_lshlrev_b32_e32 v7, 1, v0
	global_load_ushort v8, v7, s[8:9] offset:2048
	global_load_ushort v11, v7, s[10:11] offset:2048
	s_mov_b32 s13, 0
	s_waitcnt vmcnt(0)
	v_cmp_ne_u16_e32 vcc, v8, v11
	v_cndmask_b32_e64 v7, 0, 1, vcc
	v_mov_b32_e32 v8, s13
.LBB1008_33:
	;; [unrolled: 34-line block ×3, first 2 shown]
	s_or_b64 exec, exec, s[0:1]
	v_or_b32_e32 v19, 0x700, v0
	v_mov_b32_e32 v15, 0
	v_mov_b32_e32 v17, 0
	;; [unrolled: 1-line block ×4, first 2 shown]
	v_cmp_gt_u32_e32 vcc, s12, v19
	s_and_saveexec_b64 s[0:1], vcc
	s_cbranch_execz .LBB1008_39
; %bb.38:
	v_lshlrev_b32_e32 v17, 1, v0
	global_load_ushort v18, v17, s[8:9] offset:3584
	global_load_ushort v19, v17, s[10:11] offset:3584
	s_mov_b32 s13, 0
	s_waitcnt vmcnt(0)
	v_cmp_ne_u16_e32 vcc, v18, v19
	v_cndmask_b32_e64 v17, 0, 1, vcc
	v_mov_b32_e32 v18, s13
.LBB1008_39:
	s_or_b64 exec, exec, s[0:1]
	v_or_b32_e32 v19, 0x800, v0
	v_cmp_gt_u32_e32 vcc, s12, v19
	s_and_saveexec_b64 s[0:1], vcc
	s_cbranch_execz .LBB1008_41
; %bb.40:
	v_lshlrev_b32_e32 v15, 1, v19
	global_load_ushort v16, v15, s[8:9]
	global_load_ushort v19, v15, s[10:11]
	s_mov_b32 s13, 0
	s_waitcnt vmcnt(0)
	v_cmp_ne_u16_e32 vcc, v16, v19
	v_cndmask_b32_e64 v15, 0, 1, vcc
	v_mov_b32_e32 v16, s13
.LBB1008_41:
	s_or_b64 exec, exec, s[0:1]
	v_or_b32_e32 v23, 0x900, v0
	v_mov_b32_e32 v19, 0
	v_mov_b32_e32 v21, 0
	v_mov_b32_e32 v20, 0
	v_mov_b32_e32 v22, 0
	v_cmp_gt_u32_e32 vcc, s12, v23
	s_and_saveexec_b64 s[0:1], vcc
	s_cbranch_execz .LBB1008_43
; %bb.42:
	v_lshlrev_b32_e32 v21, 1, v23
	global_load_ushort v22, v21, s[8:9]
	global_load_ushort v23, v21, s[10:11]
	s_mov_b32 s13, 0
	s_waitcnt vmcnt(0)
	v_cmp_ne_u16_e32 vcc, v22, v23
	v_cndmask_b32_e64 v21, 0, 1, vcc
	v_mov_b32_e32 v22, s13
.LBB1008_43:
	s_or_b64 exec, exec, s[0:1]
	v_or_b32_e32 v23, 0xa00, v0
	v_cmp_gt_u32_e32 vcc, s12, v23
	s_and_saveexec_b64 s[0:1], vcc
	s_cbranch_execz .LBB1008_45
; %bb.44:
	v_lshlrev_b32_e32 v19, 1, v23
	global_load_ushort v20, v19, s[8:9]
	global_load_ushort v23, v19, s[10:11]
	s_mov_b32 s13, 0
	s_waitcnt vmcnt(0)
	v_cmp_ne_u16_e32 vcc, v20, v23
	v_cndmask_b32_e64 v19, 0, 1, vcc
	v_mov_b32_e32 v20, s13
.LBB1008_45:
	s_or_b64 exec, exec, s[0:1]
	v_or_b32_e32 v27, 0xb00, v0
	v_mov_b32_e32 v23, 0
	v_mov_b32_e32 v25, 0
	v_mov_b32_e32 v24, 0
	v_mov_b32_e32 v26, 0
	v_cmp_gt_u32_e32 vcc, s12, v27
	s_and_saveexec_b64 s[0:1], vcc
	s_cbranch_execz .LBB1008_47
; %bb.46:
	v_lshlrev_b32_e32 v25, 1, v27
	global_load_ushort v26, v25, s[8:9]
	global_load_ushort v27, v25, s[10:11]
	s_mov_b32 s13, 0
	s_waitcnt vmcnt(0)
	v_cmp_ne_u16_e32 vcc, v26, v27
	v_cndmask_b32_e64 v25, 0, 1, vcc
	v_mov_b32_e32 v26, s13
.LBB1008_47:
	;; [unrolled: 34-line block ×3, first 2 shown]
	s_or_b64 exec, exec, s[0:1]
	v_or_b32_e32 v31, 0xe00, v0
	v_cmp_gt_u32_e32 vcc, s12, v31
	s_and_saveexec_b64 s[0:1], vcc
	s_cbranch_execz .LBB1008_53
; %bb.52:
	v_lshlrev_b32_e32 v27, 1, v31
	global_load_ushort v28, v27, s[8:9]
	global_load_ushort v31, v27, s[10:11]
	s_mov_b32 s13, 0
	s_waitcnt vmcnt(0)
	v_cmp_ne_u16_e32 vcc, v28, v31
	v_cndmask_b32_e64 v27, 0, 1, vcc
	v_mov_b32_e32 v28, s13
.LBB1008_53:
	s_or_b64 exec, exec, s[0:1]
	v_or_b32_e32 v33, 0xf00, v0
	v_mov_b32_e32 v31, 0
	v_mov_b32_e32 v32, 0
	v_cmp_gt_u32_e32 vcc, s12, v33
	s_and_saveexec_b64 s[0:1], vcc
	s_cbranch_execz .LBB1008_55
; %bb.54:
	v_lshlrev_b32_e32 v31, 1, v33
	global_load_ushort v32, v31, s[8:9]
	global_load_ushort v33, v31, s[10:11]
	s_mov_b32 s8, 0
	s_waitcnt vmcnt(0)
	v_cmp_ne_u16_e32 vcc, v32, v33
	v_cndmask_b32_e64 v31, 0, 1, vcc
	v_mov_b32_e32 v32, s8
.LBB1008_55:
	s_or_b64 exec, exec, s[0:1]
	v_add_co_u32_e32 v1, vcc, v5, v1
	v_addc_co_u32_e32 v2, vcc, v6, v2, vcc
	v_add_co_u32_e32 v1, vcc, v1, v3
	v_addc_co_u32_e32 v2, vcc, v2, v4, vcc
	;; [unrolled: 2-line block ×14, first 2 shown]
	v_mbcnt_lo_u32_b32 v3, -1, 0
	v_add_co_u32_e32 v1, vcc, v1, v31
	v_mbcnt_hi_u32_b32 v3, -1, v3
	v_addc_co_u32_e32 v2, vcc, v2, v32, vcc
	v_and_b32_e32 v4, 63, v3
	v_cmp_ne_u32_e32 vcc, 63, v4
	v_addc_co_u32_e32 v6, vcc, 0, v3, vcc
	v_lshlrev_b32_e32 v6, 2, v6
	ds_bpermute_b32 v8, v6, v1
	ds_bpermute_b32 v7, v6, v2
	s_min_u32 s8, s12, 0x100
	v_and_b32_e32 v5, 0xc0, v0
	v_sub_u32_e64 v5, s8, v5 clamp
	v_add_u32_e32 v6, 1, v4
	v_cmp_lt_u32_e32 vcc, v6, v5
	v_mov_b32_e32 v6, v1
	s_and_saveexec_b64 s[0:1], vcc
	s_cbranch_execz .LBB1008_57
; %bb.56:
	s_waitcnt lgkmcnt(1)
	v_add_co_u32_e32 v6, vcc, v1, v8
	v_addc_co_u32_e32 v2, vcc, 0, v2, vcc
	v_add_co_u32_e32 v1, vcc, 0, v6
	s_waitcnt lgkmcnt(0)
	v_addc_co_u32_e32 v2, vcc, v7, v2, vcc
.LBB1008_57:
	s_or_b64 exec, exec, s[0:1]
	v_cmp_gt_u32_e32 vcc, 62, v4
	s_waitcnt lgkmcnt(0)
	v_cndmask_b32_e64 v7, 0, 2, vcc
	v_add_lshl_u32 v7, v7, v3, 2
	ds_bpermute_b32 v8, v7, v6
	ds_bpermute_b32 v7, v7, v2
	v_add_u32_e32 v9, 2, v4
	v_cmp_lt_u32_e32 vcc, v9, v5
	s_and_saveexec_b64 s[0:1], vcc
	s_cbranch_execz .LBB1008_59
; %bb.58:
	s_waitcnt lgkmcnt(1)
	v_add_co_u32_e32 v6, vcc, v1, v8
	v_addc_co_u32_e32 v2, vcc, 0, v2, vcc
	v_add_co_u32_e32 v1, vcc, 0, v6
	s_waitcnt lgkmcnt(0)
	v_addc_co_u32_e32 v2, vcc, v7, v2, vcc
.LBB1008_59:
	s_or_b64 exec, exec, s[0:1]
	v_cmp_gt_u32_e32 vcc, 60, v4
	s_waitcnt lgkmcnt(0)
	v_cndmask_b32_e64 v7, 0, 4, vcc
	v_add_lshl_u32 v7, v7, v3, 2
	ds_bpermute_b32 v8, v7, v6
	ds_bpermute_b32 v7, v7, v2
	v_add_u32_e32 v9, 4, v4
	v_cmp_lt_u32_e32 vcc, v9, v5
	;; [unrolled: 19-line block ×4, first 2 shown]
	s_and_saveexec_b64 s[0:1], vcc
	s_cbranch_execz .LBB1008_65
; %bb.64:
	s_waitcnt lgkmcnt(1)
	v_add_co_u32_e32 v6, vcc, v1, v8
	v_addc_co_u32_e32 v2, vcc, 0, v2, vcc
	v_add_co_u32_e32 v1, vcc, 0, v6
	s_waitcnt lgkmcnt(0)
	v_addc_co_u32_e32 v2, vcc, v7, v2, vcc
.LBB1008_65:
	s_or_b64 exec, exec, s[0:1]
	s_waitcnt lgkmcnt(0)
	v_lshlrev_b32_e32 v7, 2, v3
	v_or_b32_e32 v8, 0x80, v7
	ds_bpermute_b32 v6, v8, v6
	ds_bpermute_b32 v8, v8, v2
	v_add_u32_e32 v4, 32, v4
	s_waitcnt lgkmcnt(1)
	v_add_co_u32_e32 v6, vcc, v1, v6
	v_addc_co_u32_e32 v9, vcc, 0, v2, vcc
	v_add_co_u32_e32 v6, vcc, 0, v6
	s_waitcnt lgkmcnt(0)
	v_addc_co_u32_e32 v8, vcc, v9, v8, vcc
	v_cmp_lt_u32_e32 vcc, v4, v5
	v_cndmask_b32_e32 v2, v2, v8, vcc
	v_cndmask_b32_e32 v1, v1, v6, vcc
	v_cmp_eq_u32_e32 vcc, 0, v3
	s_and_saveexec_b64 s[0:1], vcc
; %bb.66:
	v_lshrrev_b32_e32 v4, 3, v0
	v_and_b32_e32 v4, 24, v4
	ds_write_b64 v4, v[1:2] offset:160
; %bb.67:
	s_or_b64 exec, exec, s[0:1]
	v_cmp_gt_u32_e32 vcc, 4, v0
	s_waitcnt lgkmcnt(0)
	s_barrier
	s_and_saveexec_b64 s[0:1], vcc
	s_cbranch_execz .LBB1008_71
; %bb.68:
	v_lshlrev_b32_e32 v1, 3, v3
	ds_read_b64 v[1:2], v1 offset:160
	v_and_b32_e32 v4, 3, v3
	v_cmp_ne_u32_e32 vcc, 3, v4
	v_addc_co_u32_e32 v3, vcc, 0, v3, vcc
	v_lshlrev_b32_e32 v3, 2, v3
	s_waitcnt lgkmcnt(0)
	ds_bpermute_b32 v6, v3, v1
	ds_bpermute_b32 v5, v3, v2
	s_add_i32 s8, s8, 63
	s_lshr_b32 s10, s8, 6
	v_add_u32_e32 v3, 1, v4
	v_cmp_gt_u32_e32 vcc, s10, v3
	v_mov_b32_e32 v3, v1
	s_and_saveexec_b64 s[8:9], vcc
	s_cbranch_execz .LBB1008_70
; %bb.69:
	s_waitcnt lgkmcnt(1)
	v_add_co_u32_e32 v3, vcc, v1, v6
	v_addc_co_u32_e32 v2, vcc, 0, v2, vcc
	v_add_co_u32_e32 v1, vcc, 0, v3
	s_waitcnt lgkmcnt(0)
	v_addc_co_u32_e32 v2, vcc, v5, v2, vcc
.LBB1008_70:
	s_or_b64 exec, exec, s[8:9]
	s_waitcnt lgkmcnt(0)
	v_or_b32_e32 v5, 8, v7
	ds_bpermute_b32 v3, v5, v3
	ds_bpermute_b32 v5, v5, v2
	v_add_u32_e32 v4, 2, v4
	s_waitcnt lgkmcnt(1)
	v_add_co_u32_e32 v3, vcc, v1, v3
	v_addc_co_u32_e32 v6, vcc, 0, v2, vcc
	v_add_co_u32_e32 v3, vcc, 0, v3
	s_waitcnt lgkmcnt(0)
	v_addc_co_u32_e32 v5, vcc, v6, v5, vcc
	v_cmp_gt_u32_e32 vcc, s10, v4
	v_cndmask_b32_e32 v2, v2, v5, vcc
	v_cndmask_b32_e32 v1, v1, v3, vcc
.LBB1008_71:
	s_or_b64 exec, exec, s[0:1]
.LBB1008_72:
	v_mov_b32_e32 v3, s6
	v_cmp_eq_u32_e64 s[0:1], 0, v0
	v_mov_b32_e32 v4, s7
	s_and_b64 vcc, exec, s[2:3]
	s_cbranch_vccnz .LBB1008_14
	s_branch .LBB1008_109
.LBB1008_73:
	s_mov_b64 s[2:3], -1
                                        ; implicit-def: $vgpr1_vgpr2
.LBB1008_74:
	s_and_b64 vcc, exec, s[2:3]
	s_cbranch_vccz .LBB1008_108
; %bb.75:
	s_sub_i32 s31, s20, s0
	v_mov_b32_e32 v1, 0
	v_cmp_gt_u32_e32 vcc, s31, v0
	v_mov_b32_e32 v2, v1
	v_mov_b32_e32 v3, v1
	;; [unrolled: 1-line block ×15, first 2 shown]
	s_and_saveexec_b64 s[0:1], vcc
	s_cbranch_execz .LBB1008_77
; %bb.76:
	v_mov_b32_e32 v2, v1
	v_mov_b32_e32 v3, v1
	;; [unrolled: 1-line block ×15, first 2 shown]
	v_lshlrev_b32_e32 v1, 1, v0
	global_load_ushort v17, v1, s[16:17]
	global_load_ushort v18, v1, s[18:19]
	s_waitcnt vmcnt(0)
	v_cmp_ne_u16_e32 vcc, v17, v18
	v_cndmask_b32_e64 v1, 0, 1, vcc
	v_and_b32_e32 v1, 0xffff, v1
.LBB1008_77:
	s_or_b64 exec, exec, s[0:1]
	v_or_b32_e32 v17, 0x100, v0
	v_cmp_gt_u32_e32 vcc, s31, v17
	s_and_saveexec_b64 s[2:3], vcc
	s_cbranch_execz .LBB1008_79
; %bb.78:
	v_lshlrev_b32_e32 v3, 1, v0
	global_load_ushort v4, v3, s[16:17] offset:512
	global_load_ushort v17, v3, s[18:19] offset:512
	s_mov_b32 s8, 0
	s_waitcnt vmcnt(0)
	v_cmp_ne_u16_e64 s[0:1], v4, v17
	v_cndmask_b32_e64 v3, 0, 1, s[0:1]
	v_mov_b32_e32 v4, s8
.LBB1008_79:
	s_or_b64 exec, exec, s[2:3]
	v_or_b32_e32 v17, 0x200, v0
	v_cmp_gt_u32_e64 s[0:1], s31, v17
	s_and_saveexec_b64 s[8:9], s[0:1]
	s_cbranch_execz .LBB1008_81
; %bb.80:
	v_lshlrev_b32_e32 v5, 1, v0
	global_load_ushort v6, v5, s[16:17] offset:1024
	global_load_ushort v17, v5, s[18:19] offset:1024
	s_mov_b32 s10, 0
	s_waitcnt vmcnt(0)
	v_cmp_ne_u16_e64 s[2:3], v6, v17
	v_cndmask_b32_e64 v5, 0, 1, s[2:3]
	v_mov_b32_e32 v6, s10
.LBB1008_81:
	s_or_b64 exec, exec, s[8:9]
	v_or_b32_e32 v17, 0x300, v0
	v_cmp_gt_u32_e64 s[2:3], s31, v17
	s_and_saveexec_b64 s[10:11], s[2:3]
	s_cbranch_execz .LBB1008_83
; %bb.82:
	v_lshlrev_b32_e32 v7, 1, v0
	global_load_ushort v8, v7, s[16:17] offset:1536
	global_load_ushort v17, v7, s[18:19] offset:1536
	s_mov_b32 s12, 0
	s_waitcnt vmcnt(0)
	v_cmp_ne_u16_e64 s[8:9], v8, v17
	v_cndmask_b32_e64 v7, 0, 1, s[8:9]
	v_mov_b32_e32 v8, s12
.LBB1008_83:
	s_or_b64 exec, exec, s[10:11]
	v_or_b32_e32 v17, 0x400, v0
	v_cmp_gt_u32_e64 s[8:9], s31, v17
	s_and_saveexec_b64 s[12:13], s[8:9]
	s_cbranch_execz .LBB1008_85
; %bb.84:
	v_lshlrev_b32_e32 v9, 1, v0
	global_load_ushort v10, v9, s[16:17] offset:2048
	global_load_ushort v17, v9, s[18:19] offset:2048
	s_mov_b32 s14, 0
	s_waitcnt vmcnt(0)
	v_cmp_ne_u16_e64 s[10:11], v10, v17
	v_cndmask_b32_e64 v9, 0, 1, s[10:11]
	v_mov_b32_e32 v10, s14
.LBB1008_85:
	s_or_b64 exec, exec, s[12:13]
	v_or_b32_e32 v17, 0x500, v0
	v_cmp_gt_u32_e64 s[10:11], s31, v17
	s_and_saveexec_b64 s[14:15], s[10:11]
	s_cbranch_execz .LBB1008_87
; %bb.86:
	v_lshlrev_b32_e32 v11, 1, v0
	global_load_ushort v12, v11, s[16:17] offset:2560
	global_load_ushort v17, v11, s[18:19] offset:2560
	s_mov_b32 s28, 0
	s_waitcnt vmcnt(0)
	v_cmp_ne_u16_e64 s[12:13], v12, v17
	v_cndmask_b32_e64 v11, 0, 1, s[12:13]
	v_mov_b32_e32 v12, s28
.LBB1008_87:
	s_or_b64 exec, exec, s[14:15]
	v_or_b32_e32 v17, 0x600, v0
	v_cmp_gt_u32_e64 s[12:13], s31, v17
	s_and_saveexec_b64 s[28:29], s[12:13]
	s_cbranch_execz .LBB1008_89
; %bb.88:
	v_lshlrev_b32_e32 v13, 1, v0
	global_load_ushort v14, v13, s[16:17] offset:3072
	global_load_ushort v17, v13, s[18:19] offset:3072
	s_mov_b32 s33, 0
	s_waitcnt vmcnt(0)
	v_cmp_ne_u16_e64 s[14:15], v14, v17
	v_cndmask_b32_e64 v13, 0, 1, s[14:15]
	v_mov_b32_e32 v14, s33
.LBB1008_89:
	s_or_b64 exec, exec, s[28:29]
	v_or_b32_e32 v17, 0x700, v0
	v_cmp_gt_u32_e64 s[14:15], s31, v17
	s_and_saveexec_b64 s[28:29], s[14:15]
	s_cbranch_execz .LBB1008_91
; %bb.90:
	v_lshlrev_b32_e32 v15, 1, v0
	global_load_ushort v16, v15, s[16:17] offset:3584
	global_load_ushort v17, v15, s[18:19] offset:3584
	s_mov_b32 s18, 0
	s_waitcnt vmcnt(0)
	v_cmp_ne_u16_e64 s[16:17], v16, v17
	v_cndmask_b32_e64 v15, 0, 1, s[16:17]
	v_mov_b32_e32 v16, s18
.LBB1008_91:
	s_or_b64 exec, exec, s[28:29]
	v_cndmask_b32_e32 v3, 0, v3, vcc
	v_cndmask_b32_e32 v4, 0, v4, vcc
	v_add_co_u32_e32 v1, vcc, v3, v1
	v_addc_co_u32_e32 v2, vcc, v4, v2, vcc
	v_cndmask_b32_e64 v4, 0, v5, s[0:1]
	v_cndmask_b32_e64 v3, 0, v6, s[0:1]
	v_add_co_u32_e32 v1, vcc, v1, v4
	v_addc_co_u32_e32 v2, vcc, v2, v3, vcc
	v_cndmask_b32_e64 v4, 0, v7, s[2:3]
	v_cndmask_b32_e64 v3, 0, v8, s[2:3]
	;; [unrolled: 4-line block ×6, first 2 shown]
	v_add_co_u32_e32 v1, vcc, v1, v4
	v_addc_co_u32_e32 v2, vcc, v2, v3, vcc
	v_mbcnt_lo_u32_b32 v3, -1, 0
	v_mbcnt_hi_u32_b32 v3, -1, v3
	v_and_b32_e32 v4, 63, v3
	v_cmp_ne_u32_e32 vcc, 63, v4
	v_addc_co_u32_e32 v6, vcc, 0, v3, vcc
	v_lshlrev_b32_e32 v6, 2, v6
	ds_bpermute_b32 v8, v6, v1
	ds_bpermute_b32 v7, v6, v2
	s_min_u32 s2, s31, 0x100
	v_and_b32_e32 v5, 0xc0, v0
	v_sub_u32_e64 v5, s2, v5 clamp
	v_add_u32_e32 v6, 1, v4
	v_cmp_lt_u32_e32 vcc, v6, v5
	v_mov_b32_e32 v6, v1
	s_and_saveexec_b64 s[0:1], vcc
	s_cbranch_execz .LBB1008_93
; %bb.92:
	s_waitcnt lgkmcnt(1)
	v_add_co_u32_e32 v6, vcc, v1, v8
	v_addc_co_u32_e32 v2, vcc, 0, v2, vcc
	v_add_co_u32_e32 v1, vcc, 0, v6
	s_waitcnt lgkmcnt(0)
	v_addc_co_u32_e32 v2, vcc, v2, v7, vcc
.LBB1008_93:
	s_or_b64 exec, exec, s[0:1]
	v_cmp_gt_u32_e32 vcc, 62, v4
	s_waitcnt lgkmcnt(0)
	v_cndmask_b32_e64 v7, 0, 2, vcc
	v_add_lshl_u32 v7, v7, v3, 2
	ds_bpermute_b32 v8, v7, v6
	ds_bpermute_b32 v7, v7, v2
	v_add_u32_e32 v9, 2, v4
	v_cmp_lt_u32_e32 vcc, v9, v5
	s_and_saveexec_b64 s[0:1], vcc
	s_cbranch_execz .LBB1008_95
; %bb.94:
	s_waitcnt lgkmcnt(1)
	v_add_co_u32_e32 v6, vcc, v1, v8
	v_addc_co_u32_e32 v2, vcc, 0, v2, vcc
	v_add_co_u32_e32 v1, vcc, 0, v6
	s_waitcnt lgkmcnt(0)
	v_addc_co_u32_e32 v2, vcc, v7, v2, vcc
.LBB1008_95:
	s_or_b64 exec, exec, s[0:1]
	v_cmp_gt_u32_e32 vcc, 60, v4
	s_waitcnt lgkmcnt(0)
	v_cndmask_b32_e64 v7, 0, 4, vcc
	v_add_lshl_u32 v7, v7, v3, 2
	ds_bpermute_b32 v8, v7, v6
	ds_bpermute_b32 v7, v7, v2
	v_add_u32_e32 v9, 4, v4
	v_cmp_lt_u32_e32 vcc, v9, v5
	;; [unrolled: 19-line block ×4, first 2 shown]
	s_and_saveexec_b64 s[0:1], vcc
	s_cbranch_execz .LBB1008_101
; %bb.100:
	s_waitcnt lgkmcnt(1)
	v_add_co_u32_e32 v6, vcc, v1, v8
	v_addc_co_u32_e32 v2, vcc, 0, v2, vcc
	v_add_co_u32_e32 v1, vcc, 0, v6
	s_waitcnt lgkmcnt(0)
	v_addc_co_u32_e32 v2, vcc, v7, v2, vcc
.LBB1008_101:
	s_or_b64 exec, exec, s[0:1]
	s_waitcnt lgkmcnt(0)
	v_lshlrev_b32_e32 v7, 2, v3
	v_or_b32_e32 v8, 0x80, v7
	ds_bpermute_b32 v6, v8, v6
	ds_bpermute_b32 v8, v8, v2
	v_add_u32_e32 v4, 32, v4
	s_waitcnt lgkmcnt(1)
	v_add_co_u32_e32 v6, vcc, v1, v6
	v_addc_co_u32_e32 v9, vcc, 0, v2, vcc
	v_add_co_u32_e32 v6, vcc, 0, v6
	s_waitcnt lgkmcnt(0)
	v_addc_co_u32_e32 v8, vcc, v9, v8, vcc
	v_cmp_lt_u32_e32 vcc, v4, v5
	v_cndmask_b32_e32 v2, v2, v8, vcc
	v_cndmask_b32_e32 v1, v1, v6, vcc
	v_cmp_eq_u32_e32 vcc, 0, v3
	s_and_saveexec_b64 s[0:1], vcc
; %bb.102:
	v_lshrrev_b32_e32 v4, 3, v0
	v_and_b32_e32 v4, 24, v4
	ds_write_b64 v4, v[1:2] offset:160
; %bb.103:
	s_or_b64 exec, exec, s[0:1]
	v_cmp_gt_u32_e32 vcc, 4, v0
	s_waitcnt lgkmcnt(0)
	s_barrier
	s_and_saveexec_b64 s[0:1], vcc
	s_cbranch_execz .LBB1008_107
; %bb.104:
	v_lshlrev_b32_e32 v1, 3, v3
	ds_read_b64 v[1:2], v1 offset:160
	v_and_b32_e32 v4, 3, v3
	v_cmp_ne_u32_e32 vcc, 3, v4
	v_addc_co_u32_e32 v3, vcc, 0, v3, vcc
	v_lshlrev_b32_e32 v3, 2, v3
	s_waitcnt lgkmcnt(0)
	ds_bpermute_b32 v6, v3, v1
	ds_bpermute_b32 v5, v3, v2
	s_add_i32 s2, s2, 63
	s_lshr_b32 s8, s2, 6
	v_add_u32_e32 v3, 1, v4
	v_cmp_gt_u32_e32 vcc, s8, v3
	v_mov_b32_e32 v3, v1
	s_and_saveexec_b64 s[2:3], vcc
	s_cbranch_execz .LBB1008_106
; %bb.105:
	s_waitcnt lgkmcnt(1)
	v_add_co_u32_e32 v3, vcc, v1, v6
	v_addc_co_u32_e32 v2, vcc, 0, v2, vcc
	v_add_co_u32_e32 v1, vcc, 0, v3
	s_waitcnt lgkmcnt(0)
	v_addc_co_u32_e32 v2, vcc, v5, v2, vcc
.LBB1008_106:
	s_or_b64 exec, exec, s[2:3]
	s_waitcnt lgkmcnt(0)
	v_or_b32_e32 v5, 8, v7
	ds_bpermute_b32 v3, v5, v3
	ds_bpermute_b32 v5, v5, v2
	v_add_u32_e32 v4, 2, v4
	s_waitcnt lgkmcnt(1)
	v_add_co_u32_e32 v3, vcc, v1, v3
	v_addc_co_u32_e32 v6, vcc, 0, v2, vcc
	v_add_co_u32_e32 v3, vcc, 0, v3
	s_waitcnt lgkmcnt(0)
	v_addc_co_u32_e32 v5, vcc, v6, v5, vcc
	v_cmp_gt_u32_e32 vcc, s8, v4
	v_cndmask_b32_e32 v2, v2, v5, vcc
	v_cndmask_b32_e32 v1, v1, v3, vcc
.LBB1008_107:
	s_or_b64 exec, exec, s[0:1]
.LBB1008_108:
	v_mov_b32_e32 v3, s6
	v_cmp_eq_u32_e64 s[0:1], 0, v0
	v_mov_b32_e32 v4, s7
.LBB1008_109:
	s_branch .LBB1008_144
.LBB1008_110:
	s_cmp_eq_u32 s30, 4
                                        ; implicit-def: $vgpr1_vgpr2
                                        ; implicit-def: $vgpr3_vgpr4
	s_cbranch_scc0 .LBB1008_144
; %bb.111:
	s_mov_b32 s7, 0
	s_lshl_b32 s0, s6, 10
	s_mov_b32 s1, s7
	s_lshr_b64 s[2:3], s[20:21], 10
	s_lshl_b64 s[10:11], s[0:1], 1
	s_add_u32 s8, s24, s10
	s_addc_u32 s9, s25, s11
	s_add_u32 s10, s26, s10
	s_addc_u32 s11, s27, s11
	s_cmp_lg_u64 s[2:3], s[6:7]
	s_cbranch_scc0 .LBB1008_117
; %bb.112:
	v_lshlrev_b32_e32 v1, 1, v0
	global_load_ushort v2, v1, s[10:11] offset:512
	global_load_ushort v5, v1, s[10:11] offset:1024
	;; [unrolled: 1-line block ×5, first 2 shown]
	global_load_ushort v9, v1, s[10:11]
	global_load_ushort v10, v1, s[8:9]
	global_load_ushort v11, v1, s[8:9] offset:1024
	v_mov_b32_e32 v1, 0
	v_mbcnt_lo_u32_b32 v3, -1, 0
	v_mbcnt_hi_u32_b32 v3, -1, v3
	v_mov_b32_dpp v1, v1 quad_perm:[1,0,3,2] row_mask:0xf bank_mask:0xf bound_ctrl:1
	v_lshlrev_b32_e32 v4, 2, v3
	v_or_b32_e32 v12, 0xfc, v4
	s_waitcnt vmcnt(4)
	v_cmp_ne_u16_e32 vcc, v7, v6
	v_cndmask_b32_e64 v6, 0, 1, vcc
	s_waitcnt vmcnt(3)
	v_cmp_ne_u16_e32 vcc, v8, v2
	v_cndmask_b32_e64 v2, 0, 1, vcc
	;; [unrolled: 3-line block ×3, first 2 shown]
	s_waitcnt vmcnt(0)
	v_cmp_ne_u16_e32 vcc, v11, v5
	v_addc_co_u32_e32 v2, vcc, v2, v7, vcc
	v_add_co_u32_e32 v2, vcc, v2, v6
	v_addc_co_u32_e64 v5, s[2:3], 0, 0, vcc
	s_nop 0
	v_mov_b32_dpp v6, v2 quad_perm:[1,0,3,2] row_mask:0xf bank_mask:0xf bound_ctrl:1
	v_add_co_u32_e32 v2, vcc, v2, v6
	v_addc_co_u32_e32 v5, vcc, 0, v5, vcc
	v_add_co_u32_e32 v6, vcc, 0, v2
	v_addc_co_u32_e32 v1, vcc, v1, v5, vcc
	v_mov_b32_dpp v2, v2 quad_perm:[2,3,0,1] row_mask:0xf bank_mask:0xf bound_ctrl:1
	v_add_co_u32_e32 v2, vcc, v6, v2
	v_mov_b32_dpp v5, v1 quad_perm:[2,3,0,1] row_mask:0xf bank_mask:0xf bound_ctrl:1
	v_addc_co_u32_e32 v1, vcc, 0, v1, vcc
	v_add_co_u32_e32 v6, vcc, 0, v2
	v_addc_co_u32_e32 v1, vcc, v1, v5, vcc
	v_mov_b32_dpp v2, v2 row_ror:4 row_mask:0xf bank_mask:0xf bound_ctrl:1
	v_add_co_u32_e32 v2, vcc, v6, v2
	v_mov_b32_dpp v5, v1 row_ror:4 row_mask:0xf bank_mask:0xf bound_ctrl:1
	v_addc_co_u32_e32 v1, vcc, 0, v1, vcc
	v_add_co_u32_e32 v6, vcc, 0, v2
	v_addc_co_u32_e32 v1, vcc, v1, v5, vcc
	v_mov_b32_dpp v2, v2 row_ror:8 row_mask:0xf bank_mask:0xf bound_ctrl:1
	v_add_co_u32_e32 v2, vcc, v6, v2
	v_mov_b32_dpp v5, v1 row_ror:8 row_mask:0xf bank_mask:0xf bound_ctrl:1
	v_addc_co_u32_e32 v1, vcc, 0, v1, vcc
	v_add_co_u32_e32 v6, vcc, 0, v2
	v_addc_co_u32_e32 v1, vcc, v1, v5, vcc
	v_mov_b32_dpp v2, v2 row_bcast:15 row_mask:0xf bank_mask:0xf bound_ctrl:1
	v_add_co_u32_e32 v2, vcc, v6, v2
	v_mov_b32_dpp v5, v1 row_bcast:15 row_mask:0xf bank_mask:0xf bound_ctrl:1
	v_addc_co_u32_e32 v1, vcc, 0, v1, vcc
	v_add_co_u32_e32 v6, vcc, 0, v2
	v_addc_co_u32_e32 v1, vcc, v1, v5, vcc
	v_mov_b32_dpp v2, v2 row_bcast:31 row_mask:0xf bank_mask:0xf bound_ctrl:1
	v_add_co_u32_e32 v2, vcc, v6, v2
	v_addc_co_u32_e32 v5, vcc, 0, v1, vcc
	v_cmp_eq_u32_e32 vcc, 0, v3
	s_nop 0
	v_add_u32_dpp v5, v1, v5 row_bcast:31 row_mask:0xf bank_mask:0xf bound_ctrl:1
	ds_bpermute_b32 v1, v12, v2
	ds_bpermute_b32 v2, v12, v5
	s_and_saveexec_b64 s[2:3], vcc
	s_cbranch_execz .LBB1008_114
; %bb.113:
	v_lshrrev_b32_e32 v5, 3, v0
	v_and_b32_e32 v5, 24, v5
	s_waitcnt lgkmcnt(0)
	ds_write_b64 v5, v[1:2] offset:96
.LBB1008_114:
	s_or_b64 exec, exec, s[2:3]
	v_cmp_gt_u32_e32 vcc, 64, v0
	s_waitcnt lgkmcnt(0)
	s_barrier
	s_and_saveexec_b64 s[2:3], vcc
	s_cbranch_execz .LBB1008_116
; %bb.115:
	v_and_b32_e32 v5, 3, v3
	v_lshlrev_b32_e32 v1, 3, v5
	ds_read_b64 v[1:2], v1 offset:96
	v_cmp_ne_u32_e32 vcc, 3, v5
	v_addc_co_u32_e32 v3, vcc, 0, v3, vcc
	v_lshlrev_b32_e32 v3, 2, v3
	s_waitcnt lgkmcnt(0)
	ds_bpermute_b32 v5, v3, v1
	ds_bpermute_b32 v3, v3, v2
	v_or_b32_e32 v4, 8, v4
	s_waitcnt lgkmcnt(1)
	v_add_co_u32_e32 v1, vcc, v1, v5
	v_addc_co_u32_e32 v2, vcc, 0, v2, vcc
	ds_bpermute_b32 v5, v4, v1
	v_add_co_u32_e32 v1, vcc, 0, v1
	s_waitcnt lgkmcnt(1)
	v_addc_co_u32_e32 v2, vcc, v3, v2, vcc
	ds_bpermute_b32 v3, v4, v2
	s_waitcnt lgkmcnt(1)
	v_add_co_u32_e32 v1, vcc, v1, v5
	v_addc_co_u32_e32 v2, vcc, 0, v2, vcc
	v_add_co_u32_e32 v1, vcc, 0, v1
	s_waitcnt lgkmcnt(0)
	v_addc_co_u32_e32 v2, vcc, v2, v3, vcc
.LBB1008_116:
	s_or_b64 exec, exec, s[2:3]
	s_branch .LBB1008_143
.LBB1008_117:
                                        ; implicit-def: $vgpr1_vgpr2
	s_cbranch_execz .LBB1008_143
; %bb.118:
	s_sub_i32 s14, s20, s0
	v_mov_b32_e32 v1, 0
	v_cmp_gt_u32_e32 vcc, s14, v0
	v_mov_b32_e32 v2, v1
	v_mov_b32_e32 v3, v1
	;; [unrolled: 1-line block ×7, first 2 shown]
	s_and_saveexec_b64 s[0:1], vcc
	s_cbranch_execz .LBB1008_120
; %bb.119:
	v_lshlrev_b32_e32 v2, 1, v0
	global_load_ushort v9, v2, s[8:9]
	global_load_ushort v10, v2, s[10:11]
	v_mov_b32_e32 v3, v1
	v_mov_b32_e32 v4, v1
	;; [unrolled: 1-line block ×6, first 2 shown]
	s_waitcnt vmcnt(0)
	v_cmp_ne_u16_e32 vcc, v9, v10
	v_cndmask_b32_e64 v2, 0, 1, vcc
	v_and_b32_e32 v2, 0xffff, v2
	v_mov_b32_e32 v9, v1
	v_mov_b32_e32 v1, v2
	;; [unrolled: 1-line block ×9, first 2 shown]
.LBB1008_120:
	s_or_b64 exec, exec, s[0:1]
	v_or_b32_e32 v9, 0x100, v0
	v_cmp_gt_u32_e32 vcc, s14, v9
	s_and_saveexec_b64 s[2:3], vcc
	s_cbranch_execz .LBB1008_122
; %bb.121:
	v_lshlrev_b32_e32 v3, 1, v0
	global_load_ushort v4, v3, s[8:9] offset:512
	global_load_ushort v9, v3, s[10:11] offset:512
	s_mov_b32 s12, 0
	s_waitcnt vmcnt(0)
	v_cmp_ne_u16_e64 s[0:1], v4, v9
	v_cndmask_b32_e64 v3, 0, 1, s[0:1]
	v_mov_b32_e32 v4, s12
.LBB1008_122:
	s_or_b64 exec, exec, s[2:3]
	v_or_b32_e32 v9, 0x200, v0
	v_cmp_gt_u32_e64 s[0:1], s14, v9
	s_and_saveexec_b64 s[12:13], s[0:1]
	s_cbranch_execz .LBB1008_124
; %bb.123:
	v_lshlrev_b32_e32 v5, 1, v0
	global_load_ushort v6, v5, s[8:9] offset:1024
	global_load_ushort v9, v5, s[10:11] offset:1024
	s_mov_b32 s15, 0
	s_waitcnt vmcnt(0)
	v_cmp_ne_u16_e64 s[2:3], v6, v9
	v_cndmask_b32_e64 v5, 0, 1, s[2:3]
	v_mov_b32_e32 v6, s15
.LBB1008_124:
	s_or_b64 exec, exec, s[12:13]
	v_or_b32_e32 v9, 0x300, v0
	v_cmp_gt_u32_e64 s[2:3], s14, v9
	s_and_saveexec_b64 s[12:13], s[2:3]
	s_cbranch_execz .LBB1008_126
; %bb.125:
	v_lshlrev_b32_e32 v7, 1, v0
	global_load_ushort v8, v7, s[8:9] offset:1536
	global_load_ushort v9, v7, s[10:11] offset:1536
	s_mov_b32 s10, 0
	s_waitcnt vmcnt(0)
	v_cmp_ne_u16_e64 s[8:9], v8, v9
	v_cndmask_b32_e64 v7, 0, 1, s[8:9]
	v_mov_b32_e32 v8, s10
.LBB1008_126:
	s_or_b64 exec, exec, s[12:13]
	v_cndmask_b32_e32 v3, 0, v3, vcc
	v_cndmask_b32_e32 v4, 0, v4, vcc
	v_add_co_u32_e32 v1, vcc, v3, v1
	v_addc_co_u32_e32 v2, vcc, v4, v2, vcc
	v_cndmask_b32_e64 v4, 0, v5, s[0:1]
	v_cndmask_b32_e64 v3, 0, v6, s[0:1]
	v_add_co_u32_e32 v1, vcc, v1, v4
	v_addc_co_u32_e32 v2, vcc, v2, v3, vcc
	v_cndmask_b32_e64 v4, 0, v7, s[2:3]
	v_cndmask_b32_e64 v3, 0, v8, s[2:3]
	v_add_co_u32_e32 v1, vcc, v1, v4
	v_addc_co_u32_e32 v2, vcc, v2, v3, vcc
	v_mbcnt_lo_u32_b32 v3, -1, 0
	v_mbcnt_hi_u32_b32 v3, -1, v3
	v_and_b32_e32 v4, 63, v3
	v_cmp_ne_u32_e32 vcc, 63, v4
	v_addc_co_u32_e32 v6, vcc, 0, v3, vcc
	v_lshlrev_b32_e32 v6, 2, v6
	ds_bpermute_b32 v8, v6, v1
	ds_bpermute_b32 v7, v6, v2
	s_min_u32 s2, s14, 0x100
	v_and_b32_e32 v5, 0xc0, v0
	v_sub_u32_e64 v5, s2, v5 clamp
	v_add_u32_e32 v6, 1, v4
	v_cmp_lt_u32_e32 vcc, v6, v5
	v_mov_b32_e32 v6, v1
	s_and_saveexec_b64 s[0:1], vcc
	s_cbranch_execz .LBB1008_128
; %bb.127:
	s_waitcnt lgkmcnt(1)
	v_add_co_u32_e32 v6, vcc, v1, v8
	v_addc_co_u32_e32 v2, vcc, 0, v2, vcc
	v_add_co_u32_e32 v1, vcc, 0, v6
	s_waitcnt lgkmcnt(0)
	v_addc_co_u32_e32 v2, vcc, v7, v2, vcc
.LBB1008_128:
	s_or_b64 exec, exec, s[0:1]
	v_cmp_gt_u32_e32 vcc, 62, v4
	s_waitcnt lgkmcnt(0)
	v_cndmask_b32_e64 v7, 0, 2, vcc
	v_add_lshl_u32 v7, v7, v3, 2
	ds_bpermute_b32 v8, v7, v6
	ds_bpermute_b32 v7, v7, v2
	v_add_u32_e32 v9, 2, v4
	v_cmp_lt_u32_e32 vcc, v9, v5
	s_and_saveexec_b64 s[0:1], vcc
	s_cbranch_execz .LBB1008_130
; %bb.129:
	s_waitcnt lgkmcnt(1)
	v_add_co_u32_e32 v6, vcc, v1, v8
	v_addc_co_u32_e32 v2, vcc, 0, v2, vcc
	v_add_co_u32_e32 v1, vcc, 0, v6
	s_waitcnt lgkmcnt(0)
	v_addc_co_u32_e32 v2, vcc, v7, v2, vcc
.LBB1008_130:
	s_or_b64 exec, exec, s[0:1]
	v_cmp_gt_u32_e32 vcc, 60, v4
	s_waitcnt lgkmcnt(0)
	v_cndmask_b32_e64 v7, 0, 4, vcc
	v_add_lshl_u32 v7, v7, v3, 2
	ds_bpermute_b32 v8, v7, v6
	ds_bpermute_b32 v7, v7, v2
	v_add_u32_e32 v9, 4, v4
	v_cmp_lt_u32_e32 vcc, v9, v5
	;; [unrolled: 19-line block ×4, first 2 shown]
	s_and_saveexec_b64 s[0:1], vcc
	s_cbranch_execz .LBB1008_136
; %bb.135:
	s_waitcnt lgkmcnt(1)
	v_add_co_u32_e32 v6, vcc, v1, v8
	v_addc_co_u32_e32 v2, vcc, 0, v2, vcc
	v_add_co_u32_e32 v1, vcc, 0, v6
	s_waitcnt lgkmcnt(0)
	v_addc_co_u32_e32 v2, vcc, v7, v2, vcc
.LBB1008_136:
	s_or_b64 exec, exec, s[0:1]
	s_waitcnt lgkmcnt(0)
	v_lshlrev_b32_e32 v7, 2, v3
	v_or_b32_e32 v8, 0x80, v7
	ds_bpermute_b32 v6, v8, v6
	ds_bpermute_b32 v8, v8, v2
	v_add_u32_e32 v4, 32, v4
	s_waitcnt lgkmcnt(1)
	v_add_co_u32_e32 v6, vcc, v1, v6
	v_addc_co_u32_e32 v9, vcc, 0, v2, vcc
	v_add_co_u32_e32 v6, vcc, 0, v6
	s_waitcnt lgkmcnt(0)
	v_addc_co_u32_e32 v8, vcc, v9, v8, vcc
	v_cmp_lt_u32_e32 vcc, v4, v5
	v_cndmask_b32_e32 v2, v2, v8, vcc
	v_cndmask_b32_e32 v1, v1, v6, vcc
	v_cmp_eq_u32_e32 vcc, 0, v3
	s_and_saveexec_b64 s[0:1], vcc
; %bb.137:
	v_lshrrev_b32_e32 v4, 3, v0
	v_and_b32_e32 v4, 24, v4
	ds_write_b64 v4, v[1:2] offset:160
; %bb.138:
	s_or_b64 exec, exec, s[0:1]
	v_cmp_gt_u32_e32 vcc, 4, v0
	s_waitcnt lgkmcnt(0)
	s_barrier
	s_and_saveexec_b64 s[0:1], vcc
	s_cbranch_execz .LBB1008_142
; %bb.139:
	v_lshlrev_b32_e32 v1, 3, v3
	ds_read_b64 v[1:2], v1 offset:160
	v_and_b32_e32 v4, 3, v3
	v_cmp_ne_u32_e32 vcc, 3, v4
	v_addc_co_u32_e32 v3, vcc, 0, v3, vcc
	v_lshlrev_b32_e32 v3, 2, v3
	s_waitcnt lgkmcnt(0)
	ds_bpermute_b32 v6, v3, v1
	ds_bpermute_b32 v5, v3, v2
	s_add_i32 s2, s2, 63
	s_lshr_b32 s8, s2, 6
	v_add_u32_e32 v3, 1, v4
	v_cmp_gt_u32_e32 vcc, s8, v3
	v_mov_b32_e32 v3, v1
	s_and_saveexec_b64 s[2:3], vcc
	s_cbranch_execz .LBB1008_141
; %bb.140:
	s_waitcnt lgkmcnt(1)
	v_add_co_u32_e32 v3, vcc, v1, v6
	v_addc_co_u32_e32 v2, vcc, 0, v2, vcc
	v_add_co_u32_e32 v1, vcc, 0, v3
	s_waitcnt lgkmcnt(0)
	v_addc_co_u32_e32 v2, vcc, v5, v2, vcc
.LBB1008_141:
	s_or_b64 exec, exec, s[2:3]
	s_waitcnt lgkmcnt(0)
	v_or_b32_e32 v5, 8, v7
	ds_bpermute_b32 v3, v5, v3
	ds_bpermute_b32 v5, v5, v2
	v_add_u32_e32 v4, 2, v4
	s_waitcnt lgkmcnt(1)
	v_add_co_u32_e32 v3, vcc, v1, v3
	v_addc_co_u32_e32 v6, vcc, 0, v2, vcc
	v_add_co_u32_e32 v3, vcc, 0, v3
	s_waitcnt lgkmcnt(0)
	v_addc_co_u32_e32 v5, vcc, v6, v5, vcc
	v_cmp_gt_u32_e32 vcc, s8, v4
	v_cndmask_b32_e32 v2, v2, v5, vcc
	v_cndmask_b32_e32 v1, v1, v3, vcc
.LBB1008_142:
	s_or_b64 exec, exec, s[0:1]
.LBB1008_143:
	v_mov_b32_e32 v3, s6
	v_cmp_eq_u32_e64 s[0:1], 0, v0
	v_mov_b32_e32 v4, s7
.LBB1008_144:
	s_branch .LBB1008_206
.LBB1008_145:
	s_cmp_gt_i32 s30, 1
	s_cbranch_scc0 .LBB1008_153
; %bb.146:
	s_cmp_eq_u32 s30, 2
                                        ; implicit-def: $vgpr1_vgpr2
                                        ; implicit-def: $vgpr3_vgpr4
	s_cbranch_scc0 .LBB1008_154
; %bb.147:
	s_mov_b32 s7, 0
	s_lshl_b32 s8, s6, 9
	s_mov_b32 s9, s7
	s_lshr_b64 s[10:11], s[20:21], 9
	s_lshl_b64 s[2:3], s[8:9], 1
	s_add_u32 s0, s24, s2
	s_addc_u32 s1, s25, s3
	s_add_u32 s2, s26, s2
	s_addc_u32 s3, s27, s3
	s_cmp_lg_u64 s[10:11], s[6:7]
	s_cbranch_scc0 .LBB1008_155
; %bb.148:
	v_lshlrev_b32_e32 v1, 1, v0
	global_load_ushort v2, v1, s[0:1]
	global_load_ushort v5, v1, s[2:3]
	global_load_ushort v6, v1, s[2:3] offset:512
	global_load_ushort v7, v1, s[0:1] offset:512
	v_mov_b32_e32 v1, 0
	v_mbcnt_lo_u32_b32 v3, -1, 0
	v_mbcnt_hi_u32_b32 v3, -1, v3
	v_mov_b32_dpp v1, v1 quad_perm:[1,0,3,2] row_mask:0xf bank_mask:0xf bound_ctrl:1
	v_lshlrev_b32_e32 v4, 2, v3
	v_or_b32_e32 v8, 0xfc, v4
	s_waitcnt vmcnt(2)
	v_cmp_ne_u16_e32 vcc, v2, v5
	v_cndmask_b32_e64 v2, 0, 1, vcc
	s_waitcnt vmcnt(0)
	v_cmp_ne_u16_e32 vcc, v7, v6
	v_addc_co_u32_e32 v2, vcc, 0, v2, vcc
	s_nop 1
	v_mov_b32_dpp v5, v2 quad_perm:[1,0,3,2] row_mask:0xf bank_mask:0xf bound_ctrl:1
	v_add_co_u32_e32 v2, vcc, v2, v5
	v_addc_co_u32_e64 v5, s[10:11], 0, 0, vcc
	v_add_co_u32_e32 v6, vcc, 0, v2
	v_addc_co_u32_e32 v1, vcc, v1, v5, vcc
	v_mov_b32_dpp v2, v2 quad_perm:[2,3,0,1] row_mask:0xf bank_mask:0xf bound_ctrl:1
	v_add_co_u32_e32 v2, vcc, v6, v2
	v_mov_b32_dpp v5, v1 quad_perm:[2,3,0,1] row_mask:0xf bank_mask:0xf bound_ctrl:1
	v_addc_co_u32_e32 v1, vcc, 0, v1, vcc
	v_add_co_u32_e32 v6, vcc, 0, v2
	v_addc_co_u32_e32 v1, vcc, v1, v5, vcc
	v_mov_b32_dpp v2, v2 row_ror:4 row_mask:0xf bank_mask:0xf bound_ctrl:1
	v_add_co_u32_e32 v2, vcc, v6, v2
	v_mov_b32_dpp v5, v1 row_ror:4 row_mask:0xf bank_mask:0xf bound_ctrl:1
	v_addc_co_u32_e32 v1, vcc, 0, v1, vcc
	v_add_co_u32_e32 v6, vcc, 0, v2
	v_addc_co_u32_e32 v1, vcc, v1, v5, vcc
	v_mov_b32_dpp v2, v2 row_ror:8 row_mask:0xf bank_mask:0xf bound_ctrl:1
	v_add_co_u32_e32 v2, vcc, v6, v2
	v_mov_b32_dpp v5, v1 row_ror:8 row_mask:0xf bank_mask:0xf bound_ctrl:1
	v_addc_co_u32_e32 v1, vcc, 0, v1, vcc
	v_add_co_u32_e32 v6, vcc, 0, v2
	v_addc_co_u32_e32 v1, vcc, v1, v5, vcc
	v_mov_b32_dpp v2, v2 row_bcast:15 row_mask:0xf bank_mask:0xf bound_ctrl:1
	v_add_co_u32_e32 v2, vcc, v6, v2
	v_mov_b32_dpp v5, v1 row_bcast:15 row_mask:0xf bank_mask:0xf bound_ctrl:1
	v_addc_co_u32_e32 v1, vcc, 0, v1, vcc
	v_add_co_u32_e32 v6, vcc, 0, v2
	v_addc_co_u32_e32 v1, vcc, v1, v5, vcc
	v_mov_b32_dpp v2, v2 row_bcast:31 row_mask:0xf bank_mask:0xf bound_ctrl:1
	v_add_co_u32_e32 v2, vcc, v6, v2
	v_addc_co_u32_e32 v5, vcc, 0, v1, vcc
	v_cmp_eq_u32_e32 vcc, 0, v3
	s_nop 0
	v_add_u32_dpp v5, v1, v5 row_bcast:31 row_mask:0xf bank_mask:0xf bound_ctrl:1
	ds_bpermute_b32 v1, v8, v2
	ds_bpermute_b32 v2, v8, v5
	s_and_saveexec_b64 s[10:11], vcc
	s_cbranch_execz .LBB1008_150
; %bb.149:
	v_lshrrev_b32_e32 v5, 3, v0
	v_and_b32_e32 v5, 24, v5
	s_waitcnt lgkmcnt(0)
	ds_write_b64 v5, v[1:2] offset:64
.LBB1008_150:
	s_or_b64 exec, exec, s[10:11]
	v_cmp_gt_u32_e32 vcc, 64, v0
	s_waitcnt lgkmcnt(0)
	s_barrier
	s_and_saveexec_b64 s[10:11], vcc
	s_cbranch_execz .LBB1008_152
; %bb.151:
	v_and_b32_e32 v5, 3, v3
	v_lshlrev_b32_e32 v1, 3, v5
	ds_read_b64 v[1:2], v1 offset:64
	v_cmp_ne_u32_e32 vcc, 3, v5
	v_addc_co_u32_e32 v3, vcc, 0, v3, vcc
	v_lshlrev_b32_e32 v3, 2, v3
	s_waitcnt lgkmcnt(0)
	ds_bpermute_b32 v5, v3, v1
	ds_bpermute_b32 v3, v3, v2
	v_or_b32_e32 v4, 8, v4
	s_waitcnt lgkmcnt(1)
	v_add_co_u32_e32 v1, vcc, v1, v5
	v_addc_co_u32_e32 v2, vcc, 0, v2, vcc
	ds_bpermute_b32 v5, v4, v1
	v_add_co_u32_e32 v1, vcc, 0, v1
	s_waitcnt lgkmcnt(1)
	v_addc_co_u32_e32 v2, vcc, v3, v2, vcc
	ds_bpermute_b32 v3, v4, v2
	s_waitcnt lgkmcnt(1)
	v_add_co_u32_e32 v1, vcc, v1, v5
	v_addc_co_u32_e32 v2, vcc, 0, v2, vcc
	v_add_co_u32_e32 v1, vcc, 0, v1
	s_waitcnt lgkmcnt(0)
	v_addc_co_u32_e32 v2, vcc, v2, v3, vcc
.LBB1008_152:
	s_or_b64 exec, exec, s[10:11]
	s_branch .LBB1008_177
.LBB1008_153:
                                        ; implicit-def: $vgpr1_vgpr2
                                        ; implicit-def: $vgpr3_vgpr4
	s_cbranch_execnz .LBB1008_178
	s_branch .LBB1008_206
.LBB1008_154:
	s_branch .LBB1008_206
.LBB1008_155:
                                        ; implicit-def: $vgpr1_vgpr2
	s_cbranch_execz .LBB1008_177
; %bb.156:
	s_sub_i32 s10, s20, s8
	v_mov_b32_e32 v1, 0
	v_cmp_gt_u32_e32 vcc, s10, v0
	v_mov_b32_e32 v2, v1
	v_mov_b32_e32 v3, v1
	;; [unrolled: 1-line block ×3, first 2 shown]
	s_and_saveexec_b64 s[8:9], vcc
	s_cbranch_execz .LBB1008_158
; %bb.157:
	v_lshlrev_b32_e32 v2, 1, v0
	global_load_ushort v5, v2, s[0:1]
	global_load_ushort v6, v2, s[2:3]
	v_mov_b32_e32 v3, v1
	v_mov_b32_e32 v4, v1
	s_waitcnt vmcnt(0)
	v_cmp_ne_u16_e32 vcc, v5, v6
	v_cndmask_b32_e64 v2, 0, 1, vcc
	v_and_b32_e32 v2, 0xffff, v2
	v_mov_b32_e32 v5, v1
	v_mov_b32_e32 v1, v2
	;; [unrolled: 1-line block ×5, first 2 shown]
.LBB1008_158:
	s_or_b64 exec, exec, s[8:9]
	v_or_b32_e32 v5, 0x100, v0
	v_cmp_gt_u32_e32 vcc, s10, v5
	s_and_saveexec_b64 s[8:9], vcc
	s_cbranch_execz .LBB1008_160
; %bb.159:
	v_lshlrev_b32_e32 v3, 1, v0
	global_load_ushort v4, v3, s[0:1] offset:512
	global_load_ushort v5, v3, s[2:3] offset:512
	s_mov_b32 s2, 0
	s_waitcnt vmcnt(0)
	v_cmp_ne_u16_e64 s[0:1], v4, v5
	v_cndmask_b32_e64 v3, 0, 1, s[0:1]
	v_mov_b32_e32 v4, s2
.LBB1008_160:
	s_or_b64 exec, exec, s[8:9]
	v_cndmask_b32_e32 v3, 0, v3, vcc
	v_cndmask_b32_e32 v4, 0, v4, vcc
	v_add_co_u32_e32 v1, vcc, v3, v1
	v_mbcnt_lo_u32_b32 v3, -1, 0
	v_mbcnt_hi_u32_b32 v3, -1, v3
	v_addc_co_u32_e32 v2, vcc, v4, v2, vcc
	v_and_b32_e32 v4, 63, v3
	v_cmp_ne_u32_e32 vcc, 63, v4
	v_addc_co_u32_e32 v6, vcc, 0, v3, vcc
	v_lshlrev_b32_e32 v6, 2, v6
	ds_bpermute_b32 v8, v6, v1
	ds_bpermute_b32 v7, v6, v2
	s_min_u32 s2, s10, 0x100
	v_and_b32_e32 v5, 0xc0, v0
	v_sub_u32_e64 v5, s2, v5 clamp
	v_add_u32_e32 v6, 1, v4
	v_cmp_lt_u32_e32 vcc, v6, v5
	v_mov_b32_e32 v6, v1
	s_and_saveexec_b64 s[0:1], vcc
	s_cbranch_execz .LBB1008_162
; %bb.161:
	s_waitcnt lgkmcnt(1)
	v_add_co_u32_e32 v6, vcc, v1, v8
	v_addc_co_u32_e32 v2, vcc, 0, v2, vcc
	v_add_co_u32_e32 v1, vcc, 0, v6
	s_waitcnt lgkmcnt(0)
	v_addc_co_u32_e32 v2, vcc, v7, v2, vcc
.LBB1008_162:
	s_or_b64 exec, exec, s[0:1]
	v_cmp_gt_u32_e32 vcc, 62, v4
	s_waitcnt lgkmcnt(0)
	v_cndmask_b32_e64 v7, 0, 2, vcc
	v_add_lshl_u32 v7, v7, v3, 2
	ds_bpermute_b32 v8, v7, v6
	ds_bpermute_b32 v7, v7, v2
	v_add_u32_e32 v9, 2, v4
	v_cmp_lt_u32_e32 vcc, v9, v5
	s_and_saveexec_b64 s[0:1], vcc
	s_cbranch_execz .LBB1008_164
; %bb.163:
	s_waitcnt lgkmcnt(1)
	v_add_co_u32_e32 v6, vcc, v1, v8
	v_addc_co_u32_e32 v2, vcc, 0, v2, vcc
	v_add_co_u32_e32 v1, vcc, 0, v6
	s_waitcnt lgkmcnt(0)
	v_addc_co_u32_e32 v2, vcc, v7, v2, vcc
.LBB1008_164:
	s_or_b64 exec, exec, s[0:1]
	v_cmp_gt_u32_e32 vcc, 60, v4
	s_waitcnt lgkmcnt(0)
	v_cndmask_b32_e64 v7, 0, 4, vcc
	v_add_lshl_u32 v7, v7, v3, 2
	ds_bpermute_b32 v8, v7, v6
	ds_bpermute_b32 v7, v7, v2
	v_add_u32_e32 v9, 4, v4
	v_cmp_lt_u32_e32 vcc, v9, v5
	s_and_saveexec_b64 s[0:1], vcc
	s_cbranch_execz .LBB1008_166
; %bb.165:
	s_waitcnt lgkmcnt(1)
	v_add_co_u32_e32 v6, vcc, v1, v8
	v_addc_co_u32_e32 v2, vcc, 0, v2, vcc
	v_add_co_u32_e32 v1, vcc, 0, v6
	s_waitcnt lgkmcnt(0)
	v_addc_co_u32_e32 v2, vcc, v7, v2, vcc
.LBB1008_166:
	s_or_b64 exec, exec, s[0:1]
	v_cmp_gt_u32_e32 vcc, 56, v4
	s_waitcnt lgkmcnt(0)
	v_cndmask_b32_e64 v7, 0, 8, vcc
	v_add_lshl_u32 v7, v7, v3, 2
	ds_bpermute_b32 v8, v7, v6
	ds_bpermute_b32 v7, v7, v2
	v_add_u32_e32 v9, 8, v4
	v_cmp_lt_u32_e32 vcc, v9, v5
	s_and_saveexec_b64 s[0:1], vcc
	s_cbranch_execz .LBB1008_168
; %bb.167:
	s_waitcnt lgkmcnt(1)
	v_add_co_u32_e32 v6, vcc, v1, v8
	v_addc_co_u32_e32 v2, vcc, 0, v2, vcc
	v_add_co_u32_e32 v1, vcc, 0, v6
	s_waitcnt lgkmcnt(0)
	v_addc_co_u32_e32 v2, vcc, v7, v2, vcc
.LBB1008_168:
	s_or_b64 exec, exec, s[0:1]
	v_cmp_gt_u32_e32 vcc, 48, v4
	s_waitcnt lgkmcnt(0)
	v_cndmask_b32_e64 v7, 0, 16, vcc
	v_add_lshl_u32 v7, v7, v3, 2
	ds_bpermute_b32 v8, v7, v6
	ds_bpermute_b32 v7, v7, v2
	v_add_u32_e32 v9, 16, v4
	v_cmp_lt_u32_e32 vcc, v9, v5
	s_and_saveexec_b64 s[0:1], vcc
	s_cbranch_execz .LBB1008_170
; %bb.169:
	s_waitcnt lgkmcnt(1)
	v_add_co_u32_e32 v6, vcc, v1, v8
	v_addc_co_u32_e32 v2, vcc, 0, v2, vcc
	v_add_co_u32_e32 v1, vcc, 0, v6
	s_waitcnt lgkmcnt(0)
	v_addc_co_u32_e32 v2, vcc, v7, v2, vcc
.LBB1008_170:
	s_or_b64 exec, exec, s[0:1]
	s_waitcnt lgkmcnt(0)
	v_lshlrev_b32_e32 v7, 2, v3
	v_or_b32_e32 v8, 0x80, v7
	ds_bpermute_b32 v6, v8, v6
	ds_bpermute_b32 v8, v8, v2
	v_add_u32_e32 v4, 32, v4
	s_waitcnt lgkmcnt(1)
	v_add_co_u32_e32 v6, vcc, v1, v6
	v_addc_co_u32_e32 v9, vcc, 0, v2, vcc
	v_add_co_u32_e32 v6, vcc, 0, v6
	s_waitcnt lgkmcnt(0)
	v_addc_co_u32_e32 v8, vcc, v9, v8, vcc
	v_cmp_lt_u32_e32 vcc, v4, v5
	v_cndmask_b32_e32 v2, v2, v8, vcc
	v_cndmask_b32_e32 v1, v1, v6, vcc
	v_cmp_eq_u32_e32 vcc, 0, v3
	s_and_saveexec_b64 s[0:1], vcc
; %bb.171:
	v_lshrrev_b32_e32 v4, 3, v0
	v_and_b32_e32 v4, 24, v4
	ds_write_b64 v4, v[1:2] offset:160
; %bb.172:
	s_or_b64 exec, exec, s[0:1]
	v_cmp_gt_u32_e32 vcc, 4, v0
	s_waitcnt lgkmcnt(0)
	s_barrier
	s_and_saveexec_b64 s[0:1], vcc
	s_cbranch_execz .LBB1008_176
; %bb.173:
	v_lshlrev_b32_e32 v1, 3, v3
	ds_read_b64 v[1:2], v1 offset:160
	v_and_b32_e32 v4, 3, v3
	v_cmp_ne_u32_e32 vcc, 3, v4
	v_addc_co_u32_e32 v3, vcc, 0, v3, vcc
	v_lshlrev_b32_e32 v3, 2, v3
	s_waitcnt lgkmcnt(0)
	ds_bpermute_b32 v6, v3, v1
	ds_bpermute_b32 v5, v3, v2
	s_add_i32 s2, s2, 63
	s_lshr_b32 s8, s2, 6
	v_add_u32_e32 v3, 1, v4
	v_cmp_gt_u32_e32 vcc, s8, v3
	v_mov_b32_e32 v3, v1
	s_and_saveexec_b64 s[2:3], vcc
	s_cbranch_execz .LBB1008_175
; %bb.174:
	s_waitcnt lgkmcnt(1)
	v_add_co_u32_e32 v3, vcc, v1, v6
	v_addc_co_u32_e32 v2, vcc, 0, v2, vcc
	v_add_co_u32_e32 v1, vcc, 0, v3
	s_waitcnt lgkmcnt(0)
	v_addc_co_u32_e32 v2, vcc, v5, v2, vcc
.LBB1008_175:
	s_or_b64 exec, exec, s[2:3]
	s_waitcnt lgkmcnt(0)
	v_or_b32_e32 v5, 8, v7
	ds_bpermute_b32 v3, v5, v3
	ds_bpermute_b32 v5, v5, v2
	v_add_u32_e32 v4, 2, v4
	s_waitcnt lgkmcnt(1)
	v_add_co_u32_e32 v3, vcc, v1, v3
	v_addc_co_u32_e32 v6, vcc, 0, v2, vcc
	v_add_co_u32_e32 v3, vcc, 0, v3
	s_waitcnt lgkmcnt(0)
	v_addc_co_u32_e32 v5, vcc, v6, v5, vcc
	v_cmp_gt_u32_e32 vcc, s8, v4
	v_cndmask_b32_e32 v2, v2, v5, vcc
	v_cndmask_b32_e32 v1, v1, v3, vcc
.LBB1008_176:
	s_or_b64 exec, exec, s[0:1]
.LBB1008_177:
	v_mov_b32_e32 v3, s6
	v_cmp_eq_u32_e64 s[0:1], 0, v0
	v_mov_b32_e32 v4, s7
	s_branch .LBB1008_206
.LBB1008_178:
	s_cmp_eq_u32 s30, 1
                                        ; implicit-def: $vgpr1_vgpr2
                                        ; implicit-def: $vgpr3_vgpr4
	s_cbranch_scc0 .LBB1008_206
; %bb.179:
	s_mov_b32 s1, 0
	s_lshl_b32 s0, s6, 8
	s_mov_b32 s7, s1
	s_lshr_b64 s[2:3], s[20:21], 8
	s_cmp_lg_u64 s[2:3], s[6:7]
	v_mbcnt_lo_u32_b32 v3, -1, 0
	s_cbranch_scc0 .LBB1008_185
; %bb.180:
	s_lshl_b64 s[2:3], s[0:1], 1
	s_add_u32 s8, s24, s2
	s_addc_u32 s9, s25, s3
	s_add_u32 s2, s26, s2
	v_lshlrev_b32_e32 v1, 1, v0
	s_addc_u32 s3, s27, s3
	global_load_ushort v2, v1, s[8:9]
	global_load_ushort v6, v1, s[2:3]
	v_mov_b32_e32 v1, 0
	v_mbcnt_hi_u32_b32 v4, -1, v3
	v_lshlrev_b32_e32 v5, 2, v4
	v_mov_b32_dpp v1, v1 quad_perm:[1,0,3,2] row_mask:0xf bank_mask:0xf bound_ctrl:1
	v_or_b32_e32 v7, 0xfc, v5
	s_waitcnt vmcnt(0)
	v_cmp_ne_u16_e32 vcc, v2, v6
	v_cndmask_b32_e64 v2, 0, 1, vcc
	s_nop 1
	v_mov_b32_dpp v6, v2 quad_perm:[1,0,3,2] row_mask:0xf bank_mask:0xf bound_ctrl:1
	v_add_co_u32_e32 v2, vcc, v6, v2
	v_addc_co_u32_e64 v6, s[2:3], 0, 0, vcc
	v_add_co_u32_e32 v8, vcc, 0, v2
	v_addc_co_u32_e32 v1, vcc, v1, v6, vcc
	v_mov_b32_dpp v2, v2 quad_perm:[2,3,0,1] row_mask:0xf bank_mask:0xf bound_ctrl:1
	v_add_co_u32_e32 v2, vcc, v8, v2
	v_mov_b32_dpp v6, v1 quad_perm:[2,3,0,1] row_mask:0xf bank_mask:0xf bound_ctrl:1
	v_addc_co_u32_e32 v1, vcc, 0, v1, vcc
	v_add_co_u32_e32 v8, vcc, 0, v2
	v_addc_co_u32_e32 v1, vcc, v1, v6, vcc
	v_mov_b32_dpp v2, v2 row_ror:4 row_mask:0xf bank_mask:0xf bound_ctrl:1
	v_add_co_u32_e32 v2, vcc, v8, v2
	v_mov_b32_dpp v6, v1 row_ror:4 row_mask:0xf bank_mask:0xf bound_ctrl:1
	v_addc_co_u32_e32 v1, vcc, 0, v1, vcc
	v_add_co_u32_e32 v8, vcc, 0, v2
	v_addc_co_u32_e32 v1, vcc, v1, v6, vcc
	v_mov_b32_dpp v2, v2 row_ror:8 row_mask:0xf bank_mask:0xf bound_ctrl:1
	v_add_co_u32_e32 v2, vcc, v8, v2
	v_mov_b32_dpp v6, v1 row_ror:8 row_mask:0xf bank_mask:0xf bound_ctrl:1
	v_addc_co_u32_e32 v1, vcc, 0, v1, vcc
	v_add_co_u32_e32 v8, vcc, 0, v2
	v_addc_co_u32_e32 v1, vcc, v1, v6, vcc
	v_mov_b32_dpp v2, v2 row_bcast:15 row_mask:0xf bank_mask:0xf bound_ctrl:1
	v_add_co_u32_e32 v2, vcc, v8, v2
	v_mov_b32_dpp v6, v1 row_bcast:15 row_mask:0xf bank_mask:0xf bound_ctrl:1
	v_addc_co_u32_e32 v1, vcc, 0, v1, vcc
	v_add_co_u32_e32 v8, vcc, 0, v2
	v_addc_co_u32_e32 v1, vcc, v1, v6, vcc
	v_mov_b32_dpp v2, v2 row_bcast:31 row_mask:0xf bank_mask:0xf bound_ctrl:1
	v_add_co_u32_e32 v2, vcc, v8, v2
	v_addc_co_u32_e32 v6, vcc, 0, v1, vcc
	v_cmp_eq_u32_e32 vcc, 0, v4
	s_nop 0
	v_add_u32_dpp v6, v1, v6 row_bcast:31 row_mask:0xf bank_mask:0xf bound_ctrl:1
	ds_bpermute_b32 v1, v7, v2
	ds_bpermute_b32 v2, v7, v6
	s_and_saveexec_b64 s[2:3], vcc
	s_cbranch_execz .LBB1008_182
; %bb.181:
	v_lshrrev_b32_e32 v6, 3, v0
	v_and_b32_e32 v6, 24, v6
	s_waitcnt lgkmcnt(0)
	ds_write_b64 v6, v[1:2] offset:32
.LBB1008_182:
	s_or_b64 exec, exec, s[2:3]
	v_cmp_gt_u32_e32 vcc, 64, v0
	s_waitcnt lgkmcnt(0)
	s_barrier
	s_and_saveexec_b64 s[2:3], vcc
	s_cbranch_execz .LBB1008_184
; %bb.183:
	v_and_b32_e32 v6, 3, v4
	v_lshlrev_b32_e32 v1, 3, v6
	ds_read_b64 v[1:2], v1 offset:32
	v_cmp_ne_u32_e32 vcc, 3, v6
	v_addc_co_u32_e32 v4, vcc, 0, v4, vcc
	v_lshlrev_b32_e32 v4, 2, v4
	s_waitcnt lgkmcnt(0)
	ds_bpermute_b32 v6, v4, v1
	ds_bpermute_b32 v4, v4, v2
	v_or_b32_e32 v5, 8, v5
	s_waitcnt lgkmcnt(1)
	v_add_co_u32_e32 v1, vcc, v1, v6
	v_addc_co_u32_e32 v2, vcc, 0, v2, vcc
	ds_bpermute_b32 v6, v5, v1
	v_add_co_u32_e32 v1, vcc, 0, v1
	s_waitcnt lgkmcnt(1)
	v_addc_co_u32_e32 v2, vcc, v4, v2, vcc
	ds_bpermute_b32 v4, v5, v2
	s_waitcnt lgkmcnt(1)
	v_add_co_u32_e32 v1, vcc, v1, v6
	v_addc_co_u32_e32 v2, vcc, 0, v2, vcc
	v_add_co_u32_e32 v1, vcc, 0, v1
	s_waitcnt lgkmcnt(0)
	v_addc_co_u32_e32 v2, vcc, v2, v4, vcc
.LBB1008_184:
	s_or_b64 exec, exec, s[2:3]
	s_branch .LBB1008_205
.LBB1008_185:
                                        ; implicit-def: $vgpr1_vgpr2
	s_cbranch_execz .LBB1008_205
; %bb.186:
	s_sub_i32 s8, s20, s0
	v_cmp_gt_u32_e32 vcc, s8, v0
                                        ; implicit-def: $vgpr1_vgpr2
	s_and_saveexec_b64 s[2:3], vcc
	s_cbranch_execz .LBB1008_188
; %bb.187:
	s_lshl_b64 s[0:1], s[0:1], 1
	s_add_u32 s10, s26, s0
	s_addc_u32 s11, s27, s1
	s_add_u32 s0, s24, s0
	v_lshlrev_b32_e32 v1, 1, v0
	s_addc_u32 s1, s25, s1
	global_load_ushort v2, v1, s[0:1]
	global_load_ushort v4, v1, s[10:11]
	s_mov_b32 s0, 0
	s_waitcnt vmcnt(0)
	v_cmp_ne_u16_e32 vcc, v2, v4
	v_cndmask_b32_e64 v1, 0, 1, vcc
	v_mov_b32_e32 v2, s0
.LBB1008_188:
	s_or_b64 exec, exec, s[2:3]
	v_mbcnt_hi_u32_b32 v3, -1, v3
	v_and_b32_e32 v4, 63, v3
	v_cmp_ne_u32_e32 vcc, 63, v4
	v_addc_co_u32_e32 v6, vcc, 0, v3, vcc
	v_lshlrev_b32_e32 v6, 2, v6
	ds_bpermute_b32 v8, v6, v1
	ds_bpermute_b32 v7, v6, v2
	s_min_u32 s2, s8, 0x100
	v_and_b32_e32 v5, 0xc0, v0
	v_sub_u32_e64 v5, s2, v5 clamp
	v_add_u32_e32 v6, 1, v4
	v_cmp_lt_u32_e32 vcc, v6, v5
	v_mov_b32_e32 v6, v1
	s_and_saveexec_b64 s[0:1], vcc
	s_cbranch_execz .LBB1008_190
; %bb.189:
	s_waitcnt lgkmcnt(1)
	v_add_co_u32_e32 v6, vcc, v1, v8
	v_addc_co_u32_e32 v2, vcc, 0, v2, vcc
	v_add_co_u32_e32 v1, vcc, 0, v6
	s_waitcnt lgkmcnt(0)
	v_addc_co_u32_e32 v2, vcc, v7, v2, vcc
.LBB1008_190:
	s_or_b64 exec, exec, s[0:1]
	v_cmp_gt_u32_e32 vcc, 62, v4
	s_waitcnt lgkmcnt(0)
	v_cndmask_b32_e64 v7, 0, 2, vcc
	v_add_lshl_u32 v7, v7, v3, 2
	ds_bpermute_b32 v8, v7, v6
	ds_bpermute_b32 v7, v7, v2
	v_add_u32_e32 v9, 2, v4
	v_cmp_lt_u32_e32 vcc, v9, v5
	s_and_saveexec_b64 s[0:1], vcc
	s_cbranch_execz .LBB1008_192
; %bb.191:
	s_waitcnt lgkmcnt(1)
	v_add_co_u32_e32 v6, vcc, v1, v8
	v_addc_co_u32_e32 v2, vcc, 0, v2, vcc
	v_add_co_u32_e32 v1, vcc, 0, v6
	s_waitcnt lgkmcnt(0)
	v_addc_co_u32_e32 v2, vcc, v7, v2, vcc
.LBB1008_192:
	s_or_b64 exec, exec, s[0:1]
	v_cmp_gt_u32_e32 vcc, 60, v4
	s_waitcnt lgkmcnt(0)
	v_cndmask_b32_e64 v7, 0, 4, vcc
	v_add_lshl_u32 v7, v7, v3, 2
	ds_bpermute_b32 v8, v7, v6
	ds_bpermute_b32 v7, v7, v2
	v_add_u32_e32 v9, 4, v4
	v_cmp_lt_u32_e32 vcc, v9, v5
	;; [unrolled: 19-line block ×4, first 2 shown]
	s_and_saveexec_b64 s[0:1], vcc
	s_cbranch_execz .LBB1008_198
; %bb.197:
	s_waitcnt lgkmcnt(1)
	v_add_co_u32_e32 v6, vcc, v1, v8
	v_addc_co_u32_e32 v2, vcc, 0, v2, vcc
	v_add_co_u32_e32 v1, vcc, 0, v6
	s_waitcnt lgkmcnt(0)
	v_addc_co_u32_e32 v2, vcc, v7, v2, vcc
.LBB1008_198:
	s_or_b64 exec, exec, s[0:1]
	s_waitcnt lgkmcnt(0)
	v_lshlrev_b32_e32 v7, 2, v3
	v_or_b32_e32 v8, 0x80, v7
	ds_bpermute_b32 v6, v8, v6
	ds_bpermute_b32 v8, v8, v2
	v_add_u32_e32 v4, 32, v4
	s_waitcnt lgkmcnt(1)
	v_add_co_u32_e32 v6, vcc, v1, v6
	v_addc_co_u32_e32 v9, vcc, 0, v2, vcc
	v_add_co_u32_e32 v6, vcc, 0, v6
	s_waitcnt lgkmcnt(0)
	v_addc_co_u32_e32 v8, vcc, v9, v8, vcc
	v_cmp_lt_u32_e32 vcc, v4, v5
	v_cndmask_b32_e32 v2, v2, v8, vcc
	v_cndmask_b32_e32 v1, v1, v6, vcc
	v_cmp_eq_u32_e32 vcc, 0, v3
	s_and_saveexec_b64 s[0:1], vcc
; %bb.199:
	v_lshrrev_b32_e32 v4, 3, v0
	v_and_b32_e32 v4, 24, v4
	ds_write_b64 v4, v[1:2] offset:160
; %bb.200:
	s_or_b64 exec, exec, s[0:1]
	v_cmp_gt_u32_e32 vcc, 4, v0
	s_waitcnt lgkmcnt(0)
	s_barrier
	s_and_saveexec_b64 s[0:1], vcc
	s_cbranch_execz .LBB1008_204
; %bb.201:
	v_lshlrev_b32_e32 v1, 3, v3
	ds_read_b64 v[1:2], v1 offset:160
	v_and_b32_e32 v4, 3, v3
	v_cmp_ne_u32_e32 vcc, 3, v4
	v_addc_co_u32_e32 v3, vcc, 0, v3, vcc
	v_lshlrev_b32_e32 v3, 2, v3
	s_waitcnt lgkmcnt(0)
	ds_bpermute_b32 v6, v3, v1
	ds_bpermute_b32 v5, v3, v2
	s_add_i32 s2, s2, 63
	s_lshr_b32 s8, s2, 6
	v_add_u32_e32 v3, 1, v4
	v_cmp_gt_u32_e32 vcc, s8, v3
	v_mov_b32_e32 v3, v1
	s_and_saveexec_b64 s[2:3], vcc
	s_cbranch_execz .LBB1008_203
; %bb.202:
	s_waitcnt lgkmcnt(1)
	v_add_co_u32_e32 v3, vcc, v1, v6
	v_addc_co_u32_e32 v2, vcc, 0, v2, vcc
	v_add_co_u32_e32 v1, vcc, 0, v3
	s_waitcnt lgkmcnt(0)
	v_addc_co_u32_e32 v2, vcc, v5, v2, vcc
.LBB1008_203:
	s_or_b64 exec, exec, s[2:3]
	s_waitcnt lgkmcnt(0)
	v_or_b32_e32 v5, 8, v7
	ds_bpermute_b32 v3, v5, v3
	ds_bpermute_b32 v5, v5, v2
	v_add_u32_e32 v4, 2, v4
	s_waitcnt lgkmcnt(1)
	v_add_co_u32_e32 v3, vcc, v1, v3
	v_addc_co_u32_e32 v6, vcc, 0, v2, vcc
	v_add_co_u32_e32 v3, vcc, 0, v3
	s_waitcnt lgkmcnt(0)
	v_addc_co_u32_e32 v5, vcc, v6, v5, vcc
	v_cmp_gt_u32_e32 vcc, s8, v4
	v_cndmask_b32_e32 v2, v2, v5, vcc
	v_cndmask_b32_e32 v1, v1, v3, vcc
.LBB1008_204:
	s_or_b64 exec, exec, s[0:1]
.LBB1008_205:
	v_mov_b32_e32 v3, s6
	v_cmp_eq_u32_e64 s[0:1], 0, v0
	v_mov_b32_e32 v4, s7
.LBB1008_206:
	s_and_saveexec_b64 s[2:3], s[0:1]
	s_cbranch_execz .LBB1008_208
; %bb.207:
	v_lshlrev_b64 v[3:4], 3, v[3:4]
	s_load_dwordx2 s[0:1], s[4:5], 0x30
	v_mov_b32_e32 v0, s23
	v_add_co_u32_e32 v3, vcc, s22, v3
	v_addc_co_u32_e32 v4, vcc, v0, v4, vcc
	s_cmp_lg_u64 s[20:21], 0
	s_cselect_b64 vcc, -1, 0
	v_cndmask_b32_e32 v0, 0, v1, vcc
	v_cndmask_b32_e32 v2, 0, v2, vcc
	s_waitcnt lgkmcnt(0)
	v_mov_b32_e32 v1, s1
	v_add_co_u32_e32 v0, vcc, s0, v0
	v_addc_co_u32_e32 v1, vcc, v2, v1, vcc
	global_store_dwordx2 v[3:4], v[0:1], off
.LBB1008_208:
	s_endpgm
	.section	.rodata,"a",@progbits
	.p2align	6, 0x0
	.amdhsa_kernel _ZN7rocprim17ROCPRIM_400000_NS6detail17trampoline_kernelINS0_14default_configENS1_22reduce_config_selectorIlEEZNS1_11reduce_implILb1ES3_N6thrust23THRUST_200600_302600_NS11hip_rocprim26transform_input_iterator_tIlNS8_12zip_iteratorINS8_5tupleINS8_6detail15normal_iteratorINS8_10device_ptrIsEEEESH_NS8_9null_typeESI_SI_SI_SI_SI_SI_SI_EEEENS9_21zip_adj_not_predicateINS8_8equal_toIsEEEEEEPllNS8_4plusIlEEEE10hipError_tPvRmT1_T2_T3_mT4_P12ihipStream_tbEUlT_E1_NS1_11comp_targetILNS1_3genE2ELNS1_11target_archE906ELNS1_3gpuE6ELNS1_3repE0EEENS1_30default_config_static_selectorELNS0_4arch9wavefront6targetE1EEEvSW_
		.amdhsa_group_segment_fixed_size 192
		.amdhsa_private_segment_fixed_size 0
		.amdhsa_kernarg_size 64
		.amdhsa_user_sgpr_count 6
		.amdhsa_user_sgpr_private_segment_buffer 1
		.amdhsa_user_sgpr_dispatch_ptr 0
		.amdhsa_user_sgpr_queue_ptr 0
		.amdhsa_user_sgpr_kernarg_segment_ptr 1
		.amdhsa_user_sgpr_dispatch_id 0
		.amdhsa_user_sgpr_flat_scratch_init 0
		.amdhsa_user_sgpr_private_segment_size 0
		.amdhsa_uses_dynamic_stack 0
		.amdhsa_system_sgpr_private_segment_wavefront_offset 0
		.amdhsa_system_sgpr_workgroup_id_x 1
		.amdhsa_system_sgpr_workgroup_id_y 0
		.amdhsa_system_sgpr_workgroup_id_z 0
		.amdhsa_system_sgpr_workgroup_info 0
		.amdhsa_system_vgpr_workitem_id 0
		.amdhsa_next_free_vgpr 36
		.amdhsa_next_free_sgpr 34
		.amdhsa_reserve_vcc 1
		.amdhsa_reserve_flat_scratch 0
		.amdhsa_float_round_mode_32 0
		.amdhsa_float_round_mode_16_64 0
		.amdhsa_float_denorm_mode_32 3
		.amdhsa_float_denorm_mode_16_64 3
		.amdhsa_dx10_clamp 1
		.amdhsa_ieee_mode 1
		.amdhsa_fp16_overflow 0
		.amdhsa_exception_fp_ieee_invalid_op 0
		.amdhsa_exception_fp_denorm_src 0
		.amdhsa_exception_fp_ieee_div_zero 0
		.amdhsa_exception_fp_ieee_overflow 0
		.amdhsa_exception_fp_ieee_underflow 0
		.amdhsa_exception_fp_ieee_inexact 0
		.amdhsa_exception_int_div_zero 0
	.end_amdhsa_kernel
	.section	.text._ZN7rocprim17ROCPRIM_400000_NS6detail17trampoline_kernelINS0_14default_configENS1_22reduce_config_selectorIlEEZNS1_11reduce_implILb1ES3_N6thrust23THRUST_200600_302600_NS11hip_rocprim26transform_input_iterator_tIlNS8_12zip_iteratorINS8_5tupleINS8_6detail15normal_iteratorINS8_10device_ptrIsEEEESH_NS8_9null_typeESI_SI_SI_SI_SI_SI_SI_EEEENS9_21zip_adj_not_predicateINS8_8equal_toIsEEEEEEPllNS8_4plusIlEEEE10hipError_tPvRmT1_T2_T3_mT4_P12ihipStream_tbEUlT_E1_NS1_11comp_targetILNS1_3genE2ELNS1_11target_archE906ELNS1_3gpuE6ELNS1_3repE0EEENS1_30default_config_static_selectorELNS0_4arch9wavefront6targetE1EEEvSW_,"axG",@progbits,_ZN7rocprim17ROCPRIM_400000_NS6detail17trampoline_kernelINS0_14default_configENS1_22reduce_config_selectorIlEEZNS1_11reduce_implILb1ES3_N6thrust23THRUST_200600_302600_NS11hip_rocprim26transform_input_iterator_tIlNS8_12zip_iteratorINS8_5tupleINS8_6detail15normal_iteratorINS8_10device_ptrIsEEEESH_NS8_9null_typeESI_SI_SI_SI_SI_SI_SI_EEEENS9_21zip_adj_not_predicateINS8_8equal_toIsEEEEEEPllNS8_4plusIlEEEE10hipError_tPvRmT1_T2_T3_mT4_P12ihipStream_tbEUlT_E1_NS1_11comp_targetILNS1_3genE2ELNS1_11target_archE906ELNS1_3gpuE6ELNS1_3repE0EEENS1_30default_config_static_selectorELNS0_4arch9wavefront6targetE1EEEvSW_,comdat
.Lfunc_end1008:
	.size	_ZN7rocprim17ROCPRIM_400000_NS6detail17trampoline_kernelINS0_14default_configENS1_22reduce_config_selectorIlEEZNS1_11reduce_implILb1ES3_N6thrust23THRUST_200600_302600_NS11hip_rocprim26transform_input_iterator_tIlNS8_12zip_iteratorINS8_5tupleINS8_6detail15normal_iteratorINS8_10device_ptrIsEEEESH_NS8_9null_typeESI_SI_SI_SI_SI_SI_SI_EEEENS9_21zip_adj_not_predicateINS8_8equal_toIsEEEEEEPllNS8_4plusIlEEEE10hipError_tPvRmT1_T2_T3_mT4_P12ihipStream_tbEUlT_E1_NS1_11comp_targetILNS1_3genE2ELNS1_11target_archE906ELNS1_3gpuE6ELNS1_3repE0EEENS1_30default_config_static_selectorELNS0_4arch9wavefront6targetE1EEEvSW_, .Lfunc_end1008-_ZN7rocprim17ROCPRIM_400000_NS6detail17trampoline_kernelINS0_14default_configENS1_22reduce_config_selectorIlEEZNS1_11reduce_implILb1ES3_N6thrust23THRUST_200600_302600_NS11hip_rocprim26transform_input_iterator_tIlNS8_12zip_iteratorINS8_5tupleINS8_6detail15normal_iteratorINS8_10device_ptrIsEEEESH_NS8_9null_typeESI_SI_SI_SI_SI_SI_SI_EEEENS9_21zip_adj_not_predicateINS8_8equal_toIsEEEEEEPllNS8_4plusIlEEEE10hipError_tPvRmT1_T2_T3_mT4_P12ihipStream_tbEUlT_E1_NS1_11comp_targetILNS1_3genE2ELNS1_11target_archE906ELNS1_3gpuE6ELNS1_3repE0EEENS1_30default_config_static_selectorELNS0_4arch9wavefront6targetE1EEEvSW_
                                        ; -- End function
	.set _ZN7rocprim17ROCPRIM_400000_NS6detail17trampoline_kernelINS0_14default_configENS1_22reduce_config_selectorIlEEZNS1_11reduce_implILb1ES3_N6thrust23THRUST_200600_302600_NS11hip_rocprim26transform_input_iterator_tIlNS8_12zip_iteratorINS8_5tupleINS8_6detail15normal_iteratorINS8_10device_ptrIsEEEESH_NS8_9null_typeESI_SI_SI_SI_SI_SI_SI_EEEENS9_21zip_adj_not_predicateINS8_8equal_toIsEEEEEEPllNS8_4plusIlEEEE10hipError_tPvRmT1_T2_T3_mT4_P12ihipStream_tbEUlT_E1_NS1_11comp_targetILNS1_3genE2ELNS1_11target_archE906ELNS1_3gpuE6ELNS1_3repE0EEENS1_30default_config_static_selectorELNS0_4arch9wavefront6targetE1EEEvSW_.num_vgpr, 36
	.set _ZN7rocprim17ROCPRIM_400000_NS6detail17trampoline_kernelINS0_14default_configENS1_22reduce_config_selectorIlEEZNS1_11reduce_implILb1ES3_N6thrust23THRUST_200600_302600_NS11hip_rocprim26transform_input_iterator_tIlNS8_12zip_iteratorINS8_5tupleINS8_6detail15normal_iteratorINS8_10device_ptrIsEEEESH_NS8_9null_typeESI_SI_SI_SI_SI_SI_SI_EEEENS9_21zip_adj_not_predicateINS8_8equal_toIsEEEEEEPllNS8_4plusIlEEEE10hipError_tPvRmT1_T2_T3_mT4_P12ihipStream_tbEUlT_E1_NS1_11comp_targetILNS1_3genE2ELNS1_11target_archE906ELNS1_3gpuE6ELNS1_3repE0EEENS1_30default_config_static_selectorELNS0_4arch9wavefront6targetE1EEEvSW_.num_agpr, 0
	.set _ZN7rocprim17ROCPRIM_400000_NS6detail17trampoline_kernelINS0_14default_configENS1_22reduce_config_selectorIlEEZNS1_11reduce_implILb1ES3_N6thrust23THRUST_200600_302600_NS11hip_rocprim26transform_input_iterator_tIlNS8_12zip_iteratorINS8_5tupleINS8_6detail15normal_iteratorINS8_10device_ptrIsEEEESH_NS8_9null_typeESI_SI_SI_SI_SI_SI_SI_EEEENS9_21zip_adj_not_predicateINS8_8equal_toIsEEEEEEPllNS8_4plusIlEEEE10hipError_tPvRmT1_T2_T3_mT4_P12ihipStream_tbEUlT_E1_NS1_11comp_targetILNS1_3genE2ELNS1_11target_archE906ELNS1_3gpuE6ELNS1_3repE0EEENS1_30default_config_static_selectorELNS0_4arch9wavefront6targetE1EEEvSW_.numbered_sgpr, 34
	.set _ZN7rocprim17ROCPRIM_400000_NS6detail17trampoline_kernelINS0_14default_configENS1_22reduce_config_selectorIlEEZNS1_11reduce_implILb1ES3_N6thrust23THRUST_200600_302600_NS11hip_rocprim26transform_input_iterator_tIlNS8_12zip_iteratorINS8_5tupleINS8_6detail15normal_iteratorINS8_10device_ptrIsEEEESH_NS8_9null_typeESI_SI_SI_SI_SI_SI_SI_EEEENS9_21zip_adj_not_predicateINS8_8equal_toIsEEEEEEPllNS8_4plusIlEEEE10hipError_tPvRmT1_T2_T3_mT4_P12ihipStream_tbEUlT_E1_NS1_11comp_targetILNS1_3genE2ELNS1_11target_archE906ELNS1_3gpuE6ELNS1_3repE0EEENS1_30default_config_static_selectorELNS0_4arch9wavefront6targetE1EEEvSW_.num_named_barrier, 0
	.set _ZN7rocprim17ROCPRIM_400000_NS6detail17trampoline_kernelINS0_14default_configENS1_22reduce_config_selectorIlEEZNS1_11reduce_implILb1ES3_N6thrust23THRUST_200600_302600_NS11hip_rocprim26transform_input_iterator_tIlNS8_12zip_iteratorINS8_5tupleINS8_6detail15normal_iteratorINS8_10device_ptrIsEEEESH_NS8_9null_typeESI_SI_SI_SI_SI_SI_SI_EEEENS9_21zip_adj_not_predicateINS8_8equal_toIsEEEEEEPllNS8_4plusIlEEEE10hipError_tPvRmT1_T2_T3_mT4_P12ihipStream_tbEUlT_E1_NS1_11comp_targetILNS1_3genE2ELNS1_11target_archE906ELNS1_3gpuE6ELNS1_3repE0EEENS1_30default_config_static_selectorELNS0_4arch9wavefront6targetE1EEEvSW_.private_seg_size, 0
	.set _ZN7rocprim17ROCPRIM_400000_NS6detail17trampoline_kernelINS0_14default_configENS1_22reduce_config_selectorIlEEZNS1_11reduce_implILb1ES3_N6thrust23THRUST_200600_302600_NS11hip_rocprim26transform_input_iterator_tIlNS8_12zip_iteratorINS8_5tupleINS8_6detail15normal_iteratorINS8_10device_ptrIsEEEESH_NS8_9null_typeESI_SI_SI_SI_SI_SI_SI_EEEENS9_21zip_adj_not_predicateINS8_8equal_toIsEEEEEEPllNS8_4plusIlEEEE10hipError_tPvRmT1_T2_T3_mT4_P12ihipStream_tbEUlT_E1_NS1_11comp_targetILNS1_3genE2ELNS1_11target_archE906ELNS1_3gpuE6ELNS1_3repE0EEENS1_30default_config_static_selectorELNS0_4arch9wavefront6targetE1EEEvSW_.uses_vcc, 1
	.set _ZN7rocprim17ROCPRIM_400000_NS6detail17trampoline_kernelINS0_14default_configENS1_22reduce_config_selectorIlEEZNS1_11reduce_implILb1ES3_N6thrust23THRUST_200600_302600_NS11hip_rocprim26transform_input_iterator_tIlNS8_12zip_iteratorINS8_5tupleINS8_6detail15normal_iteratorINS8_10device_ptrIsEEEESH_NS8_9null_typeESI_SI_SI_SI_SI_SI_SI_EEEENS9_21zip_adj_not_predicateINS8_8equal_toIsEEEEEEPllNS8_4plusIlEEEE10hipError_tPvRmT1_T2_T3_mT4_P12ihipStream_tbEUlT_E1_NS1_11comp_targetILNS1_3genE2ELNS1_11target_archE906ELNS1_3gpuE6ELNS1_3repE0EEENS1_30default_config_static_selectorELNS0_4arch9wavefront6targetE1EEEvSW_.uses_flat_scratch, 0
	.set _ZN7rocprim17ROCPRIM_400000_NS6detail17trampoline_kernelINS0_14default_configENS1_22reduce_config_selectorIlEEZNS1_11reduce_implILb1ES3_N6thrust23THRUST_200600_302600_NS11hip_rocprim26transform_input_iterator_tIlNS8_12zip_iteratorINS8_5tupleINS8_6detail15normal_iteratorINS8_10device_ptrIsEEEESH_NS8_9null_typeESI_SI_SI_SI_SI_SI_SI_EEEENS9_21zip_adj_not_predicateINS8_8equal_toIsEEEEEEPllNS8_4plusIlEEEE10hipError_tPvRmT1_T2_T3_mT4_P12ihipStream_tbEUlT_E1_NS1_11comp_targetILNS1_3genE2ELNS1_11target_archE906ELNS1_3gpuE6ELNS1_3repE0EEENS1_30default_config_static_selectorELNS0_4arch9wavefront6targetE1EEEvSW_.has_dyn_sized_stack, 0
	.set _ZN7rocprim17ROCPRIM_400000_NS6detail17trampoline_kernelINS0_14default_configENS1_22reduce_config_selectorIlEEZNS1_11reduce_implILb1ES3_N6thrust23THRUST_200600_302600_NS11hip_rocprim26transform_input_iterator_tIlNS8_12zip_iteratorINS8_5tupleINS8_6detail15normal_iteratorINS8_10device_ptrIsEEEESH_NS8_9null_typeESI_SI_SI_SI_SI_SI_SI_EEEENS9_21zip_adj_not_predicateINS8_8equal_toIsEEEEEEPllNS8_4plusIlEEEE10hipError_tPvRmT1_T2_T3_mT4_P12ihipStream_tbEUlT_E1_NS1_11comp_targetILNS1_3genE2ELNS1_11target_archE906ELNS1_3gpuE6ELNS1_3repE0EEENS1_30default_config_static_selectorELNS0_4arch9wavefront6targetE1EEEvSW_.has_recursion, 0
	.set _ZN7rocprim17ROCPRIM_400000_NS6detail17trampoline_kernelINS0_14default_configENS1_22reduce_config_selectorIlEEZNS1_11reduce_implILb1ES3_N6thrust23THRUST_200600_302600_NS11hip_rocprim26transform_input_iterator_tIlNS8_12zip_iteratorINS8_5tupleINS8_6detail15normal_iteratorINS8_10device_ptrIsEEEESH_NS8_9null_typeESI_SI_SI_SI_SI_SI_SI_EEEENS9_21zip_adj_not_predicateINS8_8equal_toIsEEEEEEPllNS8_4plusIlEEEE10hipError_tPvRmT1_T2_T3_mT4_P12ihipStream_tbEUlT_E1_NS1_11comp_targetILNS1_3genE2ELNS1_11target_archE906ELNS1_3gpuE6ELNS1_3repE0EEENS1_30default_config_static_selectorELNS0_4arch9wavefront6targetE1EEEvSW_.has_indirect_call, 0
	.section	.AMDGPU.csdata,"",@progbits
; Kernel info:
; codeLenInByte = 10580
; TotalNumSgprs: 38
; NumVgprs: 36
; ScratchSize: 0
; MemoryBound: 0
; FloatMode: 240
; IeeeMode: 1
; LDSByteSize: 192 bytes/workgroup (compile time only)
; SGPRBlocks: 4
; VGPRBlocks: 8
; NumSGPRsForWavesPerEU: 38
; NumVGPRsForWavesPerEU: 36
; Occupancy: 7
; WaveLimiterHint : 0
; COMPUTE_PGM_RSRC2:SCRATCH_EN: 0
; COMPUTE_PGM_RSRC2:USER_SGPR: 6
; COMPUTE_PGM_RSRC2:TRAP_HANDLER: 0
; COMPUTE_PGM_RSRC2:TGID_X_EN: 1
; COMPUTE_PGM_RSRC2:TGID_Y_EN: 0
; COMPUTE_PGM_RSRC2:TGID_Z_EN: 0
; COMPUTE_PGM_RSRC2:TIDIG_COMP_CNT: 0
	.section	.text._ZN7rocprim17ROCPRIM_400000_NS6detail17trampoline_kernelINS0_14default_configENS1_22reduce_config_selectorIlEEZNS1_11reduce_implILb1ES3_N6thrust23THRUST_200600_302600_NS11hip_rocprim26transform_input_iterator_tIlNS8_12zip_iteratorINS8_5tupleINS8_6detail15normal_iteratorINS8_10device_ptrIsEEEESH_NS8_9null_typeESI_SI_SI_SI_SI_SI_SI_EEEENS9_21zip_adj_not_predicateINS8_8equal_toIsEEEEEEPllNS8_4plusIlEEEE10hipError_tPvRmT1_T2_T3_mT4_P12ihipStream_tbEUlT_E1_NS1_11comp_targetILNS1_3genE10ELNS1_11target_archE1201ELNS1_3gpuE5ELNS1_3repE0EEENS1_30default_config_static_selectorELNS0_4arch9wavefront6targetE1EEEvSW_,"axG",@progbits,_ZN7rocprim17ROCPRIM_400000_NS6detail17trampoline_kernelINS0_14default_configENS1_22reduce_config_selectorIlEEZNS1_11reduce_implILb1ES3_N6thrust23THRUST_200600_302600_NS11hip_rocprim26transform_input_iterator_tIlNS8_12zip_iteratorINS8_5tupleINS8_6detail15normal_iteratorINS8_10device_ptrIsEEEESH_NS8_9null_typeESI_SI_SI_SI_SI_SI_SI_EEEENS9_21zip_adj_not_predicateINS8_8equal_toIsEEEEEEPllNS8_4plusIlEEEE10hipError_tPvRmT1_T2_T3_mT4_P12ihipStream_tbEUlT_E1_NS1_11comp_targetILNS1_3genE10ELNS1_11target_archE1201ELNS1_3gpuE5ELNS1_3repE0EEENS1_30default_config_static_selectorELNS0_4arch9wavefront6targetE1EEEvSW_,comdat
	.protected	_ZN7rocprim17ROCPRIM_400000_NS6detail17trampoline_kernelINS0_14default_configENS1_22reduce_config_selectorIlEEZNS1_11reduce_implILb1ES3_N6thrust23THRUST_200600_302600_NS11hip_rocprim26transform_input_iterator_tIlNS8_12zip_iteratorINS8_5tupleINS8_6detail15normal_iteratorINS8_10device_ptrIsEEEESH_NS8_9null_typeESI_SI_SI_SI_SI_SI_SI_EEEENS9_21zip_adj_not_predicateINS8_8equal_toIsEEEEEEPllNS8_4plusIlEEEE10hipError_tPvRmT1_T2_T3_mT4_P12ihipStream_tbEUlT_E1_NS1_11comp_targetILNS1_3genE10ELNS1_11target_archE1201ELNS1_3gpuE5ELNS1_3repE0EEENS1_30default_config_static_selectorELNS0_4arch9wavefront6targetE1EEEvSW_ ; -- Begin function _ZN7rocprim17ROCPRIM_400000_NS6detail17trampoline_kernelINS0_14default_configENS1_22reduce_config_selectorIlEEZNS1_11reduce_implILb1ES3_N6thrust23THRUST_200600_302600_NS11hip_rocprim26transform_input_iterator_tIlNS8_12zip_iteratorINS8_5tupleINS8_6detail15normal_iteratorINS8_10device_ptrIsEEEESH_NS8_9null_typeESI_SI_SI_SI_SI_SI_SI_EEEENS9_21zip_adj_not_predicateINS8_8equal_toIsEEEEEEPllNS8_4plusIlEEEE10hipError_tPvRmT1_T2_T3_mT4_P12ihipStream_tbEUlT_E1_NS1_11comp_targetILNS1_3genE10ELNS1_11target_archE1201ELNS1_3gpuE5ELNS1_3repE0EEENS1_30default_config_static_selectorELNS0_4arch9wavefront6targetE1EEEvSW_
	.globl	_ZN7rocprim17ROCPRIM_400000_NS6detail17trampoline_kernelINS0_14default_configENS1_22reduce_config_selectorIlEEZNS1_11reduce_implILb1ES3_N6thrust23THRUST_200600_302600_NS11hip_rocprim26transform_input_iterator_tIlNS8_12zip_iteratorINS8_5tupleINS8_6detail15normal_iteratorINS8_10device_ptrIsEEEESH_NS8_9null_typeESI_SI_SI_SI_SI_SI_SI_EEEENS9_21zip_adj_not_predicateINS8_8equal_toIsEEEEEEPllNS8_4plusIlEEEE10hipError_tPvRmT1_T2_T3_mT4_P12ihipStream_tbEUlT_E1_NS1_11comp_targetILNS1_3genE10ELNS1_11target_archE1201ELNS1_3gpuE5ELNS1_3repE0EEENS1_30default_config_static_selectorELNS0_4arch9wavefront6targetE1EEEvSW_
	.p2align	8
	.type	_ZN7rocprim17ROCPRIM_400000_NS6detail17trampoline_kernelINS0_14default_configENS1_22reduce_config_selectorIlEEZNS1_11reduce_implILb1ES3_N6thrust23THRUST_200600_302600_NS11hip_rocprim26transform_input_iterator_tIlNS8_12zip_iteratorINS8_5tupleINS8_6detail15normal_iteratorINS8_10device_ptrIsEEEESH_NS8_9null_typeESI_SI_SI_SI_SI_SI_SI_EEEENS9_21zip_adj_not_predicateINS8_8equal_toIsEEEEEEPllNS8_4plusIlEEEE10hipError_tPvRmT1_T2_T3_mT4_P12ihipStream_tbEUlT_E1_NS1_11comp_targetILNS1_3genE10ELNS1_11target_archE1201ELNS1_3gpuE5ELNS1_3repE0EEENS1_30default_config_static_selectorELNS0_4arch9wavefront6targetE1EEEvSW_,@function
_ZN7rocprim17ROCPRIM_400000_NS6detail17trampoline_kernelINS0_14default_configENS1_22reduce_config_selectorIlEEZNS1_11reduce_implILb1ES3_N6thrust23THRUST_200600_302600_NS11hip_rocprim26transform_input_iterator_tIlNS8_12zip_iteratorINS8_5tupleINS8_6detail15normal_iteratorINS8_10device_ptrIsEEEESH_NS8_9null_typeESI_SI_SI_SI_SI_SI_SI_EEEENS9_21zip_adj_not_predicateINS8_8equal_toIsEEEEEEPllNS8_4plusIlEEEE10hipError_tPvRmT1_T2_T3_mT4_P12ihipStream_tbEUlT_E1_NS1_11comp_targetILNS1_3genE10ELNS1_11target_archE1201ELNS1_3gpuE5ELNS1_3repE0EEENS1_30default_config_static_selectorELNS0_4arch9wavefront6targetE1EEEvSW_: ; @_ZN7rocprim17ROCPRIM_400000_NS6detail17trampoline_kernelINS0_14default_configENS1_22reduce_config_selectorIlEEZNS1_11reduce_implILb1ES3_N6thrust23THRUST_200600_302600_NS11hip_rocprim26transform_input_iterator_tIlNS8_12zip_iteratorINS8_5tupleINS8_6detail15normal_iteratorINS8_10device_ptrIsEEEESH_NS8_9null_typeESI_SI_SI_SI_SI_SI_SI_EEEENS9_21zip_adj_not_predicateINS8_8equal_toIsEEEEEEPllNS8_4plusIlEEEE10hipError_tPvRmT1_T2_T3_mT4_P12ihipStream_tbEUlT_E1_NS1_11comp_targetILNS1_3genE10ELNS1_11target_archE1201ELNS1_3gpuE5ELNS1_3repE0EEENS1_30default_config_static_selectorELNS0_4arch9wavefront6targetE1EEEvSW_
; %bb.0:
	.section	.rodata,"a",@progbits
	.p2align	6, 0x0
	.amdhsa_kernel _ZN7rocprim17ROCPRIM_400000_NS6detail17trampoline_kernelINS0_14default_configENS1_22reduce_config_selectorIlEEZNS1_11reduce_implILb1ES3_N6thrust23THRUST_200600_302600_NS11hip_rocprim26transform_input_iterator_tIlNS8_12zip_iteratorINS8_5tupleINS8_6detail15normal_iteratorINS8_10device_ptrIsEEEESH_NS8_9null_typeESI_SI_SI_SI_SI_SI_SI_EEEENS9_21zip_adj_not_predicateINS8_8equal_toIsEEEEEEPllNS8_4plusIlEEEE10hipError_tPvRmT1_T2_T3_mT4_P12ihipStream_tbEUlT_E1_NS1_11comp_targetILNS1_3genE10ELNS1_11target_archE1201ELNS1_3gpuE5ELNS1_3repE0EEENS1_30default_config_static_selectorELNS0_4arch9wavefront6targetE1EEEvSW_
		.amdhsa_group_segment_fixed_size 0
		.amdhsa_private_segment_fixed_size 0
		.amdhsa_kernarg_size 64
		.amdhsa_user_sgpr_count 6
		.amdhsa_user_sgpr_private_segment_buffer 1
		.amdhsa_user_sgpr_dispatch_ptr 0
		.amdhsa_user_sgpr_queue_ptr 0
		.amdhsa_user_sgpr_kernarg_segment_ptr 1
		.amdhsa_user_sgpr_dispatch_id 0
		.amdhsa_user_sgpr_flat_scratch_init 0
		.amdhsa_user_sgpr_private_segment_size 0
		.amdhsa_uses_dynamic_stack 0
		.amdhsa_system_sgpr_private_segment_wavefront_offset 0
		.amdhsa_system_sgpr_workgroup_id_x 1
		.amdhsa_system_sgpr_workgroup_id_y 0
		.amdhsa_system_sgpr_workgroup_id_z 0
		.amdhsa_system_sgpr_workgroup_info 0
		.amdhsa_system_vgpr_workitem_id 0
		.amdhsa_next_free_vgpr 1
		.amdhsa_next_free_sgpr 0
		.amdhsa_reserve_vcc 0
		.amdhsa_reserve_flat_scratch 0
		.amdhsa_float_round_mode_32 0
		.amdhsa_float_round_mode_16_64 0
		.amdhsa_float_denorm_mode_32 3
		.amdhsa_float_denorm_mode_16_64 3
		.amdhsa_dx10_clamp 1
		.amdhsa_ieee_mode 1
		.amdhsa_fp16_overflow 0
		.amdhsa_exception_fp_ieee_invalid_op 0
		.amdhsa_exception_fp_denorm_src 0
		.amdhsa_exception_fp_ieee_div_zero 0
		.amdhsa_exception_fp_ieee_overflow 0
		.amdhsa_exception_fp_ieee_underflow 0
		.amdhsa_exception_fp_ieee_inexact 0
		.amdhsa_exception_int_div_zero 0
	.end_amdhsa_kernel
	.section	.text._ZN7rocprim17ROCPRIM_400000_NS6detail17trampoline_kernelINS0_14default_configENS1_22reduce_config_selectorIlEEZNS1_11reduce_implILb1ES3_N6thrust23THRUST_200600_302600_NS11hip_rocprim26transform_input_iterator_tIlNS8_12zip_iteratorINS8_5tupleINS8_6detail15normal_iteratorINS8_10device_ptrIsEEEESH_NS8_9null_typeESI_SI_SI_SI_SI_SI_SI_EEEENS9_21zip_adj_not_predicateINS8_8equal_toIsEEEEEEPllNS8_4plusIlEEEE10hipError_tPvRmT1_T2_T3_mT4_P12ihipStream_tbEUlT_E1_NS1_11comp_targetILNS1_3genE10ELNS1_11target_archE1201ELNS1_3gpuE5ELNS1_3repE0EEENS1_30default_config_static_selectorELNS0_4arch9wavefront6targetE1EEEvSW_,"axG",@progbits,_ZN7rocprim17ROCPRIM_400000_NS6detail17trampoline_kernelINS0_14default_configENS1_22reduce_config_selectorIlEEZNS1_11reduce_implILb1ES3_N6thrust23THRUST_200600_302600_NS11hip_rocprim26transform_input_iterator_tIlNS8_12zip_iteratorINS8_5tupleINS8_6detail15normal_iteratorINS8_10device_ptrIsEEEESH_NS8_9null_typeESI_SI_SI_SI_SI_SI_SI_EEEENS9_21zip_adj_not_predicateINS8_8equal_toIsEEEEEEPllNS8_4plusIlEEEE10hipError_tPvRmT1_T2_T3_mT4_P12ihipStream_tbEUlT_E1_NS1_11comp_targetILNS1_3genE10ELNS1_11target_archE1201ELNS1_3gpuE5ELNS1_3repE0EEENS1_30default_config_static_selectorELNS0_4arch9wavefront6targetE1EEEvSW_,comdat
.Lfunc_end1009:
	.size	_ZN7rocprim17ROCPRIM_400000_NS6detail17trampoline_kernelINS0_14default_configENS1_22reduce_config_selectorIlEEZNS1_11reduce_implILb1ES3_N6thrust23THRUST_200600_302600_NS11hip_rocprim26transform_input_iterator_tIlNS8_12zip_iteratorINS8_5tupleINS8_6detail15normal_iteratorINS8_10device_ptrIsEEEESH_NS8_9null_typeESI_SI_SI_SI_SI_SI_SI_EEEENS9_21zip_adj_not_predicateINS8_8equal_toIsEEEEEEPllNS8_4plusIlEEEE10hipError_tPvRmT1_T2_T3_mT4_P12ihipStream_tbEUlT_E1_NS1_11comp_targetILNS1_3genE10ELNS1_11target_archE1201ELNS1_3gpuE5ELNS1_3repE0EEENS1_30default_config_static_selectorELNS0_4arch9wavefront6targetE1EEEvSW_, .Lfunc_end1009-_ZN7rocprim17ROCPRIM_400000_NS6detail17trampoline_kernelINS0_14default_configENS1_22reduce_config_selectorIlEEZNS1_11reduce_implILb1ES3_N6thrust23THRUST_200600_302600_NS11hip_rocprim26transform_input_iterator_tIlNS8_12zip_iteratorINS8_5tupleINS8_6detail15normal_iteratorINS8_10device_ptrIsEEEESH_NS8_9null_typeESI_SI_SI_SI_SI_SI_SI_EEEENS9_21zip_adj_not_predicateINS8_8equal_toIsEEEEEEPllNS8_4plusIlEEEE10hipError_tPvRmT1_T2_T3_mT4_P12ihipStream_tbEUlT_E1_NS1_11comp_targetILNS1_3genE10ELNS1_11target_archE1201ELNS1_3gpuE5ELNS1_3repE0EEENS1_30default_config_static_selectorELNS0_4arch9wavefront6targetE1EEEvSW_
                                        ; -- End function
	.set _ZN7rocprim17ROCPRIM_400000_NS6detail17trampoline_kernelINS0_14default_configENS1_22reduce_config_selectorIlEEZNS1_11reduce_implILb1ES3_N6thrust23THRUST_200600_302600_NS11hip_rocprim26transform_input_iterator_tIlNS8_12zip_iteratorINS8_5tupleINS8_6detail15normal_iteratorINS8_10device_ptrIsEEEESH_NS8_9null_typeESI_SI_SI_SI_SI_SI_SI_EEEENS9_21zip_adj_not_predicateINS8_8equal_toIsEEEEEEPllNS8_4plusIlEEEE10hipError_tPvRmT1_T2_T3_mT4_P12ihipStream_tbEUlT_E1_NS1_11comp_targetILNS1_3genE10ELNS1_11target_archE1201ELNS1_3gpuE5ELNS1_3repE0EEENS1_30default_config_static_selectorELNS0_4arch9wavefront6targetE1EEEvSW_.num_vgpr, 0
	.set _ZN7rocprim17ROCPRIM_400000_NS6detail17trampoline_kernelINS0_14default_configENS1_22reduce_config_selectorIlEEZNS1_11reduce_implILb1ES3_N6thrust23THRUST_200600_302600_NS11hip_rocprim26transform_input_iterator_tIlNS8_12zip_iteratorINS8_5tupleINS8_6detail15normal_iteratorINS8_10device_ptrIsEEEESH_NS8_9null_typeESI_SI_SI_SI_SI_SI_SI_EEEENS9_21zip_adj_not_predicateINS8_8equal_toIsEEEEEEPllNS8_4plusIlEEEE10hipError_tPvRmT1_T2_T3_mT4_P12ihipStream_tbEUlT_E1_NS1_11comp_targetILNS1_3genE10ELNS1_11target_archE1201ELNS1_3gpuE5ELNS1_3repE0EEENS1_30default_config_static_selectorELNS0_4arch9wavefront6targetE1EEEvSW_.num_agpr, 0
	.set _ZN7rocprim17ROCPRIM_400000_NS6detail17trampoline_kernelINS0_14default_configENS1_22reduce_config_selectorIlEEZNS1_11reduce_implILb1ES3_N6thrust23THRUST_200600_302600_NS11hip_rocprim26transform_input_iterator_tIlNS8_12zip_iteratorINS8_5tupleINS8_6detail15normal_iteratorINS8_10device_ptrIsEEEESH_NS8_9null_typeESI_SI_SI_SI_SI_SI_SI_EEEENS9_21zip_adj_not_predicateINS8_8equal_toIsEEEEEEPllNS8_4plusIlEEEE10hipError_tPvRmT1_T2_T3_mT4_P12ihipStream_tbEUlT_E1_NS1_11comp_targetILNS1_3genE10ELNS1_11target_archE1201ELNS1_3gpuE5ELNS1_3repE0EEENS1_30default_config_static_selectorELNS0_4arch9wavefront6targetE1EEEvSW_.numbered_sgpr, 0
	.set _ZN7rocprim17ROCPRIM_400000_NS6detail17trampoline_kernelINS0_14default_configENS1_22reduce_config_selectorIlEEZNS1_11reduce_implILb1ES3_N6thrust23THRUST_200600_302600_NS11hip_rocprim26transform_input_iterator_tIlNS8_12zip_iteratorINS8_5tupleINS8_6detail15normal_iteratorINS8_10device_ptrIsEEEESH_NS8_9null_typeESI_SI_SI_SI_SI_SI_SI_EEEENS9_21zip_adj_not_predicateINS8_8equal_toIsEEEEEEPllNS8_4plusIlEEEE10hipError_tPvRmT1_T2_T3_mT4_P12ihipStream_tbEUlT_E1_NS1_11comp_targetILNS1_3genE10ELNS1_11target_archE1201ELNS1_3gpuE5ELNS1_3repE0EEENS1_30default_config_static_selectorELNS0_4arch9wavefront6targetE1EEEvSW_.num_named_barrier, 0
	.set _ZN7rocprim17ROCPRIM_400000_NS6detail17trampoline_kernelINS0_14default_configENS1_22reduce_config_selectorIlEEZNS1_11reduce_implILb1ES3_N6thrust23THRUST_200600_302600_NS11hip_rocprim26transform_input_iterator_tIlNS8_12zip_iteratorINS8_5tupleINS8_6detail15normal_iteratorINS8_10device_ptrIsEEEESH_NS8_9null_typeESI_SI_SI_SI_SI_SI_SI_EEEENS9_21zip_adj_not_predicateINS8_8equal_toIsEEEEEEPllNS8_4plusIlEEEE10hipError_tPvRmT1_T2_T3_mT4_P12ihipStream_tbEUlT_E1_NS1_11comp_targetILNS1_3genE10ELNS1_11target_archE1201ELNS1_3gpuE5ELNS1_3repE0EEENS1_30default_config_static_selectorELNS0_4arch9wavefront6targetE1EEEvSW_.private_seg_size, 0
	.set _ZN7rocprim17ROCPRIM_400000_NS6detail17trampoline_kernelINS0_14default_configENS1_22reduce_config_selectorIlEEZNS1_11reduce_implILb1ES3_N6thrust23THRUST_200600_302600_NS11hip_rocprim26transform_input_iterator_tIlNS8_12zip_iteratorINS8_5tupleINS8_6detail15normal_iteratorINS8_10device_ptrIsEEEESH_NS8_9null_typeESI_SI_SI_SI_SI_SI_SI_EEEENS9_21zip_adj_not_predicateINS8_8equal_toIsEEEEEEPllNS8_4plusIlEEEE10hipError_tPvRmT1_T2_T3_mT4_P12ihipStream_tbEUlT_E1_NS1_11comp_targetILNS1_3genE10ELNS1_11target_archE1201ELNS1_3gpuE5ELNS1_3repE0EEENS1_30default_config_static_selectorELNS0_4arch9wavefront6targetE1EEEvSW_.uses_vcc, 0
	.set _ZN7rocprim17ROCPRIM_400000_NS6detail17trampoline_kernelINS0_14default_configENS1_22reduce_config_selectorIlEEZNS1_11reduce_implILb1ES3_N6thrust23THRUST_200600_302600_NS11hip_rocprim26transform_input_iterator_tIlNS8_12zip_iteratorINS8_5tupleINS8_6detail15normal_iteratorINS8_10device_ptrIsEEEESH_NS8_9null_typeESI_SI_SI_SI_SI_SI_SI_EEEENS9_21zip_adj_not_predicateINS8_8equal_toIsEEEEEEPllNS8_4plusIlEEEE10hipError_tPvRmT1_T2_T3_mT4_P12ihipStream_tbEUlT_E1_NS1_11comp_targetILNS1_3genE10ELNS1_11target_archE1201ELNS1_3gpuE5ELNS1_3repE0EEENS1_30default_config_static_selectorELNS0_4arch9wavefront6targetE1EEEvSW_.uses_flat_scratch, 0
	.set _ZN7rocprim17ROCPRIM_400000_NS6detail17trampoline_kernelINS0_14default_configENS1_22reduce_config_selectorIlEEZNS1_11reduce_implILb1ES3_N6thrust23THRUST_200600_302600_NS11hip_rocprim26transform_input_iterator_tIlNS8_12zip_iteratorINS8_5tupleINS8_6detail15normal_iteratorINS8_10device_ptrIsEEEESH_NS8_9null_typeESI_SI_SI_SI_SI_SI_SI_EEEENS9_21zip_adj_not_predicateINS8_8equal_toIsEEEEEEPllNS8_4plusIlEEEE10hipError_tPvRmT1_T2_T3_mT4_P12ihipStream_tbEUlT_E1_NS1_11comp_targetILNS1_3genE10ELNS1_11target_archE1201ELNS1_3gpuE5ELNS1_3repE0EEENS1_30default_config_static_selectorELNS0_4arch9wavefront6targetE1EEEvSW_.has_dyn_sized_stack, 0
	.set _ZN7rocprim17ROCPRIM_400000_NS6detail17trampoline_kernelINS0_14default_configENS1_22reduce_config_selectorIlEEZNS1_11reduce_implILb1ES3_N6thrust23THRUST_200600_302600_NS11hip_rocprim26transform_input_iterator_tIlNS8_12zip_iteratorINS8_5tupleINS8_6detail15normal_iteratorINS8_10device_ptrIsEEEESH_NS8_9null_typeESI_SI_SI_SI_SI_SI_SI_EEEENS9_21zip_adj_not_predicateINS8_8equal_toIsEEEEEEPllNS8_4plusIlEEEE10hipError_tPvRmT1_T2_T3_mT4_P12ihipStream_tbEUlT_E1_NS1_11comp_targetILNS1_3genE10ELNS1_11target_archE1201ELNS1_3gpuE5ELNS1_3repE0EEENS1_30default_config_static_selectorELNS0_4arch9wavefront6targetE1EEEvSW_.has_recursion, 0
	.set _ZN7rocprim17ROCPRIM_400000_NS6detail17trampoline_kernelINS0_14default_configENS1_22reduce_config_selectorIlEEZNS1_11reduce_implILb1ES3_N6thrust23THRUST_200600_302600_NS11hip_rocprim26transform_input_iterator_tIlNS8_12zip_iteratorINS8_5tupleINS8_6detail15normal_iteratorINS8_10device_ptrIsEEEESH_NS8_9null_typeESI_SI_SI_SI_SI_SI_SI_EEEENS9_21zip_adj_not_predicateINS8_8equal_toIsEEEEEEPllNS8_4plusIlEEEE10hipError_tPvRmT1_T2_T3_mT4_P12ihipStream_tbEUlT_E1_NS1_11comp_targetILNS1_3genE10ELNS1_11target_archE1201ELNS1_3gpuE5ELNS1_3repE0EEENS1_30default_config_static_selectorELNS0_4arch9wavefront6targetE1EEEvSW_.has_indirect_call, 0
	.section	.AMDGPU.csdata,"",@progbits
; Kernel info:
; codeLenInByte = 0
; TotalNumSgprs: 4
; NumVgprs: 0
; ScratchSize: 0
; MemoryBound: 0
; FloatMode: 240
; IeeeMode: 1
; LDSByteSize: 0 bytes/workgroup (compile time only)
; SGPRBlocks: 0
; VGPRBlocks: 0
; NumSGPRsForWavesPerEU: 4
; NumVGPRsForWavesPerEU: 1
; Occupancy: 10
; WaveLimiterHint : 0
; COMPUTE_PGM_RSRC2:SCRATCH_EN: 0
; COMPUTE_PGM_RSRC2:USER_SGPR: 6
; COMPUTE_PGM_RSRC2:TRAP_HANDLER: 0
; COMPUTE_PGM_RSRC2:TGID_X_EN: 1
; COMPUTE_PGM_RSRC2:TGID_Y_EN: 0
; COMPUTE_PGM_RSRC2:TGID_Z_EN: 0
; COMPUTE_PGM_RSRC2:TIDIG_COMP_CNT: 0
	.section	.text._ZN7rocprim17ROCPRIM_400000_NS6detail17trampoline_kernelINS0_14default_configENS1_22reduce_config_selectorIlEEZNS1_11reduce_implILb1ES3_N6thrust23THRUST_200600_302600_NS11hip_rocprim26transform_input_iterator_tIlNS8_12zip_iteratorINS8_5tupleINS8_6detail15normal_iteratorINS8_10device_ptrIsEEEESH_NS8_9null_typeESI_SI_SI_SI_SI_SI_SI_EEEENS9_21zip_adj_not_predicateINS8_8equal_toIsEEEEEEPllNS8_4plusIlEEEE10hipError_tPvRmT1_T2_T3_mT4_P12ihipStream_tbEUlT_E1_NS1_11comp_targetILNS1_3genE10ELNS1_11target_archE1200ELNS1_3gpuE4ELNS1_3repE0EEENS1_30default_config_static_selectorELNS0_4arch9wavefront6targetE1EEEvSW_,"axG",@progbits,_ZN7rocprim17ROCPRIM_400000_NS6detail17trampoline_kernelINS0_14default_configENS1_22reduce_config_selectorIlEEZNS1_11reduce_implILb1ES3_N6thrust23THRUST_200600_302600_NS11hip_rocprim26transform_input_iterator_tIlNS8_12zip_iteratorINS8_5tupleINS8_6detail15normal_iteratorINS8_10device_ptrIsEEEESH_NS8_9null_typeESI_SI_SI_SI_SI_SI_SI_EEEENS9_21zip_adj_not_predicateINS8_8equal_toIsEEEEEEPllNS8_4plusIlEEEE10hipError_tPvRmT1_T2_T3_mT4_P12ihipStream_tbEUlT_E1_NS1_11comp_targetILNS1_3genE10ELNS1_11target_archE1200ELNS1_3gpuE4ELNS1_3repE0EEENS1_30default_config_static_selectorELNS0_4arch9wavefront6targetE1EEEvSW_,comdat
	.protected	_ZN7rocprim17ROCPRIM_400000_NS6detail17trampoline_kernelINS0_14default_configENS1_22reduce_config_selectorIlEEZNS1_11reduce_implILb1ES3_N6thrust23THRUST_200600_302600_NS11hip_rocprim26transform_input_iterator_tIlNS8_12zip_iteratorINS8_5tupleINS8_6detail15normal_iteratorINS8_10device_ptrIsEEEESH_NS8_9null_typeESI_SI_SI_SI_SI_SI_SI_EEEENS9_21zip_adj_not_predicateINS8_8equal_toIsEEEEEEPllNS8_4plusIlEEEE10hipError_tPvRmT1_T2_T3_mT4_P12ihipStream_tbEUlT_E1_NS1_11comp_targetILNS1_3genE10ELNS1_11target_archE1200ELNS1_3gpuE4ELNS1_3repE0EEENS1_30default_config_static_selectorELNS0_4arch9wavefront6targetE1EEEvSW_ ; -- Begin function _ZN7rocprim17ROCPRIM_400000_NS6detail17trampoline_kernelINS0_14default_configENS1_22reduce_config_selectorIlEEZNS1_11reduce_implILb1ES3_N6thrust23THRUST_200600_302600_NS11hip_rocprim26transform_input_iterator_tIlNS8_12zip_iteratorINS8_5tupleINS8_6detail15normal_iteratorINS8_10device_ptrIsEEEESH_NS8_9null_typeESI_SI_SI_SI_SI_SI_SI_EEEENS9_21zip_adj_not_predicateINS8_8equal_toIsEEEEEEPllNS8_4plusIlEEEE10hipError_tPvRmT1_T2_T3_mT4_P12ihipStream_tbEUlT_E1_NS1_11comp_targetILNS1_3genE10ELNS1_11target_archE1200ELNS1_3gpuE4ELNS1_3repE0EEENS1_30default_config_static_selectorELNS0_4arch9wavefront6targetE1EEEvSW_
	.globl	_ZN7rocprim17ROCPRIM_400000_NS6detail17trampoline_kernelINS0_14default_configENS1_22reduce_config_selectorIlEEZNS1_11reduce_implILb1ES3_N6thrust23THRUST_200600_302600_NS11hip_rocprim26transform_input_iterator_tIlNS8_12zip_iteratorINS8_5tupleINS8_6detail15normal_iteratorINS8_10device_ptrIsEEEESH_NS8_9null_typeESI_SI_SI_SI_SI_SI_SI_EEEENS9_21zip_adj_not_predicateINS8_8equal_toIsEEEEEEPllNS8_4plusIlEEEE10hipError_tPvRmT1_T2_T3_mT4_P12ihipStream_tbEUlT_E1_NS1_11comp_targetILNS1_3genE10ELNS1_11target_archE1200ELNS1_3gpuE4ELNS1_3repE0EEENS1_30default_config_static_selectorELNS0_4arch9wavefront6targetE1EEEvSW_
	.p2align	8
	.type	_ZN7rocprim17ROCPRIM_400000_NS6detail17trampoline_kernelINS0_14default_configENS1_22reduce_config_selectorIlEEZNS1_11reduce_implILb1ES3_N6thrust23THRUST_200600_302600_NS11hip_rocprim26transform_input_iterator_tIlNS8_12zip_iteratorINS8_5tupleINS8_6detail15normal_iteratorINS8_10device_ptrIsEEEESH_NS8_9null_typeESI_SI_SI_SI_SI_SI_SI_EEEENS9_21zip_adj_not_predicateINS8_8equal_toIsEEEEEEPllNS8_4plusIlEEEE10hipError_tPvRmT1_T2_T3_mT4_P12ihipStream_tbEUlT_E1_NS1_11comp_targetILNS1_3genE10ELNS1_11target_archE1200ELNS1_3gpuE4ELNS1_3repE0EEENS1_30default_config_static_selectorELNS0_4arch9wavefront6targetE1EEEvSW_,@function
_ZN7rocprim17ROCPRIM_400000_NS6detail17trampoline_kernelINS0_14default_configENS1_22reduce_config_selectorIlEEZNS1_11reduce_implILb1ES3_N6thrust23THRUST_200600_302600_NS11hip_rocprim26transform_input_iterator_tIlNS8_12zip_iteratorINS8_5tupleINS8_6detail15normal_iteratorINS8_10device_ptrIsEEEESH_NS8_9null_typeESI_SI_SI_SI_SI_SI_SI_EEEENS9_21zip_adj_not_predicateINS8_8equal_toIsEEEEEEPllNS8_4plusIlEEEE10hipError_tPvRmT1_T2_T3_mT4_P12ihipStream_tbEUlT_E1_NS1_11comp_targetILNS1_3genE10ELNS1_11target_archE1200ELNS1_3gpuE4ELNS1_3repE0EEENS1_30default_config_static_selectorELNS0_4arch9wavefront6targetE1EEEvSW_: ; @_ZN7rocprim17ROCPRIM_400000_NS6detail17trampoline_kernelINS0_14default_configENS1_22reduce_config_selectorIlEEZNS1_11reduce_implILb1ES3_N6thrust23THRUST_200600_302600_NS11hip_rocprim26transform_input_iterator_tIlNS8_12zip_iteratorINS8_5tupleINS8_6detail15normal_iteratorINS8_10device_ptrIsEEEESH_NS8_9null_typeESI_SI_SI_SI_SI_SI_SI_EEEENS9_21zip_adj_not_predicateINS8_8equal_toIsEEEEEEPllNS8_4plusIlEEEE10hipError_tPvRmT1_T2_T3_mT4_P12ihipStream_tbEUlT_E1_NS1_11comp_targetILNS1_3genE10ELNS1_11target_archE1200ELNS1_3gpuE4ELNS1_3repE0EEENS1_30default_config_static_selectorELNS0_4arch9wavefront6targetE1EEEvSW_
; %bb.0:
	.section	.rodata,"a",@progbits
	.p2align	6, 0x0
	.amdhsa_kernel _ZN7rocprim17ROCPRIM_400000_NS6detail17trampoline_kernelINS0_14default_configENS1_22reduce_config_selectorIlEEZNS1_11reduce_implILb1ES3_N6thrust23THRUST_200600_302600_NS11hip_rocprim26transform_input_iterator_tIlNS8_12zip_iteratorINS8_5tupleINS8_6detail15normal_iteratorINS8_10device_ptrIsEEEESH_NS8_9null_typeESI_SI_SI_SI_SI_SI_SI_EEEENS9_21zip_adj_not_predicateINS8_8equal_toIsEEEEEEPllNS8_4plusIlEEEE10hipError_tPvRmT1_T2_T3_mT4_P12ihipStream_tbEUlT_E1_NS1_11comp_targetILNS1_3genE10ELNS1_11target_archE1200ELNS1_3gpuE4ELNS1_3repE0EEENS1_30default_config_static_selectorELNS0_4arch9wavefront6targetE1EEEvSW_
		.amdhsa_group_segment_fixed_size 0
		.amdhsa_private_segment_fixed_size 0
		.amdhsa_kernarg_size 64
		.amdhsa_user_sgpr_count 6
		.amdhsa_user_sgpr_private_segment_buffer 1
		.amdhsa_user_sgpr_dispatch_ptr 0
		.amdhsa_user_sgpr_queue_ptr 0
		.amdhsa_user_sgpr_kernarg_segment_ptr 1
		.amdhsa_user_sgpr_dispatch_id 0
		.amdhsa_user_sgpr_flat_scratch_init 0
		.amdhsa_user_sgpr_private_segment_size 0
		.amdhsa_uses_dynamic_stack 0
		.amdhsa_system_sgpr_private_segment_wavefront_offset 0
		.amdhsa_system_sgpr_workgroup_id_x 1
		.amdhsa_system_sgpr_workgroup_id_y 0
		.amdhsa_system_sgpr_workgroup_id_z 0
		.amdhsa_system_sgpr_workgroup_info 0
		.amdhsa_system_vgpr_workitem_id 0
		.amdhsa_next_free_vgpr 1
		.amdhsa_next_free_sgpr 0
		.amdhsa_reserve_vcc 0
		.amdhsa_reserve_flat_scratch 0
		.amdhsa_float_round_mode_32 0
		.amdhsa_float_round_mode_16_64 0
		.amdhsa_float_denorm_mode_32 3
		.amdhsa_float_denorm_mode_16_64 3
		.amdhsa_dx10_clamp 1
		.amdhsa_ieee_mode 1
		.amdhsa_fp16_overflow 0
		.amdhsa_exception_fp_ieee_invalid_op 0
		.amdhsa_exception_fp_denorm_src 0
		.amdhsa_exception_fp_ieee_div_zero 0
		.amdhsa_exception_fp_ieee_overflow 0
		.amdhsa_exception_fp_ieee_underflow 0
		.amdhsa_exception_fp_ieee_inexact 0
		.amdhsa_exception_int_div_zero 0
	.end_amdhsa_kernel
	.section	.text._ZN7rocprim17ROCPRIM_400000_NS6detail17trampoline_kernelINS0_14default_configENS1_22reduce_config_selectorIlEEZNS1_11reduce_implILb1ES3_N6thrust23THRUST_200600_302600_NS11hip_rocprim26transform_input_iterator_tIlNS8_12zip_iteratorINS8_5tupleINS8_6detail15normal_iteratorINS8_10device_ptrIsEEEESH_NS8_9null_typeESI_SI_SI_SI_SI_SI_SI_EEEENS9_21zip_adj_not_predicateINS8_8equal_toIsEEEEEEPllNS8_4plusIlEEEE10hipError_tPvRmT1_T2_T3_mT4_P12ihipStream_tbEUlT_E1_NS1_11comp_targetILNS1_3genE10ELNS1_11target_archE1200ELNS1_3gpuE4ELNS1_3repE0EEENS1_30default_config_static_selectorELNS0_4arch9wavefront6targetE1EEEvSW_,"axG",@progbits,_ZN7rocprim17ROCPRIM_400000_NS6detail17trampoline_kernelINS0_14default_configENS1_22reduce_config_selectorIlEEZNS1_11reduce_implILb1ES3_N6thrust23THRUST_200600_302600_NS11hip_rocprim26transform_input_iterator_tIlNS8_12zip_iteratorINS8_5tupleINS8_6detail15normal_iteratorINS8_10device_ptrIsEEEESH_NS8_9null_typeESI_SI_SI_SI_SI_SI_SI_EEEENS9_21zip_adj_not_predicateINS8_8equal_toIsEEEEEEPllNS8_4plusIlEEEE10hipError_tPvRmT1_T2_T3_mT4_P12ihipStream_tbEUlT_E1_NS1_11comp_targetILNS1_3genE10ELNS1_11target_archE1200ELNS1_3gpuE4ELNS1_3repE0EEENS1_30default_config_static_selectorELNS0_4arch9wavefront6targetE1EEEvSW_,comdat
.Lfunc_end1010:
	.size	_ZN7rocprim17ROCPRIM_400000_NS6detail17trampoline_kernelINS0_14default_configENS1_22reduce_config_selectorIlEEZNS1_11reduce_implILb1ES3_N6thrust23THRUST_200600_302600_NS11hip_rocprim26transform_input_iterator_tIlNS8_12zip_iteratorINS8_5tupleINS8_6detail15normal_iteratorINS8_10device_ptrIsEEEESH_NS8_9null_typeESI_SI_SI_SI_SI_SI_SI_EEEENS9_21zip_adj_not_predicateINS8_8equal_toIsEEEEEEPllNS8_4plusIlEEEE10hipError_tPvRmT1_T2_T3_mT4_P12ihipStream_tbEUlT_E1_NS1_11comp_targetILNS1_3genE10ELNS1_11target_archE1200ELNS1_3gpuE4ELNS1_3repE0EEENS1_30default_config_static_selectorELNS0_4arch9wavefront6targetE1EEEvSW_, .Lfunc_end1010-_ZN7rocprim17ROCPRIM_400000_NS6detail17trampoline_kernelINS0_14default_configENS1_22reduce_config_selectorIlEEZNS1_11reduce_implILb1ES3_N6thrust23THRUST_200600_302600_NS11hip_rocprim26transform_input_iterator_tIlNS8_12zip_iteratorINS8_5tupleINS8_6detail15normal_iteratorINS8_10device_ptrIsEEEESH_NS8_9null_typeESI_SI_SI_SI_SI_SI_SI_EEEENS9_21zip_adj_not_predicateINS8_8equal_toIsEEEEEEPllNS8_4plusIlEEEE10hipError_tPvRmT1_T2_T3_mT4_P12ihipStream_tbEUlT_E1_NS1_11comp_targetILNS1_3genE10ELNS1_11target_archE1200ELNS1_3gpuE4ELNS1_3repE0EEENS1_30default_config_static_selectorELNS0_4arch9wavefront6targetE1EEEvSW_
                                        ; -- End function
	.set _ZN7rocprim17ROCPRIM_400000_NS6detail17trampoline_kernelINS0_14default_configENS1_22reduce_config_selectorIlEEZNS1_11reduce_implILb1ES3_N6thrust23THRUST_200600_302600_NS11hip_rocprim26transform_input_iterator_tIlNS8_12zip_iteratorINS8_5tupleINS8_6detail15normal_iteratorINS8_10device_ptrIsEEEESH_NS8_9null_typeESI_SI_SI_SI_SI_SI_SI_EEEENS9_21zip_adj_not_predicateINS8_8equal_toIsEEEEEEPllNS8_4plusIlEEEE10hipError_tPvRmT1_T2_T3_mT4_P12ihipStream_tbEUlT_E1_NS1_11comp_targetILNS1_3genE10ELNS1_11target_archE1200ELNS1_3gpuE4ELNS1_3repE0EEENS1_30default_config_static_selectorELNS0_4arch9wavefront6targetE1EEEvSW_.num_vgpr, 0
	.set _ZN7rocprim17ROCPRIM_400000_NS6detail17trampoline_kernelINS0_14default_configENS1_22reduce_config_selectorIlEEZNS1_11reduce_implILb1ES3_N6thrust23THRUST_200600_302600_NS11hip_rocprim26transform_input_iterator_tIlNS8_12zip_iteratorINS8_5tupleINS8_6detail15normal_iteratorINS8_10device_ptrIsEEEESH_NS8_9null_typeESI_SI_SI_SI_SI_SI_SI_EEEENS9_21zip_adj_not_predicateINS8_8equal_toIsEEEEEEPllNS8_4plusIlEEEE10hipError_tPvRmT1_T2_T3_mT4_P12ihipStream_tbEUlT_E1_NS1_11comp_targetILNS1_3genE10ELNS1_11target_archE1200ELNS1_3gpuE4ELNS1_3repE0EEENS1_30default_config_static_selectorELNS0_4arch9wavefront6targetE1EEEvSW_.num_agpr, 0
	.set _ZN7rocprim17ROCPRIM_400000_NS6detail17trampoline_kernelINS0_14default_configENS1_22reduce_config_selectorIlEEZNS1_11reduce_implILb1ES3_N6thrust23THRUST_200600_302600_NS11hip_rocprim26transform_input_iterator_tIlNS8_12zip_iteratorINS8_5tupleINS8_6detail15normal_iteratorINS8_10device_ptrIsEEEESH_NS8_9null_typeESI_SI_SI_SI_SI_SI_SI_EEEENS9_21zip_adj_not_predicateINS8_8equal_toIsEEEEEEPllNS8_4plusIlEEEE10hipError_tPvRmT1_T2_T3_mT4_P12ihipStream_tbEUlT_E1_NS1_11comp_targetILNS1_3genE10ELNS1_11target_archE1200ELNS1_3gpuE4ELNS1_3repE0EEENS1_30default_config_static_selectorELNS0_4arch9wavefront6targetE1EEEvSW_.numbered_sgpr, 0
	.set _ZN7rocprim17ROCPRIM_400000_NS6detail17trampoline_kernelINS0_14default_configENS1_22reduce_config_selectorIlEEZNS1_11reduce_implILb1ES3_N6thrust23THRUST_200600_302600_NS11hip_rocprim26transform_input_iterator_tIlNS8_12zip_iteratorINS8_5tupleINS8_6detail15normal_iteratorINS8_10device_ptrIsEEEESH_NS8_9null_typeESI_SI_SI_SI_SI_SI_SI_EEEENS9_21zip_adj_not_predicateINS8_8equal_toIsEEEEEEPllNS8_4plusIlEEEE10hipError_tPvRmT1_T2_T3_mT4_P12ihipStream_tbEUlT_E1_NS1_11comp_targetILNS1_3genE10ELNS1_11target_archE1200ELNS1_3gpuE4ELNS1_3repE0EEENS1_30default_config_static_selectorELNS0_4arch9wavefront6targetE1EEEvSW_.num_named_barrier, 0
	.set _ZN7rocprim17ROCPRIM_400000_NS6detail17trampoline_kernelINS0_14default_configENS1_22reduce_config_selectorIlEEZNS1_11reduce_implILb1ES3_N6thrust23THRUST_200600_302600_NS11hip_rocprim26transform_input_iterator_tIlNS8_12zip_iteratorINS8_5tupleINS8_6detail15normal_iteratorINS8_10device_ptrIsEEEESH_NS8_9null_typeESI_SI_SI_SI_SI_SI_SI_EEEENS9_21zip_adj_not_predicateINS8_8equal_toIsEEEEEEPllNS8_4plusIlEEEE10hipError_tPvRmT1_T2_T3_mT4_P12ihipStream_tbEUlT_E1_NS1_11comp_targetILNS1_3genE10ELNS1_11target_archE1200ELNS1_3gpuE4ELNS1_3repE0EEENS1_30default_config_static_selectorELNS0_4arch9wavefront6targetE1EEEvSW_.private_seg_size, 0
	.set _ZN7rocprim17ROCPRIM_400000_NS6detail17trampoline_kernelINS0_14default_configENS1_22reduce_config_selectorIlEEZNS1_11reduce_implILb1ES3_N6thrust23THRUST_200600_302600_NS11hip_rocprim26transform_input_iterator_tIlNS8_12zip_iteratorINS8_5tupleINS8_6detail15normal_iteratorINS8_10device_ptrIsEEEESH_NS8_9null_typeESI_SI_SI_SI_SI_SI_SI_EEEENS9_21zip_adj_not_predicateINS8_8equal_toIsEEEEEEPllNS8_4plusIlEEEE10hipError_tPvRmT1_T2_T3_mT4_P12ihipStream_tbEUlT_E1_NS1_11comp_targetILNS1_3genE10ELNS1_11target_archE1200ELNS1_3gpuE4ELNS1_3repE0EEENS1_30default_config_static_selectorELNS0_4arch9wavefront6targetE1EEEvSW_.uses_vcc, 0
	.set _ZN7rocprim17ROCPRIM_400000_NS6detail17trampoline_kernelINS0_14default_configENS1_22reduce_config_selectorIlEEZNS1_11reduce_implILb1ES3_N6thrust23THRUST_200600_302600_NS11hip_rocprim26transform_input_iterator_tIlNS8_12zip_iteratorINS8_5tupleINS8_6detail15normal_iteratorINS8_10device_ptrIsEEEESH_NS8_9null_typeESI_SI_SI_SI_SI_SI_SI_EEEENS9_21zip_adj_not_predicateINS8_8equal_toIsEEEEEEPllNS8_4plusIlEEEE10hipError_tPvRmT1_T2_T3_mT4_P12ihipStream_tbEUlT_E1_NS1_11comp_targetILNS1_3genE10ELNS1_11target_archE1200ELNS1_3gpuE4ELNS1_3repE0EEENS1_30default_config_static_selectorELNS0_4arch9wavefront6targetE1EEEvSW_.uses_flat_scratch, 0
	.set _ZN7rocprim17ROCPRIM_400000_NS6detail17trampoline_kernelINS0_14default_configENS1_22reduce_config_selectorIlEEZNS1_11reduce_implILb1ES3_N6thrust23THRUST_200600_302600_NS11hip_rocprim26transform_input_iterator_tIlNS8_12zip_iteratorINS8_5tupleINS8_6detail15normal_iteratorINS8_10device_ptrIsEEEESH_NS8_9null_typeESI_SI_SI_SI_SI_SI_SI_EEEENS9_21zip_adj_not_predicateINS8_8equal_toIsEEEEEEPllNS8_4plusIlEEEE10hipError_tPvRmT1_T2_T3_mT4_P12ihipStream_tbEUlT_E1_NS1_11comp_targetILNS1_3genE10ELNS1_11target_archE1200ELNS1_3gpuE4ELNS1_3repE0EEENS1_30default_config_static_selectorELNS0_4arch9wavefront6targetE1EEEvSW_.has_dyn_sized_stack, 0
	.set _ZN7rocprim17ROCPRIM_400000_NS6detail17trampoline_kernelINS0_14default_configENS1_22reduce_config_selectorIlEEZNS1_11reduce_implILb1ES3_N6thrust23THRUST_200600_302600_NS11hip_rocprim26transform_input_iterator_tIlNS8_12zip_iteratorINS8_5tupleINS8_6detail15normal_iteratorINS8_10device_ptrIsEEEESH_NS8_9null_typeESI_SI_SI_SI_SI_SI_SI_EEEENS9_21zip_adj_not_predicateINS8_8equal_toIsEEEEEEPllNS8_4plusIlEEEE10hipError_tPvRmT1_T2_T3_mT4_P12ihipStream_tbEUlT_E1_NS1_11comp_targetILNS1_3genE10ELNS1_11target_archE1200ELNS1_3gpuE4ELNS1_3repE0EEENS1_30default_config_static_selectorELNS0_4arch9wavefront6targetE1EEEvSW_.has_recursion, 0
	.set _ZN7rocprim17ROCPRIM_400000_NS6detail17trampoline_kernelINS0_14default_configENS1_22reduce_config_selectorIlEEZNS1_11reduce_implILb1ES3_N6thrust23THRUST_200600_302600_NS11hip_rocprim26transform_input_iterator_tIlNS8_12zip_iteratorINS8_5tupleINS8_6detail15normal_iteratorINS8_10device_ptrIsEEEESH_NS8_9null_typeESI_SI_SI_SI_SI_SI_SI_EEEENS9_21zip_adj_not_predicateINS8_8equal_toIsEEEEEEPllNS8_4plusIlEEEE10hipError_tPvRmT1_T2_T3_mT4_P12ihipStream_tbEUlT_E1_NS1_11comp_targetILNS1_3genE10ELNS1_11target_archE1200ELNS1_3gpuE4ELNS1_3repE0EEENS1_30default_config_static_selectorELNS0_4arch9wavefront6targetE1EEEvSW_.has_indirect_call, 0
	.section	.AMDGPU.csdata,"",@progbits
; Kernel info:
; codeLenInByte = 0
; TotalNumSgprs: 4
; NumVgprs: 0
; ScratchSize: 0
; MemoryBound: 0
; FloatMode: 240
; IeeeMode: 1
; LDSByteSize: 0 bytes/workgroup (compile time only)
; SGPRBlocks: 0
; VGPRBlocks: 0
; NumSGPRsForWavesPerEU: 4
; NumVGPRsForWavesPerEU: 1
; Occupancy: 10
; WaveLimiterHint : 0
; COMPUTE_PGM_RSRC2:SCRATCH_EN: 0
; COMPUTE_PGM_RSRC2:USER_SGPR: 6
; COMPUTE_PGM_RSRC2:TRAP_HANDLER: 0
; COMPUTE_PGM_RSRC2:TGID_X_EN: 1
; COMPUTE_PGM_RSRC2:TGID_Y_EN: 0
; COMPUTE_PGM_RSRC2:TGID_Z_EN: 0
; COMPUTE_PGM_RSRC2:TIDIG_COMP_CNT: 0
	.section	.text._ZN7rocprim17ROCPRIM_400000_NS6detail17trampoline_kernelINS0_14default_configENS1_22reduce_config_selectorIlEEZNS1_11reduce_implILb1ES3_N6thrust23THRUST_200600_302600_NS11hip_rocprim26transform_input_iterator_tIlNS8_12zip_iteratorINS8_5tupleINS8_6detail15normal_iteratorINS8_10device_ptrIsEEEESH_NS8_9null_typeESI_SI_SI_SI_SI_SI_SI_EEEENS9_21zip_adj_not_predicateINS8_8equal_toIsEEEEEEPllNS8_4plusIlEEEE10hipError_tPvRmT1_T2_T3_mT4_P12ihipStream_tbEUlT_E1_NS1_11comp_targetILNS1_3genE9ELNS1_11target_archE1100ELNS1_3gpuE3ELNS1_3repE0EEENS1_30default_config_static_selectorELNS0_4arch9wavefront6targetE1EEEvSW_,"axG",@progbits,_ZN7rocprim17ROCPRIM_400000_NS6detail17trampoline_kernelINS0_14default_configENS1_22reduce_config_selectorIlEEZNS1_11reduce_implILb1ES3_N6thrust23THRUST_200600_302600_NS11hip_rocprim26transform_input_iterator_tIlNS8_12zip_iteratorINS8_5tupleINS8_6detail15normal_iteratorINS8_10device_ptrIsEEEESH_NS8_9null_typeESI_SI_SI_SI_SI_SI_SI_EEEENS9_21zip_adj_not_predicateINS8_8equal_toIsEEEEEEPllNS8_4plusIlEEEE10hipError_tPvRmT1_T2_T3_mT4_P12ihipStream_tbEUlT_E1_NS1_11comp_targetILNS1_3genE9ELNS1_11target_archE1100ELNS1_3gpuE3ELNS1_3repE0EEENS1_30default_config_static_selectorELNS0_4arch9wavefront6targetE1EEEvSW_,comdat
	.protected	_ZN7rocprim17ROCPRIM_400000_NS6detail17trampoline_kernelINS0_14default_configENS1_22reduce_config_selectorIlEEZNS1_11reduce_implILb1ES3_N6thrust23THRUST_200600_302600_NS11hip_rocprim26transform_input_iterator_tIlNS8_12zip_iteratorINS8_5tupleINS8_6detail15normal_iteratorINS8_10device_ptrIsEEEESH_NS8_9null_typeESI_SI_SI_SI_SI_SI_SI_EEEENS9_21zip_adj_not_predicateINS8_8equal_toIsEEEEEEPllNS8_4plusIlEEEE10hipError_tPvRmT1_T2_T3_mT4_P12ihipStream_tbEUlT_E1_NS1_11comp_targetILNS1_3genE9ELNS1_11target_archE1100ELNS1_3gpuE3ELNS1_3repE0EEENS1_30default_config_static_selectorELNS0_4arch9wavefront6targetE1EEEvSW_ ; -- Begin function _ZN7rocprim17ROCPRIM_400000_NS6detail17trampoline_kernelINS0_14default_configENS1_22reduce_config_selectorIlEEZNS1_11reduce_implILb1ES3_N6thrust23THRUST_200600_302600_NS11hip_rocprim26transform_input_iterator_tIlNS8_12zip_iteratorINS8_5tupleINS8_6detail15normal_iteratorINS8_10device_ptrIsEEEESH_NS8_9null_typeESI_SI_SI_SI_SI_SI_SI_EEEENS9_21zip_adj_not_predicateINS8_8equal_toIsEEEEEEPllNS8_4plusIlEEEE10hipError_tPvRmT1_T2_T3_mT4_P12ihipStream_tbEUlT_E1_NS1_11comp_targetILNS1_3genE9ELNS1_11target_archE1100ELNS1_3gpuE3ELNS1_3repE0EEENS1_30default_config_static_selectorELNS0_4arch9wavefront6targetE1EEEvSW_
	.globl	_ZN7rocprim17ROCPRIM_400000_NS6detail17trampoline_kernelINS0_14default_configENS1_22reduce_config_selectorIlEEZNS1_11reduce_implILb1ES3_N6thrust23THRUST_200600_302600_NS11hip_rocprim26transform_input_iterator_tIlNS8_12zip_iteratorINS8_5tupleINS8_6detail15normal_iteratorINS8_10device_ptrIsEEEESH_NS8_9null_typeESI_SI_SI_SI_SI_SI_SI_EEEENS9_21zip_adj_not_predicateINS8_8equal_toIsEEEEEEPllNS8_4plusIlEEEE10hipError_tPvRmT1_T2_T3_mT4_P12ihipStream_tbEUlT_E1_NS1_11comp_targetILNS1_3genE9ELNS1_11target_archE1100ELNS1_3gpuE3ELNS1_3repE0EEENS1_30default_config_static_selectorELNS0_4arch9wavefront6targetE1EEEvSW_
	.p2align	8
	.type	_ZN7rocprim17ROCPRIM_400000_NS6detail17trampoline_kernelINS0_14default_configENS1_22reduce_config_selectorIlEEZNS1_11reduce_implILb1ES3_N6thrust23THRUST_200600_302600_NS11hip_rocprim26transform_input_iterator_tIlNS8_12zip_iteratorINS8_5tupleINS8_6detail15normal_iteratorINS8_10device_ptrIsEEEESH_NS8_9null_typeESI_SI_SI_SI_SI_SI_SI_EEEENS9_21zip_adj_not_predicateINS8_8equal_toIsEEEEEEPllNS8_4plusIlEEEE10hipError_tPvRmT1_T2_T3_mT4_P12ihipStream_tbEUlT_E1_NS1_11comp_targetILNS1_3genE9ELNS1_11target_archE1100ELNS1_3gpuE3ELNS1_3repE0EEENS1_30default_config_static_selectorELNS0_4arch9wavefront6targetE1EEEvSW_,@function
_ZN7rocprim17ROCPRIM_400000_NS6detail17trampoline_kernelINS0_14default_configENS1_22reduce_config_selectorIlEEZNS1_11reduce_implILb1ES3_N6thrust23THRUST_200600_302600_NS11hip_rocprim26transform_input_iterator_tIlNS8_12zip_iteratorINS8_5tupleINS8_6detail15normal_iteratorINS8_10device_ptrIsEEEESH_NS8_9null_typeESI_SI_SI_SI_SI_SI_SI_EEEENS9_21zip_adj_not_predicateINS8_8equal_toIsEEEEEEPllNS8_4plusIlEEEE10hipError_tPvRmT1_T2_T3_mT4_P12ihipStream_tbEUlT_E1_NS1_11comp_targetILNS1_3genE9ELNS1_11target_archE1100ELNS1_3gpuE3ELNS1_3repE0EEENS1_30default_config_static_selectorELNS0_4arch9wavefront6targetE1EEEvSW_: ; @_ZN7rocprim17ROCPRIM_400000_NS6detail17trampoline_kernelINS0_14default_configENS1_22reduce_config_selectorIlEEZNS1_11reduce_implILb1ES3_N6thrust23THRUST_200600_302600_NS11hip_rocprim26transform_input_iterator_tIlNS8_12zip_iteratorINS8_5tupleINS8_6detail15normal_iteratorINS8_10device_ptrIsEEEESH_NS8_9null_typeESI_SI_SI_SI_SI_SI_SI_EEEENS9_21zip_adj_not_predicateINS8_8equal_toIsEEEEEEPllNS8_4plusIlEEEE10hipError_tPvRmT1_T2_T3_mT4_P12ihipStream_tbEUlT_E1_NS1_11comp_targetILNS1_3genE9ELNS1_11target_archE1100ELNS1_3gpuE3ELNS1_3repE0EEENS1_30default_config_static_selectorELNS0_4arch9wavefront6targetE1EEEvSW_
; %bb.0:
	.section	.rodata,"a",@progbits
	.p2align	6, 0x0
	.amdhsa_kernel _ZN7rocprim17ROCPRIM_400000_NS6detail17trampoline_kernelINS0_14default_configENS1_22reduce_config_selectorIlEEZNS1_11reduce_implILb1ES3_N6thrust23THRUST_200600_302600_NS11hip_rocprim26transform_input_iterator_tIlNS8_12zip_iteratorINS8_5tupleINS8_6detail15normal_iteratorINS8_10device_ptrIsEEEESH_NS8_9null_typeESI_SI_SI_SI_SI_SI_SI_EEEENS9_21zip_adj_not_predicateINS8_8equal_toIsEEEEEEPllNS8_4plusIlEEEE10hipError_tPvRmT1_T2_T3_mT4_P12ihipStream_tbEUlT_E1_NS1_11comp_targetILNS1_3genE9ELNS1_11target_archE1100ELNS1_3gpuE3ELNS1_3repE0EEENS1_30default_config_static_selectorELNS0_4arch9wavefront6targetE1EEEvSW_
		.amdhsa_group_segment_fixed_size 0
		.amdhsa_private_segment_fixed_size 0
		.amdhsa_kernarg_size 64
		.amdhsa_user_sgpr_count 6
		.amdhsa_user_sgpr_private_segment_buffer 1
		.amdhsa_user_sgpr_dispatch_ptr 0
		.amdhsa_user_sgpr_queue_ptr 0
		.amdhsa_user_sgpr_kernarg_segment_ptr 1
		.amdhsa_user_sgpr_dispatch_id 0
		.amdhsa_user_sgpr_flat_scratch_init 0
		.amdhsa_user_sgpr_private_segment_size 0
		.amdhsa_uses_dynamic_stack 0
		.amdhsa_system_sgpr_private_segment_wavefront_offset 0
		.amdhsa_system_sgpr_workgroup_id_x 1
		.amdhsa_system_sgpr_workgroup_id_y 0
		.amdhsa_system_sgpr_workgroup_id_z 0
		.amdhsa_system_sgpr_workgroup_info 0
		.amdhsa_system_vgpr_workitem_id 0
		.amdhsa_next_free_vgpr 1
		.amdhsa_next_free_sgpr 0
		.amdhsa_reserve_vcc 0
		.amdhsa_reserve_flat_scratch 0
		.amdhsa_float_round_mode_32 0
		.amdhsa_float_round_mode_16_64 0
		.amdhsa_float_denorm_mode_32 3
		.amdhsa_float_denorm_mode_16_64 3
		.amdhsa_dx10_clamp 1
		.amdhsa_ieee_mode 1
		.amdhsa_fp16_overflow 0
		.amdhsa_exception_fp_ieee_invalid_op 0
		.amdhsa_exception_fp_denorm_src 0
		.amdhsa_exception_fp_ieee_div_zero 0
		.amdhsa_exception_fp_ieee_overflow 0
		.amdhsa_exception_fp_ieee_underflow 0
		.amdhsa_exception_fp_ieee_inexact 0
		.amdhsa_exception_int_div_zero 0
	.end_amdhsa_kernel
	.section	.text._ZN7rocprim17ROCPRIM_400000_NS6detail17trampoline_kernelINS0_14default_configENS1_22reduce_config_selectorIlEEZNS1_11reduce_implILb1ES3_N6thrust23THRUST_200600_302600_NS11hip_rocprim26transform_input_iterator_tIlNS8_12zip_iteratorINS8_5tupleINS8_6detail15normal_iteratorINS8_10device_ptrIsEEEESH_NS8_9null_typeESI_SI_SI_SI_SI_SI_SI_EEEENS9_21zip_adj_not_predicateINS8_8equal_toIsEEEEEEPllNS8_4plusIlEEEE10hipError_tPvRmT1_T2_T3_mT4_P12ihipStream_tbEUlT_E1_NS1_11comp_targetILNS1_3genE9ELNS1_11target_archE1100ELNS1_3gpuE3ELNS1_3repE0EEENS1_30default_config_static_selectorELNS0_4arch9wavefront6targetE1EEEvSW_,"axG",@progbits,_ZN7rocprim17ROCPRIM_400000_NS6detail17trampoline_kernelINS0_14default_configENS1_22reduce_config_selectorIlEEZNS1_11reduce_implILb1ES3_N6thrust23THRUST_200600_302600_NS11hip_rocprim26transform_input_iterator_tIlNS8_12zip_iteratorINS8_5tupleINS8_6detail15normal_iteratorINS8_10device_ptrIsEEEESH_NS8_9null_typeESI_SI_SI_SI_SI_SI_SI_EEEENS9_21zip_adj_not_predicateINS8_8equal_toIsEEEEEEPllNS8_4plusIlEEEE10hipError_tPvRmT1_T2_T3_mT4_P12ihipStream_tbEUlT_E1_NS1_11comp_targetILNS1_3genE9ELNS1_11target_archE1100ELNS1_3gpuE3ELNS1_3repE0EEENS1_30default_config_static_selectorELNS0_4arch9wavefront6targetE1EEEvSW_,comdat
.Lfunc_end1011:
	.size	_ZN7rocprim17ROCPRIM_400000_NS6detail17trampoline_kernelINS0_14default_configENS1_22reduce_config_selectorIlEEZNS1_11reduce_implILb1ES3_N6thrust23THRUST_200600_302600_NS11hip_rocprim26transform_input_iterator_tIlNS8_12zip_iteratorINS8_5tupleINS8_6detail15normal_iteratorINS8_10device_ptrIsEEEESH_NS8_9null_typeESI_SI_SI_SI_SI_SI_SI_EEEENS9_21zip_adj_not_predicateINS8_8equal_toIsEEEEEEPllNS8_4plusIlEEEE10hipError_tPvRmT1_T2_T3_mT4_P12ihipStream_tbEUlT_E1_NS1_11comp_targetILNS1_3genE9ELNS1_11target_archE1100ELNS1_3gpuE3ELNS1_3repE0EEENS1_30default_config_static_selectorELNS0_4arch9wavefront6targetE1EEEvSW_, .Lfunc_end1011-_ZN7rocprim17ROCPRIM_400000_NS6detail17trampoline_kernelINS0_14default_configENS1_22reduce_config_selectorIlEEZNS1_11reduce_implILb1ES3_N6thrust23THRUST_200600_302600_NS11hip_rocprim26transform_input_iterator_tIlNS8_12zip_iteratorINS8_5tupleINS8_6detail15normal_iteratorINS8_10device_ptrIsEEEESH_NS8_9null_typeESI_SI_SI_SI_SI_SI_SI_EEEENS9_21zip_adj_not_predicateINS8_8equal_toIsEEEEEEPllNS8_4plusIlEEEE10hipError_tPvRmT1_T2_T3_mT4_P12ihipStream_tbEUlT_E1_NS1_11comp_targetILNS1_3genE9ELNS1_11target_archE1100ELNS1_3gpuE3ELNS1_3repE0EEENS1_30default_config_static_selectorELNS0_4arch9wavefront6targetE1EEEvSW_
                                        ; -- End function
	.set _ZN7rocprim17ROCPRIM_400000_NS6detail17trampoline_kernelINS0_14default_configENS1_22reduce_config_selectorIlEEZNS1_11reduce_implILb1ES3_N6thrust23THRUST_200600_302600_NS11hip_rocprim26transform_input_iterator_tIlNS8_12zip_iteratorINS8_5tupleINS8_6detail15normal_iteratorINS8_10device_ptrIsEEEESH_NS8_9null_typeESI_SI_SI_SI_SI_SI_SI_EEEENS9_21zip_adj_not_predicateINS8_8equal_toIsEEEEEEPllNS8_4plusIlEEEE10hipError_tPvRmT1_T2_T3_mT4_P12ihipStream_tbEUlT_E1_NS1_11comp_targetILNS1_3genE9ELNS1_11target_archE1100ELNS1_3gpuE3ELNS1_3repE0EEENS1_30default_config_static_selectorELNS0_4arch9wavefront6targetE1EEEvSW_.num_vgpr, 0
	.set _ZN7rocprim17ROCPRIM_400000_NS6detail17trampoline_kernelINS0_14default_configENS1_22reduce_config_selectorIlEEZNS1_11reduce_implILb1ES3_N6thrust23THRUST_200600_302600_NS11hip_rocprim26transform_input_iterator_tIlNS8_12zip_iteratorINS8_5tupleINS8_6detail15normal_iteratorINS8_10device_ptrIsEEEESH_NS8_9null_typeESI_SI_SI_SI_SI_SI_SI_EEEENS9_21zip_adj_not_predicateINS8_8equal_toIsEEEEEEPllNS8_4plusIlEEEE10hipError_tPvRmT1_T2_T3_mT4_P12ihipStream_tbEUlT_E1_NS1_11comp_targetILNS1_3genE9ELNS1_11target_archE1100ELNS1_3gpuE3ELNS1_3repE0EEENS1_30default_config_static_selectorELNS0_4arch9wavefront6targetE1EEEvSW_.num_agpr, 0
	.set _ZN7rocprim17ROCPRIM_400000_NS6detail17trampoline_kernelINS0_14default_configENS1_22reduce_config_selectorIlEEZNS1_11reduce_implILb1ES3_N6thrust23THRUST_200600_302600_NS11hip_rocprim26transform_input_iterator_tIlNS8_12zip_iteratorINS8_5tupleINS8_6detail15normal_iteratorINS8_10device_ptrIsEEEESH_NS8_9null_typeESI_SI_SI_SI_SI_SI_SI_EEEENS9_21zip_adj_not_predicateINS8_8equal_toIsEEEEEEPllNS8_4plusIlEEEE10hipError_tPvRmT1_T2_T3_mT4_P12ihipStream_tbEUlT_E1_NS1_11comp_targetILNS1_3genE9ELNS1_11target_archE1100ELNS1_3gpuE3ELNS1_3repE0EEENS1_30default_config_static_selectorELNS0_4arch9wavefront6targetE1EEEvSW_.numbered_sgpr, 0
	.set _ZN7rocprim17ROCPRIM_400000_NS6detail17trampoline_kernelINS0_14default_configENS1_22reduce_config_selectorIlEEZNS1_11reduce_implILb1ES3_N6thrust23THRUST_200600_302600_NS11hip_rocprim26transform_input_iterator_tIlNS8_12zip_iteratorINS8_5tupleINS8_6detail15normal_iteratorINS8_10device_ptrIsEEEESH_NS8_9null_typeESI_SI_SI_SI_SI_SI_SI_EEEENS9_21zip_adj_not_predicateINS8_8equal_toIsEEEEEEPllNS8_4plusIlEEEE10hipError_tPvRmT1_T2_T3_mT4_P12ihipStream_tbEUlT_E1_NS1_11comp_targetILNS1_3genE9ELNS1_11target_archE1100ELNS1_3gpuE3ELNS1_3repE0EEENS1_30default_config_static_selectorELNS0_4arch9wavefront6targetE1EEEvSW_.num_named_barrier, 0
	.set _ZN7rocprim17ROCPRIM_400000_NS6detail17trampoline_kernelINS0_14default_configENS1_22reduce_config_selectorIlEEZNS1_11reduce_implILb1ES3_N6thrust23THRUST_200600_302600_NS11hip_rocprim26transform_input_iterator_tIlNS8_12zip_iteratorINS8_5tupleINS8_6detail15normal_iteratorINS8_10device_ptrIsEEEESH_NS8_9null_typeESI_SI_SI_SI_SI_SI_SI_EEEENS9_21zip_adj_not_predicateINS8_8equal_toIsEEEEEEPllNS8_4plusIlEEEE10hipError_tPvRmT1_T2_T3_mT4_P12ihipStream_tbEUlT_E1_NS1_11comp_targetILNS1_3genE9ELNS1_11target_archE1100ELNS1_3gpuE3ELNS1_3repE0EEENS1_30default_config_static_selectorELNS0_4arch9wavefront6targetE1EEEvSW_.private_seg_size, 0
	.set _ZN7rocprim17ROCPRIM_400000_NS6detail17trampoline_kernelINS0_14default_configENS1_22reduce_config_selectorIlEEZNS1_11reduce_implILb1ES3_N6thrust23THRUST_200600_302600_NS11hip_rocprim26transform_input_iterator_tIlNS8_12zip_iteratorINS8_5tupleINS8_6detail15normal_iteratorINS8_10device_ptrIsEEEESH_NS8_9null_typeESI_SI_SI_SI_SI_SI_SI_EEEENS9_21zip_adj_not_predicateINS8_8equal_toIsEEEEEEPllNS8_4plusIlEEEE10hipError_tPvRmT1_T2_T3_mT4_P12ihipStream_tbEUlT_E1_NS1_11comp_targetILNS1_3genE9ELNS1_11target_archE1100ELNS1_3gpuE3ELNS1_3repE0EEENS1_30default_config_static_selectorELNS0_4arch9wavefront6targetE1EEEvSW_.uses_vcc, 0
	.set _ZN7rocprim17ROCPRIM_400000_NS6detail17trampoline_kernelINS0_14default_configENS1_22reduce_config_selectorIlEEZNS1_11reduce_implILb1ES3_N6thrust23THRUST_200600_302600_NS11hip_rocprim26transform_input_iterator_tIlNS8_12zip_iteratorINS8_5tupleINS8_6detail15normal_iteratorINS8_10device_ptrIsEEEESH_NS8_9null_typeESI_SI_SI_SI_SI_SI_SI_EEEENS9_21zip_adj_not_predicateINS8_8equal_toIsEEEEEEPllNS8_4plusIlEEEE10hipError_tPvRmT1_T2_T3_mT4_P12ihipStream_tbEUlT_E1_NS1_11comp_targetILNS1_3genE9ELNS1_11target_archE1100ELNS1_3gpuE3ELNS1_3repE0EEENS1_30default_config_static_selectorELNS0_4arch9wavefront6targetE1EEEvSW_.uses_flat_scratch, 0
	.set _ZN7rocprim17ROCPRIM_400000_NS6detail17trampoline_kernelINS0_14default_configENS1_22reduce_config_selectorIlEEZNS1_11reduce_implILb1ES3_N6thrust23THRUST_200600_302600_NS11hip_rocprim26transform_input_iterator_tIlNS8_12zip_iteratorINS8_5tupleINS8_6detail15normal_iteratorINS8_10device_ptrIsEEEESH_NS8_9null_typeESI_SI_SI_SI_SI_SI_SI_EEEENS9_21zip_adj_not_predicateINS8_8equal_toIsEEEEEEPllNS8_4plusIlEEEE10hipError_tPvRmT1_T2_T3_mT4_P12ihipStream_tbEUlT_E1_NS1_11comp_targetILNS1_3genE9ELNS1_11target_archE1100ELNS1_3gpuE3ELNS1_3repE0EEENS1_30default_config_static_selectorELNS0_4arch9wavefront6targetE1EEEvSW_.has_dyn_sized_stack, 0
	.set _ZN7rocprim17ROCPRIM_400000_NS6detail17trampoline_kernelINS0_14default_configENS1_22reduce_config_selectorIlEEZNS1_11reduce_implILb1ES3_N6thrust23THRUST_200600_302600_NS11hip_rocprim26transform_input_iterator_tIlNS8_12zip_iteratorINS8_5tupleINS8_6detail15normal_iteratorINS8_10device_ptrIsEEEESH_NS8_9null_typeESI_SI_SI_SI_SI_SI_SI_EEEENS9_21zip_adj_not_predicateINS8_8equal_toIsEEEEEEPllNS8_4plusIlEEEE10hipError_tPvRmT1_T2_T3_mT4_P12ihipStream_tbEUlT_E1_NS1_11comp_targetILNS1_3genE9ELNS1_11target_archE1100ELNS1_3gpuE3ELNS1_3repE0EEENS1_30default_config_static_selectorELNS0_4arch9wavefront6targetE1EEEvSW_.has_recursion, 0
	.set _ZN7rocprim17ROCPRIM_400000_NS6detail17trampoline_kernelINS0_14default_configENS1_22reduce_config_selectorIlEEZNS1_11reduce_implILb1ES3_N6thrust23THRUST_200600_302600_NS11hip_rocprim26transform_input_iterator_tIlNS8_12zip_iteratorINS8_5tupleINS8_6detail15normal_iteratorINS8_10device_ptrIsEEEESH_NS8_9null_typeESI_SI_SI_SI_SI_SI_SI_EEEENS9_21zip_adj_not_predicateINS8_8equal_toIsEEEEEEPllNS8_4plusIlEEEE10hipError_tPvRmT1_T2_T3_mT4_P12ihipStream_tbEUlT_E1_NS1_11comp_targetILNS1_3genE9ELNS1_11target_archE1100ELNS1_3gpuE3ELNS1_3repE0EEENS1_30default_config_static_selectorELNS0_4arch9wavefront6targetE1EEEvSW_.has_indirect_call, 0
	.section	.AMDGPU.csdata,"",@progbits
; Kernel info:
; codeLenInByte = 0
; TotalNumSgprs: 4
; NumVgprs: 0
; ScratchSize: 0
; MemoryBound: 0
; FloatMode: 240
; IeeeMode: 1
; LDSByteSize: 0 bytes/workgroup (compile time only)
; SGPRBlocks: 0
; VGPRBlocks: 0
; NumSGPRsForWavesPerEU: 4
; NumVGPRsForWavesPerEU: 1
; Occupancy: 10
; WaveLimiterHint : 0
; COMPUTE_PGM_RSRC2:SCRATCH_EN: 0
; COMPUTE_PGM_RSRC2:USER_SGPR: 6
; COMPUTE_PGM_RSRC2:TRAP_HANDLER: 0
; COMPUTE_PGM_RSRC2:TGID_X_EN: 1
; COMPUTE_PGM_RSRC2:TGID_Y_EN: 0
; COMPUTE_PGM_RSRC2:TGID_Z_EN: 0
; COMPUTE_PGM_RSRC2:TIDIG_COMP_CNT: 0
	.section	.text._ZN7rocprim17ROCPRIM_400000_NS6detail17trampoline_kernelINS0_14default_configENS1_22reduce_config_selectorIlEEZNS1_11reduce_implILb1ES3_N6thrust23THRUST_200600_302600_NS11hip_rocprim26transform_input_iterator_tIlNS8_12zip_iteratorINS8_5tupleINS8_6detail15normal_iteratorINS8_10device_ptrIsEEEESH_NS8_9null_typeESI_SI_SI_SI_SI_SI_SI_EEEENS9_21zip_adj_not_predicateINS8_8equal_toIsEEEEEEPllNS8_4plusIlEEEE10hipError_tPvRmT1_T2_T3_mT4_P12ihipStream_tbEUlT_E1_NS1_11comp_targetILNS1_3genE8ELNS1_11target_archE1030ELNS1_3gpuE2ELNS1_3repE0EEENS1_30default_config_static_selectorELNS0_4arch9wavefront6targetE1EEEvSW_,"axG",@progbits,_ZN7rocprim17ROCPRIM_400000_NS6detail17trampoline_kernelINS0_14default_configENS1_22reduce_config_selectorIlEEZNS1_11reduce_implILb1ES3_N6thrust23THRUST_200600_302600_NS11hip_rocprim26transform_input_iterator_tIlNS8_12zip_iteratorINS8_5tupleINS8_6detail15normal_iteratorINS8_10device_ptrIsEEEESH_NS8_9null_typeESI_SI_SI_SI_SI_SI_SI_EEEENS9_21zip_adj_not_predicateINS8_8equal_toIsEEEEEEPllNS8_4plusIlEEEE10hipError_tPvRmT1_T2_T3_mT4_P12ihipStream_tbEUlT_E1_NS1_11comp_targetILNS1_3genE8ELNS1_11target_archE1030ELNS1_3gpuE2ELNS1_3repE0EEENS1_30default_config_static_selectorELNS0_4arch9wavefront6targetE1EEEvSW_,comdat
	.protected	_ZN7rocprim17ROCPRIM_400000_NS6detail17trampoline_kernelINS0_14default_configENS1_22reduce_config_selectorIlEEZNS1_11reduce_implILb1ES3_N6thrust23THRUST_200600_302600_NS11hip_rocprim26transform_input_iterator_tIlNS8_12zip_iteratorINS8_5tupleINS8_6detail15normal_iteratorINS8_10device_ptrIsEEEESH_NS8_9null_typeESI_SI_SI_SI_SI_SI_SI_EEEENS9_21zip_adj_not_predicateINS8_8equal_toIsEEEEEEPllNS8_4plusIlEEEE10hipError_tPvRmT1_T2_T3_mT4_P12ihipStream_tbEUlT_E1_NS1_11comp_targetILNS1_3genE8ELNS1_11target_archE1030ELNS1_3gpuE2ELNS1_3repE0EEENS1_30default_config_static_selectorELNS0_4arch9wavefront6targetE1EEEvSW_ ; -- Begin function _ZN7rocprim17ROCPRIM_400000_NS6detail17trampoline_kernelINS0_14default_configENS1_22reduce_config_selectorIlEEZNS1_11reduce_implILb1ES3_N6thrust23THRUST_200600_302600_NS11hip_rocprim26transform_input_iterator_tIlNS8_12zip_iteratorINS8_5tupleINS8_6detail15normal_iteratorINS8_10device_ptrIsEEEESH_NS8_9null_typeESI_SI_SI_SI_SI_SI_SI_EEEENS9_21zip_adj_not_predicateINS8_8equal_toIsEEEEEEPllNS8_4plusIlEEEE10hipError_tPvRmT1_T2_T3_mT4_P12ihipStream_tbEUlT_E1_NS1_11comp_targetILNS1_3genE8ELNS1_11target_archE1030ELNS1_3gpuE2ELNS1_3repE0EEENS1_30default_config_static_selectorELNS0_4arch9wavefront6targetE1EEEvSW_
	.globl	_ZN7rocprim17ROCPRIM_400000_NS6detail17trampoline_kernelINS0_14default_configENS1_22reduce_config_selectorIlEEZNS1_11reduce_implILb1ES3_N6thrust23THRUST_200600_302600_NS11hip_rocprim26transform_input_iterator_tIlNS8_12zip_iteratorINS8_5tupleINS8_6detail15normal_iteratorINS8_10device_ptrIsEEEESH_NS8_9null_typeESI_SI_SI_SI_SI_SI_SI_EEEENS9_21zip_adj_not_predicateINS8_8equal_toIsEEEEEEPllNS8_4plusIlEEEE10hipError_tPvRmT1_T2_T3_mT4_P12ihipStream_tbEUlT_E1_NS1_11comp_targetILNS1_3genE8ELNS1_11target_archE1030ELNS1_3gpuE2ELNS1_3repE0EEENS1_30default_config_static_selectorELNS0_4arch9wavefront6targetE1EEEvSW_
	.p2align	8
	.type	_ZN7rocprim17ROCPRIM_400000_NS6detail17trampoline_kernelINS0_14default_configENS1_22reduce_config_selectorIlEEZNS1_11reduce_implILb1ES3_N6thrust23THRUST_200600_302600_NS11hip_rocprim26transform_input_iterator_tIlNS8_12zip_iteratorINS8_5tupleINS8_6detail15normal_iteratorINS8_10device_ptrIsEEEESH_NS8_9null_typeESI_SI_SI_SI_SI_SI_SI_EEEENS9_21zip_adj_not_predicateINS8_8equal_toIsEEEEEEPllNS8_4plusIlEEEE10hipError_tPvRmT1_T2_T3_mT4_P12ihipStream_tbEUlT_E1_NS1_11comp_targetILNS1_3genE8ELNS1_11target_archE1030ELNS1_3gpuE2ELNS1_3repE0EEENS1_30default_config_static_selectorELNS0_4arch9wavefront6targetE1EEEvSW_,@function
_ZN7rocprim17ROCPRIM_400000_NS6detail17trampoline_kernelINS0_14default_configENS1_22reduce_config_selectorIlEEZNS1_11reduce_implILb1ES3_N6thrust23THRUST_200600_302600_NS11hip_rocprim26transform_input_iterator_tIlNS8_12zip_iteratorINS8_5tupleINS8_6detail15normal_iteratorINS8_10device_ptrIsEEEESH_NS8_9null_typeESI_SI_SI_SI_SI_SI_SI_EEEENS9_21zip_adj_not_predicateINS8_8equal_toIsEEEEEEPllNS8_4plusIlEEEE10hipError_tPvRmT1_T2_T3_mT4_P12ihipStream_tbEUlT_E1_NS1_11comp_targetILNS1_3genE8ELNS1_11target_archE1030ELNS1_3gpuE2ELNS1_3repE0EEENS1_30default_config_static_selectorELNS0_4arch9wavefront6targetE1EEEvSW_: ; @_ZN7rocprim17ROCPRIM_400000_NS6detail17trampoline_kernelINS0_14default_configENS1_22reduce_config_selectorIlEEZNS1_11reduce_implILb1ES3_N6thrust23THRUST_200600_302600_NS11hip_rocprim26transform_input_iterator_tIlNS8_12zip_iteratorINS8_5tupleINS8_6detail15normal_iteratorINS8_10device_ptrIsEEEESH_NS8_9null_typeESI_SI_SI_SI_SI_SI_SI_EEEENS9_21zip_adj_not_predicateINS8_8equal_toIsEEEEEEPllNS8_4plusIlEEEE10hipError_tPvRmT1_T2_T3_mT4_P12ihipStream_tbEUlT_E1_NS1_11comp_targetILNS1_3genE8ELNS1_11target_archE1030ELNS1_3gpuE2ELNS1_3repE0EEENS1_30default_config_static_selectorELNS0_4arch9wavefront6targetE1EEEvSW_
; %bb.0:
	.section	.rodata,"a",@progbits
	.p2align	6, 0x0
	.amdhsa_kernel _ZN7rocprim17ROCPRIM_400000_NS6detail17trampoline_kernelINS0_14default_configENS1_22reduce_config_selectorIlEEZNS1_11reduce_implILb1ES3_N6thrust23THRUST_200600_302600_NS11hip_rocprim26transform_input_iterator_tIlNS8_12zip_iteratorINS8_5tupleINS8_6detail15normal_iteratorINS8_10device_ptrIsEEEESH_NS8_9null_typeESI_SI_SI_SI_SI_SI_SI_EEEENS9_21zip_adj_not_predicateINS8_8equal_toIsEEEEEEPllNS8_4plusIlEEEE10hipError_tPvRmT1_T2_T3_mT4_P12ihipStream_tbEUlT_E1_NS1_11comp_targetILNS1_3genE8ELNS1_11target_archE1030ELNS1_3gpuE2ELNS1_3repE0EEENS1_30default_config_static_selectorELNS0_4arch9wavefront6targetE1EEEvSW_
		.amdhsa_group_segment_fixed_size 0
		.amdhsa_private_segment_fixed_size 0
		.amdhsa_kernarg_size 64
		.amdhsa_user_sgpr_count 6
		.amdhsa_user_sgpr_private_segment_buffer 1
		.amdhsa_user_sgpr_dispatch_ptr 0
		.amdhsa_user_sgpr_queue_ptr 0
		.amdhsa_user_sgpr_kernarg_segment_ptr 1
		.amdhsa_user_sgpr_dispatch_id 0
		.amdhsa_user_sgpr_flat_scratch_init 0
		.amdhsa_user_sgpr_private_segment_size 0
		.amdhsa_uses_dynamic_stack 0
		.amdhsa_system_sgpr_private_segment_wavefront_offset 0
		.amdhsa_system_sgpr_workgroup_id_x 1
		.amdhsa_system_sgpr_workgroup_id_y 0
		.amdhsa_system_sgpr_workgroup_id_z 0
		.amdhsa_system_sgpr_workgroup_info 0
		.amdhsa_system_vgpr_workitem_id 0
		.amdhsa_next_free_vgpr 1
		.amdhsa_next_free_sgpr 0
		.amdhsa_reserve_vcc 0
		.amdhsa_reserve_flat_scratch 0
		.amdhsa_float_round_mode_32 0
		.amdhsa_float_round_mode_16_64 0
		.amdhsa_float_denorm_mode_32 3
		.amdhsa_float_denorm_mode_16_64 3
		.amdhsa_dx10_clamp 1
		.amdhsa_ieee_mode 1
		.amdhsa_fp16_overflow 0
		.amdhsa_exception_fp_ieee_invalid_op 0
		.amdhsa_exception_fp_denorm_src 0
		.amdhsa_exception_fp_ieee_div_zero 0
		.amdhsa_exception_fp_ieee_overflow 0
		.amdhsa_exception_fp_ieee_underflow 0
		.amdhsa_exception_fp_ieee_inexact 0
		.amdhsa_exception_int_div_zero 0
	.end_amdhsa_kernel
	.section	.text._ZN7rocprim17ROCPRIM_400000_NS6detail17trampoline_kernelINS0_14default_configENS1_22reduce_config_selectorIlEEZNS1_11reduce_implILb1ES3_N6thrust23THRUST_200600_302600_NS11hip_rocprim26transform_input_iterator_tIlNS8_12zip_iteratorINS8_5tupleINS8_6detail15normal_iteratorINS8_10device_ptrIsEEEESH_NS8_9null_typeESI_SI_SI_SI_SI_SI_SI_EEEENS9_21zip_adj_not_predicateINS8_8equal_toIsEEEEEEPllNS8_4plusIlEEEE10hipError_tPvRmT1_T2_T3_mT4_P12ihipStream_tbEUlT_E1_NS1_11comp_targetILNS1_3genE8ELNS1_11target_archE1030ELNS1_3gpuE2ELNS1_3repE0EEENS1_30default_config_static_selectorELNS0_4arch9wavefront6targetE1EEEvSW_,"axG",@progbits,_ZN7rocprim17ROCPRIM_400000_NS6detail17trampoline_kernelINS0_14default_configENS1_22reduce_config_selectorIlEEZNS1_11reduce_implILb1ES3_N6thrust23THRUST_200600_302600_NS11hip_rocprim26transform_input_iterator_tIlNS8_12zip_iteratorINS8_5tupleINS8_6detail15normal_iteratorINS8_10device_ptrIsEEEESH_NS8_9null_typeESI_SI_SI_SI_SI_SI_SI_EEEENS9_21zip_adj_not_predicateINS8_8equal_toIsEEEEEEPllNS8_4plusIlEEEE10hipError_tPvRmT1_T2_T3_mT4_P12ihipStream_tbEUlT_E1_NS1_11comp_targetILNS1_3genE8ELNS1_11target_archE1030ELNS1_3gpuE2ELNS1_3repE0EEENS1_30default_config_static_selectorELNS0_4arch9wavefront6targetE1EEEvSW_,comdat
.Lfunc_end1012:
	.size	_ZN7rocprim17ROCPRIM_400000_NS6detail17trampoline_kernelINS0_14default_configENS1_22reduce_config_selectorIlEEZNS1_11reduce_implILb1ES3_N6thrust23THRUST_200600_302600_NS11hip_rocprim26transform_input_iterator_tIlNS8_12zip_iteratorINS8_5tupleINS8_6detail15normal_iteratorINS8_10device_ptrIsEEEESH_NS8_9null_typeESI_SI_SI_SI_SI_SI_SI_EEEENS9_21zip_adj_not_predicateINS8_8equal_toIsEEEEEEPllNS8_4plusIlEEEE10hipError_tPvRmT1_T2_T3_mT4_P12ihipStream_tbEUlT_E1_NS1_11comp_targetILNS1_3genE8ELNS1_11target_archE1030ELNS1_3gpuE2ELNS1_3repE0EEENS1_30default_config_static_selectorELNS0_4arch9wavefront6targetE1EEEvSW_, .Lfunc_end1012-_ZN7rocprim17ROCPRIM_400000_NS6detail17trampoline_kernelINS0_14default_configENS1_22reduce_config_selectorIlEEZNS1_11reduce_implILb1ES3_N6thrust23THRUST_200600_302600_NS11hip_rocprim26transform_input_iterator_tIlNS8_12zip_iteratorINS8_5tupleINS8_6detail15normal_iteratorINS8_10device_ptrIsEEEESH_NS8_9null_typeESI_SI_SI_SI_SI_SI_SI_EEEENS9_21zip_adj_not_predicateINS8_8equal_toIsEEEEEEPllNS8_4plusIlEEEE10hipError_tPvRmT1_T2_T3_mT4_P12ihipStream_tbEUlT_E1_NS1_11comp_targetILNS1_3genE8ELNS1_11target_archE1030ELNS1_3gpuE2ELNS1_3repE0EEENS1_30default_config_static_selectorELNS0_4arch9wavefront6targetE1EEEvSW_
                                        ; -- End function
	.set _ZN7rocprim17ROCPRIM_400000_NS6detail17trampoline_kernelINS0_14default_configENS1_22reduce_config_selectorIlEEZNS1_11reduce_implILb1ES3_N6thrust23THRUST_200600_302600_NS11hip_rocprim26transform_input_iterator_tIlNS8_12zip_iteratorINS8_5tupleINS8_6detail15normal_iteratorINS8_10device_ptrIsEEEESH_NS8_9null_typeESI_SI_SI_SI_SI_SI_SI_EEEENS9_21zip_adj_not_predicateINS8_8equal_toIsEEEEEEPllNS8_4plusIlEEEE10hipError_tPvRmT1_T2_T3_mT4_P12ihipStream_tbEUlT_E1_NS1_11comp_targetILNS1_3genE8ELNS1_11target_archE1030ELNS1_3gpuE2ELNS1_3repE0EEENS1_30default_config_static_selectorELNS0_4arch9wavefront6targetE1EEEvSW_.num_vgpr, 0
	.set _ZN7rocprim17ROCPRIM_400000_NS6detail17trampoline_kernelINS0_14default_configENS1_22reduce_config_selectorIlEEZNS1_11reduce_implILb1ES3_N6thrust23THRUST_200600_302600_NS11hip_rocprim26transform_input_iterator_tIlNS8_12zip_iteratorINS8_5tupleINS8_6detail15normal_iteratorINS8_10device_ptrIsEEEESH_NS8_9null_typeESI_SI_SI_SI_SI_SI_SI_EEEENS9_21zip_adj_not_predicateINS8_8equal_toIsEEEEEEPllNS8_4plusIlEEEE10hipError_tPvRmT1_T2_T3_mT4_P12ihipStream_tbEUlT_E1_NS1_11comp_targetILNS1_3genE8ELNS1_11target_archE1030ELNS1_3gpuE2ELNS1_3repE0EEENS1_30default_config_static_selectorELNS0_4arch9wavefront6targetE1EEEvSW_.num_agpr, 0
	.set _ZN7rocprim17ROCPRIM_400000_NS6detail17trampoline_kernelINS0_14default_configENS1_22reduce_config_selectorIlEEZNS1_11reduce_implILb1ES3_N6thrust23THRUST_200600_302600_NS11hip_rocprim26transform_input_iterator_tIlNS8_12zip_iteratorINS8_5tupleINS8_6detail15normal_iteratorINS8_10device_ptrIsEEEESH_NS8_9null_typeESI_SI_SI_SI_SI_SI_SI_EEEENS9_21zip_adj_not_predicateINS8_8equal_toIsEEEEEEPllNS8_4plusIlEEEE10hipError_tPvRmT1_T2_T3_mT4_P12ihipStream_tbEUlT_E1_NS1_11comp_targetILNS1_3genE8ELNS1_11target_archE1030ELNS1_3gpuE2ELNS1_3repE0EEENS1_30default_config_static_selectorELNS0_4arch9wavefront6targetE1EEEvSW_.numbered_sgpr, 0
	.set _ZN7rocprim17ROCPRIM_400000_NS6detail17trampoline_kernelINS0_14default_configENS1_22reduce_config_selectorIlEEZNS1_11reduce_implILb1ES3_N6thrust23THRUST_200600_302600_NS11hip_rocprim26transform_input_iterator_tIlNS8_12zip_iteratorINS8_5tupleINS8_6detail15normal_iteratorINS8_10device_ptrIsEEEESH_NS8_9null_typeESI_SI_SI_SI_SI_SI_SI_EEEENS9_21zip_adj_not_predicateINS8_8equal_toIsEEEEEEPllNS8_4plusIlEEEE10hipError_tPvRmT1_T2_T3_mT4_P12ihipStream_tbEUlT_E1_NS1_11comp_targetILNS1_3genE8ELNS1_11target_archE1030ELNS1_3gpuE2ELNS1_3repE0EEENS1_30default_config_static_selectorELNS0_4arch9wavefront6targetE1EEEvSW_.num_named_barrier, 0
	.set _ZN7rocprim17ROCPRIM_400000_NS6detail17trampoline_kernelINS0_14default_configENS1_22reduce_config_selectorIlEEZNS1_11reduce_implILb1ES3_N6thrust23THRUST_200600_302600_NS11hip_rocprim26transform_input_iterator_tIlNS8_12zip_iteratorINS8_5tupleINS8_6detail15normal_iteratorINS8_10device_ptrIsEEEESH_NS8_9null_typeESI_SI_SI_SI_SI_SI_SI_EEEENS9_21zip_adj_not_predicateINS8_8equal_toIsEEEEEEPllNS8_4plusIlEEEE10hipError_tPvRmT1_T2_T3_mT4_P12ihipStream_tbEUlT_E1_NS1_11comp_targetILNS1_3genE8ELNS1_11target_archE1030ELNS1_3gpuE2ELNS1_3repE0EEENS1_30default_config_static_selectorELNS0_4arch9wavefront6targetE1EEEvSW_.private_seg_size, 0
	.set _ZN7rocprim17ROCPRIM_400000_NS6detail17trampoline_kernelINS0_14default_configENS1_22reduce_config_selectorIlEEZNS1_11reduce_implILb1ES3_N6thrust23THRUST_200600_302600_NS11hip_rocprim26transform_input_iterator_tIlNS8_12zip_iteratorINS8_5tupleINS8_6detail15normal_iteratorINS8_10device_ptrIsEEEESH_NS8_9null_typeESI_SI_SI_SI_SI_SI_SI_EEEENS9_21zip_adj_not_predicateINS8_8equal_toIsEEEEEEPllNS8_4plusIlEEEE10hipError_tPvRmT1_T2_T3_mT4_P12ihipStream_tbEUlT_E1_NS1_11comp_targetILNS1_3genE8ELNS1_11target_archE1030ELNS1_3gpuE2ELNS1_3repE0EEENS1_30default_config_static_selectorELNS0_4arch9wavefront6targetE1EEEvSW_.uses_vcc, 0
	.set _ZN7rocprim17ROCPRIM_400000_NS6detail17trampoline_kernelINS0_14default_configENS1_22reduce_config_selectorIlEEZNS1_11reduce_implILb1ES3_N6thrust23THRUST_200600_302600_NS11hip_rocprim26transform_input_iterator_tIlNS8_12zip_iteratorINS8_5tupleINS8_6detail15normal_iteratorINS8_10device_ptrIsEEEESH_NS8_9null_typeESI_SI_SI_SI_SI_SI_SI_EEEENS9_21zip_adj_not_predicateINS8_8equal_toIsEEEEEEPllNS8_4plusIlEEEE10hipError_tPvRmT1_T2_T3_mT4_P12ihipStream_tbEUlT_E1_NS1_11comp_targetILNS1_3genE8ELNS1_11target_archE1030ELNS1_3gpuE2ELNS1_3repE0EEENS1_30default_config_static_selectorELNS0_4arch9wavefront6targetE1EEEvSW_.uses_flat_scratch, 0
	.set _ZN7rocprim17ROCPRIM_400000_NS6detail17trampoline_kernelINS0_14default_configENS1_22reduce_config_selectorIlEEZNS1_11reduce_implILb1ES3_N6thrust23THRUST_200600_302600_NS11hip_rocprim26transform_input_iterator_tIlNS8_12zip_iteratorINS8_5tupleINS8_6detail15normal_iteratorINS8_10device_ptrIsEEEESH_NS8_9null_typeESI_SI_SI_SI_SI_SI_SI_EEEENS9_21zip_adj_not_predicateINS8_8equal_toIsEEEEEEPllNS8_4plusIlEEEE10hipError_tPvRmT1_T2_T3_mT4_P12ihipStream_tbEUlT_E1_NS1_11comp_targetILNS1_3genE8ELNS1_11target_archE1030ELNS1_3gpuE2ELNS1_3repE0EEENS1_30default_config_static_selectorELNS0_4arch9wavefront6targetE1EEEvSW_.has_dyn_sized_stack, 0
	.set _ZN7rocprim17ROCPRIM_400000_NS6detail17trampoline_kernelINS0_14default_configENS1_22reduce_config_selectorIlEEZNS1_11reduce_implILb1ES3_N6thrust23THRUST_200600_302600_NS11hip_rocprim26transform_input_iterator_tIlNS8_12zip_iteratorINS8_5tupleINS8_6detail15normal_iteratorINS8_10device_ptrIsEEEESH_NS8_9null_typeESI_SI_SI_SI_SI_SI_SI_EEEENS9_21zip_adj_not_predicateINS8_8equal_toIsEEEEEEPllNS8_4plusIlEEEE10hipError_tPvRmT1_T2_T3_mT4_P12ihipStream_tbEUlT_E1_NS1_11comp_targetILNS1_3genE8ELNS1_11target_archE1030ELNS1_3gpuE2ELNS1_3repE0EEENS1_30default_config_static_selectorELNS0_4arch9wavefront6targetE1EEEvSW_.has_recursion, 0
	.set _ZN7rocprim17ROCPRIM_400000_NS6detail17trampoline_kernelINS0_14default_configENS1_22reduce_config_selectorIlEEZNS1_11reduce_implILb1ES3_N6thrust23THRUST_200600_302600_NS11hip_rocprim26transform_input_iterator_tIlNS8_12zip_iteratorINS8_5tupleINS8_6detail15normal_iteratorINS8_10device_ptrIsEEEESH_NS8_9null_typeESI_SI_SI_SI_SI_SI_SI_EEEENS9_21zip_adj_not_predicateINS8_8equal_toIsEEEEEEPllNS8_4plusIlEEEE10hipError_tPvRmT1_T2_T3_mT4_P12ihipStream_tbEUlT_E1_NS1_11comp_targetILNS1_3genE8ELNS1_11target_archE1030ELNS1_3gpuE2ELNS1_3repE0EEENS1_30default_config_static_selectorELNS0_4arch9wavefront6targetE1EEEvSW_.has_indirect_call, 0
	.section	.AMDGPU.csdata,"",@progbits
; Kernel info:
; codeLenInByte = 0
; TotalNumSgprs: 4
; NumVgprs: 0
; ScratchSize: 0
; MemoryBound: 0
; FloatMode: 240
; IeeeMode: 1
; LDSByteSize: 0 bytes/workgroup (compile time only)
; SGPRBlocks: 0
; VGPRBlocks: 0
; NumSGPRsForWavesPerEU: 4
; NumVGPRsForWavesPerEU: 1
; Occupancy: 10
; WaveLimiterHint : 0
; COMPUTE_PGM_RSRC2:SCRATCH_EN: 0
; COMPUTE_PGM_RSRC2:USER_SGPR: 6
; COMPUTE_PGM_RSRC2:TRAP_HANDLER: 0
; COMPUTE_PGM_RSRC2:TGID_X_EN: 1
; COMPUTE_PGM_RSRC2:TGID_Y_EN: 0
; COMPUTE_PGM_RSRC2:TGID_Z_EN: 0
; COMPUTE_PGM_RSRC2:TIDIG_COMP_CNT: 0
	.section	.text._ZN7rocprim17ROCPRIM_400000_NS6detail17trampoline_kernelINS0_14default_configENS1_22reduce_config_selectorIlEEZNS1_11reduce_implILb1ES3_N6thrust23THRUST_200600_302600_NS11hip_rocprim26transform_input_iterator_tIlNS8_12zip_iteratorINS8_5tupleINS8_6detail15normal_iteratorINS8_10device_ptrIsEEEESH_NS8_9null_typeESI_SI_SI_SI_SI_SI_SI_EEEENS9_21zip_adj_not_predicateI22is_equal_div_10_uniqueIsEEEEEPllNS8_4plusIlEEEE10hipError_tPvRmT1_T2_T3_mT4_P12ihipStream_tbEUlT_E0_NS1_11comp_targetILNS1_3genE0ELNS1_11target_archE4294967295ELNS1_3gpuE0ELNS1_3repE0EEENS1_30default_config_static_selectorELNS0_4arch9wavefront6targetE1EEEvSW_,"axG",@progbits,_ZN7rocprim17ROCPRIM_400000_NS6detail17trampoline_kernelINS0_14default_configENS1_22reduce_config_selectorIlEEZNS1_11reduce_implILb1ES3_N6thrust23THRUST_200600_302600_NS11hip_rocprim26transform_input_iterator_tIlNS8_12zip_iteratorINS8_5tupleINS8_6detail15normal_iteratorINS8_10device_ptrIsEEEESH_NS8_9null_typeESI_SI_SI_SI_SI_SI_SI_EEEENS9_21zip_adj_not_predicateI22is_equal_div_10_uniqueIsEEEEEPllNS8_4plusIlEEEE10hipError_tPvRmT1_T2_T3_mT4_P12ihipStream_tbEUlT_E0_NS1_11comp_targetILNS1_3genE0ELNS1_11target_archE4294967295ELNS1_3gpuE0ELNS1_3repE0EEENS1_30default_config_static_selectorELNS0_4arch9wavefront6targetE1EEEvSW_,comdat
	.protected	_ZN7rocprim17ROCPRIM_400000_NS6detail17trampoline_kernelINS0_14default_configENS1_22reduce_config_selectorIlEEZNS1_11reduce_implILb1ES3_N6thrust23THRUST_200600_302600_NS11hip_rocprim26transform_input_iterator_tIlNS8_12zip_iteratorINS8_5tupleINS8_6detail15normal_iteratorINS8_10device_ptrIsEEEESH_NS8_9null_typeESI_SI_SI_SI_SI_SI_SI_EEEENS9_21zip_adj_not_predicateI22is_equal_div_10_uniqueIsEEEEEPllNS8_4plusIlEEEE10hipError_tPvRmT1_T2_T3_mT4_P12ihipStream_tbEUlT_E0_NS1_11comp_targetILNS1_3genE0ELNS1_11target_archE4294967295ELNS1_3gpuE0ELNS1_3repE0EEENS1_30default_config_static_selectorELNS0_4arch9wavefront6targetE1EEEvSW_ ; -- Begin function _ZN7rocprim17ROCPRIM_400000_NS6detail17trampoline_kernelINS0_14default_configENS1_22reduce_config_selectorIlEEZNS1_11reduce_implILb1ES3_N6thrust23THRUST_200600_302600_NS11hip_rocprim26transform_input_iterator_tIlNS8_12zip_iteratorINS8_5tupleINS8_6detail15normal_iteratorINS8_10device_ptrIsEEEESH_NS8_9null_typeESI_SI_SI_SI_SI_SI_SI_EEEENS9_21zip_adj_not_predicateI22is_equal_div_10_uniqueIsEEEEEPllNS8_4plusIlEEEE10hipError_tPvRmT1_T2_T3_mT4_P12ihipStream_tbEUlT_E0_NS1_11comp_targetILNS1_3genE0ELNS1_11target_archE4294967295ELNS1_3gpuE0ELNS1_3repE0EEENS1_30default_config_static_selectorELNS0_4arch9wavefront6targetE1EEEvSW_
	.globl	_ZN7rocprim17ROCPRIM_400000_NS6detail17trampoline_kernelINS0_14default_configENS1_22reduce_config_selectorIlEEZNS1_11reduce_implILb1ES3_N6thrust23THRUST_200600_302600_NS11hip_rocprim26transform_input_iterator_tIlNS8_12zip_iteratorINS8_5tupleINS8_6detail15normal_iteratorINS8_10device_ptrIsEEEESH_NS8_9null_typeESI_SI_SI_SI_SI_SI_SI_EEEENS9_21zip_adj_not_predicateI22is_equal_div_10_uniqueIsEEEEEPllNS8_4plusIlEEEE10hipError_tPvRmT1_T2_T3_mT4_P12ihipStream_tbEUlT_E0_NS1_11comp_targetILNS1_3genE0ELNS1_11target_archE4294967295ELNS1_3gpuE0ELNS1_3repE0EEENS1_30default_config_static_selectorELNS0_4arch9wavefront6targetE1EEEvSW_
	.p2align	8
	.type	_ZN7rocprim17ROCPRIM_400000_NS6detail17trampoline_kernelINS0_14default_configENS1_22reduce_config_selectorIlEEZNS1_11reduce_implILb1ES3_N6thrust23THRUST_200600_302600_NS11hip_rocprim26transform_input_iterator_tIlNS8_12zip_iteratorINS8_5tupleINS8_6detail15normal_iteratorINS8_10device_ptrIsEEEESH_NS8_9null_typeESI_SI_SI_SI_SI_SI_SI_EEEENS9_21zip_adj_not_predicateI22is_equal_div_10_uniqueIsEEEEEPllNS8_4plusIlEEEE10hipError_tPvRmT1_T2_T3_mT4_P12ihipStream_tbEUlT_E0_NS1_11comp_targetILNS1_3genE0ELNS1_11target_archE4294967295ELNS1_3gpuE0ELNS1_3repE0EEENS1_30default_config_static_selectorELNS0_4arch9wavefront6targetE1EEEvSW_,@function
_ZN7rocprim17ROCPRIM_400000_NS6detail17trampoline_kernelINS0_14default_configENS1_22reduce_config_selectorIlEEZNS1_11reduce_implILb1ES3_N6thrust23THRUST_200600_302600_NS11hip_rocprim26transform_input_iterator_tIlNS8_12zip_iteratorINS8_5tupleINS8_6detail15normal_iteratorINS8_10device_ptrIsEEEESH_NS8_9null_typeESI_SI_SI_SI_SI_SI_SI_EEEENS9_21zip_adj_not_predicateI22is_equal_div_10_uniqueIsEEEEEPllNS8_4plusIlEEEE10hipError_tPvRmT1_T2_T3_mT4_P12ihipStream_tbEUlT_E0_NS1_11comp_targetILNS1_3genE0ELNS1_11target_archE4294967295ELNS1_3gpuE0ELNS1_3repE0EEENS1_30default_config_static_selectorELNS0_4arch9wavefront6targetE1EEEvSW_: ; @_ZN7rocprim17ROCPRIM_400000_NS6detail17trampoline_kernelINS0_14default_configENS1_22reduce_config_selectorIlEEZNS1_11reduce_implILb1ES3_N6thrust23THRUST_200600_302600_NS11hip_rocprim26transform_input_iterator_tIlNS8_12zip_iteratorINS8_5tupleINS8_6detail15normal_iteratorINS8_10device_ptrIsEEEESH_NS8_9null_typeESI_SI_SI_SI_SI_SI_SI_EEEENS9_21zip_adj_not_predicateI22is_equal_div_10_uniqueIsEEEEEPllNS8_4plusIlEEEE10hipError_tPvRmT1_T2_T3_mT4_P12ihipStream_tbEUlT_E0_NS1_11comp_targetILNS1_3genE0ELNS1_11target_archE4294967295ELNS1_3gpuE0ELNS1_3repE0EEENS1_30default_config_static_selectorELNS0_4arch9wavefront6targetE1EEEvSW_
; %bb.0:
	.section	.rodata,"a",@progbits
	.p2align	6, 0x0
	.amdhsa_kernel _ZN7rocprim17ROCPRIM_400000_NS6detail17trampoline_kernelINS0_14default_configENS1_22reduce_config_selectorIlEEZNS1_11reduce_implILb1ES3_N6thrust23THRUST_200600_302600_NS11hip_rocprim26transform_input_iterator_tIlNS8_12zip_iteratorINS8_5tupleINS8_6detail15normal_iteratorINS8_10device_ptrIsEEEESH_NS8_9null_typeESI_SI_SI_SI_SI_SI_SI_EEEENS9_21zip_adj_not_predicateI22is_equal_div_10_uniqueIsEEEEEPllNS8_4plusIlEEEE10hipError_tPvRmT1_T2_T3_mT4_P12ihipStream_tbEUlT_E0_NS1_11comp_targetILNS1_3genE0ELNS1_11target_archE4294967295ELNS1_3gpuE0ELNS1_3repE0EEENS1_30default_config_static_selectorELNS0_4arch9wavefront6targetE1EEEvSW_
		.amdhsa_group_segment_fixed_size 0
		.amdhsa_private_segment_fixed_size 0
		.amdhsa_kernarg_size 80
		.amdhsa_user_sgpr_count 6
		.amdhsa_user_sgpr_private_segment_buffer 1
		.amdhsa_user_sgpr_dispatch_ptr 0
		.amdhsa_user_sgpr_queue_ptr 0
		.amdhsa_user_sgpr_kernarg_segment_ptr 1
		.amdhsa_user_sgpr_dispatch_id 0
		.amdhsa_user_sgpr_flat_scratch_init 0
		.amdhsa_user_sgpr_private_segment_size 0
		.amdhsa_uses_dynamic_stack 0
		.amdhsa_system_sgpr_private_segment_wavefront_offset 0
		.amdhsa_system_sgpr_workgroup_id_x 1
		.amdhsa_system_sgpr_workgroup_id_y 0
		.amdhsa_system_sgpr_workgroup_id_z 0
		.amdhsa_system_sgpr_workgroup_info 0
		.amdhsa_system_vgpr_workitem_id 0
		.amdhsa_next_free_vgpr 1
		.amdhsa_next_free_sgpr 0
		.amdhsa_reserve_vcc 0
		.amdhsa_reserve_flat_scratch 0
		.amdhsa_float_round_mode_32 0
		.amdhsa_float_round_mode_16_64 0
		.amdhsa_float_denorm_mode_32 3
		.amdhsa_float_denorm_mode_16_64 3
		.amdhsa_dx10_clamp 1
		.amdhsa_ieee_mode 1
		.amdhsa_fp16_overflow 0
		.amdhsa_exception_fp_ieee_invalid_op 0
		.amdhsa_exception_fp_denorm_src 0
		.amdhsa_exception_fp_ieee_div_zero 0
		.amdhsa_exception_fp_ieee_overflow 0
		.amdhsa_exception_fp_ieee_underflow 0
		.amdhsa_exception_fp_ieee_inexact 0
		.amdhsa_exception_int_div_zero 0
	.end_amdhsa_kernel
	.section	.text._ZN7rocprim17ROCPRIM_400000_NS6detail17trampoline_kernelINS0_14default_configENS1_22reduce_config_selectorIlEEZNS1_11reduce_implILb1ES3_N6thrust23THRUST_200600_302600_NS11hip_rocprim26transform_input_iterator_tIlNS8_12zip_iteratorINS8_5tupleINS8_6detail15normal_iteratorINS8_10device_ptrIsEEEESH_NS8_9null_typeESI_SI_SI_SI_SI_SI_SI_EEEENS9_21zip_adj_not_predicateI22is_equal_div_10_uniqueIsEEEEEPllNS8_4plusIlEEEE10hipError_tPvRmT1_T2_T3_mT4_P12ihipStream_tbEUlT_E0_NS1_11comp_targetILNS1_3genE0ELNS1_11target_archE4294967295ELNS1_3gpuE0ELNS1_3repE0EEENS1_30default_config_static_selectorELNS0_4arch9wavefront6targetE1EEEvSW_,"axG",@progbits,_ZN7rocprim17ROCPRIM_400000_NS6detail17trampoline_kernelINS0_14default_configENS1_22reduce_config_selectorIlEEZNS1_11reduce_implILb1ES3_N6thrust23THRUST_200600_302600_NS11hip_rocprim26transform_input_iterator_tIlNS8_12zip_iteratorINS8_5tupleINS8_6detail15normal_iteratorINS8_10device_ptrIsEEEESH_NS8_9null_typeESI_SI_SI_SI_SI_SI_SI_EEEENS9_21zip_adj_not_predicateI22is_equal_div_10_uniqueIsEEEEEPllNS8_4plusIlEEEE10hipError_tPvRmT1_T2_T3_mT4_P12ihipStream_tbEUlT_E0_NS1_11comp_targetILNS1_3genE0ELNS1_11target_archE4294967295ELNS1_3gpuE0ELNS1_3repE0EEENS1_30default_config_static_selectorELNS0_4arch9wavefront6targetE1EEEvSW_,comdat
.Lfunc_end1013:
	.size	_ZN7rocprim17ROCPRIM_400000_NS6detail17trampoline_kernelINS0_14default_configENS1_22reduce_config_selectorIlEEZNS1_11reduce_implILb1ES3_N6thrust23THRUST_200600_302600_NS11hip_rocprim26transform_input_iterator_tIlNS8_12zip_iteratorINS8_5tupleINS8_6detail15normal_iteratorINS8_10device_ptrIsEEEESH_NS8_9null_typeESI_SI_SI_SI_SI_SI_SI_EEEENS9_21zip_adj_not_predicateI22is_equal_div_10_uniqueIsEEEEEPllNS8_4plusIlEEEE10hipError_tPvRmT1_T2_T3_mT4_P12ihipStream_tbEUlT_E0_NS1_11comp_targetILNS1_3genE0ELNS1_11target_archE4294967295ELNS1_3gpuE0ELNS1_3repE0EEENS1_30default_config_static_selectorELNS0_4arch9wavefront6targetE1EEEvSW_, .Lfunc_end1013-_ZN7rocprim17ROCPRIM_400000_NS6detail17trampoline_kernelINS0_14default_configENS1_22reduce_config_selectorIlEEZNS1_11reduce_implILb1ES3_N6thrust23THRUST_200600_302600_NS11hip_rocprim26transform_input_iterator_tIlNS8_12zip_iteratorINS8_5tupleINS8_6detail15normal_iteratorINS8_10device_ptrIsEEEESH_NS8_9null_typeESI_SI_SI_SI_SI_SI_SI_EEEENS9_21zip_adj_not_predicateI22is_equal_div_10_uniqueIsEEEEEPllNS8_4plusIlEEEE10hipError_tPvRmT1_T2_T3_mT4_P12ihipStream_tbEUlT_E0_NS1_11comp_targetILNS1_3genE0ELNS1_11target_archE4294967295ELNS1_3gpuE0ELNS1_3repE0EEENS1_30default_config_static_selectorELNS0_4arch9wavefront6targetE1EEEvSW_
                                        ; -- End function
	.set _ZN7rocprim17ROCPRIM_400000_NS6detail17trampoline_kernelINS0_14default_configENS1_22reduce_config_selectorIlEEZNS1_11reduce_implILb1ES3_N6thrust23THRUST_200600_302600_NS11hip_rocprim26transform_input_iterator_tIlNS8_12zip_iteratorINS8_5tupleINS8_6detail15normal_iteratorINS8_10device_ptrIsEEEESH_NS8_9null_typeESI_SI_SI_SI_SI_SI_SI_EEEENS9_21zip_adj_not_predicateI22is_equal_div_10_uniqueIsEEEEEPllNS8_4plusIlEEEE10hipError_tPvRmT1_T2_T3_mT4_P12ihipStream_tbEUlT_E0_NS1_11comp_targetILNS1_3genE0ELNS1_11target_archE4294967295ELNS1_3gpuE0ELNS1_3repE0EEENS1_30default_config_static_selectorELNS0_4arch9wavefront6targetE1EEEvSW_.num_vgpr, 0
	.set _ZN7rocprim17ROCPRIM_400000_NS6detail17trampoline_kernelINS0_14default_configENS1_22reduce_config_selectorIlEEZNS1_11reduce_implILb1ES3_N6thrust23THRUST_200600_302600_NS11hip_rocprim26transform_input_iterator_tIlNS8_12zip_iteratorINS8_5tupleINS8_6detail15normal_iteratorINS8_10device_ptrIsEEEESH_NS8_9null_typeESI_SI_SI_SI_SI_SI_SI_EEEENS9_21zip_adj_not_predicateI22is_equal_div_10_uniqueIsEEEEEPllNS8_4plusIlEEEE10hipError_tPvRmT1_T2_T3_mT4_P12ihipStream_tbEUlT_E0_NS1_11comp_targetILNS1_3genE0ELNS1_11target_archE4294967295ELNS1_3gpuE0ELNS1_3repE0EEENS1_30default_config_static_selectorELNS0_4arch9wavefront6targetE1EEEvSW_.num_agpr, 0
	.set _ZN7rocprim17ROCPRIM_400000_NS6detail17trampoline_kernelINS0_14default_configENS1_22reduce_config_selectorIlEEZNS1_11reduce_implILb1ES3_N6thrust23THRUST_200600_302600_NS11hip_rocprim26transform_input_iterator_tIlNS8_12zip_iteratorINS8_5tupleINS8_6detail15normal_iteratorINS8_10device_ptrIsEEEESH_NS8_9null_typeESI_SI_SI_SI_SI_SI_SI_EEEENS9_21zip_adj_not_predicateI22is_equal_div_10_uniqueIsEEEEEPllNS8_4plusIlEEEE10hipError_tPvRmT1_T2_T3_mT4_P12ihipStream_tbEUlT_E0_NS1_11comp_targetILNS1_3genE0ELNS1_11target_archE4294967295ELNS1_3gpuE0ELNS1_3repE0EEENS1_30default_config_static_selectorELNS0_4arch9wavefront6targetE1EEEvSW_.numbered_sgpr, 0
	.set _ZN7rocprim17ROCPRIM_400000_NS6detail17trampoline_kernelINS0_14default_configENS1_22reduce_config_selectorIlEEZNS1_11reduce_implILb1ES3_N6thrust23THRUST_200600_302600_NS11hip_rocprim26transform_input_iterator_tIlNS8_12zip_iteratorINS8_5tupleINS8_6detail15normal_iteratorINS8_10device_ptrIsEEEESH_NS8_9null_typeESI_SI_SI_SI_SI_SI_SI_EEEENS9_21zip_adj_not_predicateI22is_equal_div_10_uniqueIsEEEEEPllNS8_4plusIlEEEE10hipError_tPvRmT1_T2_T3_mT4_P12ihipStream_tbEUlT_E0_NS1_11comp_targetILNS1_3genE0ELNS1_11target_archE4294967295ELNS1_3gpuE0ELNS1_3repE0EEENS1_30default_config_static_selectorELNS0_4arch9wavefront6targetE1EEEvSW_.num_named_barrier, 0
	.set _ZN7rocprim17ROCPRIM_400000_NS6detail17trampoline_kernelINS0_14default_configENS1_22reduce_config_selectorIlEEZNS1_11reduce_implILb1ES3_N6thrust23THRUST_200600_302600_NS11hip_rocprim26transform_input_iterator_tIlNS8_12zip_iteratorINS8_5tupleINS8_6detail15normal_iteratorINS8_10device_ptrIsEEEESH_NS8_9null_typeESI_SI_SI_SI_SI_SI_SI_EEEENS9_21zip_adj_not_predicateI22is_equal_div_10_uniqueIsEEEEEPllNS8_4plusIlEEEE10hipError_tPvRmT1_T2_T3_mT4_P12ihipStream_tbEUlT_E0_NS1_11comp_targetILNS1_3genE0ELNS1_11target_archE4294967295ELNS1_3gpuE0ELNS1_3repE0EEENS1_30default_config_static_selectorELNS0_4arch9wavefront6targetE1EEEvSW_.private_seg_size, 0
	.set _ZN7rocprim17ROCPRIM_400000_NS6detail17trampoline_kernelINS0_14default_configENS1_22reduce_config_selectorIlEEZNS1_11reduce_implILb1ES3_N6thrust23THRUST_200600_302600_NS11hip_rocprim26transform_input_iterator_tIlNS8_12zip_iteratorINS8_5tupleINS8_6detail15normal_iteratorINS8_10device_ptrIsEEEESH_NS8_9null_typeESI_SI_SI_SI_SI_SI_SI_EEEENS9_21zip_adj_not_predicateI22is_equal_div_10_uniqueIsEEEEEPllNS8_4plusIlEEEE10hipError_tPvRmT1_T2_T3_mT4_P12ihipStream_tbEUlT_E0_NS1_11comp_targetILNS1_3genE0ELNS1_11target_archE4294967295ELNS1_3gpuE0ELNS1_3repE0EEENS1_30default_config_static_selectorELNS0_4arch9wavefront6targetE1EEEvSW_.uses_vcc, 0
	.set _ZN7rocprim17ROCPRIM_400000_NS6detail17trampoline_kernelINS0_14default_configENS1_22reduce_config_selectorIlEEZNS1_11reduce_implILb1ES3_N6thrust23THRUST_200600_302600_NS11hip_rocprim26transform_input_iterator_tIlNS8_12zip_iteratorINS8_5tupleINS8_6detail15normal_iteratorINS8_10device_ptrIsEEEESH_NS8_9null_typeESI_SI_SI_SI_SI_SI_SI_EEEENS9_21zip_adj_not_predicateI22is_equal_div_10_uniqueIsEEEEEPllNS8_4plusIlEEEE10hipError_tPvRmT1_T2_T3_mT4_P12ihipStream_tbEUlT_E0_NS1_11comp_targetILNS1_3genE0ELNS1_11target_archE4294967295ELNS1_3gpuE0ELNS1_3repE0EEENS1_30default_config_static_selectorELNS0_4arch9wavefront6targetE1EEEvSW_.uses_flat_scratch, 0
	.set _ZN7rocprim17ROCPRIM_400000_NS6detail17trampoline_kernelINS0_14default_configENS1_22reduce_config_selectorIlEEZNS1_11reduce_implILb1ES3_N6thrust23THRUST_200600_302600_NS11hip_rocprim26transform_input_iterator_tIlNS8_12zip_iteratorINS8_5tupleINS8_6detail15normal_iteratorINS8_10device_ptrIsEEEESH_NS8_9null_typeESI_SI_SI_SI_SI_SI_SI_EEEENS9_21zip_adj_not_predicateI22is_equal_div_10_uniqueIsEEEEEPllNS8_4plusIlEEEE10hipError_tPvRmT1_T2_T3_mT4_P12ihipStream_tbEUlT_E0_NS1_11comp_targetILNS1_3genE0ELNS1_11target_archE4294967295ELNS1_3gpuE0ELNS1_3repE0EEENS1_30default_config_static_selectorELNS0_4arch9wavefront6targetE1EEEvSW_.has_dyn_sized_stack, 0
	.set _ZN7rocprim17ROCPRIM_400000_NS6detail17trampoline_kernelINS0_14default_configENS1_22reduce_config_selectorIlEEZNS1_11reduce_implILb1ES3_N6thrust23THRUST_200600_302600_NS11hip_rocprim26transform_input_iterator_tIlNS8_12zip_iteratorINS8_5tupleINS8_6detail15normal_iteratorINS8_10device_ptrIsEEEESH_NS8_9null_typeESI_SI_SI_SI_SI_SI_SI_EEEENS9_21zip_adj_not_predicateI22is_equal_div_10_uniqueIsEEEEEPllNS8_4plusIlEEEE10hipError_tPvRmT1_T2_T3_mT4_P12ihipStream_tbEUlT_E0_NS1_11comp_targetILNS1_3genE0ELNS1_11target_archE4294967295ELNS1_3gpuE0ELNS1_3repE0EEENS1_30default_config_static_selectorELNS0_4arch9wavefront6targetE1EEEvSW_.has_recursion, 0
	.set _ZN7rocprim17ROCPRIM_400000_NS6detail17trampoline_kernelINS0_14default_configENS1_22reduce_config_selectorIlEEZNS1_11reduce_implILb1ES3_N6thrust23THRUST_200600_302600_NS11hip_rocprim26transform_input_iterator_tIlNS8_12zip_iteratorINS8_5tupleINS8_6detail15normal_iteratorINS8_10device_ptrIsEEEESH_NS8_9null_typeESI_SI_SI_SI_SI_SI_SI_EEEENS9_21zip_adj_not_predicateI22is_equal_div_10_uniqueIsEEEEEPllNS8_4plusIlEEEE10hipError_tPvRmT1_T2_T3_mT4_P12ihipStream_tbEUlT_E0_NS1_11comp_targetILNS1_3genE0ELNS1_11target_archE4294967295ELNS1_3gpuE0ELNS1_3repE0EEENS1_30default_config_static_selectorELNS0_4arch9wavefront6targetE1EEEvSW_.has_indirect_call, 0
	.section	.AMDGPU.csdata,"",@progbits
; Kernel info:
; codeLenInByte = 0
; TotalNumSgprs: 4
; NumVgprs: 0
; ScratchSize: 0
; MemoryBound: 0
; FloatMode: 240
; IeeeMode: 1
; LDSByteSize: 0 bytes/workgroup (compile time only)
; SGPRBlocks: 0
; VGPRBlocks: 0
; NumSGPRsForWavesPerEU: 4
; NumVGPRsForWavesPerEU: 1
; Occupancy: 10
; WaveLimiterHint : 0
; COMPUTE_PGM_RSRC2:SCRATCH_EN: 0
; COMPUTE_PGM_RSRC2:USER_SGPR: 6
; COMPUTE_PGM_RSRC2:TRAP_HANDLER: 0
; COMPUTE_PGM_RSRC2:TGID_X_EN: 1
; COMPUTE_PGM_RSRC2:TGID_Y_EN: 0
; COMPUTE_PGM_RSRC2:TGID_Z_EN: 0
; COMPUTE_PGM_RSRC2:TIDIG_COMP_CNT: 0
	.section	.text._ZN7rocprim17ROCPRIM_400000_NS6detail17trampoline_kernelINS0_14default_configENS1_22reduce_config_selectorIlEEZNS1_11reduce_implILb1ES3_N6thrust23THRUST_200600_302600_NS11hip_rocprim26transform_input_iterator_tIlNS8_12zip_iteratorINS8_5tupleINS8_6detail15normal_iteratorINS8_10device_ptrIsEEEESH_NS8_9null_typeESI_SI_SI_SI_SI_SI_SI_EEEENS9_21zip_adj_not_predicateI22is_equal_div_10_uniqueIsEEEEEPllNS8_4plusIlEEEE10hipError_tPvRmT1_T2_T3_mT4_P12ihipStream_tbEUlT_E0_NS1_11comp_targetILNS1_3genE5ELNS1_11target_archE942ELNS1_3gpuE9ELNS1_3repE0EEENS1_30default_config_static_selectorELNS0_4arch9wavefront6targetE1EEEvSW_,"axG",@progbits,_ZN7rocprim17ROCPRIM_400000_NS6detail17trampoline_kernelINS0_14default_configENS1_22reduce_config_selectorIlEEZNS1_11reduce_implILb1ES3_N6thrust23THRUST_200600_302600_NS11hip_rocprim26transform_input_iterator_tIlNS8_12zip_iteratorINS8_5tupleINS8_6detail15normal_iteratorINS8_10device_ptrIsEEEESH_NS8_9null_typeESI_SI_SI_SI_SI_SI_SI_EEEENS9_21zip_adj_not_predicateI22is_equal_div_10_uniqueIsEEEEEPllNS8_4plusIlEEEE10hipError_tPvRmT1_T2_T3_mT4_P12ihipStream_tbEUlT_E0_NS1_11comp_targetILNS1_3genE5ELNS1_11target_archE942ELNS1_3gpuE9ELNS1_3repE0EEENS1_30default_config_static_selectorELNS0_4arch9wavefront6targetE1EEEvSW_,comdat
	.protected	_ZN7rocprim17ROCPRIM_400000_NS6detail17trampoline_kernelINS0_14default_configENS1_22reduce_config_selectorIlEEZNS1_11reduce_implILb1ES3_N6thrust23THRUST_200600_302600_NS11hip_rocprim26transform_input_iterator_tIlNS8_12zip_iteratorINS8_5tupleINS8_6detail15normal_iteratorINS8_10device_ptrIsEEEESH_NS8_9null_typeESI_SI_SI_SI_SI_SI_SI_EEEENS9_21zip_adj_not_predicateI22is_equal_div_10_uniqueIsEEEEEPllNS8_4plusIlEEEE10hipError_tPvRmT1_T2_T3_mT4_P12ihipStream_tbEUlT_E0_NS1_11comp_targetILNS1_3genE5ELNS1_11target_archE942ELNS1_3gpuE9ELNS1_3repE0EEENS1_30default_config_static_selectorELNS0_4arch9wavefront6targetE1EEEvSW_ ; -- Begin function _ZN7rocprim17ROCPRIM_400000_NS6detail17trampoline_kernelINS0_14default_configENS1_22reduce_config_selectorIlEEZNS1_11reduce_implILb1ES3_N6thrust23THRUST_200600_302600_NS11hip_rocprim26transform_input_iterator_tIlNS8_12zip_iteratorINS8_5tupleINS8_6detail15normal_iteratorINS8_10device_ptrIsEEEESH_NS8_9null_typeESI_SI_SI_SI_SI_SI_SI_EEEENS9_21zip_adj_not_predicateI22is_equal_div_10_uniqueIsEEEEEPllNS8_4plusIlEEEE10hipError_tPvRmT1_T2_T3_mT4_P12ihipStream_tbEUlT_E0_NS1_11comp_targetILNS1_3genE5ELNS1_11target_archE942ELNS1_3gpuE9ELNS1_3repE0EEENS1_30default_config_static_selectorELNS0_4arch9wavefront6targetE1EEEvSW_
	.globl	_ZN7rocprim17ROCPRIM_400000_NS6detail17trampoline_kernelINS0_14default_configENS1_22reduce_config_selectorIlEEZNS1_11reduce_implILb1ES3_N6thrust23THRUST_200600_302600_NS11hip_rocprim26transform_input_iterator_tIlNS8_12zip_iteratorINS8_5tupleINS8_6detail15normal_iteratorINS8_10device_ptrIsEEEESH_NS8_9null_typeESI_SI_SI_SI_SI_SI_SI_EEEENS9_21zip_adj_not_predicateI22is_equal_div_10_uniqueIsEEEEEPllNS8_4plusIlEEEE10hipError_tPvRmT1_T2_T3_mT4_P12ihipStream_tbEUlT_E0_NS1_11comp_targetILNS1_3genE5ELNS1_11target_archE942ELNS1_3gpuE9ELNS1_3repE0EEENS1_30default_config_static_selectorELNS0_4arch9wavefront6targetE1EEEvSW_
	.p2align	8
	.type	_ZN7rocprim17ROCPRIM_400000_NS6detail17trampoline_kernelINS0_14default_configENS1_22reduce_config_selectorIlEEZNS1_11reduce_implILb1ES3_N6thrust23THRUST_200600_302600_NS11hip_rocprim26transform_input_iterator_tIlNS8_12zip_iteratorINS8_5tupleINS8_6detail15normal_iteratorINS8_10device_ptrIsEEEESH_NS8_9null_typeESI_SI_SI_SI_SI_SI_SI_EEEENS9_21zip_adj_not_predicateI22is_equal_div_10_uniqueIsEEEEEPllNS8_4plusIlEEEE10hipError_tPvRmT1_T2_T3_mT4_P12ihipStream_tbEUlT_E0_NS1_11comp_targetILNS1_3genE5ELNS1_11target_archE942ELNS1_3gpuE9ELNS1_3repE0EEENS1_30default_config_static_selectorELNS0_4arch9wavefront6targetE1EEEvSW_,@function
_ZN7rocprim17ROCPRIM_400000_NS6detail17trampoline_kernelINS0_14default_configENS1_22reduce_config_selectorIlEEZNS1_11reduce_implILb1ES3_N6thrust23THRUST_200600_302600_NS11hip_rocprim26transform_input_iterator_tIlNS8_12zip_iteratorINS8_5tupleINS8_6detail15normal_iteratorINS8_10device_ptrIsEEEESH_NS8_9null_typeESI_SI_SI_SI_SI_SI_SI_EEEENS9_21zip_adj_not_predicateI22is_equal_div_10_uniqueIsEEEEEPllNS8_4plusIlEEEE10hipError_tPvRmT1_T2_T3_mT4_P12ihipStream_tbEUlT_E0_NS1_11comp_targetILNS1_3genE5ELNS1_11target_archE942ELNS1_3gpuE9ELNS1_3repE0EEENS1_30default_config_static_selectorELNS0_4arch9wavefront6targetE1EEEvSW_: ; @_ZN7rocprim17ROCPRIM_400000_NS6detail17trampoline_kernelINS0_14default_configENS1_22reduce_config_selectorIlEEZNS1_11reduce_implILb1ES3_N6thrust23THRUST_200600_302600_NS11hip_rocprim26transform_input_iterator_tIlNS8_12zip_iteratorINS8_5tupleINS8_6detail15normal_iteratorINS8_10device_ptrIsEEEESH_NS8_9null_typeESI_SI_SI_SI_SI_SI_SI_EEEENS9_21zip_adj_not_predicateI22is_equal_div_10_uniqueIsEEEEEPllNS8_4plusIlEEEE10hipError_tPvRmT1_T2_T3_mT4_P12ihipStream_tbEUlT_E0_NS1_11comp_targetILNS1_3genE5ELNS1_11target_archE942ELNS1_3gpuE9ELNS1_3repE0EEENS1_30default_config_static_selectorELNS0_4arch9wavefront6targetE1EEEvSW_
; %bb.0:
	.section	.rodata,"a",@progbits
	.p2align	6, 0x0
	.amdhsa_kernel _ZN7rocprim17ROCPRIM_400000_NS6detail17trampoline_kernelINS0_14default_configENS1_22reduce_config_selectorIlEEZNS1_11reduce_implILb1ES3_N6thrust23THRUST_200600_302600_NS11hip_rocprim26transform_input_iterator_tIlNS8_12zip_iteratorINS8_5tupleINS8_6detail15normal_iteratorINS8_10device_ptrIsEEEESH_NS8_9null_typeESI_SI_SI_SI_SI_SI_SI_EEEENS9_21zip_adj_not_predicateI22is_equal_div_10_uniqueIsEEEEEPllNS8_4plusIlEEEE10hipError_tPvRmT1_T2_T3_mT4_P12ihipStream_tbEUlT_E0_NS1_11comp_targetILNS1_3genE5ELNS1_11target_archE942ELNS1_3gpuE9ELNS1_3repE0EEENS1_30default_config_static_selectorELNS0_4arch9wavefront6targetE1EEEvSW_
		.amdhsa_group_segment_fixed_size 0
		.amdhsa_private_segment_fixed_size 0
		.amdhsa_kernarg_size 80
		.amdhsa_user_sgpr_count 6
		.amdhsa_user_sgpr_private_segment_buffer 1
		.amdhsa_user_sgpr_dispatch_ptr 0
		.amdhsa_user_sgpr_queue_ptr 0
		.amdhsa_user_sgpr_kernarg_segment_ptr 1
		.amdhsa_user_sgpr_dispatch_id 0
		.amdhsa_user_sgpr_flat_scratch_init 0
		.amdhsa_user_sgpr_private_segment_size 0
		.amdhsa_uses_dynamic_stack 0
		.amdhsa_system_sgpr_private_segment_wavefront_offset 0
		.amdhsa_system_sgpr_workgroup_id_x 1
		.amdhsa_system_sgpr_workgroup_id_y 0
		.amdhsa_system_sgpr_workgroup_id_z 0
		.amdhsa_system_sgpr_workgroup_info 0
		.amdhsa_system_vgpr_workitem_id 0
		.amdhsa_next_free_vgpr 1
		.amdhsa_next_free_sgpr 0
		.amdhsa_reserve_vcc 0
		.amdhsa_reserve_flat_scratch 0
		.amdhsa_float_round_mode_32 0
		.amdhsa_float_round_mode_16_64 0
		.amdhsa_float_denorm_mode_32 3
		.amdhsa_float_denorm_mode_16_64 3
		.amdhsa_dx10_clamp 1
		.amdhsa_ieee_mode 1
		.amdhsa_fp16_overflow 0
		.amdhsa_exception_fp_ieee_invalid_op 0
		.amdhsa_exception_fp_denorm_src 0
		.amdhsa_exception_fp_ieee_div_zero 0
		.amdhsa_exception_fp_ieee_overflow 0
		.amdhsa_exception_fp_ieee_underflow 0
		.amdhsa_exception_fp_ieee_inexact 0
		.amdhsa_exception_int_div_zero 0
	.end_amdhsa_kernel
	.section	.text._ZN7rocprim17ROCPRIM_400000_NS6detail17trampoline_kernelINS0_14default_configENS1_22reduce_config_selectorIlEEZNS1_11reduce_implILb1ES3_N6thrust23THRUST_200600_302600_NS11hip_rocprim26transform_input_iterator_tIlNS8_12zip_iteratorINS8_5tupleINS8_6detail15normal_iteratorINS8_10device_ptrIsEEEESH_NS8_9null_typeESI_SI_SI_SI_SI_SI_SI_EEEENS9_21zip_adj_not_predicateI22is_equal_div_10_uniqueIsEEEEEPllNS8_4plusIlEEEE10hipError_tPvRmT1_T2_T3_mT4_P12ihipStream_tbEUlT_E0_NS1_11comp_targetILNS1_3genE5ELNS1_11target_archE942ELNS1_3gpuE9ELNS1_3repE0EEENS1_30default_config_static_selectorELNS0_4arch9wavefront6targetE1EEEvSW_,"axG",@progbits,_ZN7rocprim17ROCPRIM_400000_NS6detail17trampoline_kernelINS0_14default_configENS1_22reduce_config_selectorIlEEZNS1_11reduce_implILb1ES3_N6thrust23THRUST_200600_302600_NS11hip_rocprim26transform_input_iterator_tIlNS8_12zip_iteratorINS8_5tupleINS8_6detail15normal_iteratorINS8_10device_ptrIsEEEESH_NS8_9null_typeESI_SI_SI_SI_SI_SI_SI_EEEENS9_21zip_adj_not_predicateI22is_equal_div_10_uniqueIsEEEEEPllNS8_4plusIlEEEE10hipError_tPvRmT1_T2_T3_mT4_P12ihipStream_tbEUlT_E0_NS1_11comp_targetILNS1_3genE5ELNS1_11target_archE942ELNS1_3gpuE9ELNS1_3repE0EEENS1_30default_config_static_selectorELNS0_4arch9wavefront6targetE1EEEvSW_,comdat
.Lfunc_end1014:
	.size	_ZN7rocprim17ROCPRIM_400000_NS6detail17trampoline_kernelINS0_14default_configENS1_22reduce_config_selectorIlEEZNS1_11reduce_implILb1ES3_N6thrust23THRUST_200600_302600_NS11hip_rocprim26transform_input_iterator_tIlNS8_12zip_iteratorINS8_5tupleINS8_6detail15normal_iteratorINS8_10device_ptrIsEEEESH_NS8_9null_typeESI_SI_SI_SI_SI_SI_SI_EEEENS9_21zip_adj_not_predicateI22is_equal_div_10_uniqueIsEEEEEPllNS8_4plusIlEEEE10hipError_tPvRmT1_T2_T3_mT4_P12ihipStream_tbEUlT_E0_NS1_11comp_targetILNS1_3genE5ELNS1_11target_archE942ELNS1_3gpuE9ELNS1_3repE0EEENS1_30default_config_static_selectorELNS0_4arch9wavefront6targetE1EEEvSW_, .Lfunc_end1014-_ZN7rocprim17ROCPRIM_400000_NS6detail17trampoline_kernelINS0_14default_configENS1_22reduce_config_selectorIlEEZNS1_11reduce_implILb1ES3_N6thrust23THRUST_200600_302600_NS11hip_rocprim26transform_input_iterator_tIlNS8_12zip_iteratorINS8_5tupleINS8_6detail15normal_iteratorINS8_10device_ptrIsEEEESH_NS8_9null_typeESI_SI_SI_SI_SI_SI_SI_EEEENS9_21zip_adj_not_predicateI22is_equal_div_10_uniqueIsEEEEEPllNS8_4plusIlEEEE10hipError_tPvRmT1_T2_T3_mT4_P12ihipStream_tbEUlT_E0_NS1_11comp_targetILNS1_3genE5ELNS1_11target_archE942ELNS1_3gpuE9ELNS1_3repE0EEENS1_30default_config_static_selectorELNS0_4arch9wavefront6targetE1EEEvSW_
                                        ; -- End function
	.set _ZN7rocprim17ROCPRIM_400000_NS6detail17trampoline_kernelINS0_14default_configENS1_22reduce_config_selectorIlEEZNS1_11reduce_implILb1ES3_N6thrust23THRUST_200600_302600_NS11hip_rocprim26transform_input_iterator_tIlNS8_12zip_iteratorINS8_5tupleINS8_6detail15normal_iteratorINS8_10device_ptrIsEEEESH_NS8_9null_typeESI_SI_SI_SI_SI_SI_SI_EEEENS9_21zip_adj_not_predicateI22is_equal_div_10_uniqueIsEEEEEPllNS8_4plusIlEEEE10hipError_tPvRmT1_T2_T3_mT4_P12ihipStream_tbEUlT_E0_NS1_11comp_targetILNS1_3genE5ELNS1_11target_archE942ELNS1_3gpuE9ELNS1_3repE0EEENS1_30default_config_static_selectorELNS0_4arch9wavefront6targetE1EEEvSW_.num_vgpr, 0
	.set _ZN7rocprim17ROCPRIM_400000_NS6detail17trampoline_kernelINS0_14default_configENS1_22reduce_config_selectorIlEEZNS1_11reduce_implILb1ES3_N6thrust23THRUST_200600_302600_NS11hip_rocprim26transform_input_iterator_tIlNS8_12zip_iteratorINS8_5tupleINS8_6detail15normal_iteratorINS8_10device_ptrIsEEEESH_NS8_9null_typeESI_SI_SI_SI_SI_SI_SI_EEEENS9_21zip_adj_not_predicateI22is_equal_div_10_uniqueIsEEEEEPllNS8_4plusIlEEEE10hipError_tPvRmT1_T2_T3_mT4_P12ihipStream_tbEUlT_E0_NS1_11comp_targetILNS1_3genE5ELNS1_11target_archE942ELNS1_3gpuE9ELNS1_3repE0EEENS1_30default_config_static_selectorELNS0_4arch9wavefront6targetE1EEEvSW_.num_agpr, 0
	.set _ZN7rocprim17ROCPRIM_400000_NS6detail17trampoline_kernelINS0_14default_configENS1_22reduce_config_selectorIlEEZNS1_11reduce_implILb1ES3_N6thrust23THRUST_200600_302600_NS11hip_rocprim26transform_input_iterator_tIlNS8_12zip_iteratorINS8_5tupleINS8_6detail15normal_iteratorINS8_10device_ptrIsEEEESH_NS8_9null_typeESI_SI_SI_SI_SI_SI_SI_EEEENS9_21zip_adj_not_predicateI22is_equal_div_10_uniqueIsEEEEEPllNS8_4plusIlEEEE10hipError_tPvRmT1_T2_T3_mT4_P12ihipStream_tbEUlT_E0_NS1_11comp_targetILNS1_3genE5ELNS1_11target_archE942ELNS1_3gpuE9ELNS1_3repE0EEENS1_30default_config_static_selectorELNS0_4arch9wavefront6targetE1EEEvSW_.numbered_sgpr, 0
	.set _ZN7rocprim17ROCPRIM_400000_NS6detail17trampoline_kernelINS0_14default_configENS1_22reduce_config_selectorIlEEZNS1_11reduce_implILb1ES3_N6thrust23THRUST_200600_302600_NS11hip_rocprim26transform_input_iterator_tIlNS8_12zip_iteratorINS8_5tupleINS8_6detail15normal_iteratorINS8_10device_ptrIsEEEESH_NS8_9null_typeESI_SI_SI_SI_SI_SI_SI_EEEENS9_21zip_adj_not_predicateI22is_equal_div_10_uniqueIsEEEEEPllNS8_4plusIlEEEE10hipError_tPvRmT1_T2_T3_mT4_P12ihipStream_tbEUlT_E0_NS1_11comp_targetILNS1_3genE5ELNS1_11target_archE942ELNS1_3gpuE9ELNS1_3repE0EEENS1_30default_config_static_selectorELNS0_4arch9wavefront6targetE1EEEvSW_.num_named_barrier, 0
	.set _ZN7rocprim17ROCPRIM_400000_NS6detail17trampoline_kernelINS0_14default_configENS1_22reduce_config_selectorIlEEZNS1_11reduce_implILb1ES3_N6thrust23THRUST_200600_302600_NS11hip_rocprim26transform_input_iterator_tIlNS8_12zip_iteratorINS8_5tupleINS8_6detail15normal_iteratorINS8_10device_ptrIsEEEESH_NS8_9null_typeESI_SI_SI_SI_SI_SI_SI_EEEENS9_21zip_adj_not_predicateI22is_equal_div_10_uniqueIsEEEEEPllNS8_4plusIlEEEE10hipError_tPvRmT1_T2_T3_mT4_P12ihipStream_tbEUlT_E0_NS1_11comp_targetILNS1_3genE5ELNS1_11target_archE942ELNS1_3gpuE9ELNS1_3repE0EEENS1_30default_config_static_selectorELNS0_4arch9wavefront6targetE1EEEvSW_.private_seg_size, 0
	.set _ZN7rocprim17ROCPRIM_400000_NS6detail17trampoline_kernelINS0_14default_configENS1_22reduce_config_selectorIlEEZNS1_11reduce_implILb1ES3_N6thrust23THRUST_200600_302600_NS11hip_rocprim26transform_input_iterator_tIlNS8_12zip_iteratorINS8_5tupleINS8_6detail15normal_iteratorINS8_10device_ptrIsEEEESH_NS8_9null_typeESI_SI_SI_SI_SI_SI_SI_EEEENS9_21zip_adj_not_predicateI22is_equal_div_10_uniqueIsEEEEEPllNS8_4plusIlEEEE10hipError_tPvRmT1_T2_T3_mT4_P12ihipStream_tbEUlT_E0_NS1_11comp_targetILNS1_3genE5ELNS1_11target_archE942ELNS1_3gpuE9ELNS1_3repE0EEENS1_30default_config_static_selectorELNS0_4arch9wavefront6targetE1EEEvSW_.uses_vcc, 0
	.set _ZN7rocprim17ROCPRIM_400000_NS6detail17trampoline_kernelINS0_14default_configENS1_22reduce_config_selectorIlEEZNS1_11reduce_implILb1ES3_N6thrust23THRUST_200600_302600_NS11hip_rocprim26transform_input_iterator_tIlNS8_12zip_iteratorINS8_5tupleINS8_6detail15normal_iteratorINS8_10device_ptrIsEEEESH_NS8_9null_typeESI_SI_SI_SI_SI_SI_SI_EEEENS9_21zip_adj_not_predicateI22is_equal_div_10_uniqueIsEEEEEPllNS8_4plusIlEEEE10hipError_tPvRmT1_T2_T3_mT4_P12ihipStream_tbEUlT_E0_NS1_11comp_targetILNS1_3genE5ELNS1_11target_archE942ELNS1_3gpuE9ELNS1_3repE0EEENS1_30default_config_static_selectorELNS0_4arch9wavefront6targetE1EEEvSW_.uses_flat_scratch, 0
	.set _ZN7rocprim17ROCPRIM_400000_NS6detail17trampoline_kernelINS0_14default_configENS1_22reduce_config_selectorIlEEZNS1_11reduce_implILb1ES3_N6thrust23THRUST_200600_302600_NS11hip_rocprim26transform_input_iterator_tIlNS8_12zip_iteratorINS8_5tupleINS8_6detail15normal_iteratorINS8_10device_ptrIsEEEESH_NS8_9null_typeESI_SI_SI_SI_SI_SI_SI_EEEENS9_21zip_adj_not_predicateI22is_equal_div_10_uniqueIsEEEEEPllNS8_4plusIlEEEE10hipError_tPvRmT1_T2_T3_mT4_P12ihipStream_tbEUlT_E0_NS1_11comp_targetILNS1_3genE5ELNS1_11target_archE942ELNS1_3gpuE9ELNS1_3repE0EEENS1_30default_config_static_selectorELNS0_4arch9wavefront6targetE1EEEvSW_.has_dyn_sized_stack, 0
	.set _ZN7rocprim17ROCPRIM_400000_NS6detail17trampoline_kernelINS0_14default_configENS1_22reduce_config_selectorIlEEZNS1_11reduce_implILb1ES3_N6thrust23THRUST_200600_302600_NS11hip_rocprim26transform_input_iterator_tIlNS8_12zip_iteratorINS8_5tupleINS8_6detail15normal_iteratorINS8_10device_ptrIsEEEESH_NS8_9null_typeESI_SI_SI_SI_SI_SI_SI_EEEENS9_21zip_adj_not_predicateI22is_equal_div_10_uniqueIsEEEEEPllNS8_4plusIlEEEE10hipError_tPvRmT1_T2_T3_mT4_P12ihipStream_tbEUlT_E0_NS1_11comp_targetILNS1_3genE5ELNS1_11target_archE942ELNS1_3gpuE9ELNS1_3repE0EEENS1_30default_config_static_selectorELNS0_4arch9wavefront6targetE1EEEvSW_.has_recursion, 0
	.set _ZN7rocprim17ROCPRIM_400000_NS6detail17trampoline_kernelINS0_14default_configENS1_22reduce_config_selectorIlEEZNS1_11reduce_implILb1ES3_N6thrust23THRUST_200600_302600_NS11hip_rocprim26transform_input_iterator_tIlNS8_12zip_iteratorINS8_5tupleINS8_6detail15normal_iteratorINS8_10device_ptrIsEEEESH_NS8_9null_typeESI_SI_SI_SI_SI_SI_SI_EEEENS9_21zip_adj_not_predicateI22is_equal_div_10_uniqueIsEEEEEPllNS8_4plusIlEEEE10hipError_tPvRmT1_T2_T3_mT4_P12ihipStream_tbEUlT_E0_NS1_11comp_targetILNS1_3genE5ELNS1_11target_archE942ELNS1_3gpuE9ELNS1_3repE0EEENS1_30default_config_static_selectorELNS0_4arch9wavefront6targetE1EEEvSW_.has_indirect_call, 0
	.section	.AMDGPU.csdata,"",@progbits
; Kernel info:
; codeLenInByte = 0
; TotalNumSgprs: 4
; NumVgprs: 0
; ScratchSize: 0
; MemoryBound: 0
; FloatMode: 240
; IeeeMode: 1
; LDSByteSize: 0 bytes/workgroup (compile time only)
; SGPRBlocks: 0
; VGPRBlocks: 0
; NumSGPRsForWavesPerEU: 4
; NumVGPRsForWavesPerEU: 1
; Occupancy: 10
; WaveLimiterHint : 0
; COMPUTE_PGM_RSRC2:SCRATCH_EN: 0
; COMPUTE_PGM_RSRC2:USER_SGPR: 6
; COMPUTE_PGM_RSRC2:TRAP_HANDLER: 0
; COMPUTE_PGM_RSRC2:TGID_X_EN: 1
; COMPUTE_PGM_RSRC2:TGID_Y_EN: 0
; COMPUTE_PGM_RSRC2:TGID_Z_EN: 0
; COMPUTE_PGM_RSRC2:TIDIG_COMP_CNT: 0
	.section	.text._ZN7rocprim17ROCPRIM_400000_NS6detail17trampoline_kernelINS0_14default_configENS1_22reduce_config_selectorIlEEZNS1_11reduce_implILb1ES3_N6thrust23THRUST_200600_302600_NS11hip_rocprim26transform_input_iterator_tIlNS8_12zip_iteratorINS8_5tupleINS8_6detail15normal_iteratorINS8_10device_ptrIsEEEESH_NS8_9null_typeESI_SI_SI_SI_SI_SI_SI_EEEENS9_21zip_adj_not_predicateI22is_equal_div_10_uniqueIsEEEEEPllNS8_4plusIlEEEE10hipError_tPvRmT1_T2_T3_mT4_P12ihipStream_tbEUlT_E0_NS1_11comp_targetILNS1_3genE4ELNS1_11target_archE910ELNS1_3gpuE8ELNS1_3repE0EEENS1_30default_config_static_selectorELNS0_4arch9wavefront6targetE1EEEvSW_,"axG",@progbits,_ZN7rocprim17ROCPRIM_400000_NS6detail17trampoline_kernelINS0_14default_configENS1_22reduce_config_selectorIlEEZNS1_11reduce_implILb1ES3_N6thrust23THRUST_200600_302600_NS11hip_rocprim26transform_input_iterator_tIlNS8_12zip_iteratorINS8_5tupleINS8_6detail15normal_iteratorINS8_10device_ptrIsEEEESH_NS8_9null_typeESI_SI_SI_SI_SI_SI_SI_EEEENS9_21zip_adj_not_predicateI22is_equal_div_10_uniqueIsEEEEEPllNS8_4plusIlEEEE10hipError_tPvRmT1_T2_T3_mT4_P12ihipStream_tbEUlT_E0_NS1_11comp_targetILNS1_3genE4ELNS1_11target_archE910ELNS1_3gpuE8ELNS1_3repE0EEENS1_30default_config_static_selectorELNS0_4arch9wavefront6targetE1EEEvSW_,comdat
	.protected	_ZN7rocprim17ROCPRIM_400000_NS6detail17trampoline_kernelINS0_14default_configENS1_22reduce_config_selectorIlEEZNS1_11reduce_implILb1ES3_N6thrust23THRUST_200600_302600_NS11hip_rocprim26transform_input_iterator_tIlNS8_12zip_iteratorINS8_5tupleINS8_6detail15normal_iteratorINS8_10device_ptrIsEEEESH_NS8_9null_typeESI_SI_SI_SI_SI_SI_SI_EEEENS9_21zip_adj_not_predicateI22is_equal_div_10_uniqueIsEEEEEPllNS8_4plusIlEEEE10hipError_tPvRmT1_T2_T3_mT4_P12ihipStream_tbEUlT_E0_NS1_11comp_targetILNS1_3genE4ELNS1_11target_archE910ELNS1_3gpuE8ELNS1_3repE0EEENS1_30default_config_static_selectorELNS0_4arch9wavefront6targetE1EEEvSW_ ; -- Begin function _ZN7rocprim17ROCPRIM_400000_NS6detail17trampoline_kernelINS0_14default_configENS1_22reduce_config_selectorIlEEZNS1_11reduce_implILb1ES3_N6thrust23THRUST_200600_302600_NS11hip_rocprim26transform_input_iterator_tIlNS8_12zip_iteratorINS8_5tupleINS8_6detail15normal_iteratorINS8_10device_ptrIsEEEESH_NS8_9null_typeESI_SI_SI_SI_SI_SI_SI_EEEENS9_21zip_adj_not_predicateI22is_equal_div_10_uniqueIsEEEEEPllNS8_4plusIlEEEE10hipError_tPvRmT1_T2_T3_mT4_P12ihipStream_tbEUlT_E0_NS1_11comp_targetILNS1_3genE4ELNS1_11target_archE910ELNS1_3gpuE8ELNS1_3repE0EEENS1_30default_config_static_selectorELNS0_4arch9wavefront6targetE1EEEvSW_
	.globl	_ZN7rocprim17ROCPRIM_400000_NS6detail17trampoline_kernelINS0_14default_configENS1_22reduce_config_selectorIlEEZNS1_11reduce_implILb1ES3_N6thrust23THRUST_200600_302600_NS11hip_rocprim26transform_input_iterator_tIlNS8_12zip_iteratorINS8_5tupleINS8_6detail15normal_iteratorINS8_10device_ptrIsEEEESH_NS8_9null_typeESI_SI_SI_SI_SI_SI_SI_EEEENS9_21zip_adj_not_predicateI22is_equal_div_10_uniqueIsEEEEEPllNS8_4plusIlEEEE10hipError_tPvRmT1_T2_T3_mT4_P12ihipStream_tbEUlT_E0_NS1_11comp_targetILNS1_3genE4ELNS1_11target_archE910ELNS1_3gpuE8ELNS1_3repE0EEENS1_30default_config_static_selectorELNS0_4arch9wavefront6targetE1EEEvSW_
	.p2align	8
	.type	_ZN7rocprim17ROCPRIM_400000_NS6detail17trampoline_kernelINS0_14default_configENS1_22reduce_config_selectorIlEEZNS1_11reduce_implILb1ES3_N6thrust23THRUST_200600_302600_NS11hip_rocprim26transform_input_iterator_tIlNS8_12zip_iteratorINS8_5tupleINS8_6detail15normal_iteratorINS8_10device_ptrIsEEEESH_NS8_9null_typeESI_SI_SI_SI_SI_SI_SI_EEEENS9_21zip_adj_not_predicateI22is_equal_div_10_uniqueIsEEEEEPllNS8_4plusIlEEEE10hipError_tPvRmT1_T2_T3_mT4_P12ihipStream_tbEUlT_E0_NS1_11comp_targetILNS1_3genE4ELNS1_11target_archE910ELNS1_3gpuE8ELNS1_3repE0EEENS1_30default_config_static_selectorELNS0_4arch9wavefront6targetE1EEEvSW_,@function
_ZN7rocprim17ROCPRIM_400000_NS6detail17trampoline_kernelINS0_14default_configENS1_22reduce_config_selectorIlEEZNS1_11reduce_implILb1ES3_N6thrust23THRUST_200600_302600_NS11hip_rocprim26transform_input_iterator_tIlNS8_12zip_iteratorINS8_5tupleINS8_6detail15normal_iteratorINS8_10device_ptrIsEEEESH_NS8_9null_typeESI_SI_SI_SI_SI_SI_SI_EEEENS9_21zip_adj_not_predicateI22is_equal_div_10_uniqueIsEEEEEPllNS8_4plusIlEEEE10hipError_tPvRmT1_T2_T3_mT4_P12ihipStream_tbEUlT_E0_NS1_11comp_targetILNS1_3genE4ELNS1_11target_archE910ELNS1_3gpuE8ELNS1_3repE0EEENS1_30default_config_static_selectorELNS0_4arch9wavefront6targetE1EEEvSW_: ; @_ZN7rocprim17ROCPRIM_400000_NS6detail17trampoline_kernelINS0_14default_configENS1_22reduce_config_selectorIlEEZNS1_11reduce_implILb1ES3_N6thrust23THRUST_200600_302600_NS11hip_rocprim26transform_input_iterator_tIlNS8_12zip_iteratorINS8_5tupleINS8_6detail15normal_iteratorINS8_10device_ptrIsEEEESH_NS8_9null_typeESI_SI_SI_SI_SI_SI_SI_EEEENS9_21zip_adj_not_predicateI22is_equal_div_10_uniqueIsEEEEEPllNS8_4plusIlEEEE10hipError_tPvRmT1_T2_T3_mT4_P12ihipStream_tbEUlT_E0_NS1_11comp_targetILNS1_3genE4ELNS1_11target_archE910ELNS1_3gpuE8ELNS1_3repE0EEENS1_30default_config_static_selectorELNS0_4arch9wavefront6targetE1EEEvSW_
; %bb.0:
	.section	.rodata,"a",@progbits
	.p2align	6, 0x0
	.amdhsa_kernel _ZN7rocprim17ROCPRIM_400000_NS6detail17trampoline_kernelINS0_14default_configENS1_22reduce_config_selectorIlEEZNS1_11reduce_implILb1ES3_N6thrust23THRUST_200600_302600_NS11hip_rocprim26transform_input_iterator_tIlNS8_12zip_iteratorINS8_5tupleINS8_6detail15normal_iteratorINS8_10device_ptrIsEEEESH_NS8_9null_typeESI_SI_SI_SI_SI_SI_SI_EEEENS9_21zip_adj_not_predicateI22is_equal_div_10_uniqueIsEEEEEPllNS8_4plusIlEEEE10hipError_tPvRmT1_T2_T3_mT4_P12ihipStream_tbEUlT_E0_NS1_11comp_targetILNS1_3genE4ELNS1_11target_archE910ELNS1_3gpuE8ELNS1_3repE0EEENS1_30default_config_static_selectorELNS0_4arch9wavefront6targetE1EEEvSW_
		.amdhsa_group_segment_fixed_size 0
		.amdhsa_private_segment_fixed_size 0
		.amdhsa_kernarg_size 80
		.amdhsa_user_sgpr_count 6
		.amdhsa_user_sgpr_private_segment_buffer 1
		.amdhsa_user_sgpr_dispatch_ptr 0
		.amdhsa_user_sgpr_queue_ptr 0
		.amdhsa_user_sgpr_kernarg_segment_ptr 1
		.amdhsa_user_sgpr_dispatch_id 0
		.amdhsa_user_sgpr_flat_scratch_init 0
		.amdhsa_user_sgpr_private_segment_size 0
		.amdhsa_uses_dynamic_stack 0
		.amdhsa_system_sgpr_private_segment_wavefront_offset 0
		.amdhsa_system_sgpr_workgroup_id_x 1
		.amdhsa_system_sgpr_workgroup_id_y 0
		.amdhsa_system_sgpr_workgroup_id_z 0
		.amdhsa_system_sgpr_workgroup_info 0
		.amdhsa_system_vgpr_workitem_id 0
		.amdhsa_next_free_vgpr 1
		.amdhsa_next_free_sgpr 0
		.amdhsa_reserve_vcc 0
		.amdhsa_reserve_flat_scratch 0
		.amdhsa_float_round_mode_32 0
		.amdhsa_float_round_mode_16_64 0
		.amdhsa_float_denorm_mode_32 3
		.amdhsa_float_denorm_mode_16_64 3
		.amdhsa_dx10_clamp 1
		.amdhsa_ieee_mode 1
		.amdhsa_fp16_overflow 0
		.amdhsa_exception_fp_ieee_invalid_op 0
		.amdhsa_exception_fp_denorm_src 0
		.amdhsa_exception_fp_ieee_div_zero 0
		.amdhsa_exception_fp_ieee_overflow 0
		.amdhsa_exception_fp_ieee_underflow 0
		.amdhsa_exception_fp_ieee_inexact 0
		.amdhsa_exception_int_div_zero 0
	.end_amdhsa_kernel
	.section	.text._ZN7rocprim17ROCPRIM_400000_NS6detail17trampoline_kernelINS0_14default_configENS1_22reduce_config_selectorIlEEZNS1_11reduce_implILb1ES3_N6thrust23THRUST_200600_302600_NS11hip_rocprim26transform_input_iterator_tIlNS8_12zip_iteratorINS8_5tupleINS8_6detail15normal_iteratorINS8_10device_ptrIsEEEESH_NS8_9null_typeESI_SI_SI_SI_SI_SI_SI_EEEENS9_21zip_adj_not_predicateI22is_equal_div_10_uniqueIsEEEEEPllNS8_4plusIlEEEE10hipError_tPvRmT1_T2_T3_mT4_P12ihipStream_tbEUlT_E0_NS1_11comp_targetILNS1_3genE4ELNS1_11target_archE910ELNS1_3gpuE8ELNS1_3repE0EEENS1_30default_config_static_selectorELNS0_4arch9wavefront6targetE1EEEvSW_,"axG",@progbits,_ZN7rocprim17ROCPRIM_400000_NS6detail17trampoline_kernelINS0_14default_configENS1_22reduce_config_selectorIlEEZNS1_11reduce_implILb1ES3_N6thrust23THRUST_200600_302600_NS11hip_rocprim26transform_input_iterator_tIlNS8_12zip_iteratorINS8_5tupleINS8_6detail15normal_iteratorINS8_10device_ptrIsEEEESH_NS8_9null_typeESI_SI_SI_SI_SI_SI_SI_EEEENS9_21zip_adj_not_predicateI22is_equal_div_10_uniqueIsEEEEEPllNS8_4plusIlEEEE10hipError_tPvRmT1_T2_T3_mT4_P12ihipStream_tbEUlT_E0_NS1_11comp_targetILNS1_3genE4ELNS1_11target_archE910ELNS1_3gpuE8ELNS1_3repE0EEENS1_30default_config_static_selectorELNS0_4arch9wavefront6targetE1EEEvSW_,comdat
.Lfunc_end1015:
	.size	_ZN7rocprim17ROCPRIM_400000_NS6detail17trampoline_kernelINS0_14default_configENS1_22reduce_config_selectorIlEEZNS1_11reduce_implILb1ES3_N6thrust23THRUST_200600_302600_NS11hip_rocprim26transform_input_iterator_tIlNS8_12zip_iteratorINS8_5tupleINS8_6detail15normal_iteratorINS8_10device_ptrIsEEEESH_NS8_9null_typeESI_SI_SI_SI_SI_SI_SI_EEEENS9_21zip_adj_not_predicateI22is_equal_div_10_uniqueIsEEEEEPllNS8_4plusIlEEEE10hipError_tPvRmT1_T2_T3_mT4_P12ihipStream_tbEUlT_E0_NS1_11comp_targetILNS1_3genE4ELNS1_11target_archE910ELNS1_3gpuE8ELNS1_3repE0EEENS1_30default_config_static_selectorELNS0_4arch9wavefront6targetE1EEEvSW_, .Lfunc_end1015-_ZN7rocprim17ROCPRIM_400000_NS6detail17trampoline_kernelINS0_14default_configENS1_22reduce_config_selectorIlEEZNS1_11reduce_implILb1ES3_N6thrust23THRUST_200600_302600_NS11hip_rocprim26transform_input_iterator_tIlNS8_12zip_iteratorINS8_5tupleINS8_6detail15normal_iteratorINS8_10device_ptrIsEEEESH_NS8_9null_typeESI_SI_SI_SI_SI_SI_SI_EEEENS9_21zip_adj_not_predicateI22is_equal_div_10_uniqueIsEEEEEPllNS8_4plusIlEEEE10hipError_tPvRmT1_T2_T3_mT4_P12ihipStream_tbEUlT_E0_NS1_11comp_targetILNS1_3genE4ELNS1_11target_archE910ELNS1_3gpuE8ELNS1_3repE0EEENS1_30default_config_static_selectorELNS0_4arch9wavefront6targetE1EEEvSW_
                                        ; -- End function
	.set _ZN7rocprim17ROCPRIM_400000_NS6detail17trampoline_kernelINS0_14default_configENS1_22reduce_config_selectorIlEEZNS1_11reduce_implILb1ES3_N6thrust23THRUST_200600_302600_NS11hip_rocprim26transform_input_iterator_tIlNS8_12zip_iteratorINS8_5tupleINS8_6detail15normal_iteratorINS8_10device_ptrIsEEEESH_NS8_9null_typeESI_SI_SI_SI_SI_SI_SI_EEEENS9_21zip_adj_not_predicateI22is_equal_div_10_uniqueIsEEEEEPllNS8_4plusIlEEEE10hipError_tPvRmT1_T2_T3_mT4_P12ihipStream_tbEUlT_E0_NS1_11comp_targetILNS1_3genE4ELNS1_11target_archE910ELNS1_3gpuE8ELNS1_3repE0EEENS1_30default_config_static_selectorELNS0_4arch9wavefront6targetE1EEEvSW_.num_vgpr, 0
	.set _ZN7rocprim17ROCPRIM_400000_NS6detail17trampoline_kernelINS0_14default_configENS1_22reduce_config_selectorIlEEZNS1_11reduce_implILb1ES3_N6thrust23THRUST_200600_302600_NS11hip_rocprim26transform_input_iterator_tIlNS8_12zip_iteratorINS8_5tupleINS8_6detail15normal_iteratorINS8_10device_ptrIsEEEESH_NS8_9null_typeESI_SI_SI_SI_SI_SI_SI_EEEENS9_21zip_adj_not_predicateI22is_equal_div_10_uniqueIsEEEEEPllNS8_4plusIlEEEE10hipError_tPvRmT1_T2_T3_mT4_P12ihipStream_tbEUlT_E0_NS1_11comp_targetILNS1_3genE4ELNS1_11target_archE910ELNS1_3gpuE8ELNS1_3repE0EEENS1_30default_config_static_selectorELNS0_4arch9wavefront6targetE1EEEvSW_.num_agpr, 0
	.set _ZN7rocprim17ROCPRIM_400000_NS6detail17trampoline_kernelINS0_14default_configENS1_22reduce_config_selectorIlEEZNS1_11reduce_implILb1ES3_N6thrust23THRUST_200600_302600_NS11hip_rocprim26transform_input_iterator_tIlNS8_12zip_iteratorINS8_5tupleINS8_6detail15normal_iteratorINS8_10device_ptrIsEEEESH_NS8_9null_typeESI_SI_SI_SI_SI_SI_SI_EEEENS9_21zip_adj_not_predicateI22is_equal_div_10_uniqueIsEEEEEPllNS8_4plusIlEEEE10hipError_tPvRmT1_T2_T3_mT4_P12ihipStream_tbEUlT_E0_NS1_11comp_targetILNS1_3genE4ELNS1_11target_archE910ELNS1_3gpuE8ELNS1_3repE0EEENS1_30default_config_static_selectorELNS0_4arch9wavefront6targetE1EEEvSW_.numbered_sgpr, 0
	.set _ZN7rocprim17ROCPRIM_400000_NS6detail17trampoline_kernelINS0_14default_configENS1_22reduce_config_selectorIlEEZNS1_11reduce_implILb1ES3_N6thrust23THRUST_200600_302600_NS11hip_rocprim26transform_input_iterator_tIlNS8_12zip_iteratorINS8_5tupleINS8_6detail15normal_iteratorINS8_10device_ptrIsEEEESH_NS8_9null_typeESI_SI_SI_SI_SI_SI_SI_EEEENS9_21zip_adj_not_predicateI22is_equal_div_10_uniqueIsEEEEEPllNS8_4plusIlEEEE10hipError_tPvRmT1_T2_T3_mT4_P12ihipStream_tbEUlT_E0_NS1_11comp_targetILNS1_3genE4ELNS1_11target_archE910ELNS1_3gpuE8ELNS1_3repE0EEENS1_30default_config_static_selectorELNS0_4arch9wavefront6targetE1EEEvSW_.num_named_barrier, 0
	.set _ZN7rocprim17ROCPRIM_400000_NS6detail17trampoline_kernelINS0_14default_configENS1_22reduce_config_selectorIlEEZNS1_11reduce_implILb1ES3_N6thrust23THRUST_200600_302600_NS11hip_rocprim26transform_input_iterator_tIlNS8_12zip_iteratorINS8_5tupleINS8_6detail15normal_iteratorINS8_10device_ptrIsEEEESH_NS8_9null_typeESI_SI_SI_SI_SI_SI_SI_EEEENS9_21zip_adj_not_predicateI22is_equal_div_10_uniqueIsEEEEEPllNS8_4plusIlEEEE10hipError_tPvRmT1_T2_T3_mT4_P12ihipStream_tbEUlT_E0_NS1_11comp_targetILNS1_3genE4ELNS1_11target_archE910ELNS1_3gpuE8ELNS1_3repE0EEENS1_30default_config_static_selectorELNS0_4arch9wavefront6targetE1EEEvSW_.private_seg_size, 0
	.set _ZN7rocprim17ROCPRIM_400000_NS6detail17trampoline_kernelINS0_14default_configENS1_22reduce_config_selectorIlEEZNS1_11reduce_implILb1ES3_N6thrust23THRUST_200600_302600_NS11hip_rocprim26transform_input_iterator_tIlNS8_12zip_iteratorINS8_5tupleINS8_6detail15normal_iteratorINS8_10device_ptrIsEEEESH_NS8_9null_typeESI_SI_SI_SI_SI_SI_SI_EEEENS9_21zip_adj_not_predicateI22is_equal_div_10_uniqueIsEEEEEPllNS8_4plusIlEEEE10hipError_tPvRmT1_T2_T3_mT4_P12ihipStream_tbEUlT_E0_NS1_11comp_targetILNS1_3genE4ELNS1_11target_archE910ELNS1_3gpuE8ELNS1_3repE0EEENS1_30default_config_static_selectorELNS0_4arch9wavefront6targetE1EEEvSW_.uses_vcc, 0
	.set _ZN7rocprim17ROCPRIM_400000_NS6detail17trampoline_kernelINS0_14default_configENS1_22reduce_config_selectorIlEEZNS1_11reduce_implILb1ES3_N6thrust23THRUST_200600_302600_NS11hip_rocprim26transform_input_iterator_tIlNS8_12zip_iteratorINS8_5tupleINS8_6detail15normal_iteratorINS8_10device_ptrIsEEEESH_NS8_9null_typeESI_SI_SI_SI_SI_SI_SI_EEEENS9_21zip_adj_not_predicateI22is_equal_div_10_uniqueIsEEEEEPllNS8_4plusIlEEEE10hipError_tPvRmT1_T2_T3_mT4_P12ihipStream_tbEUlT_E0_NS1_11comp_targetILNS1_3genE4ELNS1_11target_archE910ELNS1_3gpuE8ELNS1_3repE0EEENS1_30default_config_static_selectorELNS0_4arch9wavefront6targetE1EEEvSW_.uses_flat_scratch, 0
	.set _ZN7rocprim17ROCPRIM_400000_NS6detail17trampoline_kernelINS0_14default_configENS1_22reduce_config_selectorIlEEZNS1_11reduce_implILb1ES3_N6thrust23THRUST_200600_302600_NS11hip_rocprim26transform_input_iterator_tIlNS8_12zip_iteratorINS8_5tupleINS8_6detail15normal_iteratorINS8_10device_ptrIsEEEESH_NS8_9null_typeESI_SI_SI_SI_SI_SI_SI_EEEENS9_21zip_adj_not_predicateI22is_equal_div_10_uniqueIsEEEEEPllNS8_4plusIlEEEE10hipError_tPvRmT1_T2_T3_mT4_P12ihipStream_tbEUlT_E0_NS1_11comp_targetILNS1_3genE4ELNS1_11target_archE910ELNS1_3gpuE8ELNS1_3repE0EEENS1_30default_config_static_selectorELNS0_4arch9wavefront6targetE1EEEvSW_.has_dyn_sized_stack, 0
	.set _ZN7rocprim17ROCPRIM_400000_NS6detail17trampoline_kernelINS0_14default_configENS1_22reduce_config_selectorIlEEZNS1_11reduce_implILb1ES3_N6thrust23THRUST_200600_302600_NS11hip_rocprim26transform_input_iterator_tIlNS8_12zip_iteratorINS8_5tupleINS8_6detail15normal_iteratorINS8_10device_ptrIsEEEESH_NS8_9null_typeESI_SI_SI_SI_SI_SI_SI_EEEENS9_21zip_adj_not_predicateI22is_equal_div_10_uniqueIsEEEEEPllNS8_4plusIlEEEE10hipError_tPvRmT1_T2_T3_mT4_P12ihipStream_tbEUlT_E0_NS1_11comp_targetILNS1_3genE4ELNS1_11target_archE910ELNS1_3gpuE8ELNS1_3repE0EEENS1_30default_config_static_selectorELNS0_4arch9wavefront6targetE1EEEvSW_.has_recursion, 0
	.set _ZN7rocprim17ROCPRIM_400000_NS6detail17trampoline_kernelINS0_14default_configENS1_22reduce_config_selectorIlEEZNS1_11reduce_implILb1ES3_N6thrust23THRUST_200600_302600_NS11hip_rocprim26transform_input_iterator_tIlNS8_12zip_iteratorINS8_5tupleINS8_6detail15normal_iteratorINS8_10device_ptrIsEEEESH_NS8_9null_typeESI_SI_SI_SI_SI_SI_SI_EEEENS9_21zip_adj_not_predicateI22is_equal_div_10_uniqueIsEEEEEPllNS8_4plusIlEEEE10hipError_tPvRmT1_T2_T3_mT4_P12ihipStream_tbEUlT_E0_NS1_11comp_targetILNS1_3genE4ELNS1_11target_archE910ELNS1_3gpuE8ELNS1_3repE0EEENS1_30default_config_static_selectorELNS0_4arch9wavefront6targetE1EEEvSW_.has_indirect_call, 0
	.section	.AMDGPU.csdata,"",@progbits
; Kernel info:
; codeLenInByte = 0
; TotalNumSgprs: 4
; NumVgprs: 0
; ScratchSize: 0
; MemoryBound: 0
; FloatMode: 240
; IeeeMode: 1
; LDSByteSize: 0 bytes/workgroup (compile time only)
; SGPRBlocks: 0
; VGPRBlocks: 0
; NumSGPRsForWavesPerEU: 4
; NumVGPRsForWavesPerEU: 1
; Occupancy: 10
; WaveLimiterHint : 0
; COMPUTE_PGM_RSRC2:SCRATCH_EN: 0
; COMPUTE_PGM_RSRC2:USER_SGPR: 6
; COMPUTE_PGM_RSRC2:TRAP_HANDLER: 0
; COMPUTE_PGM_RSRC2:TGID_X_EN: 1
; COMPUTE_PGM_RSRC2:TGID_Y_EN: 0
; COMPUTE_PGM_RSRC2:TGID_Z_EN: 0
; COMPUTE_PGM_RSRC2:TIDIG_COMP_CNT: 0
	.section	.text._ZN7rocprim17ROCPRIM_400000_NS6detail17trampoline_kernelINS0_14default_configENS1_22reduce_config_selectorIlEEZNS1_11reduce_implILb1ES3_N6thrust23THRUST_200600_302600_NS11hip_rocprim26transform_input_iterator_tIlNS8_12zip_iteratorINS8_5tupleINS8_6detail15normal_iteratorINS8_10device_ptrIsEEEESH_NS8_9null_typeESI_SI_SI_SI_SI_SI_SI_EEEENS9_21zip_adj_not_predicateI22is_equal_div_10_uniqueIsEEEEEPllNS8_4plusIlEEEE10hipError_tPvRmT1_T2_T3_mT4_P12ihipStream_tbEUlT_E0_NS1_11comp_targetILNS1_3genE3ELNS1_11target_archE908ELNS1_3gpuE7ELNS1_3repE0EEENS1_30default_config_static_selectorELNS0_4arch9wavefront6targetE1EEEvSW_,"axG",@progbits,_ZN7rocprim17ROCPRIM_400000_NS6detail17trampoline_kernelINS0_14default_configENS1_22reduce_config_selectorIlEEZNS1_11reduce_implILb1ES3_N6thrust23THRUST_200600_302600_NS11hip_rocprim26transform_input_iterator_tIlNS8_12zip_iteratorINS8_5tupleINS8_6detail15normal_iteratorINS8_10device_ptrIsEEEESH_NS8_9null_typeESI_SI_SI_SI_SI_SI_SI_EEEENS9_21zip_adj_not_predicateI22is_equal_div_10_uniqueIsEEEEEPllNS8_4plusIlEEEE10hipError_tPvRmT1_T2_T3_mT4_P12ihipStream_tbEUlT_E0_NS1_11comp_targetILNS1_3genE3ELNS1_11target_archE908ELNS1_3gpuE7ELNS1_3repE0EEENS1_30default_config_static_selectorELNS0_4arch9wavefront6targetE1EEEvSW_,comdat
	.protected	_ZN7rocprim17ROCPRIM_400000_NS6detail17trampoline_kernelINS0_14default_configENS1_22reduce_config_selectorIlEEZNS1_11reduce_implILb1ES3_N6thrust23THRUST_200600_302600_NS11hip_rocprim26transform_input_iterator_tIlNS8_12zip_iteratorINS8_5tupleINS8_6detail15normal_iteratorINS8_10device_ptrIsEEEESH_NS8_9null_typeESI_SI_SI_SI_SI_SI_SI_EEEENS9_21zip_adj_not_predicateI22is_equal_div_10_uniqueIsEEEEEPllNS8_4plusIlEEEE10hipError_tPvRmT1_T2_T3_mT4_P12ihipStream_tbEUlT_E0_NS1_11comp_targetILNS1_3genE3ELNS1_11target_archE908ELNS1_3gpuE7ELNS1_3repE0EEENS1_30default_config_static_selectorELNS0_4arch9wavefront6targetE1EEEvSW_ ; -- Begin function _ZN7rocprim17ROCPRIM_400000_NS6detail17trampoline_kernelINS0_14default_configENS1_22reduce_config_selectorIlEEZNS1_11reduce_implILb1ES3_N6thrust23THRUST_200600_302600_NS11hip_rocprim26transform_input_iterator_tIlNS8_12zip_iteratorINS8_5tupleINS8_6detail15normal_iteratorINS8_10device_ptrIsEEEESH_NS8_9null_typeESI_SI_SI_SI_SI_SI_SI_EEEENS9_21zip_adj_not_predicateI22is_equal_div_10_uniqueIsEEEEEPllNS8_4plusIlEEEE10hipError_tPvRmT1_T2_T3_mT4_P12ihipStream_tbEUlT_E0_NS1_11comp_targetILNS1_3genE3ELNS1_11target_archE908ELNS1_3gpuE7ELNS1_3repE0EEENS1_30default_config_static_selectorELNS0_4arch9wavefront6targetE1EEEvSW_
	.globl	_ZN7rocprim17ROCPRIM_400000_NS6detail17trampoline_kernelINS0_14default_configENS1_22reduce_config_selectorIlEEZNS1_11reduce_implILb1ES3_N6thrust23THRUST_200600_302600_NS11hip_rocprim26transform_input_iterator_tIlNS8_12zip_iteratorINS8_5tupleINS8_6detail15normal_iteratorINS8_10device_ptrIsEEEESH_NS8_9null_typeESI_SI_SI_SI_SI_SI_SI_EEEENS9_21zip_adj_not_predicateI22is_equal_div_10_uniqueIsEEEEEPllNS8_4plusIlEEEE10hipError_tPvRmT1_T2_T3_mT4_P12ihipStream_tbEUlT_E0_NS1_11comp_targetILNS1_3genE3ELNS1_11target_archE908ELNS1_3gpuE7ELNS1_3repE0EEENS1_30default_config_static_selectorELNS0_4arch9wavefront6targetE1EEEvSW_
	.p2align	8
	.type	_ZN7rocprim17ROCPRIM_400000_NS6detail17trampoline_kernelINS0_14default_configENS1_22reduce_config_selectorIlEEZNS1_11reduce_implILb1ES3_N6thrust23THRUST_200600_302600_NS11hip_rocprim26transform_input_iterator_tIlNS8_12zip_iteratorINS8_5tupleINS8_6detail15normal_iteratorINS8_10device_ptrIsEEEESH_NS8_9null_typeESI_SI_SI_SI_SI_SI_SI_EEEENS9_21zip_adj_not_predicateI22is_equal_div_10_uniqueIsEEEEEPllNS8_4plusIlEEEE10hipError_tPvRmT1_T2_T3_mT4_P12ihipStream_tbEUlT_E0_NS1_11comp_targetILNS1_3genE3ELNS1_11target_archE908ELNS1_3gpuE7ELNS1_3repE0EEENS1_30default_config_static_selectorELNS0_4arch9wavefront6targetE1EEEvSW_,@function
_ZN7rocprim17ROCPRIM_400000_NS6detail17trampoline_kernelINS0_14default_configENS1_22reduce_config_selectorIlEEZNS1_11reduce_implILb1ES3_N6thrust23THRUST_200600_302600_NS11hip_rocprim26transform_input_iterator_tIlNS8_12zip_iteratorINS8_5tupleINS8_6detail15normal_iteratorINS8_10device_ptrIsEEEESH_NS8_9null_typeESI_SI_SI_SI_SI_SI_SI_EEEENS9_21zip_adj_not_predicateI22is_equal_div_10_uniqueIsEEEEEPllNS8_4plusIlEEEE10hipError_tPvRmT1_T2_T3_mT4_P12ihipStream_tbEUlT_E0_NS1_11comp_targetILNS1_3genE3ELNS1_11target_archE908ELNS1_3gpuE7ELNS1_3repE0EEENS1_30default_config_static_selectorELNS0_4arch9wavefront6targetE1EEEvSW_: ; @_ZN7rocprim17ROCPRIM_400000_NS6detail17trampoline_kernelINS0_14default_configENS1_22reduce_config_selectorIlEEZNS1_11reduce_implILb1ES3_N6thrust23THRUST_200600_302600_NS11hip_rocprim26transform_input_iterator_tIlNS8_12zip_iteratorINS8_5tupleINS8_6detail15normal_iteratorINS8_10device_ptrIsEEEESH_NS8_9null_typeESI_SI_SI_SI_SI_SI_SI_EEEENS9_21zip_adj_not_predicateI22is_equal_div_10_uniqueIsEEEEEPllNS8_4plusIlEEEE10hipError_tPvRmT1_T2_T3_mT4_P12ihipStream_tbEUlT_E0_NS1_11comp_targetILNS1_3genE3ELNS1_11target_archE908ELNS1_3gpuE7ELNS1_3repE0EEENS1_30default_config_static_selectorELNS0_4arch9wavefront6targetE1EEEvSW_
; %bb.0:
	.section	.rodata,"a",@progbits
	.p2align	6, 0x0
	.amdhsa_kernel _ZN7rocprim17ROCPRIM_400000_NS6detail17trampoline_kernelINS0_14default_configENS1_22reduce_config_selectorIlEEZNS1_11reduce_implILb1ES3_N6thrust23THRUST_200600_302600_NS11hip_rocprim26transform_input_iterator_tIlNS8_12zip_iteratorINS8_5tupleINS8_6detail15normal_iteratorINS8_10device_ptrIsEEEESH_NS8_9null_typeESI_SI_SI_SI_SI_SI_SI_EEEENS9_21zip_adj_not_predicateI22is_equal_div_10_uniqueIsEEEEEPllNS8_4plusIlEEEE10hipError_tPvRmT1_T2_T3_mT4_P12ihipStream_tbEUlT_E0_NS1_11comp_targetILNS1_3genE3ELNS1_11target_archE908ELNS1_3gpuE7ELNS1_3repE0EEENS1_30default_config_static_selectorELNS0_4arch9wavefront6targetE1EEEvSW_
		.amdhsa_group_segment_fixed_size 0
		.amdhsa_private_segment_fixed_size 0
		.amdhsa_kernarg_size 80
		.amdhsa_user_sgpr_count 6
		.amdhsa_user_sgpr_private_segment_buffer 1
		.amdhsa_user_sgpr_dispatch_ptr 0
		.amdhsa_user_sgpr_queue_ptr 0
		.amdhsa_user_sgpr_kernarg_segment_ptr 1
		.amdhsa_user_sgpr_dispatch_id 0
		.amdhsa_user_sgpr_flat_scratch_init 0
		.amdhsa_user_sgpr_private_segment_size 0
		.amdhsa_uses_dynamic_stack 0
		.amdhsa_system_sgpr_private_segment_wavefront_offset 0
		.amdhsa_system_sgpr_workgroup_id_x 1
		.amdhsa_system_sgpr_workgroup_id_y 0
		.amdhsa_system_sgpr_workgroup_id_z 0
		.amdhsa_system_sgpr_workgroup_info 0
		.amdhsa_system_vgpr_workitem_id 0
		.amdhsa_next_free_vgpr 1
		.amdhsa_next_free_sgpr 0
		.amdhsa_reserve_vcc 0
		.amdhsa_reserve_flat_scratch 0
		.amdhsa_float_round_mode_32 0
		.amdhsa_float_round_mode_16_64 0
		.amdhsa_float_denorm_mode_32 3
		.amdhsa_float_denorm_mode_16_64 3
		.amdhsa_dx10_clamp 1
		.amdhsa_ieee_mode 1
		.amdhsa_fp16_overflow 0
		.amdhsa_exception_fp_ieee_invalid_op 0
		.amdhsa_exception_fp_denorm_src 0
		.amdhsa_exception_fp_ieee_div_zero 0
		.amdhsa_exception_fp_ieee_overflow 0
		.amdhsa_exception_fp_ieee_underflow 0
		.amdhsa_exception_fp_ieee_inexact 0
		.amdhsa_exception_int_div_zero 0
	.end_amdhsa_kernel
	.section	.text._ZN7rocprim17ROCPRIM_400000_NS6detail17trampoline_kernelINS0_14default_configENS1_22reduce_config_selectorIlEEZNS1_11reduce_implILb1ES3_N6thrust23THRUST_200600_302600_NS11hip_rocprim26transform_input_iterator_tIlNS8_12zip_iteratorINS8_5tupleINS8_6detail15normal_iteratorINS8_10device_ptrIsEEEESH_NS8_9null_typeESI_SI_SI_SI_SI_SI_SI_EEEENS9_21zip_adj_not_predicateI22is_equal_div_10_uniqueIsEEEEEPllNS8_4plusIlEEEE10hipError_tPvRmT1_T2_T3_mT4_P12ihipStream_tbEUlT_E0_NS1_11comp_targetILNS1_3genE3ELNS1_11target_archE908ELNS1_3gpuE7ELNS1_3repE0EEENS1_30default_config_static_selectorELNS0_4arch9wavefront6targetE1EEEvSW_,"axG",@progbits,_ZN7rocprim17ROCPRIM_400000_NS6detail17trampoline_kernelINS0_14default_configENS1_22reduce_config_selectorIlEEZNS1_11reduce_implILb1ES3_N6thrust23THRUST_200600_302600_NS11hip_rocprim26transform_input_iterator_tIlNS8_12zip_iteratorINS8_5tupleINS8_6detail15normal_iteratorINS8_10device_ptrIsEEEESH_NS8_9null_typeESI_SI_SI_SI_SI_SI_SI_EEEENS9_21zip_adj_not_predicateI22is_equal_div_10_uniqueIsEEEEEPllNS8_4plusIlEEEE10hipError_tPvRmT1_T2_T3_mT4_P12ihipStream_tbEUlT_E0_NS1_11comp_targetILNS1_3genE3ELNS1_11target_archE908ELNS1_3gpuE7ELNS1_3repE0EEENS1_30default_config_static_selectorELNS0_4arch9wavefront6targetE1EEEvSW_,comdat
.Lfunc_end1016:
	.size	_ZN7rocprim17ROCPRIM_400000_NS6detail17trampoline_kernelINS0_14default_configENS1_22reduce_config_selectorIlEEZNS1_11reduce_implILb1ES3_N6thrust23THRUST_200600_302600_NS11hip_rocprim26transform_input_iterator_tIlNS8_12zip_iteratorINS8_5tupleINS8_6detail15normal_iteratorINS8_10device_ptrIsEEEESH_NS8_9null_typeESI_SI_SI_SI_SI_SI_SI_EEEENS9_21zip_adj_not_predicateI22is_equal_div_10_uniqueIsEEEEEPllNS8_4plusIlEEEE10hipError_tPvRmT1_T2_T3_mT4_P12ihipStream_tbEUlT_E0_NS1_11comp_targetILNS1_3genE3ELNS1_11target_archE908ELNS1_3gpuE7ELNS1_3repE0EEENS1_30default_config_static_selectorELNS0_4arch9wavefront6targetE1EEEvSW_, .Lfunc_end1016-_ZN7rocprim17ROCPRIM_400000_NS6detail17trampoline_kernelINS0_14default_configENS1_22reduce_config_selectorIlEEZNS1_11reduce_implILb1ES3_N6thrust23THRUST_200600_302600_NS11hip_rocprim26transform_input_iterator_tIlNS8_12zip_iteratorINS8_5tupleINS8_6detail15normal_iteratorINS8_10device_ptrIsEEEESH_NS8_9null_typeESI_SI_SI_SI_SI_SI_SI_EEEENS9_21zip_adj_not_predicateI22is_equal_div_10_uniqueIsEEEEEPllNS8_4plusIlEEEE10hipError_tPvRmT1_T2_T3_mT4_P12ihipStream_tbEUlT_E0_NS1_11comp_targetILNS1_3genE3ELNS1_11target_archE908ELNS1_3gpuE7ELNS1_3repE0EEENS1_30default_config_static_selectorELNS0_4arch9wavefront6targetE1EEEvSW_
                                        ; -- End function
	.set _ZN7rocprim17ROCPRIM_400000_NS6detail17trampoline_kernelINS0_14default_configENS1_22reduce_config_selectorIlEEZNS1_11reduce_implILb1ES3_N6thrust23THRUST_200600_302600_NS11hip_rocprim26transform_input_iterator_tIlNS8_12zip_iteratorINS8_5tupleINS8_6detail15normal_iteratorINS8_10device_ptrIsEEEESH_NS8_9null_typeESI_SI_SI_SI_SI_SI_SI_EEEENS9_21zip_adj_not_predicateI22is_equal_div_10_uniqueIsEEEEEPllNS8_4plusIlEEEE10hipError_tPvRmT1_T2_T3_mT4_P12ihipStream_tbEUlT_E0_NS1_11comp_targetILNS1_3genE3ELNS1_11target_archE908ELNS1_3gpuE7ELNS1_3repE0EEENS1_30default_config_static_selectorELNS0_4arch9wavefront6targetE1EEEvSW_.num_vgpr, 0
	.set _ZN7rocprim17ROCPRIM_400000_NS6detail17trampoline_kernelINS0_14default_configENS1_22reduce_config_selectorIlEEZNS1_11reduce_implILb1ES3_N6thrust23THRUST_200600_302600_NS11hip_rocprim26transform_input_iterator_tIlNS8_12zip_iteratorINS8_5tupleINS8_6detail15normal_iteratorINS8_10device_ptrIsEEEESH_NS8_9null_typeESI_SI_SI_SI_SI_SI_SI_EEEENS9_21zip_adj_not_predicateI22is_equal_div_10_uniqueIsEEEEEPllNS8_4plusIlEEEE10hipError_tPvRmT1_T2_T3_mT4_P12ihipStream_tbEUlT_E0_NS1_11comp_targetILNS1_3genE3ELNS1_11target_archE908ELNS1_3gpuE7ELNS1_3repE0EEENS1_30default_config_static_selectorELNS0_4arch9wavefront6targetE1EEEvSW_.num_agpr, 0
	.set _ZN7rocprim17ROCPRIM_400000_NS6detail17trampoline_kernelINS0_14default_configENS1_22reduce_config_selectorIlEEZNS1_11reduce_implILb1ES3_N6thrust23THRUST_200600_302600_NS11hip_rocprim26transform_input_iterator_tIlNS8_12zip_iteratorINS8_5tupleINS8_6detail15normal_iteratorINS8_10device_ptrIsEEEESH_NS8_9null_typeESI_SI_SI_SI_SI_SI_SI_EEEENS9_21zip_adj_not_predicateI22is_equal_div_10_uniqueIsEEEEEPllNS8_4plusIlEEEE10hipError_tPvRmT1_T2_T3_mT4_P12ihipStream_tbEUlT_E0_NS1_11comp_targetILNS1_3genE3ELNS1_11target_archE908ELNS1_3gpuE7ELNS1_3repE0EEENS1_30default_config_static_selectorELNS0_4arch9wavefront6targetE1EEEvSW_.numbered_sgpr, 0
	.set _ZN7rocprim17ROCPRIM_400000_NS6detail17trampoline_kernelINS0_14default_configENS1_22reduce_config_selectorIlEEZNS1_11reduce_implILb1ES3_N6thrust23THRUST_200600_302600_NS11hip_rocprim26transform_input_iterator_tIlNS8_12zip_iteratorINS8_5tupleINS8_6detail15normal_iteratorINS8_10device_ptrIsEEEESH_NS8_9null_typeESI_SI_SI_SI_SI_SI_SI_EEEENS9_21zip_adj_not_predicateI22is_equal_div_10_uniqueIsEEEEEPllNS8_4plusIlEEEE10hipError_tPvRmT1_T2_T3_mT4_P12ihipStream_tbEUlT_E0_NS1_11comp_targetILNS1_3genE3ELNS1_11target_archE908ELNS1_3gpuE7ELNS1_3repE0EEENS1_30default_config_static_selectorELNS0_4arch9wavefront6targetE1EEEvSW_.num_named_barrier, 0
	.set _ZN7rocprim17ROCPRIM_400000_NS6detail17trampoline_kernelINS0_14default_configENS1_22reduce_config_selectorIlEEZNS1_11reduce_implILb1ES3_N6thrust23THRUST_200600_302600_NS11hip_rocprim26transform_input_iterator_tIlNS8_12zip_iteratorINS8_5tupleINS8_6detail15normal_iteratorINS8_10device_ptrIsEEEESH_NS8_9null_typeESI_SI_SI_SI_SI_SI_SI_EEEENS9_21zip_adj_not_predicateI22is_equal_div_10_uniqueIsEEEEEPllNS8_4plusIlEEEE10hipError_tPvRmT1_T2_T3_mT4_P12ihipStream_tbEUlT_E0_NS1_11comp_targetILNS1_3genE3ELNS1_11target_archE908ELNS1_3gpuE7ELNS1_3repE0EEENS1_30default_config_static_selectorELNS0_4arch9wavefront6targetE1EEEvSW_.private_seg_size, 0
	.set _ZN7rocprim17ROCPRIM_400000_NS6detail17trampoline_kernelINS0_14default_configENS1_22reduce_config_selectorIlEEZNS1_11reduce_implILb1ES3_N6thrust23THRUST_200600_302600_NS11hip_rocprim26transform_input_iterator_tIlNS8_12zip_iteratorINS8_5tupleINS8_6detail15normal_iteratorINS8_10device_ptrIsEEEESH_NS8_9null_typeESI_SI_SI_SI_SI_SI_SI_EEEENS9_21zip_adj_not_predicateI22is_equal_div_10_uniqueIsEEEEEPllNS8_4plusIlEEEE10hipError_tPvRmT1_T2_T3_mT4_P12ihipStream_tbEUlT_E0_NS1_11comp_targetILNS1_3genE3ELNS1_11target_archE908ELNS1_3gpuE7ELNS1_3repE0EEENS1_30default_config_static_selectorELNS0_4arch9wavefront6targetE1EEEvSW_.uses_vcc, 0
	.set _ZN7rocprim17ROCPRIM_400000_NS6detail17trampoline_kernelINS0_14default_configENS1_22reduce_config_selectorIlEEZNS1_11reduce_implILb1ES3_N6thrust23THRUST_200600_302600_NS11hip_rocprim26transform_input_iterator_tIlNS8_12zip_iteratorINS8_5tupleINS8_6detail15normal_iteratorINS8_10device_ptrIsEEEESH_NS8_9null_typeESI_SI_SI_SI_SI_SI_SI_EEEENS9_21zip_adj_not_predicateI22is_equal_div_10_uniqueIsEEEEEPllNS8_4plusIlEEEE10hipError_tPvRmT1_T2_T3_mT4_P12ihipStream_tbEUlT_E0_NS1_11comp_targetILNS1_3genE3ELNS1_11target_archE908ELNS1_3gpuE7ELNS1_3repE0EEENS1_30default_config_static_selectorELNS0_4arch9wavefront6targetE1EEEvSW_.uses_flat_scratch, 0
	.set _ZN7rocprim17ROCPRIM_400000_NS6detail17trampoline_kernelINS0_14default_configENS1_22reduce_config_selectorIlEEZNS1_11reduce_implILb1ES3_N6thrust23THRUST_200600_302600_NS11hip_rocprim26transform_input_iterator_tIlNS8_12zip_iteratorINS8_5tupleINS8_6detail15normal_iteratorINS8_10device_ptrIsEEEESH_NS8_9null_typeESI_SI_SI_SI_SI_SI_SI_EEEENS9_21zip_adj_not_predicateI22is_equal_div_10_uniqueIsEEEEEPllNS8_4plusIlEEEE10hipError_tPvRmT1_T2_T3_mT4_P12ihipStream_tbEUlT_E0_NS1_11comp_targetILNS1_3genE3ELNS1_11target_archE908ELNS1_3gpuE7ELNS1_3repE0EEENS1_30default_config_static_selectorELNS0_4arch9wavefront6targetE1EEEvSW_.has_dyn_sized_stack, 0
	.set _ZN7rocprim17ROCPRIM_400000_NS6detail17trampoline_kernelINS0_14default_configENS1_22reduce_config_selectorIlEEZNS1_11reduce_implILb1ES3_N6thrust23THRUST_200600_302600_NS11hip_rocprim26transform_input_iterator_tIlNS8_12zip_iteratorINS8_5tupleINS8_6detail15normal_iteratorINS8_10device_ptrIsEEEESH_NS8_9null_typeESI_SI_SI_SI_SI_SI_SI_EEEENS9_21zip_adj_not_predicateI22is_equal_div_10_uniqueIsEEEEEPllNS8_4plusIlEEEE10hipError_tPvRmT1_T2_T3_mT4_P12ihipStream_tbEUlT_E0_NS1_11comp_targetILNS1_3genE3ELNS1_11target_archE908ELNS1_3gpuE7ELNS1_3repE0EEENS1_30default_config_static_selectorELNS0_4arch9wavefront6targetE1EEEvSW_.has_recursion, 0
	.set _ZN7rocprim17ROCPRIM_400000_NS6detail17trampoline_kernelINS0_14default_configENS1_22reduce_config_selectorIlEEZNS1_11reduce_implILb1ES3_N6thrust23THRUST_200600_302600_NS11hip_rocprim26transform_input_iterator_tIlNS8_12zip_iteratorINS8_5tupleINS8_6detail15normal_iteratorINS8_10device_ptrIsEEEESH_NS8_9null_typeESI_SI_SI_SI_SI_SI_SI_EEEENS9_21zip_adj_not_predicateI22is_equal_div_10_uniqueIsEEEEEPllNS8_4plusIlEEEE10hipError_tPvRmT1_T2_T3_mT4_P12ihipStream_tbEUlT_E0_NS1_11comp_targetILNS1_3genE3ELNS1_11target_archE908ELNS1_3gpuE7ELNS1_3repE0EEENS1_30default_config_static_selectorELNS0_4arch9wavefront6targetE1EEEvSW_.has_indirect_call, 0
	.section	.AMDGPU.csdata,"",@progbits
; Kernel info:
; codeLenInByte = 0
; TotalNumSgprs: 4
; NumVgprs: 0
; ScratchSize: 0
; MemoryBound: 0
; FloatMode: 240
; IeeeMode: 1
; LDSByteSize: 0 bytes/workgroup (compile time only)
; SGPRBlocks: 0
; VGPRBlocks: 0
; NumSGPRsForWavesPerEU: 4
; NumVGPRsForWavesPerEU: 1
; Occupancy: 10
; WaveLimiterHint : 0
; COMPUTE_PGM_RSRC2:SCRATCH_EN: 0
; COMPUTE_PGM_RSRC2:USER_SGPR: 6
; COMPUTE_PGM_RSRC2:TRAP_HANDLER: 0
; COMPUTE_PGM_RSRC2:TGID_X_EN: 1
; COMPUTE_PGM_RSRC2:TGID_Y_EN: 0
; COMPUTE_PGM_RSRC2:TGID_Z_EN: 0
; COMPUTE_PGM_RSRC2:TIDIG_COMP_CNT: 0
	.section	.text._ZN7rocprim17ROCPRIM_400000_NS6detail17trampoline_kernelINS0_14default_configENS1_22reduce_config_selectorIlEEZNS1_11reduce_implILb1ES3_N6thrust23THRUST_200600_302600_NS11hip_rocprim26transform_input_iterator_tIlNS8_12zip_iteratorINS8_5tupleINS8_6detail15normal_iteratorINS8_10device_ptrIsEEEESH_NS8_9null_typeESI_SI_SI_SI_SI_SI_SI_EEEENS9_21zip_adj_not_predicateI22is_equal_div_10_uniqueIsEEEEEPllNS8_4plusIlEEEE10hipError_tPvRmT1_T2_T3_mT4_P12ihipStream_tbEUlT_E0_NS1_11comp_targetILNS1_3genE2ELNS1_11target_archE906ELNS1_3gpuE6ELNS1_3repE0EEENS1_30default_config_static_selectorELNS0_4arch9wavefront6targetE1EEEvSW_,"axG",@progbits,_ZN7rocprim17ROCPRIM_400000_NS6detail17trampoline_kernelINS0_14default_configENS1_22reduce_config_selectorIlEEZNS1_11reduce_implILb1ES3_N6thrust23THRUST_200600_302600_NS11hip_rocprim26transform_input_iterator_tIlNS8_12zip_iteratorINS8_5tupleINS8_6detail15normal_iteratorINS8_10device_ptrIsEEEESH_NS8_9null_typeESI_SI_SI_SI_SI_SI_SI_EEEENS9_21zip_adj_not_predicateI22is_equal_div_10_uniqueIsEEEEEPllNS8_4plusIlEEEE10hipError_tPvRmT1_T2_T3_mT4_P12ihipStream_tbEUlT_E0_NS1_11comp_targetILNS1_3genE2ELNS1_11target_archE906ELNS1_3gpuE6ELNS1_3repE0EEENS1_30default_config_static_selectorELNS0_4arch9wavefront6targetE1EEEvSW_,comdat
	.protected	_ZN7rocprim17ROCPRIM_400000_NS6detail17trampoline_kernelINS0_14default_configENS1_22reduce_config_selectorIlEEZNS1_11reduce_implILb1ES3_N6thrust23THRUST_200600_302600_NS11hip_rocprim26transform_input_iterator_tIlNS8_12zip_iteratorINS8_5tupleINS8_6detail15normal_iteratorINS8_10device_ptrIsEEEESH_NS8_9null_typeESI_SI_SI_SI_SI_SI_SI_EEEENS9_21zip_adj_not_predicateI22is_equal_div_10_uniqueIsEEEEEPllNS8_4plusIlEEEE10hipError_tPvRmT1_T2_T3_mT4_P12ihipStream_tbEUlT_E0_NS1_11comp_targetILNS1_3genE2ELNS1_11target_archE906ELNS1_3gpuE6ELNS1_3repE0EEENS1_30default_config_static_selectorELNS0_4arch9wavefront6targetE1EEEvSW_ ; -- Begin function _ZN7rocprim17ROCPRIM_400000_NS6detail17trampoline_kernelINS0_14default_configENS1_22reduce_config_selectorIlEEZNS1_11reduce_implILb1ES3_N6thrust23THRUST_200600_302600_NS11hip_rocprim26transform_input_iterator_tIlNS8_12zip_iteratorINS8_5tupleINS8_6detail15normal_iteratorINS8_10device_ptrIsEEEESH_NS8_9null_typeESI_SI_SI_SI_SI_SI_SI_EEEENS9_21zip_adj_not_predicateI22is_equal_div_10_uniqueIsEEEEEPllNS8_4plusIlEEEE10hipError_tPvRmT1_T2_T3_mT4_P12ihipStream_tbEUlT_E0_NS1_11comp_targetILNS1_3genE2ELNS1_11target_archE906ELNS1_3gpuE6ELNS1_3repE0EEENS1_30default_config_static_selectorELNS0_4arch9wavefront6targetE1EEEvSW_
	.globl	_ZN7rocprim17ROCPRIM_400000_NS6detail17trampoline_kernelINS0_14default_configENS1_22reduce_config_selectorIlEEZNS1_11reduce_implILb1ES3_N6thrust23THRUST_200600_302600_NS11hip_rocprim26transform_input_iterator_tIlNS8_12zip_iteratorINS8_5tupleINS8_6detail15normal_iteratorINS8_10device_ptrIsEEEESH_NS8_9null_typeESI_SI_SI_SI_SI_SI_SI_EEEENS9_21zip_adj_not_predicateI22is_equal_div_10_uniqueIsEEEEEPllNS8_4plusIlEEEE10hipError_tPvRmT1_T2_T3_mT4_P12ihipStream_tbEUlT_E0_NS1_11comp_targetILNS1_3genE2ELNS1_11target_archE906ELNS1_3gpuE6ELNS1_3repE0EEENS1_30default_config_static_selectorELNS0_4arch9wavefront6targetE1EEEvSW_
	.p2align	8
	.type	_ZN7rocprim17ROCPRIM_400000_NS6detail17trampoline_kernelINS0_14default_configENS1_22reduce_config_selectorIlEEZNS1_11reduce_implILb1ES3_N6thrust23THRUST_200600_302600_NS11hip_rocprim26transform_input_iterator_tIlNS8_12zip_iteratorINS8_5tupleINS8_6detail15normal_iteratorINS8_10device_ptrIsEEEESH_NS8_9null_typeESI_SI_SI_SI_SI_SI_SI_EEEENS9_21zip_adj_not_predicateI22is_equal_div_10_uniqueIsEEEEEPllNS8_4plusIlEEEE10hipError_tPvRmT1_T2_T3_mT4_P12ihipStream_tbEUlT_E0_NS1_11comp_targetILNS1_3genE2ELNS1_11target_archE906ELNS1_3gpuE6ELNS1_3repE0EEENS1_30default_config_static_selectorELNS0_4arch9wavefront6targetE1EEEvSW_,@function
_ZN7rocprim17ROCPRIM_400000_NS6detail17trampoline_kernelINS0_14default_configENS1_22reduce_config_selectorIlEEZNS1_11reduce_implILb1ES3_N6thrust23THRUST_200600_302600_NS11hip_rocprim26transform_input_iterator_tIlNS8_12zip_iteratorINS8_5tupleINS8_6detail15normal_iteratorINS8_10device_ptrIsEEEESH_NS8_9null_typeESI_SI_SI_SI_SI_SI_SI_EEEENS9_21zip_adj_not_predicateI22is_equal_div_10_uniqueIsEEEEEPllNS8_4plusIlEEEE10hipError_tPvRmT1_T2_T3_mT4_P12ihipStream_tbEUlT_E0_NS1_11comp_targetILNS1_3genE2ELNS1_11target_archE906ELNS1_3gpuE6ELNS1_3repE0EEENS1_30default_config_static_selectorELNS0_4arch9wavefront6targetE1EEEvSW_: ; @_ZN7rocprim17ROCPRIM_400000_NS6detail17trampoline_kernelINS0_14default_configENS1_22reduce_config_selectorIlEEZNS1_11reduce_implILb1ES3_N6thrust23THRUST_200600_302600_NS11hip_rocprim26transform_input_iterator_tIlNS8_12zip_iteratorINS8_5tupleINS8_6detail15normal_iteratorINS8_10device_ptrIsEEEESH_NS8_9null_typeESI_SI_SI_SI_SI_SI_SI_EEEENS9_21zip_adj_not_predicateI22is_equal_div_10_uniqueIsEEEEEPllNS8_4plusIlEEEE10hipError_tPvRmT1_T2_T3_mT4_P12ihipStream_tbEUlT_E0_NS1_11comp_targetILNS1_3genE2ELNS1_11target_archE906ELNS1_3gpuE6ELNS1_3repE0EEENS1_30default_config_static_selectorELNS0_4arch9wavefront6targetE1EEEvSW_
; %bb.0:
	s_load_dwordx8 s[8:15], s[4:5], 0x18
	s_load_dwordx4 s[0:3], s[4:5], 0x0
	s_load_dwordx4 s[16:19], s[4:5], 0x38
	v_lshlrev_b32_e32 v6, 1, v0
	v_mbcnt_lo_u32_b32 v5, -1, 0
	s_waitcnt lgkmcnt(0)
	s_lshl_b64 s[4:5], s[8:9], 1
	s_add_u32 s0, s0, s4
	s_addc_u32 s1, s1, s5
	s_add_u32 s20, s2, s4
	s_addc_u32 s21, s3, s5
	s_lshl_b32 s4, s6, 9
	s_mov_b32 s5, 0
	s_lshr_b64 s[8:9], s[10:11], 9
	s_lshl_b64 s[2:3], s[4:5], 1
	s_add_u32 s0, s0, s2
	s_addc_u32 s1, s1, s3
	s_add_u32 s2, s20, s2
	s_mov_b32 s7, s5
	s_addc_u32 s3, s21, s3
	s_cmp_lg_u64 s[8:9], s[6:7]
	s_cbranch_scc0 .LBB1017_6
; %bb.1:
	global_load_sshort v1, v6, s[0:1]
	global_load_sshort v2, v6, s[2:3]
	global_load_sshort v7, v6, s[2:3] offset:512
	global_load_sshort v8, v6, s[0:1] offset:512
	v_mov_b32_e32 v4, 0
	v_mbcnt_hi_u32_b32 v3, -1, v5
	s_waitcnt vmcnt(3)
	v_mul_i32_i24_e32 v1, 0x6667, v1
	s_waitcnt vmcnt(2)
	v_mul_i32_i24_e32 v2, 0x6667, v2
	s_waitcnt vmcnt(1)
	v_mul_i32_i24_e32 v7, 0x6667, v7
	s_waitcnt vmcnt(0)
	v_mul_i32_i24_e32 v8, 0x6667, v8
	v_lshrrev_b32_e32 v11, 31, v1
	v_ashrrev_i32_e32 v1, 18, v1
	v_lshrrev_b32_e32 v12, 31, v2
	v_ashrrev_i32_e32 v2, 18, v2
	v_lshrrev_b32_e32 v13, 31, v8
	v_ashrrev_i32_e32 v8, 18, v8
	v_lshrrev_b32_e32 v14, 31, v7
	v_ashrrev_i32_e32 v7, 18, v7
	v_add_u16_e32 v1, v1, v11
	v_add_u16_e32 v2, v2, v12
	;; [unrolled: 1-line block ×4, first 2 shown]
	v_cmp_ne_u16_e32 vcc, v1, v2
	v_cndmask_b32_e64 v1, 0, 1, vcc
	v_cmp_ne_u16_e32 vcc, v8, v7
	v_addc_co_u32_e32 v1, vcc, 0, v1, vcc
	v_mov_b32_dpp v9, v4 quad_perm:[1,0,3,2] row_mask:0xf bank_mask:0xf bound_ctrl:1
	s_nop 0
	v_mov_b32_dpp v2, v1 quad_perm:[1,0,3,2] row_mask:0xf bank_mask:0xf bound_ctrl:1
	v_add_co_u32_e32 v1, vcc, v1, v2
	v_addc_co_u32_e64 v2, s[8:9], 0, 0, vcc
	v_add_co_u32_e32 v7, vcc, 0, v1
	v_addc_co_u32_e32 v2, vcc, v9, v2, vcc
	v_mov_b32_dpp v1, v1 quad_perm:[2,3,0,1] row_mask:0xf bank_mask:0xf bound_ctrl:1
	v_add_co_u32_e32 v1, vcc, v7, v1
	v_mov_b32_dpp v8, v2 quad_perm:[2,3,0,1] row_mask:0xf bank_mask:0xf bound_ctrl:1
	v_addc_co_u32_e32 v2, vcc, 0, v2, vcc
	v_add_co_u32_e32 v7, vcc, 0, v1
	v_addc_co_u32_e32 v2, vcc, v2, v8, vcc
	v_mov_b32_dpp v1, v1 row_ror:4 row_mask:0xf bank_mask:0xf bound_ctrl:1
	v_add_co_u32_e32 v1, vcc, v7, v1
	v_mov_b32_dpp v8, v2 row_ror:4 row_mask:0xf bank_mask:0xf bound_ctrl:1
	v_addc_co_u32_e32 v2, vcc, 0, v2, vcc
	v_add_co_u32_e32 v7, vcc, 0, v1
	v_addc_co_u32_e32 v2, vcc, v2, v8, vcc
	v_mov_b32_dpp v1, v1 row_ror:8 row_mask:0xf bank_mask:0xf bound_ctrl:1
	v_add_co_u32_e32 v1, vcc, v7, v1
	v_mov_b32_dpp v8, v2 row_ror:8 row_mask:0xf bank_mask:0xf bound_ctrl:1
	v_addc_co_u32_e32 v2, vcc, 0, v2, vcc
	v_add_co_u32_e32 v7, vcc, 0, v1
	v_addc_co_u32_e32 v2, vcc, v2, v8, vcc
	v_mov_b32_dpp v1, v1 row_bcast:15 row_mask:0xf bank_mask:0xf bound_ctrl:1
	v_add_co_u32_e32 v1, vcc, v7, v1
	v_mov_b32_dpp v8, v2 row_bcast:15 row_mask:0xf bank_mask:0xf bound_ctrl:1
	v_addc_co_u32_e32 v2, vcc, 0, v2, vcc
	v_add_co_u32_e32 v7, vcc, 0, v1
	v_addc_co_u32_e32 v2, vcc, v2, v8, vcc
	v_mov_b32_dpp v1, v1 row_bcast:31 row_mask:0xf bank_mask:0xf bound_ctrl:1
	v_add_co_u32_e32 v1, vcc, v7, v1
	v_lshlrev_b32_e32 v4, 2, v3
	v_addc_co_u32_e32 v7, vcc, 0, v2, vcc
	v_or_b32_e32 v10, 0xfc, v4
	s_nop 0
	v_add_u32_dpp v2, v2, v7 row_bcast:31 row_mask:0xf bank_mask:0xf bound_ctrl:1
	ds_bpermute_b32 v1, v10, v1
	ds_bpermute_b32 v2, v10, v2
	v_cmp_eq_u32_e32 vcc, 0, v3
	s_and_saveexec_b64 s[8:9], vcc
	s_cbranch_execz .LBB1017_3
; %bb.2:
	v_lshrrev_b32_e32 v7, 3, v0
	v_and_b32_e32 v7, 24, v7
	s_waitcnt lgkmcnt(0)
	ds_write_b64 v7, v[1:2]
.LBB1017_3:
	s_or_b64 exec, exec, s[8:9]
	v_cmp_gt_u32_e32 vcc, 64, v0
	s_waitcnt lgkmcnt(0)
	s_barrier
	s_and_saveexec_b64 s[8:9], vcc
	s_cbranch_execz .LBB1017_5
; %bb.4:
	v_and_b32_e32 v7, 3, v3
	v_lshlrev_b32_e32 v1, 3, v7
	ds_read_b64 v[1:2], v1
	v_cmp_ne_u32_e32 vcc, 3, v7
	v_addc_co_u32_e32 v3, vcc, 0, v3, vcc
	v_lshlrev_b32_e32 v3, 2, v3
	s_waitcnt lgkmcnt(0)
	ds_bpermute_b32 v7, v3, v1
	ds_bpermute_b32 v3, v3, v2
	v_or_b32_e32 v4, 8, v4
	s_waitcnt lgkmcnt(1)
	v_add_co_u32_e32 v1, vcc, v1, v7
	v_addc_co_u32_e32 v2, vcc, 0, v2, vcc
	ds_bpermute_b32 v7, v4, v1
	v_add_co_u32_e32 v1, vcc, 0, v1
	s_waitcnt lgkmcnt(1)
	v_addc_co_u32_e32 v2, vcc, v3, v2, vcc
	ds_bpermute_b32 v3, v4, v2
	s_waitcnt lgkmcnt(1)
	v_add_co_u32_e32 v1, vcc, v1, v7
	v_addc_co_u32_e32 v2, vcc, 0, v2, vcc
	v_add_co_u32_e32 v1, vcc, 0, v1
	s_waitcnt lgkmcnt(0)
	v_addc_co_u32_e32 v2, vcc, v2, v3, vcc
.LBB1017_5:
	s_or_b64 exec, exec, s[8:9]
	s_branch .LBB1017_28
.LBB1017_6:
                                        ; implicit-def: $vgpr1_vgpr2
	s_cbranch_execz .LBB1017_28
; %bb.7:
	s_sub_i32 s8, s10, s4
	v_mov_b32_e32 v1, 0
	v_cmp_gt_u32_e32 vcc, s8, v0
	v_mov_b32_e32 v2, v1
	v_mov_b32_e32 v3, v1
	;; [unrolled: 1-line block ×3, first 2 shown]
	s_and_saveexec_b64 s[4:5], vcc
	s_cbranch_execz .LBB1017_9
; %bb.8:
	global_load_sshort v2, v6, s[0:1]
	global_load_sshort v3, v6, s[2:3]
	v_mov_b32_e32 v8, v1
	v_mov_b32_e32 v9, v1
	;; [unrolled: 1-line block ×3, first 2 shown]
	s_waitcnt vmcnt(1)
	v_mul_i32_i24_e32 v2, 0x6667, v2
	s_waitcnt vmcnt(0)
	v_mul_i32_i24_e32 v3, 0x6667, v3
	v_lshrrev_b32_e32 v4, 31, v2
	v_ashrrev_i32_e32 v2, 18, v2
	v_lshrrev_b32_e32 v7, 31, v3
	v_ashrrev_i32_e32 v3, 18, v3
	v_add_u16_e32 v2, v2, v4
	v_add_u16_e32 v3, v3, v7
	v_cmp_ne_u16_e32 vcc, v2, v3
	v_cndmask_b32_e64 v2, 0, 1, vcc
	v_and_b32_e32 v7, 0xffff, v2
	v_mov_b32_e32 v1, v7
	v_mov_b32_e32 v2, v8
	;; [unrolled: 1-line block ×4, first 2 shown]
.LBB1017_9:
	s_or_b64 exec, exec, s[4:5]
	v_or_b32_e32 v7, 0x100, v0
	v_cmp_gt_u32_e32 vcc, s8, v7
	s_and_saveexec_b64 s[4:5], vcc
	s_cbranch_execz .LBB1017_11
; %bb.10:
	global_load_sshort v3, v6, s[0:1] offset:512
	global_load_sshort v4, v6, s[2:3] offset:512
	s_mov_b32 s2, 0
	s_waitcnt vmcnt(1)
	v_mul_i32_i24_e32 v3, 0x6667, v3
	s_waitcnt vmcnt(0)
	v_mul_i32_i24_e32 v4, 0x6667, v4
	v_lshrrev_b32_e32 v6, 31, v3
	v_ashrrev_i32_e32 v3, 18, v3
	v_lshrrev_b32_e32 v7, 31, v4
	v_ashrrev_i32_e32 v4, 18, v4
	v_add_u16_e32 v3, v3, v6
	v_add_u16_e32 v4, v4, v7
	v_cmp_ne_u16_e64 s[0:1], v3, v4
	v_cndmask_b32_e64 v3, 0, 1, s[0:1]
	v_mov_b32_e32 v4, s2
.LBB1017_11:
	s_or_b64 exec, exec, s[4:5]
	v_cndmask_b32_e32 v3, 0, v3, vcc
	v_cndmask_b32_e32 v4, 0, v4, vcc
	v_add_co_u32_e32 v1, vcc, v3, v1
	v_mbcnt_hi_u32_b32 v3, -1, v5
	v_addc_co_u32_e32 v2, vcc, v4, v2, vcc
	v_and_b32_e32 v4, 63, v3
	v_cmp_ne_u32_e32 vcc, 63, v4
	v_addc_co_u32_e32 v6, vcc, 0, v3, vcc
	v_lshlrev_b32_e32 v6, 2, v6
	ds_bpermute_b32 v8, v6, v1
	ds_bpermute_b32 v7, v6, v2
	s_min_u32 s2, s8, 0x100
	v_and_b32_e32 v5, 0xc0, v0
	v_sub_u32_e64 v5, s2, v5 clamp
	v_add_u32_e32 v6, 1, v4
	v_cmp_lt_u32_e32 vcc, v6, v5
	v_mov_b32_e32 v6, v1
	s_and_saveexec_b64 s[0:1], vcc
	s_cbranch_execz .LBB1017_13
; %bb.12:
	s_waitcnt lgkmcnt(1)
	v_add_co_u32_e32 v6, vcc, v1, v8
	v_addc_co_u32_e32 v2, vcc, 0, v2, vcc
	v_add_co_u32_e32 v1, vcc, 0, v6
	s_waitcnt lgkmcnt(0)
	v_addc_co_u32_e32 v2, vcc, v7, v2, vcc
.LBB1017_13:
	s_or_b64 exec, exec, s[0:1]
	v_cmp_gt_u32_e32 vcc, 62, v4
	s_waitcnt lgkmcnt(0)
	v_cndmask_b32_e64 v7, 0, 2, vcc
	v_add_lshl_u32 v7, v7, v3, 2
	ds_bpermute_b32 v8, v7, v6
	ds_bpermute_b32 v7, v7, v2
	v_add_u32_e32 v9, 2, v4
	v_cmp_lt_u32_e32 vcc, v9, v5
	s_and_saveexec_b64 s[0:1], vcc
	s_cbranch_execz .LBB1017_15
; %bb.14:
	s_waitcnt lgkmcnt(1)
	v_add_co_u32_e32 v6, vcc, v1, v8
	v_addc_co_u32_e32 v2, vcc, 0, v2, vcc
	v_add_co_u32_e32 v1, vcc, 0, v6
	s_waitcnt lgkmcnt(0)
	v_addc_co_u32_e32 v2, vcc, v7, v2, vcc
.LBB1017_15:
	s_or_b64 exec, exec, s[0:1]
	v_cmp_gt_u32_e32 vcc, 60, v4
	s_waitcnt lgkmcnt(0)
	v_cndmask_b32_e64 v7, 0, 4, vcc
	v_add_lshl_u32 v7, v7, v3, 2
	ds_bpermute_b32 v8, v7, v6
	ds_bpermute_b32 v7, v7, v2
	v_add_u32_e32 v9, 4, v4
	v_cmp_lt_u32_e32 vcc, v9, v5
	;; [unrolled: 19-line block ×4, first 2 shown]
	s_and_saveexec_b64 s[0:1], vcc
	s_cbranch_execz .LBB1017_21
; %bb.20:
	s_waitcnt lgkmcnt(1)
	v_add_co_u32_e32 v6, vcc, v1, v8
	v_addc_co_u32_e32 v2, vcc, 0, v2, vcc
	v_add_co_u32_e32 v1, vcc, 0, v6
	s_waitcnt lgkmcnt(0)
	v_addc_co_u32_e32 v2, vcc, v7, v2, vcc
.LBB1017_21:
	s_or_b64 exec, exec, s[0:1]
	s_waitcnt lgkmcnt(0)
	v_lshlrev_b32_e32 v7, 2, v3
	v_or_b32_e32 v8, 0x80, v7
	ds_bpermute_b32 v6, v8, v6
	ds_bpermute_b32 v8, v8, v2
	v_add_u32_e32 v4, 32, v4
	s_waitcnt lgkmcnt(1)
	v_add_co_u32_e32 v6, vcc, v1, v6
	v_addc_co_u32_e32 v9, vcc, 0, v2, vcc
	v_add_co_u32_e32 v6, vcc, 0, v6
	s_waitcnt lgkmcnt(0)
	v_addc_co_u32_e32 v8, vcc, v9, v8, vcc
	v_cmp_lt_u32_e32 vcc, v4, v5
	v_cndmask_b32_e32 v2, v2, v8, vcc
	v_cndmask_b32_e32 v1, v1, v6, vcc
	v_cmp_eq_u32_e32 vcc, 0, v3
	s_and_saveexec_b64 s[0:1], vcc
; %bb.22:
	v_lshrrev_b32_e32 v4, 3, v0
	v_and_b32_e32 v4, 24, v4
	ds_write_b64 v4, v[1:2] offset:32
; %bb.23:
	s_or_b64 exec, exec, s[0:1]
	v_cmp_gt_u32_e32 vcc, 4, v0
	s_waitcnt lgkmcnt(0)
	s_barrier
	s_and_saveexec_b64 s[0:1], vcc
	s_cbranch_execz .LBB1017_27
; %bb.24:
	v_lshlrev_b32_e32 v1, 3, v3
	ds_read_b64 v[1:2], v1 offset:32
	v_and_b32_e32 v4, 3, v3
	v_cmp_ne_u32_e32 vcc, 3, v4
	v_addc_co_u32_e32 v3, vcc, 0, v3, vcc
	v_lshlrev_b32_e32 v3, 2, v3
	s_waitcnt lgkmcnt(0)
	ds_bpermute_b32 v6, v3, v1
	ds_bpermute_b32 v5, v3, v2
	s_add_i32 s2, s2, 63
	s_lshr_b32 s4, s2, 6
	v_add_u32_e32 v3, 1, v4
	v_cmp_gt_u32_e32 vcc, s4, v3
	v_mov_b32_e32 v3, v1
	s_and_saveexec_b64 s[2:3], vcc
	s_cbranch_execz .LBB1017_26
; %bb.25:
	s_waitcnt lgkmcnt(1)
	v_add_co_u32_e32 v3, vcc, v1, v6
	v_addc_co_u32_e32 v2, vcc, 0, v2, vcc
	v_add_co_u32_e32 v1, vcc, 0, v3
	s_waitcnt lgkmcnt(0)
	v_addc_co_u32_e32 v2, vcc, v5, v2, vcc
.LBB1017_26:
	s_or_b64 exec, exec, s[2:3]
	s_waitcnt lgkmcnt(0)
	v_or_b32_e32 v5, 8, v7
	ds_bpermute_b32 v3, v5, v3
	ds_bpermute_b32 v5, v5, v2
	v_add_u32_e32 v4, 2, v4
	s_waitcnt lgkmcnt(1)
	v_add_co_u32_e32 v3, vcc, v1, v3
	v_addc_co_u32_e32 v6, vcc, 0, v2, vcc
	v_add_co_u32_e32 v3, vcc, 0, v3
	s_waitcnt lgkmcnt(0)
	v_addc_co_u32_e32 v5, vcc, v6, v5, vcc
	v_cmp_gt_u32_e32 vcc, s4, v4
	v_cndmask_b32_e32 v2, v2, v5, vcc
	v_cndmask_b32_e32 v1, v1, v3, vcc
.LBB1017_27:
	s_or_b64 exec, exec, s[0:1]
.LBB1017_28:
	v_cmp_eq_u32_e32 vcc, 0, v0
	s_and_saveexec_b64 s[0:1], vcc
	s_cbranch_execnz .LBB1017_30
; %bb.29:
	s_endpgm
.LBB1017_30:
	s_mul_i32 s0, s16, s15
	s_mul_hi_u32 s1, s16, s14
	s_add_i32 s0, s1, s0
	s_mul_i32 s1, s17, s14
	s_add_i32 s1, s0, s1
	s_mul_i32 s0, s16, s14
	s_lshl_b64 s[0:1], s[0:1], 3
	s_add_u32 s2, s12, s0
	s_addc_u32 s3, s13, s1
	s_cmp_eq_u64 s[10:11], 0
	v_mov_b32_e32 v0, s19
	s_cselect_b64 vcc, -1, 0
	s_lshl_b64 s[0:1], s[6:7], 3
	v_cndmask_b32_e32 v2, v2, v0, vcc
	v_mov_b32_e32 v0, s18
	s_add_u32 s0, s2, s0
	v_cndmask_b32_e32 v1, v1, v0, vcc
	s_addc_u32 s1, s3, s1
	v_mov_b32_e32 v0, 0
	global_store_dwordx2 v0, v[1:2], s[0:1]
	s_endpgm
	.section	.rodata,"a",@progbits
	.p2align	6, 0x0
	.amdhsa_kernel _ZN7rocprim17ROCPRIM_400000_NS6detail17trampoline_kernelINS0_14default_configENS1_22reduce_config_selectorIlEEZNS1_11reduce_implILb1ES3_N6thrust23THRUST_200600_302600_NS11hip_rocprim26transform_input_iterator_tIlNS8_12zip_iteratorINS8_5tupleINS8_6detail15normal_iteratorINS8_10device_ptrIsEEEESH_NS8_9null_typeESI_SI_SI_SI_SI_SI_SI_EEEENS9_21zip_adj_not_predicateI22is_equal_div_10_uniqueIsEEEEEPllNS8_4plusIlEEEE10hipError_tPvRmT1_T2_T3_mT4_P12ihipStream_tbEUlT_E0_NS1_11comp_targetILNS1_3genE2ELNS1_11target_archE906ELNS1_3gpuE6ELNS1_3repE0EEENS1_30default_config_static_selectorELNS0_4arch9wavefront6targetE1EEEvSW_
		.amdhsa_group_segment_fixed_size 64
		.amdhsa_private_segment_fixed_size 0
		.amdhsa_kernarg_size 80
		.amdhsa_user_sgpr_count 6
		.amdhsa_user_sgpr_private_segment_buffer 1
		.amdhsa_user_sgpr_dispatch_ptr 0
		.amdhsa_user_sgpr_queue_ptr 0
		.amdhsa_user_sgpr_kernarg_segment_ptr 1
		.amdhsa_user_sgpr_dispatch_id 0
		.amdhsa_user_sgpr_flat_scratch_init 0
		.amdhsa_user_sgpr_private_segment_size 0
		.amdhsa_uses_dynamic_stack 0
		.amdhsa_system_sgpr_private_segment_wavefront_offset 0
		.amdhsa_system_sgpr_workgroup_id_x 1
		.amdhsa_system_sgpr_workgroup_id_y 0
		.amdhsa_system_sgpr_workgroup_id_z 0
		.amdhsa_system_sgpr_workgroup_info 0
		.amdhsa_system_vgpr_workitem_id 0
		.amdhsa_next_free_vgpr 15
		.amdhsa_next_free_sgpr 22
		.amdhsa_reserve_vcc 1
		.amdhsa_reserve_flat_scratch 0
		.amdhsa_float_round_mode_32 0
		.amdhsa_float_round_mode_16_64 0
		.amdhsa_float_denorm_mode_32 3
		.amdhsa_float_denorm_mode_16_64 3
		.amdhsa_dx10_clamp 1
		.amdhsa_ieee_mode 1
		.amdhsa_fp16_overflow 0
		.amdhsa_exception_fp_ieee_invalid_op 0
		.amdhsa_exception_fp_denorm_src 0
		.amdhsa_exception_fp_ieee_div_zero 0
		.amdhsa_exception_fp_ieee_overflow 0
		.amdhsa_exception_fp_ieee_underflow 0
		.amdhsa_exception_fp_ieee_inexact 0
		.amdhsa_exception_int_div_zero 0
	.end_amdhsa_kernel
	.section	.text._ZN7rocprim17ROCPRIM_400000_NS6detail17trampoline_kernelINS0_14default_configENS1_22reduce_config_selectorIlEEZNS1_11reduce_implILb1ES3_N6thrust23THRUST_200600_302600_NS11hip_rocprim26transform_input_iterator_tIlNS8_12zip_iteratorINS8_5tupleINS8_6detail15normal_iteratorINS8_10device_ptrIsEEEESH_NS8_9null_typeESI_SI_SI_SI_SI_SI_SI_EEEENS9_21zip_adj_not_predicateI22is_equal_div_10_uniqueIsEEEEEPllNS8_4plusIlEEEE10hipError_tPvRmT1_T2_T3_mT4_P12ihipStream_tbEUlT_E0_NS1_11comp_targetILNS1_3genE2ELNS1_11target_archE906ELNS1_3gpuE6ELNS1_3repE0EEENS1_30default_config_static_selectorELNS0_4arch9wavefront6targetE1EEEvSW_,"axG",@progbits,_ZN7rocprim17ROCPRIM_400000_NS6detail17trampoline_kernelINS0_14default_configENS1_22reduce_config_selectorIlEEZNS1_11reduce_implILb1ES3_N6thrust23THRUST_200600_302600_NS11hip_rocprim26transform_input_iterator_tIlNS8_12zip_iteratorINS8_5tupleINS8_6detail15normal_iteratorINS8_10device_ptrIsEEEESH_NS8_9null_typeESI_SI_SI_SI_SI_SI_SI_EEEENS9_21zip_adj_not_predicateI22is_equal_div_10_uniqueIsEEEEEPllNS8_4plusIlEEEE10hipError_tPvRmT1_T2_T3_mT4_P12ihipStream_tbEUlT_E0_NS1_11comp_targetILNS1_3genE2ELNS1_11target_archE906ELNS1_3gpuE6ELNS1_3repE0EEENS1_30default_config_static_selectorELNS0_4arch9wavefront6targetE1EEEvSW_,comdat
.Lfunc_end1017:
	.size	_ZN7rocprim17ROCPRIM_400000_NS6detail17trampoline_kernelINS0_14default_configENS1_22reduce_config_selectorIlEEZNS1_11reduce_implILb1ES3_N6thrust23THRUST_200600_302600_NS11hip_rocprim26transform_input_iterator_tIlNS8_12zip_iteratorINS8_5tupleINS8_6detail15normal_iteratorINS8_10device_ptrIsEEEESH_NS8_9null_typeESI_SI_SI_SI_SI_SI_SI_EEEENS9_21zip_adj_not_predicateI22is_equal_div_10_uniqueIsEEEEEPllNS8_4plusIlEEEE10hipError_tPvRmT1_T2_T3_mT4_P12ihipStream_tbEUlT_E0_NS1_11comp_targetILNS1_3genE2ELNS1_11target_archE906ELNS1_3gpuE6ELNS1_3repE0EEENS1_30default_config_static_selectorELNS0_4arch9wavefront6targetE1EEEvSW_, .Lfunc_end1017-_ZN7rocprim17ROCPRIM_400000_NS6detail17trampoline_kernelINS0_14default_configENS1_22reduce_config_selectorIlEEZNS1_11reduce_implILb1ES3_N6thrust23THRUST_200600_302600_NS11hip_rocprim26transform_input_iterator_tIlNS8_12zip_iteratorINS8_5tupleINS8_6detail15normal_iteratorINS8_10device_ptrIsEEEESH_NS8_9null_typeESI_SI_SI_SI_SI_SI_SI_EEEENS9_21zip_adj_not_predicateI22is_equal_div_10_uniqueIsEEEEEPllNS8_4plusIlEEEE10hipError_tPvRmT1_T2_T3_mT4_P12ihipStream_tbEUlT_E0_NS1_11comp_targetILNS1_3genE2ELNS1_11target_archE906ELNS1_3gpuE6ELNS1_3repE0EEENS1_30default_config_static_selectorELNS0_4arch9wavefront6targetE1EEEvSW_
                                        ; -- End function
	.set _ZN7rocprim17ROCPRIM_400000_NS6detail17trampoline_kernelINS0_14default_configENS1_22reduce_config_selectorIlEEZNS1_11reduce_implILb1ES3_N6thrust23THRUST_200600_302600_NS11hip_rocprim26transform_input_iterator_tIlNS8_12zip_iteratorINS8_5tupleINS8_6detail15normal_iteratorINS8_10device_ptrIsEEEESH_NS8_9null_typeESI_SI_SI_SI_SI_SI_SI_EEEENS9_21zip_adj_not_predicateI22is_equal_div_10_uniqueIsEEEEEPllNS8_4plusIlEEEE10hipError_tPvRmT1_T2_T3_mT4_P12ihipStream_tbEUlT_E0_NS1_11comp_targetILNS1_3genE2ELNS1_11target_archE906ELNS1_3gpuE6ELNS1_3repE0EEENS1_30default_config_static_selectorELNS0_4arch9wavefront6targetE1EEEvSW_.num_vgpr, 15
	.set _ZN7rocprim17ROCPRIM_400000_NS6detail17trampoline_kernelINS0_14default_configENS1_22reduce_config_selectorIlEEZNS1_11reduce_implILb1ES3_N6thrust23THRUST_200600_302600_NS11hip_rocprim26transform_input_iterator_tIlNS8_12zip_iteratorINS8_5tupleINS8_6detail15normal_iteratorINS8_10device_ptrIsEEEESH_NS8_9null_typeESI_SI_SI_SI_SI_SI_SI_EEEENS9_21zip_adj_not_predicateI22is_equal_div_10_uniqueIsEEEEEPllNS8_4plusIlEEEE10hipError_tPvRmT1_T2_T3_mT4_P12ihipStream_tbEUlT_E0_NS1_11comp_targetILNS1_3genE2ELNS1_11target_archE906ELNS1_3gpuE6ELNS1_3repE0EEENS1_30default_config_static_selectorELNS0_4arch9wavefront6targetE1EEEvSW_.num_agpr, 0
	.set _ZN7rocprim17ROCPRIM_400000_NS6detail17trampoline_kernelINS0_14default_configENS1_22reduce_config_selectorIlEEZNS1_11reduce_implILb1ES3_N6thrust23THRUST_200600_302600_NS11hip_rocprim26transform_input_iterator_tIlNS8_12zip_iteratorINS8_5tupleINS8_6detail15normal_iteratorINS8_10device_ptrIsEEEESH_NS8_9null_typeESI_SI_SI_SI_SI_SI_SI_EEEENS9_21zip_adj_not_predicateI22is_equal_div_10_uniqueIsEEEEEPllNS8_4plusIlEEEE10hipError_tPvRmT1_T2_T3_mT4_P12ihipStream_tbEUlT_E0_NS1_11comp_targetILNS1_3genE2ELNS1_11target_archE906ELNS1_3gpuE6ELNS1_3repE0EEENS1_30default_config_static_selectorELNS0_4arch9wavefront6targetE1EEEvSW_.numbered_sgpr, 22
	.set _ZN7rocprim17ROCPRIM_400000_NS6detail17trampoline_kernelINS0_14default_configENS1_22reduce_config_selectorIlEEZNS1_11reduce_implILb1ES3_N6thrust23THRUST_200600_302600_NS11hip_rocprim26transform_input_iterator_tIlNS8_12zip_iteratorINS8_5tupleINS8_6detail15normal_iteratorINS8_10device_ptrIsEEEESH_NS8_9null_typeESI_SI_SI_SI_SI_SI_SI_EEEENS9_21zip_adj_not_predicateI22is_equal_div_10_uniqueIsEEEEEPllNS8_4plusIlEEEE10hipError_tPvRmT1_T2_T3_mT4_P12ihipStream_tbEUlT_E0_NS1_11comp_targetILNS1_3genE2ELNS1_11target_archE906ELNS1_3gpuE6ELNS1_3repE0EEENS1_30default_config_static_selectorELNS0_4arch9wavefront6targetE1EEEvSW_.num_named_barrier, 0
	.set _ZN7rocprim17ROCPRIM_400000_NS6detail17trampoline_kernelINS0_14default_configENS1_22reduce_config_selectorIlEEZNS1_11reduce_implILb1ES3_N6thrust23THRUST_200600_302600_NS11hip_rocprim26transform_input_iterator_tIlNS8_12zip_iteratorINS8_5tupleINS8_6detail15normal_iteratorINS8_10device_ptrIsEEEESH_NS8_9null_typeESI_SI_SI_SI_SI_SI_SI_EEEENS9_21zip_adj_not_predicateI22is_equal_div_10_uniqueIsEEEEEPllNS8_4plusIlEEEE10hipError_tPvRmT1_T2_T3_mT4_P12ihipStream_tbEUlT_E0_NS1_11comp_targetILNS1_3genE2ELNS1_11target_archE906ELNS1_3gpuE6ELNS1_3repE0EEENS1_30default_config_static_selectorELNS0_4arch9wavefront6targetE1EEEvSW_.private_seg_size, 0
	.set _ZN7rocprim17ROCPRIM_400000_NS6detail17trampoline_kernelINS0_14default_configENS1_22reduce_config_selectorIlEEZNS1_11reduce_implILb1ES3_N6thrust23THRUST_200600_302600_NS11hip_rocprim26transform_input_iterator_tIlNS8_12zip_iteratorINS8_5tupleINS8_6detail15normal_iteratorINS8_10device_ptrIsEEEESH_NS8_9null_typeESI_SI_SI_SI_SI_SI_SI_EEEENS9_21zip_adj_not_predicateI22is_equal_div_10_uniqueIsEEEEEPllNS8_4plusIlEEEE10hipError_tPvRmT1_T2_T3_mT4_P12ihipStream_tbEUlT_E0_NS1_11comp_targetILNS1_3genE2ELNS1_11target_archE906ELNS1_3gpuE6ELNS1_3repE0EEENS1_30default_config_static_selectorELNS0_4arch9wavefront6targetE1EEEvSW_.uses_vcc, 1
	.set _ZN7rocprim17ROCPRIM_400000_NS6detail17trampoline_kernelINS0_14default_configENS1_22reduce_config_selectorIlEEZNS1_11reduce_implILb1ES3_N6thrust23THRUST_200600_302600_NS11hip_rocprim26transform_input_iterator_tIlNS8_12zip_iteratorINS8_5tupleINS8_6detail15normal_iteratorINS8_10device_ptrIsEEEESH_NS8_9null_typeESI_SI_SI_SI_SI_SI_SI_EEEENS9_21zip_adj_not_predicateI22is_equal_div_10_uniqueIsEEEEEPllNS8_4plusIlEEEE10hipError_tPvRmT1_T2_T3_mT4_P12ihipStream_tbEUlT_E0_NS1_11comp_targetILNS1_3genE2ELNS1_11target_archE906ELNS1_3gpuE6ELNS1_3repE0EEENS1_30default_config_static_selectorELNS0_4arch9wavefront6targetE1EEEvSW_.uses_flat_scratch, 0
	.set _ZN7rocprim17ROCPRIM_400000_NS6detail17trampoline_kernelINS0_14default_configENS1_22reduce_config_selectorIlEEZNS1_11reduce_implILb1ES3_N6thrust23THRUST_200600_302600_NS11hip_rocprim26transform_input_iterator_tIlNS8_12zip_iteratorINS8_5tupleINS8_6detail15normal_iteratorINS8_10device_ptrIsEEEESH_NS8_9null_typeESI_SI_SI_SI_SI_SI_SI_EEEENS9_21zip_adj_not_predicateI22is_equal_div_10_uniqueIsEEEEEPllNS8_4plusIlEEEE10hipError_tPvRmT1_T2_T3_mT4_P12ihipStream_tbEUlT_E0_NS1_11comp_targetILNS1_3genE2ELNS1_11target_archE906ELNS1_3gpuE6ELNS1_3repE0EEENS1_30default_config_static_selectorELNS0_4arch9wavefront6targetE1EEEvSW_.has_dyn_sized_stack, 0
	.set _ZN7rocprim17ROCPRIM_400000_NS6detail17trampoline_kernelINS0_14default_configENS1_22reduce_config_selectorIlEEZNS1_11reduce_implILb1ES3_N6thrust23THRUST_200600_302600_NS11hip_rocprim26transform_input_iterator_tIlNS8_12zip_iteratorINS8_5tupleINS8_6detail15normal_iteratorINS8_10device_ptrIsEEEESH_NS8_9null_typeESI_SI_SI_SI_SI_SI_SI_EEEENS9_21zip_adj_not_predicateI22is_equal_div_10_uniqueIsEEEEEPllNS8_4plusIlEEEE10hipError_tPvRmT1_T2_T3_mT4_P12ihipStream_tbEUlT_E0_NS1_11comp_targetILNS1_3genE2ELNS1_11target_archE906ELNS1_3gpuE6ELNS1_3repE0EEENS1_30default_config_static_selectorELNS0_4arch9wavefront6targetE1EEEvSW_.has_recursion, 0
	.set _ZN7rocprim17ROCPRIM_400000_NS6detail17trampoline_kernelINS0_14default_configENS1_22reduce_config_selectorIlEEZNS1_11reduce_implILb1ES3_N6thrust23THRUST_200600_302600_NS11hip_rocprim26transform_input_iterator_tIlNS8_12zip_iteratorINS8_5tupleINS8_6detail15normal_iteratorINS8_10device_ptrIsEEEESH_NS8_9null_typeESI_SI_SI_SI_SI_SI_SI_EEEENS9_21zip_adj_not_predicateI22is_equal_div_10_uniqueIsEEEEEPllNS8_4plusIlEEEE10hipError_tPvRmT1_T2_T3_mT4_P12ihipStream_tbEUlT_E0_NS1_11comp_targetILNS1_3genE2ELNS1_11target_archE906ELNS1_3gpuE6ELNS1_3repE0EEENS1_30default_config_static_selectorELNS0_4arch9wavefront6targetE1EEEvSW_.has_indirect_call, 0
	.section	.AMDGPU.csdata,"",@progbits
; Kernel info:
; codeLenInByte = 1792
; TotalNumSgprs: 26
; NumVgprs: 15
; ScratchSize: 0
; MemoryBound: 0
; FloatMode: 240
; IeeeMode: 1
; LDSByteSize: 64 bytes/workgroup (compile time only)
; SGPRBlocks: 3
; VGPRBlocks: 3
; NumSGPRsForWavesPerEU: 26
; NumVGPRsForWavesPerEU: 15
; Occupancy: 10
; WaveLimiterHint : 0
; COMPUTE_PGM_RSRC2:SCRATCH_EN: 0
; COMPUTE_PGM_RSRC2:USER_SGPR: 6
; COMPUTE_PGM_RSRC2:TRAP_HANDLER: 0
; COMPUTE_PGM_RSRC2:TGID_X_EN: 1
; COMPUTE_PGM_RSRC2:TGID_Y_EN: 0
; COMPUTE_PGM_RSRC2:TGID_Z_EN: 0
; COMPUTE_PGM_RSRC2:TIDIG_COMP_CNT: 0
	.section	.text._ZN7rocprim17ROCPRIM_400000_NS6detail17trampoline_kernelINS0_14default_configENS1_22reduce_config_selectorIlEEZNS1_11reduce_implILb1ES3_N6thrust23THRUST_200600_302600_NS11hip_rocprim26transform_input_iterator_tIlNS8_12zip_iteratorINS8_5tupleINS8_6detail15normal_iteratorINS8_10device_ptrIsEEEESH_NS8_9null_typeESI_SI_SI_SI_SI_SI_SI_EEEENS9_21zip_adj_not_predicateI22is_equal_div_10_uniqueIsEEEEEPllNS8_4plusIlEEEE10hipError_tPvRmT1_T2_T3_mT4_P12ihipStream_tbEUlT_E0_NS1_11comp_targetILNS1_3genE10ELNS1_11target_archE1201ELNS1_3gpuE5ELNS1_3repE0EEENS1_30default_config_static_selectorELNS0_4arch9wavefront6targetE1EEEvSW_,"axG",@progbits,_ZN7rocprim17ROCPRIM_400000_NS6detail17trampoline_kernelINS0_14default_configENS1_22reduce_config_selectorIlEEZNS1_11reduce_implILb1ES3_N6thrust23THRUST_200600_302600_NS11hip_rocprim26transform_input_iterator_tIlNS8_12zip_iteratorINS8_5tupleINS8_6detail15normal_iteratorINS8_10device_ptrIsEEEESH_NS8_9null_typeESI_SI_SI_SI_SI_SI_SI_EEEENS9_21zip_adj_not_predicateI22is_equal_div_10_uniqueIsEEEEEPllNS8_4plusIlEEEE10hipError_tPvRmT1_T2_T3_mT4_P12ihipStream_tbEUlT_E0_NS1_11comp_targetILNS1_3genE10ELNS1_11target_archE1201ELNS1_3gpuE5ELNS1_3repE0EEENS1_30default_config_static_selectorELNS0_4arch9wavefront6targetE1EEEvSW_,comdat
	.protected	_ZN7rocprim17ROCPRIM_400000_NS6detail17trampoline_kernelINS0_14default_configENS1_22reduce_config_selectorIlEEZNS1_11reduce_implILb1ES3_N6thrust23THRUST_200600_302600_NS11hip_rocprim26transform_input_iterator_tIlNS8_12zip_iteratorINS8_5tupleINS8_6detail15normal_iteratorINS8_10device_ptrIsEEEESH_NS8_9null_typeESI_SI_SI_SI_SI_SI_SI_EEEENS9_21zip_adj_not_predicateI22is_equal_div_10_uniqueIsEEEEEPllNS8_4plusIlEEEE10hipError_tPvRmT1_T2_T3_mT4_P12ihipStream_tbEUlT_E0_NS1_11comp_targetILNS1_3genE10ELNS1_11target_archE1201ELNS1_3gpuE5ELNS1_3repE0EEENS1_30default_config_static_selectorELNS0_4arch9wavefront6targetE1EEEvSW_ ; -- Begin function _ZN7rocprim17ROCPRIM_400000_NS6detail17trampoline_kernelINS0_14default_configENS1_22reduce_config_selectorIlEEZNS1_11reduce_implILb1ES3_N6thrust23THRUST_200600_302600_NS11hip_rocprim26transform_input_iterator_tIlNS8_12zip_iteratorINS8_5tupleINS8_6detail15normal_iteratorINS8_10device_ptrIsEEEESH_NS8_9null_typeESI_SI_SI_SI_SI_SI_SI_EEEENS9_21zip_adj_not_predicateI22is_equal_div_10_uniqueIsEEEEEPllNS8_4plusIlEEEE10hipError_tPvRmT1_T2_T3_mT4_P12ihipStream_tbEUlT_E0_NS1_11comp_targetILNS1_3genE10ELNS1_11target_archE1201ELNS1_3gpuE5ELNS1_3repE0EEENS1_30default_config_static_selectorELNS0_4arch9wavefront6targetE1EEEvSW_
	.globl	_ZN7rocprim17ROCPRIM_400000_NS6detail17trampoline_kernelINS0_14default_configENS1_22reduce_config_selectorIlEEZNS1_11reduce_implILb1ES3_N6thrust23THRUST_200600_302600_NS11hip_rocprim26transform_input_iterator_tIlNS8_12zip_iteratorINS8_5tupleINS8_6detail15normal_iteratorINS8_10device_ptrIsEEEESH_NS8_9null_typeESI_SI_SI_SI_SI_SI_SI_EEEENS9_21zip_adj_not_predicateI22is_equal_div_10_uniqueIsEEEEEPllNS8_4plusIlEEEE10hipError_tPvRmT1_T2_T3_mT4_P12ihipStream_tbEUlT_E0_NS1_11comp_targetILNS1_3genE10ELNS1_11target_archE1201ELNS1_3gpuE5ELNS1_3repE0EEENS1_30default_config_static_selectorELNS0_4arch9wavefront6targetE1EEEvSW_
	.p2align	8
	.type	_ZN7rocprim17ROCPRIM_400000_NS6detail17trampoline_kernelINS0_14default_configENS1_22reduce_config_selectorIlEEZNS1_11reduce_implILb1ES3_N6thrust23THRUST_200600_302600_NS11hip_rocprim26transform_input_iterator_tIlNS8_12zip_iteratorINS8_5tupleINS8_6detail15normal_iteratorINS8_10device_ptrIsEEEESH_NS8_9null_typeESI_SI_SI_SI_SI_SI_SI_EEEENS9_21zip_adj_not_predicateI22is_equal_div_10_uniqueIsEEEEEPllNS8_4plusIlEEEE10hipError_tPvRmT1_T2_T3_mT4_P12ihipStream_tbEUlT_E0_NS1_11comp_targetILNS1_3genE10ELNS1_11target_archE1201ELNS1_3gpuE5ELNS1_3repE0EEENS1_30default_config_static_selectorELNS0_4arch9wavefront6targetE1EEEvSW_,@function
_ZN7rocprim17ROCPRIM_400000_NS6detail17trampoline_kernelINS0_14default_configENS1_22reduce_config_selectorIlEEZNS1_11reduce_implILb1ES3_N6thrust23THRUST_200600_302600_NS11hip_rocprim26transform_input_iterator_tIlNS8_12zip_iteratorINS8_5tupleINS8_6detail15normal_iteratorINS8_10device_ptrIsEEEESH_NS8_9null_typeESI_SI_SI_SI_SI_SI_SI_EEEENS9_21zip_adj_not_predicateI22is_equal_div_10_uniqueIsEEEEEPllNS8_4plusIlEEEE10hipError_tPvRmT1_T2_T3_mT4_P12ihipStream_tbEUlT_E0_NS1_11comp_targetILNS1_3genE10ELNS1_11target_archE1201ELNS1_3gpuE5ELNS1_3repE0EEENS1_30default_config_static_selectorELNS0_4arch9wavefront6targetE1EEEvSW_: ; @_ZN7rocprim17ROCPRIM_400000_NS6detail17trampoline_kernelINS0_14default_configENS1_22reduce_config_selectorIlEEZNS1_11reduce_implILb1ES3_N6thrust23THRUST_200600_302600_NS11hip_rocprim26transform_input_iterator_tIlNS8_12zip_iteratorINS8_5tupleINS8_6detail15normal_iteratorINS8_10device_ptrIsEEEESH_NS8_9null_typeESI_SI_SI_SI_SI_SI_SI_EEEENS9_21zip_adj_not_predicateI22is_equal_div_10_uniqueIsEEEEEPllNS8_4plusIlEEEE10hipError_tPvRmT1_T2_T3_mT4_P12ihipStream_tbEUlT_E0_NS1_11comp_targetILNS1_3genE10ELNS1_11target_archE1201ELNS1_3gpuE5ELNS1_3repE0EEENS1_30default_config_static_selectorELNS0_4arch9wavefront6targetE1EEEvSW_
; %bb.0:
	.section	.rodata,"a",@progbits
	.p2align	6, 0x0
	.amdhsa_kernel _ZN7rocprim17ROCPRIM_400000_NS6detail17trampoline_kernelINS0_14default_configENS1_22reduce_config_selectorIlEEZNS1_11reduce_implILb1ES3_N6thrust23THRUST_200600_302600_NS11hip_rocprim26transform_input_iterator_tIlNS8_12zip_iteratorINS8_5tupleINS8_6detail15normal_iteratorINS8_10device_ptrIsEEEESH_NS8_9null_typeESI_SI_SI_SI_SI_SI_SI_EEEENS9_21zip_adj_not_predicateI22is_equal_div_10_uniqueIsEEEEEPllNS8_4plusIlEEEE10hipError_tPvRmT1_T2_T3_mT4_P12ihipStream_tbEUlT_E0_NS1_11comp_targetILNS1_3genE10ELNS1_11target_archE1201ELNS1_3gpuE5ELNS1_3repE0EEENS1_30default_config_static_selectorELNS0_4arch9wavefront6targetE1EEEvSW_
		.amdhsa_group_segment_fixed_size 0
		.amdhsa_private_segment_fixed_size 0
		.amdhsa_kernarg_size 80
		.amdhsa_user_sgpr_count 6
		.amdhsa_user_sgpr_private_segment_buffer 1
		.amdhsa_user_sgpr_dispatch_ptr 0
		.amdhsa_user_sgpr_queue_ptr 0
		.amdhsa_user_sgpr_kernarg_segment_ptr 1
		.amdhsa_user_sgpr_dispatch_id 0
		.amdhsa_user_sgpr_flat_scratch_init 0
		.amdhsa_user_sgpr_private_segment_size 0
		.amdhsa_uses_dynamic_stack 0
		.amdhsa_system_sgpr_private_segment_wavefront_offset 0
		.amdhsa_system_sgpr_workgroup_id_x 1
		.amdhsa_system_sgpr_workgroup_id_y 0
		.amdhsa_system_sgpr_workgroup_id_z 0
		.amdhsa_system_sgpr_workgroup_info 0
		.amdhsa_system_vgpr_workitem_id 0
		.amdhsa_next_free_vgpr 1
		.amdhsa_next_free_sgpr 0
		.amdhsa_reserve_vcc 0
		.amdhsa_reserve_flat_scratch 0
		.amdhsa_float_round_mode_32 0
		.amdhsa_float_round_mode_16_64 0
		.amdhsa_float_denorm_mode_32 3
		.amdhsa_float_denorm_mode_16_64 3
		.amdhsa_dx10_clamp 1
		.amdhsa_ieee_mode 1
		.amdhsa_fp16_overflow 0
		.amdhsa_exception_fp_ieee_invalid_op 0
		.amdhsa_exception_fp_denorm_src 0
		.amdhsa_exception_fp_ieee_div_zero 0
		.amdhsa_exception_fp_ieee_overflow 0
		.amdhsa_exception_fp_ieee_underflow 0
		.amdhsa_exception_fp_ieee_inexact 0
		.amdhsa_exception_int_div_zero 0
	.end_amdhsa_kernel
	.section	.text._ZN7rocprim17ROCPRIM_400000_NS6detail17trampoline_kernelINS0_14default_configENS1_22reduce_config_selectorIlEEZNS1_11reduce_implILb1ES3_N6thrust23THRUST_200600_302600_NS11hip_rocprim26transform_input_iterator_tIlNS8_12zip_iteratorINS8_5tupleINS8_6detail15normal_iteratorINS8_10device_ptrIsEEEESH_NS8_9null_typeESI_SI_SI_SI_SI_SI_SI_EEEENS9_21zip_adj_not_predicateI22is_equal_div_10_uniqueIsEEEEEPllNS8_4plusIlEEEE10hipError_tPvRmT1_T2_T3_mT4_P12ihipStream_tbEUlT_E0_NS1_11comp_targetILNS1_3genE10ELNS1_11target_archE1201ELNS1_3gpuE5ELNS1_3repE0EEENS1_30default_config_static_selectorELNS0_4arch9wavefront6targetE1EEEvSW_,"axG",@progbits,_ZN7rocprim17ROCPRIM_400000_NS6detail17trampoline_kernelINS0_14default_configENS1_22reduce_config_selectorIlEEZNS1_11reduce_implILb1ES3_N6thrust23THRUST_200600_302600_NS11hip_rocprim26transform_input_iterator_tIlNS8_12zip_iteratorINS8_5tupleINS8_6detail15normal_iteratorINS8_10device_ptrIsEEEESH_NS8_9null_typeESI_SI_SI_SI_SI_SI_SI_EEEENS9_21zip_adj_not_predicateI22is_equal_div_10_uniqueIsEEEEEPllNS8_4plusIlEEEE10hipError_tPvRmT1_T2_T3_mT4_P12ihipStream_tbEUlT_E0_NS1_11comp_targetILNS1_3genE10ELNS1_11target_archE1201ELNS1_3gpuE5ELNS1_3repE0EEENS1_30default_config_static_selectorELNS0_4arch9wavefront6targetE1EEEvSW_,comdat
.Lfunc_end1018:
	.size	_ZN7rocprim17ROCPRIM_400000_NS6detail17trampoline_kernelINS0_14default_configENS1_22reduce_config_selectorIlEEZNS1_11reduce_implILb1ES3_N6thrust23THRUST_200600_302600_NS11hip_rocprim26transform_input_iterator_tIlNS8_12zip_iteratorINS8_5tupleINS8_6detail15normal_iteratorINS8_10device_ptrIsEEEESH_NS8_9null_typeESI_SI_SI_SI_SI_SI_SI_EEEENS9_21zip_adj_not_predicateI22is_equal_div_10_uniqueIsEEEEEPllNS8_4plusIlEEEE10hipError_tPvRmT1_T2_T3_mT4_P12ihipStream_tbEUlT_E0_NS1_11comp_targetILNS1_3genE10ELNS1_11target_archE1201ELNS1_3gpuE5ELNS1_3repE0EEENS1_30default_config_static_selectorELNS0_4arch9wavefront6targetE1EEEvSW_, .Lfunc_end1018-_ZN7rocprim17ROCPRIM_400000_NS6detail17trampoline_kernelINS0_14default_configENS1_22reduce_config_selectorIlEEZNS1_11reduce_implILb1ES3_N6thrust23THRUST_200600_302600_NS11hip_rocprim26transform_input_iterator_tIlNS8_12zip_iteratorINS8_5tupleINS8_6detail15normal_iteratorINS8_10device_ptrIsEEEESH_NS8_9null_typeESI_SI_SI_SI_SI_SI_SI_EEEENS9_21zip_adj_not_predicateI22is_equal_div_10_uniqueIsEEEEEPllNS8_4plusIlEEEE10hipError_tPvRmT1_T2_T3_mT4_P12ihipStream_tbEUlT_E0_NS1_11comp_targetILNS1_3genE10ELNS1_11target_archE1201ELNS1_3gpuE5ELNS1_3repE0EEENS1_30default_config_static_selectorELNS0_4arch9wavefront6targetE1EEEvSW_
                                        ; -- End function
	.set _ZN7rocprim17ROCPRIM_400000_NS6detail17trampoline_kernelINS0_14default_configENS1_22reduce_config_selectorIlEEZNS1_11reduce_implILb1ES3_N6thrust23THRUST_200600_302600_NS11hip_rocprim26transform_input_iterator_tIlNS8_12zip_iteratorINS8_5tupleINS8_6detail15normal_iteratorINS8_10device_ptrIsEEEESH_NS8_9null_typeESI_SI_SI_SI_SI_SI_SI_EEEENS9_21zip_adj_not_predicateI22is_equal_div_10_uniqueIsEEEEEPllNS8_4plusIlEEEE10hipError_tPvRmT1_T2_T3_mT4_P12ihipStream_tbEUlT_E0_NS1_11comp_targetILNS1_3genE10ELNS1_11target_archE1201ELNS1_3gpuE5ELNS1_3repE0EEENS1_30default_config_static_selectorELNS0_4arch9wavefront6targetE1EEEvSW_.num_vgpr, 0
	.set _ZN7rocprim17ROCPRIM_400000_NS6detail17trampoline_kernelINS0_14default_configENS1_22reduce_config_selectorIlEEZNS1_11reduce_implILb1ES3_N6thrust23THRUST_200600_302600_NS11hip_rocprim26transform_input_iterator_tIlNS8_12zip_iteratorINS8_5tupleINS8_6detail15normal_iteratorINS8_10device_ptrIsEEEESH_NS8_9null_typeESI_SI_SI_SI_SI_SI_SI_EEEENS9_21zip_adj_not_predicateI22is_equal_div_10_uniqueIsEEEEEPllNS8_4plusIlEEEE10hipError_tPvRmT1_T2_T3_mT4_P12ihipStream_tbEUlT_E0_NS1_11comp_targetILNS1_3genE10ELNS1_11target_archE1201ELNS1_3gpuE5ELNS1_3repE0EEENS1_30default_config_static_selectorELNS0_4arch9wavefront6targetE1EEEvSW_.num_agpr, 0
	.set _ZN7rocprim17ROCPRIM_400000_NS6detail17trampoline_kernelINS0_14default_configENS1_22reduce_config_selectorIlEEZNS1_11reduce_implILb1ES3_N6thrust23THRUST_200600_302600_NS11hip_rocprim26transform_input_iterator_tIlNS8_12zip_iteratorINS8_5tupleINS8_6detail15normal_iteratorINS8_10device_ptrIsEEEESH_NS8_9null_typeESI_SI_SI_SI_SI_SI_SI_EEEENS9_21zip_adj_not_predicateI22is_equal_div_10_uniqueIsEEEEEPllNS8_4plusIlEEEE10hipError_tPvRmT1_T2_T3_mT4_P12ihipStream_tbEUlT_E0_NS1_11comp_targetILNS1_3genE10ELNS1_11target_archE1201ELNS1_3gpuE5ELNS1_3repE0EEENS1_30default_config_static_selectorELNS0_4arch9wavefront6targetE1EEEvSW_.numbered_sgpr, 0
	.set _ZN7rocprim17ROCPRIM_400000_NS6detail17trampoline_kernelINS0_14default_configENS1_22reduce_config_selectorIlEEZNS1_11reduce_implILb1ES3_N6thrust23THRUST_200600_302600_NS11hip_rocprim26transform_input_iterator_tIlNS8_12zip_iteratorINS8_5tupleINS8_6detail15normal_iteratorINS8_10device_ptrIsEEEESH_NS8_9null_typeESI_SI_SI_SI_SI_SI_SI_EEEENS9_21zip_adj_not_predicateI22is_equal_div_10_uniqueIsEEEEEPllNS8_4plusIlEEEE10hipError_tPvRmT1_T2_T3_mT4_P12ihipStream_tbEUlT_E0_NS1_11comp_targetILNS1_3genE10ELNS1_11target_archE1201ELNS1_3gpuE5ELNS1_3repE0EEENS1_30default_config_static_selectorELNS0_4arch9wavefront6targetE1EEEvSW_.num_named_barrier, 0
	.set _ZN7rocprim17ROCPRIM_400000_NS6detail17trampoline_kernelINS0_14default_configENS1_22reduce_config_selectorIlEEZNS1_11reduce_implILb1ES3_N6thrust23THRUST_200600_302600_NS11hip_rocprim26transform_input_iterator_tIlNS8_12zip_iteratorINS8_5tupleINS8_6detail15normal_iteratorINS8_10device_ptrIsEEEESH_NS8_9null_typeESI_SI_SI_SI_SI_SI_SI_EEEENS9_21zip_adj_not_predicateI22is_equal_div_10_uniqueIsEEEEEPllNS8_4plusIlEEEE10hipError_tPvRmT1_T2_T3_mT4_P12ihipStream_tbEUlT_E0_NS1_11comp_targetILNS1_3genE10ELNS1_11target_archE1201ELNS1_3gpuE5ELNS1_3repE0EEENS1_30default_config_static_selectorELNS0_4arch9wavefront6targetE1EEEvSW_.private_seg_size, 0
	.set _ZN7rocprim17ROCPRIM_400000_NS6detail17trampoline_kernelINS0_14default_configENS1_22reduce_config_selectorIlEEZNS1_11reduce_implILb1ES3_N6thrust23THRUST_200600_302600_NS11hip_rocprim26transform_input_iterator_tIlNS8_12zip_iteratorINS8_5tupleINS8_6detail15normal_iteratorINS8_10device_ptrIsEEEESH_NS8_9null_typeESI_SI_SI_SI_SI_SI_SI_EEEENS9_21zip_adj_not_predicateI22is_equal_div_10_uniqueIsEEEEEPllNS8_4plusIlEEEE10hipError_tPvRmT1_T2_T3_mT4_P12ihipStream_tbEUlT_E0_NS1_11comp_targetILNS1_3genE10ELNS1_11target_archE1201ELNS1_3gpuE5ELNS1_3repE0EEENS1_30default_config_static_selectorELNS0_4arch9wavefront6targetE1EEEvSW_.uses_vcc, 0
	.set _ZN7rocprim17ROCPRIM_400000_NS6detail17trampoline_kernelINS0_14default_configENS1_22reduce_config_selectorIlEEZNS1_11reduce_implILb1ES3_N6thrust23THRUST_200600_302600_NS11hip_rocprim26transform_input_iterator_tIlNS8_12zip_iteratorINS8_5tupleINS8_6detail15normal_iteratorINS8_10device_ptrIsEEEESH_NS8_9null_typeESI_SI_SI_SI_SI_SI_SI_EEEENS9_21zip_adj_not_predicateI22is_equal_div_10_uniqueIsEEEEEPllNS8_4plusIlEEEE10hipError_tPvRmT1_T2_T3_mT4_P12ihipStream_tbEUlT_E0_NS1_11comp_targetILNS1_3genE10ELNS1_11target_archE1201ELNS1_3gpuE5ELNS1_3repE0EEENS1_30default_config_static_selectorELNS0_4arch9wavefront6targetE1EEEvSW_.uses_flat_scratch, 0
	.set _ZN7rocprim17ROCPRIM_400000_NS6detail17trampoline_kernelINS0_14default_configENS1_22reduce_config_selectorIlEEZNS1_11reduce_implILb1ES3_N6thrust23THRUST_200600_302600_NS11hip_rocprim26transform_input_iterator_tIlNS8_12zip_iteratorINS8_5tupleINS8_6detail15normal_iteratorINS8_10device_ptrIsEEEESH_NS8_9null_typeESI_SI_SI_SI_SI_SI_SI_EEEENS9_21zip_adj_not_predicateI22is_equal_div_10_uniqueIsEEEEEPllNS8_4plusIlEEEE10hipError_tPvRmT1_T2_T3_mT4_P12ihipStream_tbEUlT_E0_NS1_11comp_targetILNS1_3genE10ELNS1_11target_archE1201ELNS1_3gpuE5ELNS1_3repE0EEENS1_30default_config_static_selectorELNS0_4arch9wavefront6targetE1EEEvSW_.has_dyn_sized_stack, 0
	.set _ZN7rocprim17ROCPRIM_400000_NS6detail17trampoline_kernelINS0_14default_configENS1_22reduce_config_selectorIlEEZNS1_11reduce_implILb1ES3_N6thrust23THRUST_200600_302600_NS11hip_rocprim26transform_input_iterator_tIlNS8_12zip_iteratorINS8_5tupleINS8_6detail15normal_iteratorINS8_10device_ptrIsEEEESH_NS8_9null_typeESI_SI_SI_SI_SI_SI_SI_EEEENS9_21zip_adj_not_predicateI22is_equal_div_10_uniqueIsEEEEEPllNS8_4plusIlEEEE10hipError_tPvRmT1_T2_T3_mT4_P12ihipStream_tbEUlT_E0_NS1_11comp_targetILNS1_3genE10ELNS1_11target_archE1201ELNS1_3gpuE5ELNS1_3repE0EEENS1_30default_config_static_selectorELNS0_4arch9wavefront6targetE1EEEvSW_.has_recursion, 0
	.set _ZN7rocprim17ROCPRIM_400000_NS6detail17trampoline_kernelINS0_14default_configENS1_22reduce_config_selectorIlEEZNS1_11reduce_implILb1ES3_N6thrust23THRUST_200600_302600_NS11hip_rocprim26transform_input_iterator_tIlNS8_12zip_iteratorINS8_5tupleINS8_6detail15normal_iteratorINS8_10device_ptrIsEEEESH_NS8_9null_typeESI_SI_SI_SI_SI_SI_SI_EEEENS9_21zip_adj_not_predicateI22is_equal_div_10_uniqueIsEEEEEPllNS8_4plusIlEEEE10hipError_tPvRmT1_T2_T3_mT4_P12ihipStream_tbEUlT_E0_NS1_11comp_targetILNS1_3genE10ELNS1_11target_archE1201ELNS1_3gpuE5ELNS1_3repE0EEENS1_30default_config_static_selectorELNS0_4arch9wavefront6targetE1EEEvSW_.has_indirect_call, 0
	.section	.AMDGPU.csdata,"",@progbits
; Kernel info:
; codeLenInByte = 0
; TotalNumSgprs: 4
; NumVgprs: 0
; ScratchSize: 0
; MemoryBound: 0
; FloatMode: 240
; IeeeMode: 1
; LDSByteSize: 0 bytes/workgroup (compile time only)
; SGPRBlocks: 0
; VGPRBlocks: 0
; NumSGPRsForWavesPerEU: 4
; NumVGPRsForWavesPerEU: 1
; Occupancy: 10
; WaveLimiterHint : 0
; COMPUTE_PGM_RSRC2:SCRATCH_EN: 0
; COMPUTE_PGM_RSRC2:USER_SGPR: 6
; COMPUTE_PGM_RSRC2:TRAP_HANDLER: 0
; COMPUTE_PGM_RSRC2:TGID_X_EN: 1
; COMPUTE_PGM_RSRC2:TGID_Y_EN: 0
; COMPUTE_PGM_RSRC2:TGID_Z_EN: 0
; COMPUTE_PGM_RSRC2:TIDIG_COMP_CNT: 0
	.section	.text._ZN7rocprim17ROCPRIM_400000_NS6detail17trampoline_kernelINS0_14default_configENS1_22reduce_config_selectorIlEEZNS1_11reduce_implILb1ES3_N6thrust23THRUST_200600_302600_NS11hip_rocprim26transform_input_iterator_tIlNS8_12zip_iteratorINS8_5tupleINS8_6detail15normal_iteratorINS8_10device_ptrIsEEEESH_NS8_9null_typeESI_SI_SI_SI_SI_SI_SI_EEEENS9_21zip_adj_not_predicateI22is_equal_div_10_uniqueIsEEEEEPllNS8_4plusIlEEEE10hipError_tPvRmT1_T2_T3_mT4_P12ihipStream_tbEUlT_E0_NS1_11comp_targetILNS1_3genE10ELNS1_11target_archE1200ELNS1_3gpuE4ELNS1_3repE0EEENS1_30default_config_static_selectorELNS0_4arch9wavefront6targetE1EEEvSW_,"axG",@progbits,_ZN7rocprim17ROCPRIM_400000_NS6detail17trampoline_kernelINS0_14default_configENS1_22reduce_config_selectorIlEEZNS1_11reduce_implILb1ES3_N6thrust23THRUST_200600_302600_NS11hip_rocprim26transform_input_iterator_tIlNS8_12zip_iteratorINS8_5tupleINS8_6detail15normal_iteratorINS8_10device_ptrIsEEEESH_NS8_9null_typeESI_SI_SI_SI_SI_SI_SI_EEEENS9_21zip_adj_not_predicateI22is_equal_div_10_uniqueIsEEEEEPllNS8_4plusIlEEEE10hipError_tPvRmT1_T2_T3_mT4_P12ihipStream_tbEUlT_E0_NS1_11comp_targetILNS1_3genE10ELNS1_11target_archE1200ELNS1_3gpuE4ELNS1_3repE0EEENS1_30default_config_static_selectorELNS0_4arch9wavefront6targetE1EEEvSW_,comdat
	.protected	_ZN7rocprim17ROCPRIM_400000_NS6detail17trampoline_kernelINS0_14default_configENS1_22reduce_config_selectorIlEEZNS1_11reduce_implILb1ES3_N6thrust23THRUST_200600_302600_NS11hip_rocprim26transform_input_iterator_tIlNS8_12zip_iteratorINS8_5tupleINS8_6detail15normal_iteratorINS8_10device_ptrIsEEEESH_NS8_9null_typeESI_SI_SI_SI_SI_SI_SI_EEEENS9_21zip_adj_not_predicateI22is_equal_div_10_uniqueIsEEEEEPllNS8_4plusIlEEEE10hipError_tPvRmT1_T2_T3_mT4_P12ihipStream_tbEUlT_E0_NS1_11comp_targetILNS1_3genE10ELNS1_11target_archE1200ELNS1_3gpuE4ELNS1_3repE0EEENS1_30default_config_static_selectorELNS0_4arch9wavefront6targetE1EEEvSW_ ; -- Begin function _ZN7rocprim17ROCPRIM_400000_NS6detail17trampoline_kernelINS0_14default_configENS1_22reduce_config_selectorIlEEZNS1_11reduce_implILb1ES3_N6thrust23THRUST_200600_302600_NS11hip_rocprim26transform_input_iterator_tIlNS8_12zip_iteratorINS8_5tupleINS8_6detail15normal_iteratorINS8_10device_ptrIsEEEESH_NS8_9null_typeESI_SI_SI_SI_SI_SI_SI_EEEENS9_21zip_adj_not_predicateI22is_equal_div_10_uniqueIsEEEEEPllNS8_4plusIlEEEE10hipError_tPvRmT1_T2_T3_mT4_P12ihipStream_tbEUlT_E0_NS1_11comp_targetILNS1_3genE10ELNS1_11target_archE1200ELNS1_3gpuE4ELNS1_3repE0EEENS1_30default_config_static_selectorELNS0_4arch9wavefront6targetE1EEEvSW_
	.globl	_ZN7rocprim17ROCPRIM_400000_NS6detail17trampoline_kernelINS0_14default_configENS1_22reduce_config_selectorIlEEZNS1_11reduce_implILb1ES3_N6thrust23THRUST_200600_302600_NS11hip_rocprim26transform_input_iterator_tIlNS8_12zip_iteratorINS8_5tupleINS8_6detail15normal_iteratorINS8_10device_ptrIsEEEESH_NS8_9null_typeESI_SI_SI_SI_SI_SI_SI_EEEENS9_21zip_adj_not_predicateI22is_equal_div_10_uniqueIsEEEEEPllNS8_4plusIlEEEE10hipError_tPvRmT1_T2_T3_mT4_P12ihipStream_tbEUlT_E0_NS1_11comp_targetILNS1_3genE10ELNS1_11target_archE1200ELNS1_3gpuE4ELNS1_3repE0EEENS1_30default_config_static_selectorELNS0_4arch9wavefront6targetE1EEEvSW_
	.p2align	8
	.type	_ZN7rocprim17ROCPRIM_400000_NS6detail17trampoline_kernelINS0_14default_configENS1_22reduce_config_selectorIlEEZNS1_11reduce_implILb1ES3_N6thrust23THRUST_200600_302600_NS11hip_rocprim26transform_input_iterator_tIlNS8_12zip_iteratorINS8_5tupleINS8_6detail15normal_iteratorINS8_10device_ptrIsEEEESH_NS8_9null_typeESI_SI_SI_SI_SI_SI_SI_EEEENS9_21zip_adj_not_predicateI22is_equal_div_10_uniqueIsEEEEEPllNS8_4plusIlEEEE10hipError_tPvRmT1_T2_T3_mT4_P12ihipStream_tbEUlT_E0_NS1_11comp_targetILNS1_3genE10ELNS1_11target_archE1200ELNS1_3gpuE4ELNS1_3repE0EEENS1_30default_config_static_selectorELNS0_4arch9wavefront6targetE1EEEvSW_,@function
_ZN7rocprim17ROCPRIM_400000_NS6detail17trampoline_kernelINS0_14default_configENS1_22reduce_config_selectorIlEEZNS1_11reduce_implILb1ES3_N6thrust23THRUST_200600_302600_NS11hip_rocprim26transform_input_iterator_tIlNS8_12zip_iteratorINS8_5tupleINS8_6detail15normal_iteratorINS8_10device_ptrIsEEEESH_NS8_9null_typeESI_SI_SI_SI_SI_SI_SI_EEEENS9_21zip_adj_not_predicateI22is_equal_div_10_uniqueIsEEEEEPllNS8_4plusIlEEEE10hipError_tPvRmT1_T2_T3_mT4_P12ihipStream_tbEUlT_E0_NS1_11comp_targetILNS1_3genE10ELNS1_11target_archE1200ELNS1_3gpuE4ELNS1_3repE0EEENS1_30default_config_static_selectorELNS0_4arch9wavefront6targetE1EEEvSW_: ; @_ZN7rocprim17ROCPRIM_400000_NS6detail17trampoline_kernelINS0_14default_configENS1_22reduce_config_selectorIlEEZNS1_11reduce_implILb1ES3_N6thrust23THRUST_200600_302600_NS11hip_rocprim26transform_input_iterator_tIlNS8_12zip_iteratorINS8_5tupleINS8_6detail15normal_iteratorINS8_10device_ptrIsEEEESH_NS8_9null_typeESI_SI_SI_SI_SI_SI_SI_EEEENS9_21zip_adj_not_predicateI22is_equal_div_10_uniqueIsEEEEEPllNS8_4plusIlEEEE10hipError_tPvRmT1_T2_T3_mT4_P12ihipStream_tbEUlT_E0_NS1_11comp_targetILNS1_3genE10ELNS1_11target_archE1200ELNS1_3gpuE4ELNS1_3repE0EEENS1_30default_config_static_selectorELNS0_4arch9wavefront6targetE1EEEvSW_
; %bb.0:
	.section	.rodata,"a",@progbits
	.p2align	6, 0x0
	.amdhsa_kernel _ZN7rocprim17ROCPRIM_400000_NS6detail17trampoline_kernelINS0_14default_configENS1_22reduce_config_selectorIlEEZNS1_11reduce_implILb1ES3_N6thrust23THRUST_200600_302600_NS11hip_rocprim26transform_input_iterator_tIlNS8_12zip_iteratorINS8_5tupleINS8_6detail15normal_iteratorINS8_10device_ptrIsEEEESH_NS8_9null_typeESI_SI_SI_SI_SI_SI_SI_EEEENS9_21zip_adj_not_predicateI22is_equal_div_10_uniqueIsEEEEEPllNS8_4plusIlEEEE10hipError_tPvRmT1_T2_T3_mT4_P12ihipStream_tbEUlT_E0_NS1_11comp_targetILNS1_3genE10ELNS1_11target_archE1200ELNS1_3gpuE4ELNS1_3repE0EEENS1_30default_config_static_selectorELNS0_4arch9wavefront6targetE1EEEvSW_
		.amdhsa_group_segment_fixed_size 0
		.amdhsa_private_segment_fixed_size 0
		.amdhsa_kernarg_size 80
		.amdhsa_user_sgpr_count 6
		.amdhsa_user_sgpr_private_segment_buffer 1
		.amdhsa_user_sgpr_dispatch_ptr 0
		.amdhsa_user_sgpr_queue_ptr 0
		.amdhsa_user_sgpr_kernarg_segment_ptr 1
		.amdhsa_user_sgpr_dispatch_id 0
		.amdhsa_user_sgpr_flat_scratch_init 0
		.amdhsa_user_sgpr_private_segment_size 0
		.amdhsa_uses_dynamic_stack 0
		.amdhsa_system_sgpr_private_segment_wavefront_offset 0
		.amdhsa_system_sgpr_workgroup_id_x 1
		.amdhsa_system_sgpr_workgroup_id_y 0
		.amdhsa_system_sgpr_workgroup_id_z 0
		.amdhsa_system_sgpr_workgroup_info 0
		.amdhsa_system_vgpr_workitem_id 0
		.amdhsa_next_free_vgpr 1
		.amdhsa_next_free_sgpr 0
		.amdhsa_reserve_vcc 0
		.amdhsa_reserve_flat_scratch 0
		.amdhsa_float_round_mode_32 0
		.amdhsa_float_round_mode_16_64 0
		.amdhsa_float_denorm_mode_32 3
		.amdhsa_float_denorm_mode_16_64 3
		.amdhsa_dx10_clamp 1
		.amdhsa_ieee_mode 1
		.amdhsa_fp16_overflow 0
		.amdhsa_exception_fp_ieee_invalid_op 0
		.amdhsa_exception_fp_denorm_src 0
		.amdhsa_exception_fp_ieee_div_zero 0
		.amdhsa_exception_fp_ieee_overflow 0
		.amdhsa_exception_fp_ieee_underflow 0
		.amdhsa_exception_fp_ieee_inexact 0
		.amdhsa_exception_int_div_zero 0
	.end_amdhsa_kernel
	.section	.text._ZN7rocprim17ROCPRIM_400000_NS6detail17trampoline_kernelINS0_14default_configENS1_22reduce_config_selectorIlEEZNS1_11reduce_implILb1ES3_N6thrust23THRUST_200600_302600_NS11hip_rocprim26transform_input_iterator_tIlNS8_12zip_iteratorINS8_5tupleINS8_6detail15normal_iteratorINS8_10device_ptrIsEEEESH_NS8_9null_typeESI_SI_SI_SI_SI_SI_SI_EEEENS9_21zip_adj_not_predicateI22is_equal_div_10_uniqueIsEEEEEPllNS8_4plusIlEEEE10hipError_tPvRmT1_T2_T3_mT4_P12ihipStream_tbEUlT_E0_NS1_11comp_targetILNS1_3genE10ELNS1_11target_archE1200ELNS1_3gpuE4ELNS1_3repE0EEENS1_30default_config_static_selectorELNS0_4arch9wavefront6targetE1EEEvSW_,"axG",@progbits,_ZN7rocprim17ROCPRIM_400000_NS6detail17trampoline_kernelINS0_14default_configENS1_22reduce_config_selectorIlEEZNS1_11reduce_implILb1ES3_N6thrust23THRUST_200600_302600_NS11hip_rocprim26transform_input_iterator_tIlNS8_12zip_iteratorINS8_5tupleINS8_6detail15normal_iteratorINS8_10device_ptrIsEEEESH_NS8_9null_typeESI_SI_SI_SI_SI_SI_SI_EEEENS9_21zip_adj_not_predicateI22is_equal_div_10_uniqueIsEEEEEPllNS8_4plusIlEEEE10hipError_tPvRmT1_T2_T3_mT4_P12ihipStream_tbEUlT_E0_NS1_11comp_targetILNS1_3genE10ELNS1_11target_archE1200ELNS1_3gpuE4ELNS1_3repE0EEENS1_30default_config_static_selectorELNS0_4arch9wavefront6targetE1EEEvSW_,comdat
.Lfunc_end1019:
	.size	_ZN7rocprim17ROCPRIM_400000_NS6detail17trampoline_kernelINS0_14default_configENS1_22reduce_config_selectorIlEEZNS1_11reduce_implILb1ES3_N6thrust23THRUST_200600_302600_NS11hip_rocprim26transform_input_iterator_tIlNS8_12zip_iteratorINS8_5tupleINS8_6detail15normal_iteratorINS8_10device_ptrIsEEEESH_NS8_9null_typeESI_SI_SI_SI_SI_SI_SI_EEEENS9_21zip_adj_not_predicateI22is_equal_div_10_uniqueIsEEEEEPllNS8_4plusIlEEEE10hipError_tPvRmT1_T2_T3_mT4_P12ihipStream_tbEUlT_E0_NS1_11comp_targetILNS1_3genE10ELNS1_11target_archE1200ELNS1_3gpuE4ELNS1_3repE0EEENS1_30default_config_static_selectorELNS0_4arch9wavefront6targetE1EEEvSW_, .Lfunc_end1019-_ZN7rocprim17ROCPRIM_400000_NS6detail17trampoline_kernelINS0_14default_configENS1_22reduce_config_selectorIlEEZNS1_11reduce_implILb1ES3_N6thrust23THRUST_200600_302600_NS11hip_rocprim26transform_input_iterator_tIlNS8_12zip_iteratorINS8_5tupleINS8_6detail15normal_iteratorINS8_10device_ptrIsEEEESH_NS8_9null_typeESI_SI_SI_SI_SI_SI_SI_EEEENS9_21zip_adj_not_predicateI22is_equal_div_10_uniqueIsEEEEEPllNS8_4plusIlEEEE10hipError_tPvRmT1_T2_T3_mT4_P12ihipStream_tbEUlT_E0_NS1_11comp_targetILNS1_3genE10ELNS1_11target_archE1200ELNS1_3gpuE4ELNS1_3repE0EEENS1_30default_config_static_selectorELNS0_4arch9wavefront6targetE1EEEvSW_
                                        ; -- End function
	.set _ZN7rocprim17ROCPRIM_400000_NS6detail17trampoline_kernelINS0_14default_configENS1_22reduce_config_selectorIlEEZNS1_11reduce_implILb1ES3_N6thrust23THRUST_200600_302600_NS11hip_rocprim26transform_input_iterator_tIlNS8_12zip_iteratorINS8_5tupleINS8_6detail15normal_iteratorINS8_10device_ptrIsEEEESH_NS8_9null_typeESI_SI_SI_SI_SI_SI_SI_EEEENS9_21zip_adj_not_predicateI22is_equal_div_10_uniqueIsEEEEEPllNS8_4plusIlEEEE10hipError_tPvRmT1_T2_T3_mT4_P12ihipStream_tbEUlT_E0_NS1_11comp_targetILNS1_3genE10ELNS1_11target_archE1200ELNS1_3gpuE4ELNS1_3repE0EEENS1_30default_config_static_selectorELNS0_4arch9wavefront6targetE1EEEvSW_.num_vgpr, 0
	.set _ZN7rocprim17ROCPRIM_400000_NS6detail17trampoline_kernelINS0_14default_configENS1_22reduce_config_selectorIlEEZNS1_11reduce_implILb1ES3_N6thrust23THRUST_200600_302600_NS11hip_rocprim26transform_input_iterator_tIlNS8_12zip_iteratorINS8_5tupleINS8_6detail15normal_iteratorINS8_10device_ptrIsEEEESH_NS8_9null_typeESI_SI_SI_SI_SI_SI_SI_EEEENS9_21zip_adj_not_predicateI22is_equal_div_10_uniqueIsEEEEEPllNS8_4plusIlEEEE10hipError_tPvRmT1_T2_T3_mT4_P12ihipStream_tbEUlT_E0_NS1_11comp_targetILNS1_3genE10ELNS1_11target_archE1200ELNS1_3gpuE4ELNS1_3repE0EEENS1_30default_config_static_selectorELNS0_4arch9wavefront6targetE1EEEvSW_.num_agpr, 0
	.set _ZN7rocprim17ROCPRIM_400000_NS6detail17trampoline_kernelINS0_14default_configENS1_22reduce_config_selectorIlEEZNS1_11reduce_implILb1ES3_N6thrust23THRUST_200600_302600_NS11hip_rocprim26transform_input_iterator_tIlNS8_12zip_iteratorINS8_5tupleINS8_6detail15normal_iteratorINS8_10device_ptrIsEEEESH_NS8_9null_typeESI_SI_SI_SI_SI_SI_SI_EEEENS9_21zip_adj_not_predicateI22is_equal_div_10_uniqueIsEEEEEPllNS8_4plusIlEEEE10hipError_tPvRmT1_T2_T3_mT4_P12ihipStream_tbEUlT_E0_NS1_11comp_targetILNS1_3genE10ELNS1_11target_archE1200ELNS1_3gpuE4ELNS1_3repE0EEENS1_30default_config_static_selectorELNS0_4arch9wavefront6targetE1EEEvSW_.numbered_sgpr, 0
	.set _ZN7rocprim17ROCPRIM_400000_NS6detail17trampoline_kernelINS0_14default_configENS1_22reduce_config_selectorIlEEZNS1_11reduce_implILb1ES3_N6thrust23THRUST_200600_302600_NS11hip_rocprim26transform_input_iterator_tIlNS8_12zip_iteratorINS8_5tupleINS8_6detail15normal_iteratorINS8_10device_ptrIsEEEESH_NS8_9null_typeESI_SI_SI_SI_SI_SI_SI_EEEENS9_21zip_adj_not_predicateI22is_equal_div_10_uniqueIsEEEEEPllNS8_4plusIlEEEE10hipError_tPvRmT1_T2_T3_mT4_P12ihipStream_tbEUlT_E0_NS1_11comp_targetILNS1_3genE10ELNS1_11target_archE1200ELNS1_3gpuE4ELNS1_3repE0EEENS1_30default_config_static_selectorELNS0_4arch9wavefront6targetE1EEEvSW_.num_named_barrier, 0
	.set _ZN7rocprim17ROCPRIM_400000_NS6detail17trampoline_kernelINS0_14default_configENS1_22reduce_config_selectorIlEEZNS1_11reduce_implILb1ES3_N6thrust23THRUST_200600_302600_NS11hip_rocprim26transform_input_iterator_tIlNS8_12zip_iteratorINS8_5tupleINS8_6detail15normal_iteratorINS8_10device_ptrIsEEEESH_NS8_9null_typeESI_SI_SI_SI_SI_SI_SI_EEEENS9_21zip_adj_not_predicateI22is_equal_div_10_uniqueIsEEEEEPllNS8_4plusIlEEEE10hipError_tPvRmT1_T2_T3_mT4_P12ihipStream_tbEUlT_E0_NS1_11comp_targetILNS1_3genE10ELNS1_11target_archE1200ELNS1_3gpuE4ELNS1_3repE0EEENS1_30default_config_static_selectorELNS0_4arch9wavefront6targetE1EEEvSW_.private_seg_size, 0
	.set _ZN7rocprim17ROCPRIM_400000_NS6detail17trampoline_kernelINS0_14default_configENS1_22reduce_config_selectorIlEEZNS1_11reduce_implILb1ES3_N6thrust23THRUST_200600_302600_NS11hip_rocprim26transform_input_iterator_tIlNS8_12zip_iteratorINS8_5tupleINS8_6detail15normal_iteratorINS8_10device_ptrIsEEEESH_NS8_9null_typeESI_SI_SI_SI_SI_SI_SI_EEEENS9_21zip_adj_not_predicateI22is_equal_div_10_uniqueIsEEEEEPllNS8_4plusIlEEEE10hipError_tPvRmT1_T2_T3_mT4_P12ihipStream_tbEUlT_E0_NS1_11comp_targetILNS1_3genE10ELNS1_11target_archE1200ELNS1_3gpuE4ELNS1_3repE0EEENS1_30default_config_static_selectorELNS0_4arch9wavefront6targetE1EEEvSW_.uses_vcc, 0
	.set _ZN7rocprim17ROCPRIM_400000_NS6detail17trampoline_kernelINS0_14default_configENS1_22reduce_config_selectorIlEEZNS1_11reduce_implILb1ES3_N6thrust23THRUST_200600_302600_NS11hip_rocprim26transform_input_iterator_tIlNS8_12zip_iteratorINS8_5tupleINS8_6detail15normal_iteratorINS8_10device_ptrIsEEEESH_NS8_9null_typeESI_SI_SI_SI_SI_SI_SI_EEEENS9_21zip_adj_not_predicateI22is_equal_div_10_uniqueIsEEEEEPllNS8_4plusIlEEEE10hipError_tPvRmT1_T2_T3_mT4_P12ihipStream_tbEUlT_E0_NS1_11comp_targetILNS1_3genE10ELNS1_11target_archE1200ELNS1_3gpuE4ELNS1_3repE0EEENS1_30default_config_static_selectorELNS0_4arch9wavefront6targetE1EEEvSW_.uses_flat_scratch, 0
	.set _ZN7rocprim17ROCPRIM_400000_NS6detail17trampoline_kernelINS0_14default_configENS1_22reduce_config_selectorIlEEZNS1_11reduce_implILb1ES3_N6thrust23THRUST_200600_302600_NS11hip_rocprim26transform_input_iterator_tIlNS8_12zip_iteratorINS8_5tupleINS8_6detail15normal_iteratorINS8_10device_ptrIsEEEESH_NS8_9null_typeESI_SI_SI_SI_SI_SI_SI_EEEENS9_21zip_adj_not_predicateI22is_equal_div_10_uniqueIsEEEEEPllNS8_4plusIlEEEE10hipError_tPvRmT1_T2_T3_mT4_P12ihipStream_tbEUlT_E0_NS1_11comp_targetILNS1_3genE10ELNS1_11target_archE1200ELNS1_3gpuE4ELNS1_3repE0EEENS1_30default_config_static_selectorELNS0_4arch9wavefront6targetE1EEEvSW_.has_dyn_sized_stack, 0
	.set _ZN7rocprim17ROCPRIM_400000_NS6detail17trampoline_kernelINS0_14default_configENS1_22reduce_config_selectorIlEEZNS1_11reduce_implILb1ES3_N6thrust23THRUST_200600_302600_NS11hip_rocprim26transform_input_iterator_tIlNS8_12zip_iteratorINS8_5tupleINS8_6detail15normal_iteratorINS8_10device_ptrIsEEEESH_NS8_9null_typeESI_SI_SI_SI_SI_SI_SI_EEEENS9_21zip_adj_not_predicateI22is_equal_div_10_uniqueIsEEEEEPllNS8_4plusIlEEEE10hipError_tPvRmT1_T2_T3_mT4_P12ihipStream_tbEUlT_E0_NS1_11comp_targetILNS1_3genE10ELNS1_11target_archE1200ELNS1_3gpuE4ELNS1_3repE0EEENS1_30default_config_static_selectorELNS0_4arch9wavefront6targetE1EEEvSW_.has_recursion, 0
	.set _ZN7rocprim17ROCPRIM_400000_NS6detail17trampoline_kernelINS0_14default_configENS1_22reduce_config_selectorIlEEZNS1_11reduce_implILb1ES3_N6thrust23THRUST_200600_302600_NS11hip_rocprim26transform_input_iterator_tIlNS8_12zip_iteratorINS8_5tupleINS8_6detail15normal_iteratorINS8_10device_ptrIsEEEESH_NS8_9null_typeESI_SI_SI_SI_SI_SI_SI_EEEENS9_21zip_adj_not_predicateI22is_equal_div_10_uniqueIsEEEEEPllNS8_4plusIlEEEE10hipError_tPvRmT1_T2_T3_mT4_P12ihipStream_tbEUlT_E0_NS1_11comp_targetILNS1_3genE10ELNS1_11target_archE1200ELNS1_3gpuE4ELNS1_3repE0EEENS1_30default_config_static_selectorELNS0_4arch9wavefront6targetE1EEEvSW_.has_indirect_call, 0
	.section	.AMDGPU.csdata,"",@progbits
; Kernel info:
; codeLenInByte = 0
; TotalNumSgprs: 4
; NumVgprs: 0
; ScratchSize: 0
; MemoryBound: 0
; FloatMode: 240
; IeeeMode: 1
; LDSByteSize: 0 bytes/workgroup (compile time only)
; SGPRBlocks: 0
; VGPRBlocks: 0
; NumSGPRsForWavesPerEU: 4
; NumVGPRsForWavesPerEU: 1
; Occupancy: 10
; WaveLimiterHint : 0
; COMPUTE_PGM_RSRC2:SCRATCH_EN: 0
; COMPUTE_PGM_RSRC2:USER_SGPR: 6
; COMPUTE_PGM_RSRC2:TRAP_HANDLER: 0
; COMPUTE_PGM_RSRC2:TGID_X_EN: 1
; COMPUTE_PGM_RSRC2:TGID_Y_EN: 0
; COMPUTE_PGM_RSRC2:TGID_Z_EN: 0
; COMPUTE_PGM_RSRC2:TIDIG_COMP_CNT: 0
	.section	.text._ZN7rocprim17ROCPRIM_400000_NS6detail17trampoline_kernelINS0_14default_configENS1_22reduce_config_selectorIlEEZNS1_11reduce_implILb1ES3_N6thrust23THRUST_200600_302600_NS11hip_rocprim26transform_input_iterator_tIlNS8_12zip_iteratorINS8_5tupleINS8_6detail15normal_iteratorINS8_10device_ptrIsEEEESH_NS8_9null_typeESI_SI_SI_SI_SI_SI_SI_EEEENS9_21zip_adj_not_predicateI22is_equal_div_10_uniqueIsEEEEEPllNS8_4plusIlEEEE10hipError_tPvRmT1_T2_T3_mT4_P12ihipStream_tbEUlT_E0_NS1_11comp_targetILNS1_3genE9ELNS1_11target_archE1100ELNS1_3gpuE3ELNS1_3repE0EEENS1_30default_config_static_selectorELNS0_4arch9wavefront6targetE1EEEvSW_,"axG",@progbits,_ZN7rocprim17ROCPRIM_400000_NS6detail17trampoline_kernelINS0_14default_configENS1_22reduce_config_selectorIlEEZNS1_11reduce_implILb1ES3_N6thrust23THRUST_200600_302600_NS11hip_rocprim26transform_input_iterator_tIlNS8_12zip_iteratorINS8_5tupleINS8_6detail15normal_iteratorINS8_10device_ptrIsEEEESH_NS8_9null_typeESI_SI_SI_SI_SI_SI_SI_EEEENS9_21zip_adj_not_predicateI22is_equal_div_10_uniqueIsEEEEEPllNS8_4plusIlEEEE10hipError_tPvRmT1_T2_T3_mT4_P12ihipStream_tbEUlT_E0_NS1_11comp_targetILNS1_3genE9ELNS1_11target_archE1100ELNS1_3gpuE3ELNS1_3repE0EEENS1_30default_config_static_selectorELNS0_4arch9wavefront6targetE1EEEvSW_,comdat
	.protected	_ZN7rocprim17ROCPRIM_400000_NS6detail17trampoline_kernelINS0_14default_configENS1_22reduce_config_selectorIlEEZNS1_11reduce_implILb1ES3_N6thrust23THRUST_200600_302600_NS11hip_rocprim26transform_input_iterator_tIlNS8_12zip_iteratorINS8_5tupleINS8_6detail15normal_iteratorINS8_10device_ptrIsEEEESH_NS8_9null_typeESI_SI_SI_SI_SI_SI_SI_EEEENS9_21zip_adj_not_predicateI22is_equal_div_10_uniqueIsEEEEEPllNS8_4plusIlEEEE10hipError_tPvRmT1_T2_T3_mT4_P12ihipStream_tbEUlT_E0_NS1_11comp_targetILNS1_3genE9ELNS1_11target_archE1100ELNS1_3gpuE3ELNS1_3repE0EEENS1_30default_config_static_selectorELNS0_4arch9wavefront6targetE1EEEvSW_ ; -- Begin function _ZN7rocprim17ROCPRIM_400000_NS6detail17trampoline_kernelINS0_14default_configENS1_22reduce_config_selectorIlEEZNS1_11reduce_implILb1ES3_N6thrust23THRUST_200600_302600_NS11hip_rocprim26transform_input_iterator_tIlNS8_12zip_iteratorINS8_5tupleINS8_6detail15normal_iteratorINS8_10device_ptrIsEEEESH_NS8_9null_typeESI_SI_SI_SI_SI_SI_SI_EEEENS9_21zip_adj_not_predicateI22is_equal_div_10_uniqueIsEEEEEPllNS8_4plusIlEEEE10hipError_tPvRmT1_T2_T3_mT4_P12ihipStream_tbEUlT_E0_NS1_11comp_targetILNS1_3genE9ELNS1_11target_archE1100ELNS1_3gpuE3ELNS1_3repE0EEENS1_30default_config_static_selectorELNS0_4arch9wavefront6targetE1EEEvSW_
	.globl	_ZN7rocprim17ROCPRIM_400000_NS6detail17trampoline_kernelINS0_14default_configENS1_22reduce_config_selectorIlEEZNS1_11reduce_implILb1ES3_N6thrust23THRUST_200600_302600_NS11hip_rocprim26transform_input_iterator_tIlNS8_12zip_iteratorINS8_5tupleINS8_6detail15normal_iteratorINS8_10device_ptrIsEEEESH_NS8_9null_typeESI_SI_SI_SI_SI_SI_SI_EEEENS9_21zip_adj_not_predicateI22is_equal_div_10_uniqueIsEEEEEPllNS8_4plusIlEEEE10hipError_tPvRmT1_T2_T3_mT4_P12ihipStream_tbEUlT_E0_NS1_11comp_targetILNS1_3genE9ELNS1_11target_archE1100ELNS1_3gpuE3ELNS1_3repE0EEENS1_30default_config_static_selectorELNS0_4arch9wavefront6targetE1EEEvSW_
	.p2align	8
	.type	_ZN7rocprim17ROCPRIM_400000_NS6detail17trampoline_kernelINS0_14default_configENS1_22reduce_config_selectorIlEEZNS1_11reduce_implILb1ES3_N6thrust23THRUST_200600_302600_NS11hip_rocprim26transform_input_iterator_tIlNS8_12zip_iteratorINS8_5tupleINS8_6detail15normal_iteratorINS8_10device_ptrIsEEEESH_NS8_9null_typeESI_SI_SI_SI_SI_SI_SI_EEEENS9_21zip_adj_not_predicateI22is_equal_div_10_uniqueIsEEEEEPllNS8_4plusIlEEEE10hipError_tPvRmT1_T2_T3_mT4_P12ihipStream_tbEUlT_E0_NS1_11comp_targetILNS1_3genE9ELNS1_11target_archE1100ELNS1_3gpuE3ELNS1_3repE0EEENS1_30default_config_static_selectorELNS0_4arch9wavefront6targetE1EEEvSW_,@function
_ZN7rocprim17ROCPRIM_400000_NS6detail17trampoline_kernelINS0_14default_configENS1_22reduce_config_selectorIlEEZNS1_11reduce_implILb1ES3_N6thrust23THRUST_200600_302600_NS11hip_rocprim26transform_input_iterator_tIlNS8_12zip_iteratorINS8_5tupleINS8_6detail15normal_iteratorINS8_10device_ptrIsEEEESH_NS8_9null_typeESI_SI_SI_SI_SI_SI_SI_EEEENS9_21zip_adj_not_predicateI22is_equal_div_10_uniqueIsEEEEEPllNS8_4plusIlEEEE10hipError_tPvRmT1_T2_T3_mT4_P12ihipStream_tbEUlT_E0_NS1_11comp_targetILNS1_3genE9ELNS1_11target_archE1100ELNS1_3gpuE3ELNS1_3repE0EEENS1_30default_config_static_selectorELNS0_4arch9wavefront6targetE1EEEvSW_: ; @_ZN7rocprim17ROCPRIM_400000_NS6detail17trampoline_kernelINS0_14default_configENS1_22reduce_config_selectorIlEEZNS1_11reduce_implILb1ES3_N6thrust23THRUST_200600_302600_NS11hip_rocprim26transform_input_iterator_tIlNS8_12zip_iteratorINS8_5tupleINS8_6detail15normal_iteratorINS8_10device_ptrIsEEEESH_NS8_9null_typeESI_SI_SI_SI_SI_SI_SI_EEEENS9_21zip_adj_not_predicateI22is_equal_div_10_uniqueIsEEEEEPllNS8_4plusIlEEEE10hipError_tPvRmT1_T2_T3_mT4_P12ihipStream_tbEUlT_E0_NS1_11comp_targetILNS1_3genE9ELNS1_11target_archE1100ELNS1_3gpuE3ELNS1_3repE0EEENS1_30default_config_static_selectorELNS0_4arch9wavefront6targetE1EEEvSW_
; %bb.0:
	.section	.rodata,"a",@progbits
	.p2align	6, 0x0
	.amdhsa_kernel _ZN7rocprim17ROCPRIM_400000_NS6detail17trampoline_kernelINS0_14default_configENS1_22reduce_config_selectorIlEEZNS1_11reduce_implILb1ES3_N6thrust23THRUST_200600_302600_NS11hip_rocprim26transform_input_iterator_tIlNS8_12zip_iteratorINS8_5tupleINS8_6detail15normal_iteratorINS8_10device_ptrIsEEEESH_NS8_9null_typeESI_SI_SI_SI_SI_SI_SI_EEEENS9_21zip_adj_not_predicateI22is_equal_div_10_uniqueIsEEEEEPllNS8_4plusIlEEEE10hipError_tPvRmT1_T2_T3_mT4_P12ihipStream_tbEUlT_E0_NS1_11comp_targetILNS1_3genE9ELNS1_11target_archE1100ELNS1_3gpuE3ELNS1_3repE0EEENS1_30default_config_static_selectorELNS0_4arch9wavefront6targetE1EEEvSW_
		.amdhsa_group_segment_fixed_size 0
		.amdhsa_private_segment_fixed_size 0
		.amdhsa_kernarg_size 80
		.amdhsa_user_sgpr_count 6
		.amdhsa_user_sgpr_private_segment_buffer 1
		.amdhsa_user_sgpr_dispatch_ptr 0
		.amdhsa_user_sgpr_queue_ptr 0
		.amdhsa_user_sgpr_kernarg_segment_ptr 1
		.amdhsa_user_sgpr_dispatch_id 0
		.amdhsa_user_sgpr_flat_scratch_init 0
		.amdhsa_user_sgpr_private_segment_size 0
		.amdhsa_uses_dynamic_stack 0
		.amdhsa_system_sgpr_private_segment_wavefront_offset 0
		.amdhsa_system_sgpr_workgroup_id_x 1
		.amdhsa_system_sgpr_workgroup_id_y 0
		.amdhsa_system_sgpr_workgroup_id_z 0
		.amdhsa_system_sgpr_workgroup_info 0
		.amdhsa_system_vgpr_workitem_id 0
		.amdhsa_next_free_vgpr 1
		.amdhsa_next_free_sgpr 0
		.amdhsa_reserve_vcc 0
		.amdhsa_reserve_flat_scratch 0
		.amdhsa_float_round_mode_32 0
		.amdhsa_float_round_mode_16_64 0
		.amdhsa_float_denorm_mode_32 3
		.amdhsa_float_denorm_mode_16_64 3
		.amdhsa_dx10_clamp 1
		.amdhsa_ieee_mode 1
		.amdhsa_fp16_overflow 0
		.amdhsa_exception_fp_ieee_invalid_op 0
		.amdhsa_exception_fp_denorm_src 0
		.amdhsa_exception_fp_ieee_div_zero 0
		.amdhsa_exception_fp_ieee_overflow 0
		.amdhsa_exception_fp_ieee_underflow 0
		.amdhsa_exception_fp_ieee_inexact 0
		.amdhsa_exception_int_div_zero 0
	.end_amdhsa_kernel
	.section	.text._ZN7rocprim17ROCPRIM_400000_NS6detail17trampoline_kernelINS0_14default_configENS1_22reduce_config_selectorIlEEZNS1_11reduce_implILb1ES3_N6thrust23THRUST_200600_302600_NS11hip_rocprim26transform_input_iterator_tIlNS8_12zip_iteratorINS8_5tupleINS8_6detail15normal_iteratorINS8_10device_ptrIsEEEESH_NS8_9null_typeESI_SI_SI_SI_SI_SI_SI_EEEENS9_21zip_adj_not_predicateI22is_equal_div_10_uniqueIsEEEEEPllNS8_4plusIlEEEE10hipError_tPvRmT1_T2_T3_mT4_P12ihipStream_tbEUlT_E0_NS1_11comp_targetILNS1_3genE9ELNS1_11target_archE1100ELNS1_3gpuE3ELNS1_3repE0EEENS1_30default_config_static_selectorELNS0_4arch9wavefront6targetE1EEEvSW_,"axG",@progbits,_ZN7rocprim17ROCPRIM_400000_NS6detail17trampoline_kernelINS0_14default_configENS1_22reduce_config_selectorIlEEZNS1_11reduce_implILb1ES3_N6thrust23THRUST_200600_302600_NS11hip_rocprim26transform_input_iterator_tIlNS8_12zip_iteratorINS8_5tupleINS8_6detail15normal_iteratorINS8_10device_ptrIsEEEESH_NS8_9null_typeESI_SI_SI_SI_SI_SI_SI_EEEENS9_21zip_adj_not_predicateI22is_equal_div_10_uniqueIsEEEEEPllNS8_4plusIlEEEE10hipError_tPvRmT1_T2_T3_mT4_P12ihipStream_tbEUlT_E0_NS1_11comp_targetILNS1_3genE9ELNS1_11target_archE1100ELNS1_3gpuE3ELNS1_3repE0EEENS1_30default_config_static_selectorELNS0_4arch9wavefront6targetE1EEEvSW_,comdat
.Lfunc_end1020:
	.size	_ZN7rocprim17ROCPRIM_400000_NS6detail17trampoline_kernelINS0_14default_configENS1_22reduce_config_selectorIlEEZNS1_11reduce_implILb1ES3_N6thrust23THRUST_200600_302600_NS11hip_rocprim26transform_input_iterator_tIlNS8_12zip_iteratorINS8_5tupleINS8_6detail15normal_iteratorINS8_10device_ptrIsEEEESH_NS8_9null_typeESI_SI_SI_SI_SI_SI_SI_EEEENS9_21zip_adj_not_predicateI22is_equal_div_10_uniqueIsEEEEEPllNS8_4plusIlEEEE10hipError_tPvRmT1_T2_T3_mT4_P12ihipStream_tbEUlT_E0_NS1_11comp_targetILNS1_3genE9ELNS1_11target_archE1100ELNS1_3gpuE3ELNS1_3repE0EEENS1_30default_config_static_selectorELNS0_4arch9wavefront6targetE1EEEvSW_, .Lfunc_end1020-_ZN7rocprim17ROCPRIM_400000_NS6detail17trampoline_kernelINS0_14default_configENS1_22reduce_config_selectorIlEEZNS1_11reduce_implILb1ES3_N6thrust23THRUST_200600_302600_NS11hip_rocprim26transform_input_iterator_tIlNS8_12zip_iteratorINS8_5tupleINS8_6detail15normal_iteratorINS8_10device_ptrIsEEEESH_NS8_9null_typeESI_SI_SI_SI_SI_SI_SI_EEEENS9_21zip_adj_not_predicateI22is_equal_div_10_uniqueIsEEEEEPllNS8_4plusIlEEEE10hipError_tPvRmT1_T2_T3_mT4_P12ihipStream_tbEUlT_E0_NS1_11comp_targetILNS1_3genE9ELNS1_11target_archE1100ELNS1_3gpuE3ELNS1_3repE0EEENS1_30default_config_static_selectorELNS0_4arch9wavefront6targetE1EEEvSW_
                                        ; -- End function
	.set _ZN7rocprim17ROCPRIM_400000_NS6detail17trampoline_kernelINS0_14default_configENS1_22reduce_config_selectorIlEEZNS1_11reduce_implILb1ES3_N6thrust23THRUST_200600_302600_NS11hip_rocprim26transform_input_iterator_tIlNS8_12zip_iteratorINS8_5tupleINS8_6detail15normal_iteratorINS8_10device_ptrIsEEEESH_NS8_9null_typeESI_SI_SI_SI_SI_SI_SI_EEEENS9_21zip_adj_not_predicateI22is_equal_div_10_uniqueIsEEEEEPllNS8_4plusIlEEEE10hipError_tPvRmT1_T2_T3_mT4_P12ihipStream_tbEUlT_E0_NS1_11comp_targetILNS1_3genE9ELNS1_11target_archE1100ELNS1_3gpuE3ELNS1_3repE0EEENS1_30default_config_static_selectorELNS0_4arch9wavefront6targetE1EEEvSW_.num_vgpr, 0
	.set _ZN7rocprim17ROCPRIM_400000_NS6detail17trampoline_kernelINS0_14default_configENS1_22reduce_config_selectorIlEEZNS1_11reduce_implILb1ES3_N6thrust23THRUST_200600_302600_NS11hip_rocprim26transform_input_iterator_tIlNS8_12zip_iteratorINS8_5tupleINS8_6detail15normal_iteratorINS8_10device_ptrIsEEEESH_NS8_9null_typeESI_SI_SI_SI_SI_SI_SI_EEEENS9_21zip_adj_not_predicateI22is_equal_div_10_uniqueIsEEEEEPllNS8_4plusIlEEEE10hipError_tPvRmT1_T2_T3_mT4_P12ihipStream_tbEUlT_E0_NS1_11comp_targetILNS1_3genE9ELNS1_11target_archE1100ELNS1_3gpuE3ELNS1_3repE0EEENS1_30default_config_static_selectorELNS0_4arch9wavefront6targetE1EEEvSW_.num_agpr, 0
	.set _ZN7rocprim17ROCPRIM_400000_NS6detail17trampoline_kernelINS0_14default_configENS1_22reduce_config_selectorIlEEZNS1_11reduce_implILb1ES3_N6thrust23THRUST_200600_302600_NS11hip_rocprim26transform_input_iterator_tIlNS8_12zip_iteratorINS8_5tupleINS8_6detail15normal_iteratorINS8_10device_ptrIsEEEESH_NS8_9null_typeESI_SI_SI_SI_SI_SI_SI_EEEENS9_21zip_adj_not_predicateI22is_equal_div_10_uniqueIsEEEEEPllNS8_4plusIlEEEE10hipError_tPvRmT1_T2_T3_mT4_P12ihipStream_tbEUlT_E0_NS1_11comp_targetILNS1_3genE9ELNS1_11target_archE1100ELNS1_3gpuE3ELNS1_3repE0EEENS1_30default_config_static_selectorELNS0_4arch9wavefront6targetE1EEEvSW_.numbered_sgpr, 0
	.set _ZN7rocprim17ROCPRIM_400000_NS6detail17trampoline_kernelINS0_14default_configENS1_22reduce_config_selectorIlEEZNS1_11reduce_implILb1ES3_N6thrust23THRUST_200600_302600_NS11hip_rocprim26transform_input_iterator_tIlNS8_12zip_iteratorINS8_5tupleINS8_6detail15normal_iteratorINS8_10device_ptrIsEEEESH_NS8_9null_typeESI_SI_SI_SI_SI_SI_SI_EEEENS9_21zip_adj_not_predicateI22is_equal_div_10_uniqueIsEEEEEPllNS8_4plusIlEEEE10hipError_tPvRmT1_T2_T3_mT4_P12ihipStream_tbEUlT_E0_NS1_11comp_targetILNS1_3genE9ELNS1_11target_archE1100ELNS1_3gpuE3ELNS1_3repE0EEENS1_30default_config_static_selectorELNS0_4arch9wavefront6targetE1EEEvSW_.num_named_barrier, 0
	.set _ZN7rocprim17ROCPRIM_400000_NS6detail17trampoline_kernelINS0_14default_configENS1_22reduce_config_selectorIlEEZNS1_11reduce_implILb1ES3_N6thrust23THRUST_200600_302600_NS11hip_rocprim26transform_input_iterator_tIlNS8_12zip_iteratorINS8_5tupleINS8_6detail15normal_iteratorINS8_10device_ptrIsEEEESH_NS8_9null_typeESI_SI_SI_SI_SI_SI_SI_EEEENS9_21zip_adj_not_predicateI22is_equal_div_10_uniqueIsEEEEEPllNS8_4plusIlEEEE10hipError_tPvRmT1_T2_T3_mT4_P12ihipStream_tbEUlT_E0_NS1_11comp_targetILNS1_3genE9ELNS1_11target_archE1100ELNS1_3gpuE3ELNS1_3repE0EEENS1_30default_config_static_selectorELNS0_4arch9wavefront6targetE1EEEvSW_.private_seg_size, 0
	.set _ZN7rocprim17ROCPRIM_400000_NS6detail17trampoline_kernelINS0_14default_configENS1_22reduce_config_selectorIlEEZNS1_11reduce_implILb1ES3_N6thrust23THRUST_200600_302600_NS11hip_rocprim26transform_input_iterator_tIlNS8_12zip_iteratorINS8_5tupleINS8_6detail15normal_iteratorINS8_10device_ptrIsEEEESH_NS8_9null_typeESI_SI_SI_SI_SI_SI_SI_EEEENS9_21zip_adj_not_predicateI22is_equal_div_10_uniqueIsEEEEEPllNS8_4plusIlEEEE10hipError_tPvRmT1_T2_T3_mT4_P12ihipStream_tbEUlT_E0_NS1_11comp_targetILNS1_3genE9ELNS1_11target_archE1100ELNS1_3gpuE3ELNS1_3repE0EEENS1_30default_config_static_selectorELNS0_4arch9wavefront6targetE1EEEvSW_.uses_vcc, 0
	.set _ZN7rocprim17ROCPRIM_400000_NS6detail17trampoline_kernelINS0_14default_configENS1_22reduce_config_selectorIlEEZNS1_11reduce_implILb1ES3_N6thrust23THRUST_200600_302600_NS11hip_rocprim26transform_input_iterator_tIlNS8_12zip_iteratorINS8_5tupleINS8_6detail15normal_iteratorINS8_10device_ptrIsEEEESH_NS8_9null_typeESI_SI_SI_SI_SI_SI_SI_EEEENS9_21zip_adj_not_predicateI22is_equal_div_10_uniqueIsEEEEEPllNS8_4plusIlEEEE10hipError_tPvRmT1_T2_T3_mT4_P12ihipStream_tbEUlT_E0_NS1_11comp_targetILNS1_3genE9ELNS1_11target_archE1100ELNS1_3gpuE3ELNS1_3repE0EEENS1_30default_config_static_selectorELNS0_4arch9wavefront6targetE1EEEvSW_.uses_flat_scratch, 0
	.set _ZN7rocprim17ROCPRIM_400000_NS6detail17trampoline_kernelINS0_14default_configENS1_22reduce_config_selectorIlEEZNS1_11reduce_implILb1ES3_N6thrust23THRUST_200600_302600_NS11hip_rocprim26transform_input_iterator_tIlNS8_12zip_iteratorINS8_5tupleINS8_6detail15normal_iteratorINS8_10device_ptrIsEEEESH_NS8_9null_typeESI_SI_SI_SI_SI_SI_SI_EEEENS9_21zip_adj_not_predicateI22is_equal_div_10_uniqueIsEEEEEPllNS8_4plusIlEEEE10hipError_tPvRmT1_T2_T3_mT4_P12ihipStream_tbEUlT_E0_NS1_11comp_targetILNS1_3genE9ELNS1_11target_archE1100ELNS1_3gpuE3ELNS1_3repE0EEENS1_30default_config_static_selectorELNS0_4arch9wavefront6targetE1EEEvSW_.has_dyn_sized_stack, 0
	.set _ZN7rocprim17ROCPRIM_400000_NS6detail17trampoline_kernelINS0_14default_configENS1_22reduce_config_selectorIlEEZNS1_11reduce_implILb1ES3_N6thrust23THRUST_200600_302600_NS11hip_rocprim26transform_input_iterator_tIlNS8_12zip_iteratorINS8_5tupleINS8_6detail15normal_iteratorINS8_10device_ptrIsEEEESH_NS8_9null_typeESI_SI_SI_SI_SI_SI_SI_EEEENS9_21zip_adj_not_predicateI22is_equal_div_10_uniqueIsEEEEEPllNS8_4plusIlEEEE10hipError_tPvRmT1_T2_T3_mT4_P12ihipStream_tbEUlT_E0_NS1_11comp_targetILNS1_3genE9ELNS1_11target_archE1100ELNS1_3gpuE3ELNS1_3repE0EEENS1_30default_config_static_selectorELNS0_4arch9wavefront6targetE1EEEvSW_.has_recursion, 0
	.set _ZN7rocprim17ROCPRIM_400000_NS6detail17trampoline_kernelINS0_14default_configENS1_22reduce_config_selectorIlEEZNS1_11reduce_implILb1ES3_N6thrust23THRUST_200600_302600_NS11hip_rocprim26transform_input_iterator_tIlNS8_12zip_iteratorINS8_5tupleINS8_6detail15normal_iteratorINS8_10device_ptrIsEEEESH_NS8_9null_typeESI_SI_SI_SI_SI_SI_SI_EEEENS9_21zip_adj_not_predicateI22is_equal_div_10_uniqueIsEEEEEPllNS8_4plusIlEEEE10hipError_tPvRmT1_T2_T3_mT4_P12ihipStream_tbEUlT_E0_NS1_11comp_targetILNS1_3genE9ELNS1_11target_archE1100ELNS1_3gpuE3ELNS1_3repE0EEENS1_30default_config_static_selectorELNS0_4arch9wavefront6targetE1EEEvSW_.has_indirect_call, 0
	.section	.AMDGPU.csdata,"",@progbits
; Kernel info:
; codeLenInByte = 0
; TotalNumSgprs: 4
; NumVgprs: 0
; ScratchSize: 0
; MemoryBound: 0
; FloatMode: 240
; IeeeMode: 1
; LDSByteSize: 0 bytes/workgroup (compile time only)
; SGPRBlocks: 0
; VGPRBlocks: 0
; NumSGPRsForWavesPerEU: 4
; NumVGPRsForWavesPerEU: 1
; Occupancy: 10
; WaveLimiterHint : 0
; COMPUTE_PGM_RSRC2:SCRATCH_EN: 0
; COMPUTE_PGM_RSRC2:USER_SGPR: 6
; COMPUTE_PGM_RSRC2:TRAP_HANDLER: 0
; COMPUTE_PGM_RSRC2:TGID_X_EN: 1
; COMPUTE_PGM_RSRC2:TGID_Y_EN: 0
; COMPUTE_PGM_RSRC2:TGID_Z_EN: 0
; COMPUTE_PGM_RSRC2:TIDIG_COMP_CNT: 0
	.section	.text._ZN7rocprim17ROCPRIM_400000_NS6detail17trampoline_kernelINS0_14default_configENS1_22reduce_config_selectorIlEEZNS1_11reduce_implILb1ES3_N6thrust23THRUST_200600_302600_NS11hip_rocprim26transform_input_iterator_tIlNS8_12zip_iteratorINS8_5tupleINS8_6detail15normal_iteratorINS8_10device_ptrIsEEEESH_NS8_9null_typeESI_SI_SI_SI_SI_SI_SI_EEEENS9_21zip_adj_not_predicateI22is_equal_div_10_uniqueIsEEEEEPllNS8_4plusIlEEEE10hipError_tPvRmT1_T2_T3_mT4_P12ihipStream_tbEUlT_E0_NS1_11comp_targetILNS1_3genE8ELNS1_11target_archE1030ELNS1_3gpuE2ELNS1_3repE0EEENS1_30default_config_static_selectorELNS0_4arch9wavefront6targetE1EEEvSW_,"axG",@progbits,_ZN7rocprim17ROCPRIM_400000_NS6detail17trampoline_kernelINS0_14default_configENS1_22reduce_config_selectorIlEEZNS1_11reduce_implILb1ES3_N6thrust23THRUST_200600_302600_NS11hip_rocprim26transform_input_iterator_tIlNS8_12zip_iteratorINS8_5tupleINS8_6detail15normal_iteratorINS8_10device_ptrIsEEEESH_NS8_9null_typeESI_SI_SI_SI_SI_SI_SI_EEEENS9_21zip_adj_not_predicateI22is_equal_div_10_uniqueIsEEEEEPllNS8_4plusIlEEEE10hipError_tPvRmT1_T2_T3_mT4_P12ihipStream_tbEUlT_E0_NS1_11comp_targetILNS1_3genE8ELNS1_11target_archE1030ELNS1_3gpuE2ELNS1_3repE0EEENS1_30default_config_static_selectorELNS0_4arch9wavefront6targetE1EEEvSW_,comdat
	.protected	_ZN7rocprim17ROCPRIM_400000_NS6detail17trampoline_kernelINS0_14default_configENS1_22reduce_config_selectorIlEEZNS1_11reduce_implILb1ES3_N6thrust23THRUST_200600_302600_NS11hip_rocprim26transform_input_iterator_tIlNS8_12zip_iteratorINS8_5tupleINS8_6detail15normal_iteratorINS8_10device_ptrIsEEEESH_NS8_9null_typeESI_SI_SI_SI_SI_SI_SI_EEEENS9_21zip_adj_not_predicateI22is_equal_div_10_uniqueIsEEEEEPllNS8_4plusIlEEEE10hipError_tPvRmT1_T2_T3_mT4_P12ihipStream_tbEUlT_E0_NS1_11comp_targetILNS1_3genE8ELNS1_11target_archE1030ELNS1_3gpuE2ELNS1_3repE0EEENS1_30default_config_static_selectorELNS0_4arch9wavefront6targetE1EEEvSW_ ; -- Begin function _ZN7rocprim17ROCPRIM_400000_NS6detail17trampoline_kernelINS0_14default_configENS1_22reduce_config_selectorIlEEZNS1_11reduce_implILb1ES3_N6thrust23THRUST_200600_302600_NS11hip_rocprim26transform_input_iterator_tIlNS8_12zip_iteratorINS8_5tupleINS8_6detail15normal_iteratorINS8_10device_ptrIsEEEESH_NS8_9null_typeESI_SI_SI_SI_SI_SI_SI_EEEENS9_21zip_adj_not_predicateI22is_equal_div_10_uniqueIsEEEEEPllNS8_4plusIlEEEE10hipError_tPvRmT1_T2_T3_mT4_P12ihipStream_tbEUlT_E0_NS1_11comp_targetILNS1_3genE8ELNS1_11target_archE1030ELNS1_3gpuE2ELNS1_3repE0EEENS1_30default_config_static_selectorELNS0_4arch9wavefront6targetE1EEEvSW_
	.globl	_ZN7rocprim17ROCPRIM_400000_NS6detail17trampoline_kernelINS0_14default_configENS1_22reduce_config_selectorIlEEZNS1_11reduce_implILb1ES3_N6thrust23THRUST_200600_302600_NS11hip_rocprim26transform_input_iterator_tIlNS8_12zip_iteratorINS8_5tupleINS8_6detail15normal_iteratorINS8_10device_ptrIsEEEESH_NS8_9null_typeESI_SI_SI_SI_SI_SI_SI_EEEENS9_21zip_adj_not_predicateI22is_equal_div_10_uniqueIsEEEEEPllNS8_4plusIlEEEE10hipError_tPvRmT1_T2_T3_mT4_P12ihipStream_tbEUlT_E0_NS1_11comp_targetILNS1_3genE8ELNS1_11target_archE1030ELNS1_3gpuE2ELNS1_3repE0EEENS1_30default_config_static_selectorELNS0_4arch9wavefront6targetE1EEEvSW_
	.p2align	8
	.type	_ZN7rocprim17ROCPRIM_400000_NS6detail17trampoline_kernelINS0_14default_configENS1_22reduce_config_selectorIlEEZNS1_11reduce_implILb1ES3_N6thrust23THRUST_200600_302600_NS11hip_rocprim26transform_input_iterator_tIlNS8_12zip_iteratorINS8_5tupleINS8_6detail15normal_iteratorINS8_10device_ptrIsEEEESH_NS8_9null_typeESI_SI_SI_SI_SI_SI_SI_EEEENS9_21zip_adj_not_predicateI22is_equal_div_10_uniqueIsEEEEEPllNS8_4plusIlEEEE10hipError_tPvRmT1_T2_T3_mT4_P12ihipStream_tbEUlT_E0_NS1_11comp_targetILNS1_3genE8ELNS1_11target_archE1030ELNS1_3gpuE2ELNS1_3repE0EEENS1_30default_config_static_selectorELNS0_4arch9wavefront6targetE1EEEvSW_,@function
_ZN7rocprim17ROCPRIM_400000_NS6detail17trampoline_kernelINS0_14default_configENS1_22reduce_config_selectorIlEEZNS1_11reduce_implILb1ES3_N6thrust23THRUST_200600_302600_NS11hip_rocprim26transform_input_iterator_tIlNS8_12zip_iteratorINS8_5tupleINS8_6detail15normal_iteratorINS8_10device_ptrIsEEEESH_NS8_9null_typeESI_SI_SI_SI_SI_SI_SI_EEEENS9_21zip_adj_not_predicateI22is_equal_div_10_uniqueIsEEEEEPllNS8_4plusIlEEEE10hipError_tPvRmT1_T2_T3_mT4_P12ihipStream_tbEUlT_E0_NS1_11comp_targetILNS1_3genE8ELNS1_11target_archE1030ELNS1_3gpuE2ELNS1_3repE0EEENS1_30default_config_static_selectorELNS0_4arch9wavefront6targetE1EEEvSW_: ; @_ZN7rocprim17ROCPRIM_400000_NS6detail17trampoline_kernelINS0_14default_configENS1_22reduce_config_selectorIlEEZNS1_11reduce_implILb1ES3_N6thrust23THRUST_200600_302600_NS11hip_rocprim26transform_input_iterator_tIlNS8_12zip_iteratorINS8_5tupleINS8_6detail15normal_iteratorINS8_10device_ptrIsEEEESH_NS8_9null_typeESI_SI_SI_SI_SI_SI_SI_EEEENS9_21zip_adj_not_predicateI22is_equal_div_10_uniqueIsEEEEEPllNS8_4plusIlEEEE10hipError_tPvRmT1_T2_T3_mT4_P12ihipStream_tbEUlT_E0_NS1_11comp_targetILNS1_3genE8ELNS1_11target_archE1030ELNS1_3gpuE2ELNS1_3repE0EEENS1_30default_config_static_selectorELNS0_4arch9wavefront6targetE1EEEvSW_
; %bb.0:
	.section	.rodata,"a",@progbits
	.p2align	6, 0x0
	.amdhsa_kernel _ZN7rocprim17ROCPRIM_400000_NS6detail17trampoline_kernelINS0_14default_configENS1_22reduce_config_selectorIlEEZNS1_11reduce_implILb1ES3_N6thrust23THRUST_200600_302600_NS11hip_rocprim26transform_input_iterator_tIlNS8_12zip_iteratorINS8_5tupleINS8_6detail15normal_iteratorINS8_10device_ptrIsEEEESH_NS8_9null_typeESI_SI_SI_SI_SI_SI_SI_EEEENS9_21zip_adj_not_predicateI22is_equal_div_10_uniqueIsEEEEEPllNS8_4plusIlEEEE10hipError_tPvRmT1_T2_T3_mT4_P12ihipStream_tbEUlT_E0_NS1_11comp_targetILNS1_3genE8ELNS1_11target_archE1030ELNS1_3gpuE2ELNS1_3repE0EEENS1_30default_config_static_selectorELNS0_4arch9wavefront6targetE1EEEvSW_
		.amdhsa_group_segment_fixed_size 0
		.amdhsa_private_segment_fixed_size 0
		.amdhsa_kernarg_size 80
		.amdhsa_user_sgpr_count 6
		.amdhsa_user_sgpr_private_segment_buffer 1
		.amdhsa_user_sgpr_dispatch_ptr 0
		.amdhsa_user_sgpr_queue_ptr 0
		.amdhsa_user_sgpr_kernarg_segment_ptr 1
		.amdhsa_user_sgpr_dispatch_id 0
		.amdhsa_user_sgpr_flat_scratch_init 0
		.amdhsa_user_sgpr_private_segment_size 0
		.amdhsa_uses_dynamic_stack 0
		.amdhsa_system_sgpr_private_segment_wavefront_offset 0
		.amdhsa_system_sgpr_workgroup_id_x 1
		.amdhsa_system_sgpr_workgroup_id_y 0
		.amdhsa_system_sgpr_workgroup_id_z 0
		.amdhsa_system_sgpr_workgroup_info 0
		.amdhsa_system_vgpr_workitem_id 0
		.amdhsa_next_free_vgpr 1
		.amdhsa_next_free_sgpr 0
		.amdhsa_reserve_vcc 0
		.amdhsa_reserve_flat_scratch 0
		.amdhsa_float_round_mode_32 0
		.amdhsa_float_round_mode_16_64 0
		.amdhsa_float_denorm_mode_32 3
		.amdhsa_float_denorm_mode_16_64 3
		.amdhsa_dx10_clamp 1
		.amdhsa_ieee_mode 1
		.amdhsa_fp16_overflow 0
		.amdhsa_exception_fp_ieee_invalid_op 0
		.amdhsa_exception_fp_denorm_src 0
		.amdhsa_exception_fp_ieee_div_zero 0
		.amdhsa_exception_fp_ieee_overflow 0
		.amdhsa_exception_fp_ieee_underflow 0
		.amdhsa_exception_fp_ieee_inexact 0
		.amdhsa_exception_int_div_zero 0
	.end_amdhsa_kernel
	.section	.text._ZN7rocprim17ROCPRIM_400000_NS6detail17trampoline_kernelINS0_14default_configENS1_22reduce_config_selectorIlEEZNS1_11reduce_implILb1ES3_N6thrust23THRUST_200600_302600_NS11hip_rocprim26transform_input_iterator_tIlNS8_12zip_iteratorINS8_5tupleINS8_6detail15normal_iteratorINS8_10device_ptrIsEEEESH_NS8_9null_typeESI_SI_SI_SI_SI_SI_SI_EEEENS9_21zip_adj_not_predicateI22is_equal_div_10_uniqueIsEEEEEPllNS8_4plusIlEEEE10hipError_tPvRmT1_T2_T3_mT4_P12ihipStream_tbEUlT_E0_NS1_11comp_targetILNS1_3genE8ELNS1_11target_archE1030ELNS1_3gpuE2ELNS1_3repE0EEENS1_30default_config_static_selectorELNS0_4arch9wavefront6targetE1EEEvSW_,"axG",@progbits,_ZN7rocprim17ROCPRIM_400000_NS6detail17trampoline_kernelINS0_14default_configENS1_22reduce_config_selectorIlEEZNS1_11reduce_implILb1ES3_N6thrust23THRUST_200600_302600_NS11hip_rocprim26transform_input_iterator_tIlNS8_12zip_iteratorINS8_5tupleINS8_6detail15normal_iteratorINS8_10device_ptrIsEEEESH_NS8_9null_typeESI_SI_SI_SI_SI_SI_SI_EEEENS9_21zip_adj_not_predicateI22is_equal_div_10_uniqueIsEEEEEPllNS8_4plusIlEEEE10hipError_tPvRmT1_T2_T3_mT4_P12ihipStream_tbEUlT_E0_NS1_11comp_targetILNS1_3genE8ELNS1_11target_archE1030ELNS1_3gpuE2ELNS1_3repE0EEENS1_30default_config_static_selectorELNS0_4arch9wavefront6targetE1EEEvSW_,comdat
.Lfunc_end1021:
	.size	_ZN7rocprim17ROCPRIM_400000_NS6detail17trampoline_kernelINS0_14default_configENS1_22reduce_config_selectorIlEEZNS1_11reduce_implILb1ES3_N6thrust23THRUST_200600_302600_NS11hip_rocprim26transform_input_iterator_tIlNS8_12zip_iteratorINS8_5tupleINS8_6detail15normal_iteratorINS8_10device_ptrIsEEEESH_NS8_9null_typeESI_SI_SI_SI_SI_SI_SI_EEEENS9_21zip_adj_not_predicateI22is_equal_div_10_uniqueIsEEEEEPllNS8_4plusIlEEEE10hipError_tPvRmT1_T2_T3_mT4_P12ihipStream_tbEUlT_E0_NS1_11comp_targetILNS1_3genE8ELNS1_11target_archE1030ELNS1_3gpuE2ELNS1_3repE0EEENS1_30default_config_static_selectorELNS0_4arch9wavefront6targetE1EEEvSW_, .Lfunc_end1021-_ZN7rocprim17ROCPRIM_400000_NS6detail17trampoline_kernelINS0_14default_configENS1_22reduce_config_selectorIlEEZNS1_11reduce_implILb1ES3_N6thrust23THRUST_200600_302600_NS11hip_rocprim26transform_input_iterator_tIlNS8_12zip_iteratorINS8_5tupleINS8_6detail15normal_iteratorINS8_10device_ptrIsEEEESH_NS8_9null_typeESI_SI_SI_SI_SI_SI_SI_EEEENS9_21zip_adj_not_predicateI22is_equal_div_10_uniqueIsEEEEEPllNS8_4plusIlEEEE10hipError_tPvRmT1_T2_T3_mT4_P12ihipStream_tbEUlT_E0_NS1_11comp_targetILNS1_3genE8ELNS1_11target_archE1030ELNS1_3gpuE2ELNS1_3repE0EEENS1_30default_config_static_selectorELNS0_4arch9wavefront6targetE1EEEvSW_
                                        ; -- End function
	.set _ZN7rocprim17ROCPRIM_400000_NS6detail17trampoline_kernelINS0_14default_configENS1_22reduce_config_selectorIlEEZNS1_11reduce_implILb1ES3_N6thrust23THRUST_200600_302600_NS11hip_rocprim26transform_input_iterator_tIlNS8_12zip_iteratorINS8_5tupleINS8_6detail15normal_iteratorINS8_10device_ptrIsEEEESH_NS8_9null_typeESI_SI_SI_SI_SI_SI_SI_EEEENS9_21zip_adj_not_predicateI22is_equal_div_10_uniqueIsEEEEEPllNS8_4plusIlEEEE10hipError_tPvRmT1_T2_T3_mT4_P12ihipStream_tbEUlT_E0_NS1_11comp_targetILNS1_3genE8ELNS1_11target_archE1030ELNS1_3gpuE2ELNS1_3repE0EEENS1_30default_config_static_selectorELNS0_4arch9wavefront6targetE1EEEvSW_.num_vgpr, 0
	.set _ZN7rocprim17ROCPRIM_400000_NS6detail17trampoline_kernelINS0_14default_configENS1_22reduce_config_selectorIlEEZNS1_11reduce_implILb1ES3_N6thrust23THRUST_200600_302600_NS11hip_rocprim26transform_input_iterator_tIlNS8_12zip_iteratorINS8_5tupleINS8_6detail15normal_iteratorINS8_10device_ptrIsEEEESH_NS8_9null_typeESI_SI_SI_SI_SI_SI_SI_EEEENS9_21zip_adj_not_predicateI22is_equal_div_10_uniqueIsEEEEEPllNS8_4plusIlEEEE10hipError_tPvRmT1_T2_T3_mT4_P12ihipStream_tbEUlT_E0_NS1_11comp_targetILNS1_3genE8ELNS1_11target_archE1030ELNS1_3gpuE2ELNS1_3repE0EEENS1_30default_config_static_selectorELNS0_4arch9wavefront6targetE1EEEvSW_.num_agpr, 0
	.set _ZN7rocprim17ROCPRIM_400000_NS6detail17trampoline_kernelINS0_14default_configENS1_22reduce_config_selectorIlEEZNS1_11reduce_implILb1ES3_N6thrust23THRUST_200600_302600_NS11hip_rocprim26transform_input_iterator_tIlNS8_12zip_iteratorINS8_5tupleINS8_6detail15normal_iteratorINS8_10device_ptrIsEEEESH_NS8_9null_typeESI_SI_SI_SI_SI_SI_SI_EEEENS9_21zip_adj_not_predicateI22is_equal_div_10_uniqueIsEEEEEPllNS8_4plusIlEEEE10hipError_tPvRmT1_T2_T3_mT4_P12ihipStream_tbEUlT_E0_NS1_11comp_targetILNS1_3genE8ELNS1_11target_archE1030ELNS1_3gpuE2ELNS1_3repE0EEENS1_30default_config_static_selectorELNS0_4arch9wavefront6targetE1EEEvSW_.numbered_sgpr, 0
	.set _ZN7rocprim17ROCPRIM_400000_NS6detail17trampoline_kernelINS0_14default_configENS1_22reduce_config_selectorIlEEZNS1_11reduce_implILb1ES3_N6thrust23THRUST_200600_302600_NS11hip_rocprim26transform_input_iterator_tIlNS8_12zip_iteratorINS8_5tupleINS8_6detail15normal_iteratorINS8_10device_ptrIsEEEESH_NS8_9null_typeESI_SI_SI_SI_SI_SI_SI_EEEENS9_21zip_adj_not_predicateI22is_equal_div_10_uniqueIsEEEEEPllNS8_4plusIlEEEE10hipError_tPvRmT1_T2_T3_mT4_P12ihipStream_tbEUlT_E0_NS1_11comp_targetILNS1_3genE8ELNS1_11target_archE1030ELNS1_3gpuE2ELNS1_3repE0EEENS1_30default_config_static_selectorELNS0_4arch9wavefront6targetE1EEEvSW_.num_named_barrier, 0
	.set _ZN7rocprim17ROCPRIM_400000_NS6detail17trampoline_kernelINS0_14default_configENS1_22reduce_config_selectorIlEEZNS1_11reduce_implILb1ES3_N6thrust23THRUST_200600_302600_NS11hip_rocprim26transform_input_iterator_tIlNS8_12zip_iteratorINS8_5tupleINS8_6detail15normal_iteratorINS8_10device_ptrIsEEEESH_NS8_9null_typeESI_SI_SI_SI_SI_SI_SI_EEEENS9_21zip_adj_not_predicateI22is_equal_div_10_uniqueIsEEEEEPllNS8_4plusIlEEEE10hipError_tPvRmT1_T2_T3_mT4_P12ihipStream_tbEUlT_E0_NS1_11comp_targetILNS1_3genE8ELNS1_11target_archE1030ELNS1_3gpuE2ELNS1_3repE0EEENS1_30default_config_static_selectorELNS0_4arch9wavefront6targetE1EEEvSW_.private_seg_size, 0
	.set _ZN7rocprim17ROCPRIM_400000_NS6detail17trampoline_kernelINS0_14default_configENS1_22reduce_config_selectorIlEEZNS1_11reduce_implILb1ES3_N6thrust23THRUST_200600_302600_NS11hip_rocprim26transform_input_iterator_tIlNS8_12zip_iteratorINS8_5tupleINS8_6detail15normal_iteratorINS8_10device_ptrIsEEEESH_NS8_9null_typeESI_SI_SI_SI_SI_SI_SI_EEEENS9_21zip_adj_not_predicateI22is_equal_div_10_uniqueIsEEEEEPllNS8_4plusIlEEEE10hipError_tPvRmT1_T2_T3_mT4_P12ihipStream_tbEUlT_E0_NS1_11comp_targetILNS1_3genE8ELNS1_11target_archE1030ELNS1_3gpuE2ELNS1_3repE0EEENS1_30default_config_static_selectorELNS0_4arch9wavefront6targetE1EEEvSW_.uses_vcc, 0
	.set _ZN7rocprim17ROCPRIM_400000_NS6detail17trampoline_kernelINS0_14default_configENS1_22reduce_config_selectorIlEEZNS1_11reduce_implILb1ES3_N6thrust23THRUST_200600_302600_NS11hip_rocprim26transform_input_iterator_tIlNS8_12zip_iteratorINS8_5tupleINS8_6detail15normal_iteratorINS8_10device_ptrIsEEEESH_NS8_9null_typeESI_SI_SI_SI_SI_SI_SI_EEEENS9_21zip_adj_not_predicateI22is_equal_div_10_uniqueIsEEEEEPllNS8_4plusIlEEEE10hipError_tPvRmT1_T2_T3_mT4_P12ihipStream_tbEUlT_E0_NS1_11comp_targetILNS1_3genE8ELNS1_11target_archE1030ELNS1_3gpuE2ELNS1_3repE0EEENS1_30default_config_static_selectorELNS0_4arch9wavefront6targetE1EEEvSW_.uses_flat_scratch, 0
	.set _ZN7rocprim17ROCPRIM_400000_NS6detail17trampoline_kernelINS0_14default_configENS1_22reduce_config_selectorIlEEZNS1_11reduce_implILb1ES3_N6thrust23THRUST_200600_302600_NS11hip_rocprim26transform_input_iterator_tIlNS8_12zip_iteratorINS8_5tupleINS8_6detail15normal_iteratorINS8_10device_ptrIsEEEESH_NS8_9null_typeESI_SI_SI_SI_SI_SI_SI_EEEENS9_21zip_adj_not_predicateI22is_equal_div_10_uniqueIsEEEEEPllNS8_4plusIlEEEE10hipError_tPvRmT1_T2_T3_mT4_P12ihipStream_tbEUlT_E0_NS1_11comp_targetILNS1_3genE8ELNS1_11target_archE1030ELNS1_3gpuE2ELNS1_3repE0EEENS1_30default_config_static_selectorELNS0_4arch9wavefront6targetE1EEEvSW_.has_dyn_sized_stack, 0
	.set _ZN7rocprim17ROCPRIM_400000_NS6detail17trampoline_kernelINS0_14default_configENS1_22reduce_config_selectorIlEEZNS1_11reduce_implILb1ES3_N6thrust23THRUST_200600_302600_NS11hip_rocprim26transform_input_iterator_tIlNS8_12zip_iteratorINS8_5tupleINS8_6detail15normal_iteratorINS8_10device_ptrIsEEEESH_NS8_9null_typeESI_SI_SI_SI_SI_SI_SI_EEEENS9_21zip_adj_not_predicateI22is_equal_div_10_uniqueIsEEEEEPllNS8_4plusIlEEEE10hipError_tPvRmT1_T2_T3_mT4_P12ihipStream_tbEUlT_E0_NS1_11comp_targetILNS1_3genE8ELNS1_11target_archE1030ELNS1_3gpuE2ELNS1_3repE0EEENS1_30default_config_static_selectorELNS0_4arch9wavefront6targetE1EEEvSW_.has_recursion, 0
	.set _ZN7rocprim17ROCPRIM_400000_NS6detail17trampoline_kernelINS0_14default_configENS1_22reduce_config_selectorIlEEZNS1_11reduce_implILb1ES3_N6thrust23THRUST_200600_302600_NS11hip_rocprim26transform_input_iterator_tIlNS8_12zip_iteratorINS8_5tupleINS8_6detail15normal_iteratorINS8_10device_ptrIsEEEESH_NS8_9null_typeESI_SI_SI_SI_SI_SI_SI_EEEENS9_21zip_adj_not_predicateI22is_equal_div_10_uniqueIsEEEEEPllNS8_4plusIlEEEE10hipError_tPvRmT1_T2_T3_mT4_P12ihipStream_tbEUlT_E0_NS1_11comp_targetILNS1_3genE8ELNS1_11target_archE1030ELNS1_3gpuE2ELNS1_3repE0EEENS1_30default_config_static_selectorELNS0_4arch9wavefront6targetE1EEEvSW_.has_indirect_call, 0
	.section	.AMDGPU.csdata,"",@progbits
; Kernel info:
; codeLenInByte = 0
; TotalNumSgprs: 4
; NumVgprs: 0
; ScratchSize: 0
; MemoryBound: 0
; FloatMode: 240
; IeeeMode: 1
; LDSByteSize: 0 bytes/workgroup (compile time only)
; SGPRBlocks: 0
; VGPRBlocks: 0
; NumSGPRsForWavesPerEU: 4
; NumVGPRsForWavesPerEU: 1
; Occupancy: 10
; WaveLimiterHint : 0
; COMPUTE_PGM_RSRC2:SCRATCH_EN: 0
; COMPUTE_PGM_RSRC2:USER_SGPR: 6
; COMPUTE_PGM_RSRC2:TRAP_HANDLER: 0
; COMPUTE_PGM_RSRC2:TGID_X_EN: 1
; COMPUTE_PGM_RSRC2:TGID_Y_EN: 0
; COMPUTE_PGM_RSRC2:TGID_Z_EN: 0
; COMPUTE_PGM_RSRC2:TIDIG_COMP_CNT: 0
	.section	.text._ZN7rocprim17ROCPRIM_400000_NS6detail17trampoline_kernelINS0_14default_configENS1_22reduce_config_selectorIlEEZNS1_11reduce_implILb1ES3_N6thrust23THRUST_200600_302600_NS11hip_rocprim26transform_input_iterator_tIlNS8_12zip_iteratorINS8_5tupleINS8_6detail15normal_iteratorINS8_10device_ptrIsEEEESH_NS8_9null_typeESI_SI_SI_SI_SI_SI_SI_EEEENS9_21zip_adj_not_predicateI22is_equal_div_10_uniqueIsEEEEEPllNS8_4plusIlEEEE10hipError_tPvRmT1_T2_T3_mT4_P12ihipStream_tbEUlT_E1_NS1_11comp_targetILNS1_3genE0ELNS1_11target_archE4294967295ELNS1_3gpuE0ELNS1_3repE0EEENS1_30default_config_static_selectorELNS0_4arch9wavefront6targetE1EEEvSW_,"axG",@progbits,_ZN7rocprim17ROCPRIM_400000_NS6detail17trampoline_kernelINS0_14default_configENS1_22reduce_config_selectorIlEEZNS1_11reduce_implILb1ES3_N6thrust23THRUST_200600_302600_NS11hip_rocprim26transform_input_iterator_tIlNS8_12zip_iteratorINS8_5tupleINS8_6detail15normal_iteratorINS8_10device_ptrIsEEEESH_NS8_9null_typeESI_SI_SI_SI_SI_SI_SI_EEEENS9_21zip_adj_not_predicateI22is_equal_div_10_uniqueIsEEEEEPllNS8_4plusIlEEEE10hipError_tPvRmT1_T2_T3_mT4_P12ihipStream_tbEUlT_E1_NS1_11comp_targetILNS1_3genE0ELNS1_11target_archE4294967295ELNS1_3gpuE0ELNS1_3repE0EEENS1_30default_config_static_selectorELNS0_4arch9wavefront6targetE1EEEvSW_,comdat
	.protected	_ZN7rocprim17ROCPRIM_400000_NS6detail17trampoline_kernelINS0_14default_configENS1_22reduce_config_selectorIlEEZNS1_11reduce_implILb1ES3_N6thrust23THRUST_200600_302600_NS11hip_rocprim26transform_input_iterator_tIlNS8_12zip_iteratorINS8_5tupleINS8_6detail15normal_iteratorINS8_10device_ptrIsEEEESH_NS8_9null_typeESI_SI_SI_SI_SI_SI_SI_EEEENS9_21zip_adj_not_predicateI22is_equal_div_10_uniqueIsEEEEEPllNS8_4plusIlEEEE10hipError_tPvRmT1_T2_T3_mT4_P12ihipStream_tbEUlT_E1_NS1_11comp_targetILNS1_3genE0ELNS1_11target_archE4294967295ELNS1_3gpuE0ELNS1_3repE0EEENS1_30default_config_static_selectorELNS0_4arch9wavefront6targetE1EEEvSW_ ; -- Begin function _ZN7rocprim17ROCPRIM_400000_NS6detail17trampoline_kernelINS0_14default_configENS1_22reduce_config_selectorIlEEZNS1_11reduce_implILb1ES3_N6thrust23THRUST_200600_302600_NS11hip_rocprim26transform_input_iterator_tIlNS8_12zip_iteratorINS8_5tupleINS8_6detail15normal_iteratorINS8_10device_ptrIsEEEESH_NS8_9null_typeESI_SI_SI_SI_SI_SI_SI_EEEENS9_21zip_adj_not_predicateI22is_equal_div_10_uniqueIsEEEEEPllNS8_4plusIlEEEE10hipError_tPvRmT1_T2_T3_mT4_P12ihipStream_tbEUlT_E1_NS1_11comp_targetILNS1_3genE0ELNS1_11target_archE4294967295ELNS1_3gpuE0ELNS1_3repE0EEENS1_30default_config_static_selectorELNS0_4arch9wavefront6targetE1EEEvSW_
	.globl	_ZN7rocprim17ROCPRIM_400000_NS6detail17trampoline_kernelINS0_14default_configENS1_22reduce_config_selectorIlEEZNS1_11reduce_implILb1ES3_N6thrust23THRUST_200600_302600_NS11hip_rocprim26transform_input_iterator_tIlNS8_12zip_iteratorINS8_5tupleINS8_6detail15normal_iteratorINS8_10device_ptrIsEEEESH_NS8_9null_typeESI_SI_SI_SI_SI_SI_SI_EEEENS9_21zip_adj_not_predicateI22is_equal_div_10_uniqueIsEEEEEPllNS8_4plusIlEEEE10hipError_tPvRmT1_T2_T3_mT4_P12ihipStream_tbEUlT_E1_NS1_11comp_targetILNS1_3genE0ELNS1_11target_archE4294967295ELNS1_3gpuE0ELNS1_3repE0EEENS1_30default_config_static_selectorELNS0_4arch9wavefront6targetE1EEEvSW_
	.p2align	8
	.type	_ZN7rocprim17ROCPRIM_400000_NS6detail17trampoline_kernelINS0_14default_configENS1_22reduce_config_selectorIlEEZNS1_11reduce_implILb1ES3_N6thrust23THRUST_200600_302600_NS11hip_rocprim26transform_input_iterator_tIlNS8_12zip_iteratorINS8_5tupleINS8_6detail15normal_iteratorINS8_10device_ptrIsEEEESH_NS8_9null_typeESI_SI_SI_SI_SI_SI_SI_EEEENS9_21zip_adj_not_predicateI22is_equal_div_10_uniqueIsEEEEEPllNS8_4plusIlEEEE10hipError_tPvRmT1_T2_T3_mT4_P12ihipStream_tbEUlT_E1_NS1_11comp_targetILNS1_3genE0ELNS1_11target_archE4294967295ELNS1_3gpuE0ELNS1_3repE0EEENS1_30default_config_static_selectorELNS0_4arch9wavefront6targetE1EEEvSW_,@function
_ZN7rocprim17ROCPRIM_400000_NS6detail17trampoline_kernelINS0_14default_configENS1_22reduce_config_selectorIlEEZNS1_11reduce_implILb1ES3_N6thrust23THRUST_200600_302600_NS11hip_rocprim26transform_input_iterator_tIlNS8_12zip_iteratorINS8_5tupleINS8_6detail15normal_iteratorINS8_10device_ptrIsEEEESH_NS8_9null_typeESI_SI_SI_SI_SI_SI_SI_EEEENS9_21zip_adj_not_predicateI22is_equal_div_10_uniqueIsEEEEEPllNS8_4plusIlEEEE10hipError_tPvRmT1_T2_T3_mT4_P12ihipStream_tbEUlT_E1_NS1_11comp_targetILNS1_3genE0ELNS1_11target_archE4294967295ELNS1_3gpuE0ELNS1_3repE0EEENS1_30default_config_static_selectorELNS0_4arch9wavefront6targetE1EEEvSW_: ; @_ZN7rocprim17ROCPRIM_400000_NS6detail17trampoline_kernelINS0_14default_configENS1_22reduce_config_selectorIlEEZNS1_11reduce_implILb1ES3_N6thrust23THRUST_200600_302600_NS11hip_rocprim26transform_input_iterator_tIlNS8_12zip_iteratorINS8_5tupleINS8_6detail15normal_iteratorINS8_10device_ptrIsEEEESH_NS8_9null_typeESI_SI_SI_SI_SI_SI_SI_EEEENS9_21zip_adj_not_predicateI22is_equal_div_10_uniqueIsEEEEEPllNS8_4plusIlEEEE10hipError_tPvRmT1_T2_T3_mT4_P12ihipStream_tbEUlT_E1_NS1_11comp_targetILNS1_3genE0ELNS1_11target_archE4294967295ELNS1_3gpuE0ELNS1_3repE0EEENS1_30default_config_static_selectorELNS0_4arch9wavefront6targetE1EEEvSW_
; %bb.0:
	.section	.rodata,"a",@progbits
	.p2align	6, 0x0
	.amdhsa_kernel _ZN7rocprim17ROCPRIM_400000_NS6detail17trampoline_kernelINS0_14default_configENS1_22reduce_config_selectorIlEEZNS1_11reduce_implILb1ES3_N6thrust23THRUST_200600_302600_NS11hip_rocprim26transform_input_iterator_tIlNS8_12zip_iteratorINS8_5tupleINS8_6detail15normal_iteratorINS8_10device_ptrIsEEEESH_NS8_9null_typeESI_SI_SI_SI_SI_SI_SI_EEEENS9_21zip_adj_not_predicateI22is_equal_div_10_uniqueIsEEEEEPllNS8_4plusIlEEEE10hipError_tPvRmT1_T2_T3_mT4_P12ihipStream_tbEUlT_E1_NS1_11comp_targetILNS1_3genE0ELNS1_11target_archE4294967295ELNS1_3gpuE0ELNS1_3repE0EEENS1_30default_config_static_selectorELNS0_4arch9wavefront6targetE1EEEvSW_
		.amdhsa_group_segment_fixed_size 0
		.amdhsa_private_segment_fixed_size 0
		.amdhsa_kernarg_size 64
		.amdhsa_user_sgpr_count 6
		.amdhsa_user_sgpr_private_segment_buffer 1
		.amdhsa_user_sgpr_dispatch_ptr 0
		.amdhsa_user_sgpr_queue_ptr 0
		.amdhsa_user_sgpr_kernarg_segment_ptr 1
		.amdhsa_user_sgpr_dispatch_id 0
		.amdhsa_user_sgpr_flat_scratch_init 0
		.amdhsa_user_sgpr_private_segment_size 0
		.amdhsa_uses_dynamic_stack 0
		.amdhsa_system_sgpr_private_segment_wavefront_offset 0
		.amdhsa_system_sgpr_workgroup_id_x 1
		.amdhsa_system_sgpr_workgroup_id_y 0
		.amdhsa_system_sgpr_workgroup_id_z 0
		.amdhsa_system_sgpr_workgroup_info 0
		.amdhsa_system_vgpr_workitem_id 0
		.amdhsa_next_free_vgpr 1
		.amdhsa_next_free_sgpr 0
		.amdhsa_reserve_vcc 0
		.amdhsa_reserve_flat_scratch 0
		.amdhsa_float_round_mode_32 0
		.amdhsa_float_round_mode_16_64 0
		.amdhsa_float_denorm_mode_32 3
		.amdhsa_float_denorm_mode_16_64 3
		.amdhsa_dx10_clamp 1
		.amdhsa_ieee_mode 1
		.amdhsa_fp16_overflow 0
		.amdhsa_exception_fp_ieee_invalid_op 0
		.amdhsa_exception_fp_denorm_src 0
		.amdhsa_exception_fp_ieee_div_zero 0
		.amdhsa_exception_fp_ieee_overflow 0
		.amdhsa_exception_fp_ieee_underflow 0
		.amdhsa_exception_fp_ieee_inexact 0
		.amdhsa_exception_int_div_zero 0
	.end_amdhsa_kernel
	.section	.text._ZN7rocprim17ROCPRIM_400000_NS6detail17trampoline_kernelINS0_14default_configENS1_22reduce_config_selectorIlEEZNS1_11reduce_implILb1ES3_N6thrust23THRUST_200600_302600_NS11hip_rocprim26transform_input_iterator_tIlNS8_12zip_iteratorINS8_5tupleINS8_6detail15normal_iteratorINS8_10device_ptrIsEEEESH_NS8_9null_typeESI_SI_SI_SI_SI_SI_SI_EEEENS9_21zip_adj_not_predicateI22is_equal_div_10_uniqueIsEEEEEPllNS8_4plusIlEEEE10hipError_tPvRmT1_T2_T3_mT4_P12ihipStream_tbEUlT_E1_NS1_11comp_targetILNS1_3genE0ELNS1_11target_archE4294967295ELNS1_3gpuE0ELNS1_3repE0EEENS1_30default_config_static_selectorELNS0_4arch9wavefront6targetE1EEEvSW_,"axG",@progbits,_ZN7rocprim17ROCPRIM_400000_NS6detail17trampoline_kernelINS0_14default_configENS1_22reduce_config_selectorIlEEZNS1_11reduce_implILb1ES3_N6thrust23THRUST_200600_302600_NS11hip_rocprim26transform_input_iterator_tIlNS8_12zip_iteratorINS8_5tupleINS8_6detail15normal_iteratorINS8_10device_ptrIsEEEESH_NS8_9null_typeESI_SI_SI_SI_SI_SI_SI_EEEENS9_21zip_adj_not_predicateI22is_equal_div_10_uniqueIsEEEEEPllNS8_4plusIlEEEE10hipError_tPvRmT1_T2_T3_mT4_P12ihipStream_tbEUlT_E1_NS1_11comp_targetILNS1_3genE0ELNS1_11target_archE4294967295ELNS1_3gpuE0ELNS1_3repE0EEENS1_30default_config_static_selectorELNS0_4arch9wavefront6targetE1EEEvSW_,comdat
.Lfunc_end1022:
	.size	_ZN7rocprim17ROCPRIM_400000_NS6detail17trampoline_kernelINS0_14default_configENS1_22reduce_config_selectorIlEEZNS1_11reduce_implILb1ES3_N6thrust23THRUST_200600_302600_NS11hip_rocprim26transform_input_iterator_tIlNS8_12zip_iteratorINS8_5tupleINS8_6detail15normal_iteratorINS8_10device_ptrIsEEEESH_NS8_9null_typeESI_SI_SI_SI_SI_SI_SI_EEEENS9_21zip_adj_not_predicateI22is_equal_div_10_uniqueIsEEEEEPllNS8_4plusIlEEEE10hipError_tPvRmT1_T2_T3_mT4_P12ihipStream_tbEUlT_E1_NS1_11comp_targetILNS1_3genE0ELNS1_11target_archE4294967295ELNS1_3gpuE0ELNS1_3repE0EEENS1_30default_config_static_selectorELNS0_4arch9wavefront6targetE1EEEvSW_, .Lfunc_end1022-_ZN7rocprim17ROCPRIM_400000_NS6detail17trampoline_kernelINS0_14default_configENS1_22reduce_config_selectorIlEEZNS1_11reduce_implILb1ES3_N6thrust23THRUST_200600_302600_NS11hip_rocprim26transform_input_iterator_tIlNS8_12zip_iteratorINS8_5tupleINS8_6detail15normal_iteratorINS8_10device_ptrIsEEEESH_NS8_9null_typeESI_SI_SI_SI_SI_SI_SI_EEEENS9_21zip_adj_not_predicateI22is_equal_div_10_uniqueIsEEEEEPllNS8_4plusIlEEEE10hipError_tPvRmT1_T2_T3_mT4_P12ihipStream_tbEUlT_E1_NS1_11comp_targetILNS1_3genE0ELNS1_11target_archE4294967295ELNS1_3gpuE0ELNS1_3repE0EEENS1_30default_config_static_selectorELNS0_4arch9wavefront6targetE1EEEvSW_
                                        ; -- End function
	.set _ZN7rocprim17ROCPRIM_400000_NS6detail17trampoline_kernelINS0_14default_configENS1_22reduce_config_selectorIlEEZNS1_11reduce_implILb1ES3_N6thrust23THRUST_200600_302600_NS11hip_rocprim26transform_input_iterator_tIlNS8_12zip_iteratorINS8_5tupleINS8_6detail15normal_iteratorINS8_10device_ptrIsEEEESH_NS8_9null_typeESI_SI_SI_SI_SI_SI_SI_EEEENS9_21zip_adj_not_predicateI22is_equal_div_10_uniqueIsEEEEEPllNS8_4plusIlEEEE10hipError_tPvRmT1_T2_T3_mT4_P12ihipStream_tbEUlT_E1_NS1_11comp_targetILNS1_3genE0ELNS1_11target_archE4294967295ELNS1_3gpuE0ELNS1_3repE0EEENS1_30default_config_static_selectorELNS0_4arch9wavefront6targetE1EEEvSW_.num_vgpr, 0
	.set _ZN7rocprim17ROCPRIM_400000_NS6detail17trampoline_kernelINS0_14default_configENS1_22reduce_config_selectorIlEEZNS1_11reduce_implILb1ES3_N6thrust23THRUST_200600_302600_NS11hip_rocprim26transform_input_iterator_tIlNS8_12zip_iteratorINS8_5tupleINS8_6detail15normal_iteratorINS8_10device_ptrIsEEEESH_NS8_9null_typeESI_SI_SI_SI_SI_SI_SI_EEEENS9_21zip_adj_not_predicateI22is_equal_div_10_uniqueIsEEEEEPllNS8_4plusIlEEEE10hipError_tPvRmT1_T2_T3_mT4_P12ihipStream_tbEUlT_E1_NS1_11comp_targetILNS1_3genE0ELNS1_11target_archE4294967295ELNS1_3gpuE0ELNS1_3repE0EEENS1_30default_config_static_selectorELNS0_4arch9wavefront6targetE1EEEvSW_.num_agpr, 0
	.set _ZN7rocprim17ROCPRIM_400000_NS6detail17trampoline_kernelINS0_14default_configENS1_22reduce_config_selectorIlEEZNS1_11reduce_implILb1ES3_N6thrust23THRUST_200600_302600_NS11hip_rocprim26transform_input_iterator_tIlNS8_12zip_iteratorINS8_5tupleINS8_6detail15normal_iteratorINS8_10device_ptrIsEEEESH_NS8_9null_typeESI_SI_SI_SI_SI_SI_SI_EEEENS9_21zip_adj_not_predicateI22is_equal_div_10_uniqueIsEEEEEPllNS8_4plusIlEEEE10hipError_tPvRmT1_T2_T3_mT4_P12ihipStream_tbEUlT_E1_NS1_11comp_targetILNS1_3genE0ELNS1_11target_archE4294967295ELNS1_3gpuE0ELNS1_3repE0EEENS1_30default_config_static_selectorELNS0_4arch9wavefront6targetE1EEEvSW_.numbered_sgpr, 0
	.set _ZN7rocprim17ROCPRIM_400000_NS6detail17trampoline_kernelINS0_14default_configENS1_22reduce_config_selectorIlEEZNS1_11reduce_implILb1ES3_N6thrust23THRUST_200600_302600_NS11hip_rocprim26transform_input_iterator_tIlNS8_12zip_iteratorINS8_5tupleINS8_6detail15normal_iteratorINS8_10device_ptrIsEEEESH_NS8_9null_typeESI_SI_SI_SI_SI_SI_SI_EEEENS9_21zip_adj_not_predicateI22is_equal_div_10_uniqueIsEEEEEPllNS8_4plusIlEEEE10hipError_tPvRmT1_T2_T3_mT4_P12ihipStream_tbEUlT_E1_NS1_11comp_targetILNS1_3genE0ELNS1_11target_archE4294967295ELNS1_3gpuE0ELNS1_3repE0EEENS1_30default_config_static_selectorELNS0_4arch9wavefront6targetE1EEEvSW_.num_named_barrier, 0
	.set _ZN7rocprim17ROCPRIM_400000_NS6detail17trampoline_kernelINS0_14default_configENS1_22reduce_config_selectorIlEEZNS1_11reduce_implILb1ES3_N6thrust23THRUST_200600_302600_NS11hip_rocprim26transform_input_iterator_tIlNS8_12zip_iteratorINS8_5tupleINS8_6detail15normal_iteratorINS8_10device_ptrIsEEEESH_NS8_9null_typeESI_SI_SI_SI_SI_SI_SI_EEEENS9_21zip_adj_not_predicateI22is_equal_div_10_uniqueIsEEEEEPllNS8_4plusIlEEEE10hipError_tPvRmT1_T2_T3_mT4_P12ihipStream_tbEUlT_E1_NS1_11comp_targetILNS1_3genE0ELNS1_11target_archE4294967295ELNS1_3gpuE0ELNS1_3repE0EEENS1_30default_config_static_selectorELNS0_4arch9wavefront6targetE1EEEvSW_.private_seg_size, 0
	.set _ZN7rocprim17ROCPRIM_400000_NS6detail17trampoline_kernelINS0_14default_configENS1_22reduce_config_selectorIlEEZNS1_11reduce_implILb1ES3_N6thrust23THRUST_200600_302600_NS11hip_rocprim26transform_input_iterator_tIlNS8_12zip_iteratorINS8_5tupleINS8_6detail15normal_iteratorINS8_10device_ptrIsEEEESH_NS8_9null_typeESI_SI_SI_SI_SI_SI_SI_EEEENS9_21zip_adj_not_predicateI22is_equal_div_10_uniqueIsEEEEEPllNS8_4plusIlEEEE10hipError_tPvRmT1_T2_T3_mT4_P12ihipStream_tbEUlT_E1_NS1_11comp_targetILNS1_3genE0ELNS1_11target_archE4294967295ELNS1_3gpuE0ELNS1_3repE0EEENS1_30default_config_static_selectorELNS0_4arch9wavefront6targetE1EEEvSW_.uses_vcc, 0
	.set _ZN7rocprim17ROCPRIM_400000_NS6detail17trampoline_kernelINS0_14default_configENS1_22reduce_config_selectorIlEEZNS1_11reduce_implILb1ES3_N6thrust23THRUST_200600_302600_NS11hip_rocprim26transform_input_iterator_tIlNS8_12zip_iteratorINS8_5tupleINS8_6detail15normal_iteratorINS8_10device_ptrIsEEEESH_NS8_9null_typeESI_SI_SI_SI_SI_SI_SI_EEEENS9_21zip_adj_not_predicateI22is_equal_div_10_uniqueIsEEEEEPllNS8_4plusIlEEEE10hipError_tPvRmT1_T2_T3_mT4_P12ihipStream_tbEUlT_E1_NS1_11comp_targetILNS1_3genE0ELNS1_11target_archE4294967295ELNS1_3gpuE0ELNS1_3repE0EEENS1_30default_config_static_selectorELNS0_4arch9wavefront6targetE1EEEvSW_.uses_flat_scratch, 0
	.set _ZN7rocprim17ROCPRIM_400000_NS6detail17trampoline_kernelINS0_14default_configENS1_22reduce_config_selectorIlEEZNS1_11reduce_implILb1ES3_N6thrust23THRUST_200600_302600_NS11hip_rocprim26transform_input_iterator_tIlNS8_12zip_iteratorINS8_5tupleINS8_6detail15normal_iteratorINS8_10device_ptrIsEEEESH_NS8_9null_typeESI_SI_SI_SI_SI_SI_SI_EEEENS9_21zip_adj_not_predicateI22is_equal_div_10_uniqueIsEEEEEPllNS8_4plusIlEEEE10hipError_tPvRmT1_T2_T3_mT4_P12ihipStream_tbEUlT_E1_NS1_11comp_targetILNS1_3genE0ELNS1_11target_archE4294967295ELNS1_3gpuE0ELNS1_3repE0EEENS1_30default_config_static_selectorELNS0_4arch9wavefront6targetE1EEEvSW_.has_dyn_sized_stack, 0
	.set _ZN7rocprim17ROCPRIM_400000_NS6detail17trampoline_kernelINS0_14default_configENS1_22reduce_config_selectorIlEEZNS1_11reduce_implILb1ES3_N6thrust23THRUST_200600_302600_NS11hip_rocprim26transform_input_iterator_tIlNS8_12zip_iteratorINS8_5tupleINS8_6detail15normal_iteratorINS8_10device_ptrIsEEEESH_NS8_9null_typeESI_SI_SI_SI_SI_SI_SI_EEEENS9_21zip_adj_not_predicateI22is_equal_div_10_uniqueIsEEEEEPllNS8_4plusIlEEEE10hipError_tPvRmT1_T2_T3_mT4_P12ihipStream_tbEUlT_E1_NS1_11comp_targetILNS1_3genE0ELNS1_11target_archE4294967295ELNS1_3gpuE0ELNS1_3repE0EEENS1_30default_config_static_selectorELNS0_4arch9wavefront6targetE1EEEvSW_.has_recursion, 0
	.set _ZN7rocprim17ROCPRIM_400000_NS6detail17trampoline_kernelINS0_14default_configENS1_22reduce_config_selectorIlEEZNS1_11reduce_implILb1ES3_N6thrust23THRUST_200600_302600_NS11hip_rocprim26transform_input_iterator_tIlNS8_12zip_iteratorINS8_5tupleINS8_6detail15normal_iteratorINS8_10device_ptrIsEEEESH_NS8_9null_typeESI_SI_SI_SI_SI_SI_SI_EEEENS9_21zip_adj_not_predicateI22is_equal_div_10_uniqueIsEEEEEPllNS8_4plusIlEEEE10hipError_tPvRmT1_T2_T3_mT4_P12ihipStream_tbEUlT_E1_NS1_11comp_targetILNS1_3genE0ELNS1_11target_archE4294967295ELNS1_3gpuE0ELNS1_3repE0EEENS1_30default_config_static_selectorELNS0_4arch9wavefront6targetE1EEEvSW_.has_indirect_call, 0
	.section	.AMDGPU.csdata,"",@progbits
; Kernel info:
; codeLenInByte = 0
; TotalNumSgprs: 4
; NumVgprs: 0
; ScratchSize: 0
; MemoryBound: 0
; FloatMode: 240
; IeeeMode: 1
; LDSByteSize: 0 bytes/workgroup (compile time only)
; SGPRBlocks: 0
; VGPRBlocks: 0
; NumSGPRsForWavesPerEU: 4
; NumVGPRsForWavesPerEU: 1
; Occupancy: 10
; WaveLimiterHint : 0
; COMPUTE_PGM_RSRC2:SCRATCH_EN: 0
; COMPUTE_PGM_RSRC2:USER_SGPR: 6
; COMPUTE_PGM_RSRC2:TRAP_HANDLER: 0
; COMPUTE_PGM_RSRC2:TGID_X_EN: 1
; COMPUTE_PGM_RSRC2:TGID_Y_EN: 0
; COMPUTE_PGM_RSRC2:TGID_Z_EN: 0
; COMPUTE_PGM_RSRC2:TIDIG_COMP_CNT: 0
	.section	.text._ZN7rocprim17ROCPRIM_400000_NS6detail17trampoline_kernelINS0_14default_configENS1_22reduce_config_selectorIlEEZNS1_11reduce_implILb1ES3_N6thrust23THRUST_200600_302600_NS11hip_rocprim26transform_input_iterator_tIlNS8_12zip_iteratorINS8_5tupleINS8_6detail15normal_iteratorINS8_10device_ptrIsEEEESH_NS8_9null_typeESI_SI_SI_SI_SI_SI_SI_EEEENS9_21zip_adj_not_predicateI22is_equal_div_10_uniqueIsEEEEEPllNS8_4plusIlEEEE10hipError_tPvRmT1_T2_T3_mT4_P12ihipStream_tbEUlT_E1_NS1_11comp_targetILNS1_3genE5ELNS1_11target_archE942ELNS1_3gpuE9ELNS1_3repE0EEENS1_30default_config_static_selectorELNS0_4arch9wavefront6targetE1EEEvSW_,"axG",@progbits,_ZN7rocprim17ROCPRIM_400000_NS6detail17trampoline_kernelINS0_14default_configENS1_22reduce_config_selectorIlEEZNS1_11reduce_implILb1ES3_N6thrust23THRUST_200600_302600_NS11hip_rocprim26transform_input_iterator_tIlNS8_12zip_iteratorINS8_5tupleINS8_6detail15normal_iteratorINS8_10device_ptrIsEEEESH_NS8_9null_typeESI_SI_SI_SI_SI_SI_SI_EEEENS9_21zip_adj_not_predicateI22is_equal_div_10_uniqueIsEEEEEPllNS8_4plusIlEEEE10hipError_tPvRmT1_T2_T3_mT4_P12ihipStream_tbEUlT_E1_NS1_11comp_targetILNS1_3genE5ELNS1_11target_archE942ELNS1_3gpuE9ELNS1_3repE0EEENS1_30default_config_static_selectorELNS0_4arch9wavefront6targetE1EEEvSW_,comdat
	.protected	_ZN7rocprim17ROCPRIM_400000_NS6detail17trampoline_kernelINS0_14default_configENS1_22reduce_config_selectorIlEEZNS1_11reduce_implILb1ES3_N6thrust23THRUST_200600_302600_NS11hip_rocprim26transform_input_iterator_tIlNS8_12zip_iteratorINS8_5tupleINS8_6detail15normal_iteratorINS8_10device_ptrIsEEEESH_NS8_9null_typeESI_SI_SI_SI_SI_SI_SI_EEEENS9_21zip_adj_not_predicateI22is_equal_div_10_uniqueIsEEEEEPllNS8_4plusIlEEEE10hipError_tPvRmT1_T2_T3_mT4_P12ihipStream_tbEUlT_E1_NS1_11comp_targetILNS1_3genE5ELNS1_11target_archE942ELNS1_3gpuE9ELNS1_3repE0EEENS1_30default_config_static_selectorELNS0_4arch9wavefront6targetE1EEEvSW_ ; -- Begin function _ZN7rocprim17ROCPRIM_400000_NS6detail17trampoline_kernelINS0_14default_configENS1_22reduce_config_selectorIlEEZNS1_11reduce_implILb1ES3_N6thrust23THRUST_200600_302600_NS11hip_rocprim26transform_input_iterator_tIlNS8_12zip_iteratorINS8_5tupleINS8_6detail15normal_iteratorINS8_10device_ptrIsEEEESH_NS8_9null_typeESI_SI_SI_SI_SI_SI_SI_EEEENS9_21zip_adj_not_predicateI22is_equal_div_10_uniqueIsEEEEEPllNS8_4plusIlEEEE10hipError_tPvRmT1_T2_T3_mT4_P12ihipStream_tbEUlT_E1_NS1_11comp_targetILNS1_3genE5ELNS1_11target_archE942ELNS1_3gpuE9ELNS1_3repE0EEENS1_30default_config_static_selectorELNS0_4arch9wavefront6targetE1EEEvSW_
	.globl	_ZN7rocprim17ROCPRIM_400000_NS6detail17trampoline_kernelINS0_14default_configENS1_22reduce_config_selectorIlEEZNS1_11reduce_implILb1ES3_N6thrust23THRUST_200600_302600_NS11hip_rocprim26transform_input_iterator_tIlNS8_12zip_iteratorINS8_5tupleINS8_6detail15normal_iteratorINS8_10device_ptrIsEEEESH_NS8_9null_typeESI_SI_SI_SI_SI_SI_SI_EEEENS9_21zip_adj_not_predicateI22is_equal_div_10_uniqueIsEEEEEPllNS8_4plusIlEEEE10hipError_tPvRmT1_T2_T3_mT4_P12ihipStream_tbEUlT_E1_NS1_11comp_targetILNS1_3genE5ELNS1_11target_archE942ELNS1_3gpuE9ELNS1_3repE0EEENS1_30default_config_static_selectorELNS0_4arch9wavefront6targetE1EEEvSW_
	.p2align	8
	.type	_ZN7rocprim17ROCPRIM_400000_NS6detail17trampoline_kernelINS0_14default_configENS1_22reduce_config_selectorIlEEZNS1_11reduce_implILb1ES3_N6thrust23THRUST_200600_302600_NS11hip_rocprim26transform_input_iterator_tIlNS8_12zip_iteratorINS8_5tupleINS8_6detail15normal_iteratorINS8_10device_ptrIsEEEESH_NS8_9null_typeESI_SI_SI_SI_SI_SI_SI_EEEENS9_21zip_adj_not_predicateI22is_equal_div_10_uniqueIsEEEEEPllNS8_4plusIlEEEE10hipError_tPvRmT1_T2_T3_mT4_P12ihipStream_tbEUlT_E1_NS1_11comp_targetILNS1_3genE5ELNS1_11target_archE942ELNS1_3gpuE9ELNS1_3repE0EEENS1_30default_config_static_selectorELNS0_4arch9wavefront6targetE1EEEvSW_,@function
_ZN7rocprim17ROCPRIM_400000_NS6detail17trampoline_kernelINS0_14default_configENS1_22reduce_config_selectorIlEEZNS1_11reduce_implILb1ES3_N6thrust23THRUST_200600_302600_NS11hip_rocprim26transform_input_iterator_tIlNS8_12zip_iteratorINS8_5tupleINS8_6detail15normal_iteratorINS8_10device_ptrIsEEEESH_NS8_9null_typeESI_SI_SI_SI_SI_SI_SI_EEEENS9_21zip_adj_not_predicateI22is_equal_div_10_uniqueIsEEEEEPllNS8_4plusIlEEEE10hipError_tPvRmT1_T2_T3_mT4_P12ihipStream_tbEUlT_E1_NS1_11comp_targetILNS1_3genE5ELNS1_11target_archE942ELNS1_3gpuE9ELNS1_3repE0EEENS1_30default_config_static_selectorELNS0_4arch9wavefront6targetE1EEEvSW_: ; @_ZN7rocprim17ROCPRIM_400000_NS6detail17trampoline_kernelINS0_14default_configENS1_22reduce_config_selectorIlEEZNS1_11reduce_implILb1ES3_N6thrust23THRUST_200600_302600_NS11hip_rocprim26transform_input_iterator_tIlNS8_12zip_iteratorINS8_5tupleINS8_6detail15normal_iteratorINS8_10device_ptrIsEEEESH_NS8_9null_typeESI_SI_SI_SI_SI_SI_SI_EEEENS9_21zip_adj_not_predicateI22is_equal_div_10_uniqueIsEEEEEPllNS8_4plusIlEEEE10hipError_tPvRmT1_T2_T3_mT4_P12ihipStream_tbEUlT_E1_NS1_11comp_targetILNS1_3genE5ELNS1_11target_archE942ELNS1_3gpuE9ELNS1_3repE0EEENS1_30default_config_static_selectorELNS0_4arch9wavefront6targetE1EEEvSW_
; %bb.0:
	.section	.rodata,"a",@progbits
	.p2align	6, 0x0
	.amdhsa_kernel _ZN7rocprim17ROCPRIM_400000_NS6detail17trampoline_kernelINS0_14default_configENS1_22reduce_config_selectorIlEEZNS1_11reduce_implILb1ES3_N6thrust23THRUST_200600_302600_NS11hip_rocprim26transform_input_iterator_tIlNS8_12zip_iteratorINS8_5tupleINS8_6detail15normal_iteratorINS8_10device_ptrIsEEEESH_NS8_9null_typeESI_SI_SI_SI_SI_SI_SI_EEEENS9_21zip_adj_not_predicateI22is_equal_div_10_uniqueIsEEEEEPllNS8_4plusIlEEEE10hipError_tPvRmT1_T2_T3_mT4_P12ihipStream_tbEUlT_E1_NS1_11comp_targetILNS1_3genE5ELNS1_11target_archE942ELNS1_3gpuE9ELNS1_3repE0EEENS1_30default_config_static_selectorELNS0_4arch9wavefront6targetE1EEEvSW_
		.amdhsa_group_segment_fixed_size 0
		.amdhsa_private_segment_fixed_size 0
		.amdhsa_kernarg_size 64
		.amdhsa_user_sgpr_count 6
		.amdhsa_user_sgpr_private_segment_buffer 1
		.amdhsa_user_sgpr_dispatch_ptr 0
		.amdhsa_user_sgpr_queue_ptr 0
		.amdhsa_user_sgpr_kernarg_segment_ptr 1
		.amdhsa_user_sgpr_dispatch_id 0
		.amdhsa_user_sgpr_flat_scratch_init 0
		.amdhsa_user_sgpr_private_segment_size 0
		.amdhsa_uses_dynamic_stack 0
		.amdhsa_system_sgpr_private_segment_wavefront_offset 0
		.amdhsa_system_sgpr_workgroup_id_x 1
		.amdhsa_system_sgpr_workgroup_id_y 0
		.amdhsa_system_sgpr_workgroup_id_z 0
		.amdhsa_system_sgpr_workgroup_info 0
		.amdhsa_system_vgpr_workitem_id 0
		.amdhsa_next_free_vgpr 1
		.amdhsa_next_free_sgpr 0
		.amdhsa_reserve_vcc 0
		.amdhsa_reserve_flat_scratch 0
		.amdhsa_float_round_mode_32 0
		.amdhsa_float_round_mode_16_64 0
		.amdhsa_float_denorm_mode_32 3
		.amdhsa_float_denorm_mode_16_64 3
		.amdhsa_dx10_clamp 1
		.amdhsa_ieee_mode 1
		.amdhsa_fp16_overflow 0
		.amdhsa_exception_fp_ieee_invalid_op 0
		.amdhsa_exception_fp_denorm_src 0
		.amdhsa_exception_fp_ieee_div_zero 0
		.amdhsa_exception_fp_ieee_overflow 0
		.amdhsa_exception_fp_ieee_underflow 0
		.amdhsa_exception_fp_ieee_inexact 0
		.amdhsa_exception_int_div_zero 0
	.end_amdhsa_kernel
	.section	.text._ZN7rocprim17ROCPRIM_400000_NS6detail17trampoline_kernelINS0_14default_configENS1_22reduce_config_selectorIlEEZNS1_11reduce_implILb1ES3_N6thrust23THRUST_200600_302600_NS11hip_rocprim26transform_input_iterator_tIlNS8_12zip_iteratorINS8_5tupleINS8_6detail15normal_iteratorINS8_10device_ptrIsEEEESH_NS8_9null_typeESI_SI_SI_SI_SI_SI_SI_EEEENS9_21zip_adj_not_predicateI22is_equal_div_10_uniqueIsEEEEEPllNS8_4plusIlEEEE10hipError_tPvRmT1_T2_T3_mT4_P12ihipStream_tbEUlT_E1_NS1_11comp_targetILNS1_3genE5ELNS1_11target_archE942ELNS1_3gpuE9ELNS1_3repE0EEENS1_30default_config_static_selectorELNS0_4arch9wavefront6targetE1EEEvSW_,"axG",@progbits,_ZN7rocprim17ROCPRIM_400000_NS6detail17trampoline_kernelINS0_14default_configENS1_22reduce_config_selectorIlEEZNS1_11reduce_implILb1ES3_N6thrust23THRUST_200600_302600_NS11hip_rocprim26transform_input_iterator_tIlNS8_12zip_iteratorINS8_5tupleINS8_6detail15normal_iteratorINS8_10device_ptrIsEEEESH_NS8_9null_typeESI_SI_SI_SI_SI_SI_SI_EEEENS9_21zip_adj_not_predicateI22is_equal_div_10_uniqueIsEEEEEPllNS8_4plusIlEEEE10hipError_tPvRmT1_T2_T3_mT4_P12ihipStream_tbEUlT_E1_NS1_11comp_targetILNS1_3genE5ELNS1_11target_archE942ELNS1_3gpuE9ELNS1_3repE0EEENS1_30default_config_static_selectorELNS0_4arch9wavefront6targetE1EEEvSW_,comdat
.Lfunc_end1023:
	.size	_ZN7rocprim17ROCPRIM_400000_NS6detail17trampoline_kernelINS0_14default_configENS1_22reduce_config_selectorIlEEZNS1_11reduce_implILb1ES3_N6thrust23THRUST_200600_302600_NS11hip_rocprim26transform_input_iterator_tIlNS8_12zip_iteratorINS8_5tupleINS8_6detail15normal_iteratorINS8_10device_ptrIsEEEESH_NS8_9null_typeESI_SI_SI_SI_SI_SI_SI_EEEENS9_21zip_adj_not_predicateI22is_equal_div_10_uniqueIsEEEEEPllNS8_4plusIlEEEE10hipError_tPvRmT1_T2_T3_mT4_P12ihipStream_tbEUlT_E1_NS1_11comp_targetILNS1_3genE5ELNS1_11target_archE942ELNS1_3gpuE9ELNS1_3repE0EEENS1_30default_config_static_selectorELNS0_4arch9wavefront6targetE1EEEvSW_, .Lfunc_end1023-_ZN7rocprim17ROCPRIM_400000_NS6detail17trampoline_kernelINS0_14default_configENS1_22reduce_config_selectorIlEEZNS1_11reduce_implILb1ES3_N6thrust23THRUST_200600_302600_NS11hip_rocprim26transform_input_iterator_tIlNS8_12zip_iteratorINS8_5tupleINS8_6detail15normal_iteratorINS8_10device_ptrIsEEEESH_NS8_9null_typeESI_SI_SI_SI_SI_SI_SI_EEEENS9_21zip_adj_not_predicateI22is_equal_div_10_uniqueIsEEEEEPllNS8_4plusIlEEEE10hipError_tPvRmT1_T2_T3_mT4_P12ihipStream_tbEUlT_E1_NS1_11comp_targetILNS1_3genE5ELNS1_11target_archE942ELNS1_3gpuE9ELNS1_3repE0EEENS1_30default_config_static_selectorELNS0_4arch9wavefront6targetE1EEEvSW_
                                        ; -- End function
	.set _ZN7rocprim17ROCPRIM_400000_NS6detail17trampoline_kernelINS0_14default_configENS1_22reduce_config_selectorIlEEZNS1_11reduce_implILb1ES3_N6thrust23THRUST_200600_302600_NS11hip_rocprim26transform_input_iterator_tIlNS8_12zip_iteratorINS8_5tupleINS8_6detail15normal_iteratorINS8_10device_ptrIsEEEESH_NS8_9null_typeESI_SI_SI_SI_SI_SI_SI_EEEENS9_21zip_adj_not_predicateI22is_equal_div_10_uniqueIsEEEEEPllNS8_4plusIlEEEE10hipError_tPvRmT1_T2_T3_mT4_P12ihipStream_tbEUlT_E1_NS1_11comp_targetILNS1_3genE5ELNS1_11target_archE942ELNS1_3gpuE9ELNS1_3repE0EEENS1_30default_config_static_selectorELNS0_4arch9wavefront6targetE1EEEvSW_.num_vgpr, 0
	.set _ZN7rocprim17ROCPRIM_400000_NS6detail17trampoline_kernelINS0_14default_configENS1_22reduce_config_selectorIlEEZNS1_11reduce_implILb1ES3_N6thrust23THRUST_200600_302600_NS11hip_rocprim26transform_input_iterator_tIlNS8_12zip_iteratorINS8_5tupleINS8_6detail15normal_iteratorINS8_10device_ptrIsEEEESH_NS8_9null_typeESI_SI_SI_SI_SI_SI_SI_EEEENS9_21zip_adj_not_predicateI22is_equal_div_10_uniqueIsEEEEEPllNS8_4plusIlEEEE10hipError_tPvRmT1_T2_T3_mT4_P12ihipStream_tbEUlT_E1_NS1_11comp_targetILNS1_3genE5ELNS1_11target_archE942ELNS1_3gpuE9ELNS1_3repE0EEENS1_30default_config_static_selectorELNS0_4arch9wavefront6targetE1EEEvSW_.num_agpr, 0
	.set _ZN7rocprim17ROCPRIM_400000_NS6detail17trampoline_kernelINS0_14default_configENS1_22reduce_config_selectorIlEEZNS1_11reduce_implILb1ES3_N6thrust23THRUST_200600_302600_NS11hip_rocprim26transform_input_iterator_tIlNS8_12zip_iteratorINS8_5tupleINS8_6detail15normal_iteratorINS8_10device_ptrIsEEEESH_NS8_9null_typeESI_SI_SI_SI_SI_SI_SI_EEEENS9_21zip_adj_not_predicateI22is_equal_div_10_uniqueIsEEEEEPllNS8_4plusIlEEEE10hipError_tPvRmT1_T2_T3_mT4_P12ihipStream_tbEUlT_E1_NS1_11comp_targetILNS1_3genE5ELNS1_11target_archE942ELNS1_3gpuE9ELNS1_3repE0EEENS1_30default_config_static_selectorELNS0_4arch9wavefront6targetE1EEEvSW_.numbered_sgpr, 0
	.set _ZN7rocprim17ROCPRIM_400000_NS6detail17trampoline_kernelINS0_14default_configENS1_22reduce_config_selectorIlEEZNS1_11reduce_implILb1ES3_N6thrust23THRUST_200600_302600_NS11hip_rocprim26transform_input_iterator_tIlNS8_12zip_iteratorINS8_5tupleINS8_6detail15normal_iteratorINS8_10device_ptrIsEEEESH_NS8_9null_typeESI_SI_SI_SI_SI_SI_SI_EEEENS9_21zip_adj_not_predicateI22is_equal_div_10_uniqueIsEEEEEPllNS8_4plusIlEEEE10hipError_tPvRmT1_T2_T3_mT4_P12ihipStream_tbEUlT_E1_NS1_11comp_targetILNS1_3genE5ELNS1_11target_archE942ELNS1_3gpuE9ELNS1_3repE0EEENS1_30default_config_static_selectorELNS0_4arch9wavefront6targetE1EEEvSW_.num_named_barrier, 0
	.set _ZN7rocprim17ROCPRIM_400000_NS6detail17trampoline_kernelINS0_14default_configENS1_22reduce_config_selectorIlEEZNS1_11reduce_implILb1ES3_N6thrust23THRUST_200600_302600_NS11hip_rocprim26transform_input_iterator_tIlNS8_12zip_iteratorINS8_5tupleINS8_6detail15normal_iteratorINS8_10device_ptrIsEEEESH_NS8_9null_typeESI_SI_SI_SI_SI_SI_SI_EEEENS9_21zip_adj_not_predicateI22is_equal_div_10_uniqueIsEEEEEPllNS8_4plusIlEEEE10hipError_tPvRmT1_T2_T3_mT4_P12ihipStream_tbEUlT_E1_NS1_11comp_targetILNS1_3genE5ELNS1_11target_archE942ELNS1_3gpuE9ELNS1_3repE0EEENS1_30default_config_static_selectorELNS0_4arch9wavefront6targetE1EEEvSW_.private_seg_size, 0
	.set _ZN7rocprim17ROCPRIM_400000_NS6detail17trampoline_kernelINS0_14default_configENS1_22reduce_config_selectorIlEEZNS1_11reduce_implILb1ES3_N6thrust23THRUST_200600_302600_NS11hip_rocprim26transform_input_iterator_tIlNS8_12zip_iteratorINS8_5tupleINS8_6detail15normal_iteratorINS8_10device_ptrIsEEEESH_NS8_9null_typeESI_SI_SI_SI_SI_SI_SI_EEEENS9_21zip_adj_not_predicateI22is_equal_div_10_uniqueIsEEEEEPllNS8_4plusIlEEEE10hipError_tPvRmT1_T2_T3_mT4_P12ihipStream_tbEUlT_E1_NS1_11comp_targetILNS1_3genE5ELNS1_11target_archE942ELNS1_3gpuE9ELNS1_3repE0EEENS1_30default_config_static_selectorELNS0_4arch9wavefront6targetE1EEEvSW_.uses_vcc, 0
	.set _ZN7rocprim17ROCPRIM_400000_NS6detail17trampoline_kernelINS0_14default_configENS1_22reduce_config_selectorIlEEZNS1_11reduce_implILb1ES3_N6thrust23THRUST_200600_302600_NS11hip_rocprim26transform_input_iterator_tIlNS8_12zip_iteratorINS8_5tupleINS8_6detail15normal_iteratorINS8_10device_ptrIsEEEESH_NS8_9null_typeESI_SI_SI_SI_SI_SI_SI_EEEENS9_21zip_adj_not_predicateI22is_equal_div_10_uniqueIsEEEEEPllNS8_4plusIlEEEE10hipError_tPvRmT1_T2_T3_mT4_P12ihipStream_tbEUlT_E1_NS1_11comp_targetILNS1_3genE5ELNS1_11target_archE942ELNS1_3gpuE9ELNS1_3repE0EEENS1_30default_config_static_selectorELNS0_4arch9wavefront6targetE1EEEvSW_.uses_flat_scratch, 0
	.set _ZN7rocprim17ROCPRIM_400000_NS6detail17trampoline_kernelINS0_14default_configENS1_22reduce_config_selectorIlEEZNS1_11reduce_implILb1ES3_N6thrust23THRUST_200600_302600_NS11hip_rocprim26transform_input_iterator_tIlNS8_12zip_iteratorINS8_5tupleINS8_6detail15normal_iteratorINS8_10device_ptrIsEEEESH_NS8_9null_typeESI_SI_SI_SI_SI_SI_SI_EEEENS9_21zip_adj_not_predicateI22is_equal_div_10_uniqueIsEEEEEPllNS8_4plusIlEEEE10hipError_tPvRmT1_T2_T3_mT4_P12ihipStream_tbEUlT_E1_NS1_11comp_targetILNS1_3genE5ELNS1_11target_archE942ELNS1_3gpuE9ELNS1_3repE0EEENS1_30default_config_static_selectorELNS0_4arch9wavefront6targetE1EEEvSW_.has_dyn_sized_stack, 0
	.set _ZN7rocprim17ROCPRIM_400000_NS6detail17trampoline_kernelINS0_14default_configENS1_22reduce_config_selectorIlEEZNS1_11reduce_implILb1ES3_N6thrust23THRUST_200600_302600_NS11hip_rocprim26transform_input_iterator_tIlNS8_12zip_iteratorINS8_5tupleINS8_6detail15normal_iteratorINS8_10device_ptrIsEEEESH_NS8_9null_typeESI_SI_SI_SI_SI_SI_SI_EEEENS9_21zip_adj_not_predicateI22is_equal_div_10_uniqueIsEEEEEPllNS8_4plusIlEEEE10hipError_tPvRmT1_T2_T3_mT4_P12ihipStream_tbEUlT_E1_NS1_11comp_targetILNS1_3genE5ELNS1_11target_archE942ELNS1_3gpuE9ELNS1_3repE0EEENS1_30default_config_static_selectorELNS0_4arch9wavefront6targetE1EEEvSW_.has_recursion, 0
	.set _ZN7rocprim17ROCPRIM_400000_NS6detail17trampoline_kernelINS0_14default_configENS1_22reduce_config_selectorIlEEZNS1_11reduce_implILb1ES3_N6thrust23THRUST_200600_302600_NS11hip_rocprim26transform_input_iterator_tIlNS8_12zip_iteratorINS8_5tupleINS8_6detail15normal_iteratorINS8_10device_ptrIsEEEESH_NS8_9null_typeESI_SI_SI_SI_SI_SI_SI_EEEENS9_21zip_adj_not_predicateI22is_equal_div_10_uniqueIsEEEEEPllNS8_4plusIlEEEE10hipError_tPvRmT1_T2_T3_mT4_P12ihipStream_tbEUlT_E1_NS1_11comp_targetILNS1_3genE5ELNS1_11target_archE942ELNS1_3gpuE9ELNS1_3repE0EEENS1_30default_config_static_selectorELNS0_4arch9wavefront6targetE1EEEvSW_.has_indirect_call, 0
	.section	.AMDGPU.csdata,"",@progbits
; Kernel info:
; codeLenInByte = 0
; TotalNumSgprs: 4
; NumVgprs: 0
; ScratchSize: 0
; MemoryBound: 0
; FloatMode: 240
; IeeeMode: 1
; LDSByteSize: 0 bytes/workgroup (compile time only)
; SGPRBlocks: 0
; VGPRBlocks: 0
; NumSGPRsForWavesPerEU: 4
; NumVGPRsForWavesPerEU: 1
; Occupancy: 10
; WaveLimiterHint : 0
; COMPUTE_PGM_RSRC2:SCRATCH_EN: 0
; COMPUTE_PGM_RSRC2:USER_SGPR: 6
; COMPUTE_PGM_RSRC2:TRAP_HANDLER: 0
; COMPUTE_PGM_RSRC2:TGID_X_EN: 1
; COMPUTE_PGM_RSRC2:TGID_Y_EN: 0
; COMPUTE_PGM_RSRC2:TGID_Z_EN: 0
; COMPUTE_PGM_RSRC2:TIDIG_COMP_CNT: 0
	.section	.text._ZN7rocprim17ROCPRIM_400000_NS6detail17trampoline_kernelINS0_14default_configENS1_22reduce_config_selectorIlEEZNS1_11reduce_implILb1ES3_N6thrust23THRUST_200600_302600_NS11hip_rocprim26transform_input_iterator_tIlNS8_12zip_iteratorINS8_5tupleINS8_6detail15normal_iteratorINS8_10device_ptrIsEEEESH_NS8_9null_typeESI_SI_SI_SI_SI_SI_SI_EEEENS9_21zip_adj_not_predicateI22is_equal_div_10_uniqueIsEEEEEPllNS8_4plusIlEEEE10hipError_tPvRmT1_T2_T3_mT4_P12ihipStream_tbEUlT_E1_NS1_11comp_targetILNS1_3genE4ELNS1_11target_archE910ELNS1_3gpuE8ELNS1_3repE0EEENS1_30default_config_static_selectorELNS0_4arch9wavefront6targetE1EEEvSW_,"axG",@progbits,_ZN7rocprim17ROCPRIM_400000_NS6detail17trampoline_kernelINS0_14default_configENS1_22reduce_config_selectorIlEEZNS1_11reduce_implILb1ES3_N6thrust23THRUST_200600_302600_NS11hip_rocprim26transform_input_iterator_tIlNS8_12zip_iteratorINS8_5tupleINS8_6detail15normal_iteratorINS8_10device_ptrIsEEEESH_NS8_9null_typeESI_SI_SI_SI_SI_SI_SI_EEEENS9_21zip_adj_not_predicateI22is_equal_div_10_uniqueIsEEEEEPllNS8_4plusIlEEEE10hipError_tPvRmT1_T2_T3_mT4_P12ihipStream_tbEUlT_E1_NS1_11comp_targetILNS1_3genE4ELNS1_11target_archE910ELNS1_3gpuE8ELNS1_3repE0EEENS1_30default_config_static_selectorELNS0_4arch9wavefront6targetE1EEEvSW_,comdat
	.protected	_ZN7rocprim17ROCPRIM_400000_NS6detail17trampoline_kernelINS0_14default_configENS1_22reduce_config_selectorIlEEZNS1_11reduce_implILb1ES3_N6thrust23THRUST_200600_302600_NS11hip_rocprim26transform_input_iterator_tIlNS8_12zip_iteratorINS8_5tupleINS8_6detail15normal_iteratorINS8_10device_ptrIsEEEESH_NS8_9null_typeESI_SI_SI_SI_SI_SI_SI_EEEENS9_21zip_adj_not_predicateI22is_equal_div_10_uniqueIsEEEEEPllNS8_4plusIlEEEE10hipError_tPvRmT1_T2_T3_mT4_P12ihipStream_tbEUlT_E1_NS1_11comp_targetILNS1_3genE4ELNS1_11target_archE910ELNS1_3gpuE8ELNS1_3repE0EEENS1_30default_config_static_selectorELNS0_4arch9wavefront6targetE1EEEvSW_ ; -- Begin function _ZN7rocprim17ROCPRIM_400000_NS6detail17trampoline_kernelINS0_14default_configENS1_22reduce_config_selectorIlEEZNS1_11reduce_implILb1ES3_N6thrust23THRUST_200600_302600_NS11hip_rocprim26transform_input_iterator_tIlNS8_12zip_iteratorINS8_5tupleINS8_6detail15normal_iteratorINS8_10device_ptrIsEEEESH_NS8_9null_typeESI_SI_SI_SI_SI_SI_SI_EEEENS9_21zip_adj_not_predicateI22is_equal_div_10_uniqueIsEEEEEPllNS8_4plusIlEEEE10hipError_tPvRmT1_T2_T3_mT4_P12ihipStream_tbEUlT_E1_NS1_11comp_targetILNS1_3genE4ELNS1_11target_archE910ELNS1_3gpuE8ELNS1_3repE0EEENS1_30default_config_static_selectorELNS0_4arch9wavefront6targetE1EEEvSW_
	.globl	_ZN7rocprim17ROCPRIM_400000_NS6detail17trampoline_kernelINS0_14default_configENS1_22reduce_config_selectorIlEEZNS1_11reduce_implILb1ES3_N6thrust23THRUST_200600_302600_NS11hip_rocprim26transform_input_iterator_tIlNS8_12zip_iteratorINS8_5tupleINS8_6detail15normal_iteratorINS8_10device_ptrIsEEEESH_NS8_9null_typeESI_SI_SI_SI_SI_SI_SI_EEEENS9_21zip_adj_not_predicateI22is_equal_div_10_uniqueIsEEEEEPllNS8_4plusIlEEEE10hipError_tPvRmT1_T2_T3_mT4_P12ihipStream_tbEUlT_E1_NS1_11comp_targetILNS1_3genE4ELNS1_11target_archE910ELNS1_3gpuE8ELNS1_3repE0EEENS1_30default_config_static_selectorELNS0_4arch9wavefront6targetE1EEEvSW_
	.p2align	8
	.type	_ZN7rocprim17ROCPRIM_400000_NS6detail17trampoline_kernelINS0_14default_configENS1_22reduce_config_selectorIlEEZNS1_11reduce_implILb1ES3_N6thrust23THRUST_200600_302600_NS11hip_rocprim26transform_input_iterator_tIlNS8_12zip_iteratorINS8_5tupleINS8_6detail15normal_iteratorINS8_10device_ptrIsEEEESH_NS8_9null_typeESI_SI_SI_SI_SI_SI_SI_EEEENS9_21zip_adj_not_predicateI22is_equal_div_10_uniqueIsEEEEEPllNS8_4plusIlEEEE10hipError_tPvRmT1_T2_T3_mT4_P12ihipStream_tbEUlT_E1_NS1_11comp_targetILNS1_3genE4ELNS1_11target_archE910ELNS1_3gpuE8ELNS1_3repE0EEENS1_30default_config_static_selectorELNS0_4arch9wavefront6targetE1EEEvSW_,@function
_ZN7rocprim17ROCPRIM_400000_NS6detail17trampoline_kernelINS0_14default_configENS1_22reduce_config_selectorIlEEZNS1_11reduce_implILb1ES3_N6thrust23THRUST_200600_302600_NS11hip_rocprim26transform_input_iterator_tIlNS8_12zip_iteratorINS8_5tupleINS8_6detail15normal_iteratorINS8_10device_ptrIsEEEESH_NS8_9null_typeESI_SI_SI_SI_SI_SI_SI_EEEENS9_21zip_adj_not_predicateI22is_equal_div_10_uniqueIsEEEEEPllNS8_4plusIlEEEE10hipError_tPvRmT1_T2_T3_mT4_P12ihipStream_tbEUlT_E1_NS1_11comp_targetILNS1_3genE4ELNS1_11target_archE910ELNS1_3gpuE8ELNS1_3repE0EEENS1_30default_config_static_selectorELNS0_4arch9wavefront6targetE1EEEvSW_: ; @_ZN7rocprim17ROCPRIM_400000_NS6detail17trampoline_kernelINS0_14default_configENS1_22reduce_config_selectorIlEEZNS1_11reduce_implILb1ES3_N6thrust23THRUST_200600_302600_NS11hip_rocprim26transform_input_iterator_tIlNS8_12zip_iteratorINS8_5tupleINS8_6detail15normal_iteratorINS8_10device_ptrIsEEEESH_NS8_9null_typeESI_SI_SI_SI_SI_SI_SI_EEEENS9_21zip_adj_not_predicateI22is_equal_div_10_uniqueIsEEEEEPllNS8_4plusIlEEEE10hipError_tPvRmT1_T2_T3_mT4_P12ihipStream_tbEUlT_E1_NS1_11comp_targetILNS1_3genE4ELNS1_11target_archE910ELNS1_3gpuE8ELNS1_3repE0EEENS1_30default_config_static_selectorELNS0_4arch9wavefront6targetE1EEEvSW_
; %bb.0:
	.section	.rodata,"a",@progbits
	.p2align	6, 0x0
	.amdhsa_kernel _ZN7rocprim17ROCPRIM_400000_NS6detail17trampoline_kernelINS0_14default_configENS1_22reduce_config_selectorIlEEZNS1_11reduce_implILb1ES3_N6thrust23THRUST_200600_302600_NS11hip_rocprim26transform_input_iterator_tIlNS8_12zip_iteratorINS8_5tupleINS8_6detail15normal_iteratorINS8_10device_ptrIsEEEESH_NS8_9null_typeESI_SI_SI_SI_SI_SI_SI_EEEENS9_21zip_adj_not_predicateI22is_equal_div_10_uniqueIsEEEEEPllNS8_4plusIlEEEE10hipError_tPvRmT1_T2_T3_mT4_P12ihipStream_tbEUlT_E1_NS1_11comp_targetILNS1_3genE4ELNS1_11target_archE910ELNS1_3gpuE8ELNS1_3repE0EEENS1_30default_config_static_selectorELNS0_4arch9wavefront6targetE1EEEvSW_
		.amdhsa_group_segment_fixed_size 0
		.amdhsa_private_segment_fixed_size 0
		.amdhsa_kernarg_size 64
		.amdhsa_user_sgpr_count 6
		.amdhsa_user_sgpr_private_segment_buffer 1
		.amdhsa_user_sgpr_dispatch_ptr 0
		.amdhsa_user_sgpr_queue_ptr 0
		.amdhsa_user_sgpr_kernarg_segment_ptr 1
		.amdhsa_user_sgpr_dispatch_id 0
		.amdhsa_user_sgpr_flat_scratch_init 0
		.amdhsa_user_sgpr_private_segment_size 0
		.amdhsa_uses_dynamic_stack 0
		.amdhsa_system_sgpr_private_segment_wavefront_offset 0
		.amdhsa_system_sgpr_workgroup_id_x 1
		.amdhsa_system_sgpr_workgroup_id_y 0
		.amdhsa_system_sgpr_workgroup_id_z 0
		.amdhsa_system_sgpr_workgroup_info 0
		.amdhsa_system_vgpr_workitem_id 0
		.amdhsa_next_free_vgpr 1
		.amdhsa_next_free_sgpr 0
		.amdhsa_reserve_vcc 0
		.amdhsa_reserve_flat_scratch 0
		.amdhsa_float_round_mode_32 0
		.amdhsa_float_round_mode_16_64 0
		.amdhsa_float_denorm_mode_32 3
		.amdhsa_float_denorm_mode_16_64 3
		.amdhsa_dx10_clamp 1
		.amdhsa_ieee_mode 1
		.amdhsa_fp16_overflow 0
		.amdhsa_exception_fp_ieee_invalid_op 0
		.amdhsa_exception_fp_denorm_src 0
		.amdhsa_exception_fp_ieee_div_zero 0
		.amdhsa_exception_fp_ieee_overflow 0
		.amdhsa_exception_fp_ieee_underflow 0
		.amdhsa_exception_fp_ieee_inexact 0
		.amdhsa_exception_int_div_zero 0
	.end_amdhsa_kernel
	.section	.text._ZN7rocprim17ROCPRIM_400000_NS6detail17trampoline_kernelINS0_14default_configENS1_22reduce_config_selectorIlEEZNS1_11reduce_implILb1ES3_N6thrust23THRUST_200600_302600_NS11hip_rocprim26transform_input_iterator_tIlNS8_12zip_iteratorINS8_5tupleINS8_6detail15normal_iteratorINS8_10device_ptrIsEEEESH_NS8_9null_typeESI_SI_SI_SI_SI_SI_SI_EEEENS9_21zip_adj_not_predicateI22is_equal_div_10_uniqueIsEEEEEPllNS8_4plusIlEEEE10hipError_tPvRmT1_T2_T3_mT4_P12ihipStream_tbEUlT_E1_NS1_11comp_targetILNS1_3genE4ELNS1_11target_archE910ELNS1_3gpuE8ELNS1_3repE0EEENS1_30default_config_static_selectorELNS0_4arch9wavefront6targetE1EEEvSW_,"axG",@progbits,_ZN7rocprim17ROCPRIM_400000_NS6detail17trampoline_kernelINS0_14default_configENS1_22reduce_config_selectorIlEEZNS1_11reduce_implILb1ES3_N6thrust23THRUST_200600_302600_NS11hip_rocprim26transform_input_iterator_tIlNS8_12zip_iteratorINS8_5tupleINS8_6detail15normal_iteratorINS8_10device_ptrIsEEEESH_NS8_9null_typeESI_SI_SI_SI_SI_SI_SI_EEEENS9_21zip_adj_not_predicateI22is_equal_div_10_uniqueIsEEEEEPllNS8_4plusIlEEEE10hipError_tPvRmT1_T2_T3_mT4_P12ihipStream_tbEUlT_E1_NS1_11comp_targetILNS1_3genE4ELNS1_11target_archE910ELNS1_3gpuE8ELNS1_3repE0EEENS1_30default_config_static_selectorELNS0_4arch9wavefront6targetE1EEEvSW_,comdat
.Lfunc_end1024:
	.size	_ZN7rocprim17ROCPRIM_400000_NS6detail17trampoline_kernelINS0_14default_configENS1_22reduce_config_selectorIlEEZNS1_11reduce_implILb1ES3_N6thrust23THRUST_200600_302600_NS11hip_rocprim26transform_input_iterator_tIlNS8_12zip_iteratorINS8_5tupleINS8_6detail15normal_iteratorINS8_10device_ptrIsEEEESH_NS8_9null_typeESI_SI_SI_SI_SI_SI_SI_EEEENS9_21zip_adj_not_predicateI22is_equal_div_10_uniqueIsEEEEEPllNS8_4plusIlEEEE10hipError_tPvRmT1_T2_T3_mT4_P12ihipStream_tbEUlT_E1_NS1_11comp_targetILNS1_3genE4ELNS1_11target_archE910ELNS1_3gpuE8ELNS1_3repE0EEENS1_30default_config_static_selectorELNS0_4arch9wavefront6targetE1EEEvSW_, .Lfunc_end1024-_ZN7rocprim17ROCPRIM_400000_NS6detail17trampoline_kernelINS0_14default_configENS1_22reduce_config_selectorIlEEZNS1_11reduce_implILb1ES3_N6thrust23THRUST_200600_302600_NS11hip_rocprim26transform_input_iterator_tIlNS8_12zip_iteratorINS8_5tupleINS8_6detail15normal_iteratorINS8_10device_ptrIsEEEESH_NS8_9null_typeESI_SI_SI_SI_SI_SI_SI_EEEENS9_21zip_adj_not_predicateI22is_equal_div_10_uniqueIsEEEEEPllNS8_4plusIlEEEE10hipError_tPvRmT1_T2_T3_mT4_P12ihipStream_tbEUlT_E1_NS1_11comp_targetILNS1_3genE4ELNS1_11target_archE910ELNS1_3gpuE8ELNS1_3repE0EEENS1_30default_config_static_selectorELNS0_4arch9wavefront6targetE1EEEvSW_
                                        ; -- End function
	.set _ZN7rocprim17ROCPRIM_400000_NS6detail17trampoline_kernelINS0_14default_configENS1_22reduce_config_selectorIlEEZNS1_11reduce_implILb1ES3_N6thrust23THRUST_200600_302600_NS11hip_rocprim26transform_input_iterator_tIlNS8_12zip_iteratorINS8_5tupleINS8_6detail15normal_iteratorINS8_10device_ptrIsEEEESH_NS8_9null_typeESI_SI_SI_SI_SI_SI_SI_EEEENS9_21zip_adj_not_predicateI22is_equal_div_10_uniqueIsEEEEEPllNS8_4plusIlEEEE10hipError_tPvRmT1_T2_T3_mT4_P12ihipStream_tbEUlT_E1_NS1_11comp_targetILNS1_3genE4ELNS1_11target_archE910ELNS1_3gpuE8ELNS1_3repE0EEENS1_30default_config_static_selectorELNS0_4arch9wavefront6targetE1EEEvSW_.num_vgpr, 0
	.set _ZN7rocprim17ROCPRIM_400000_NS6detail17trampoline_kernelINS0_14default_configENS1_22reduce_config_selectorIlEEZNS1_11reduce_implILb1ES3_N6thrust23THRUST_200600_302600_NS11hip_rocprim26transform_input_iterator_tIlNS8_12zip_iteratorINS8_5tupleINS8_6detail15normal_iteratorINS8_10device_ptrIsEEEESH_NS8_9null_typeESI_SI_SI_SI_SI_SI_SI_EEEENS9_21zip_adj_not_predicateI22is_equal_div_10_uniqueIsEEEEEPllNS8_4plusIlEEEE10hipError_tPvRmT1_T2_T3_mT4_P12ihipStream_tbEUlT_E1_NS1_11comp_targetILNS1_3genE4ELNS1_11target_archE910ELNS1_3gpuE8ELNS1_3repE0EEENS1_30default_config_static_selectorELNS0_4arch9wavefront6targetE1EEEvSW_.num_agpr, 0
	.set _ZN7rocprim17ROCPRIM_400000_NS6detail17trampoline_kernelINS0_14default_configENS1_22reduce_config_selectorIlEEZNS1_11reduce_implILb1ES3_N6thrust23THRUST_200600_302600_NS11hip_rocprim26transform_input_iterator_tIlNS8_12zip_iteratorINS8_5tupleINS8_6detail15normal_iteratorINS8_10device_ptrIsEEEESH_NS8_9null_typeESI_SI_SI_SI_SI_SI_SI_EEEENS9_21zip_adj_not_predicateI22is_equal_div_10_uniqueIsEEEEEPllNS8_4plusIlEEEE10hipError_tPvRmT1_T2_T3_mT4_P12ihipStream_tbEUlT_E1_NS1_11comp_targetILNS1_3genE4ELNS1_11target_archE910ELNS1_3gpuE8ELNS1_3repE0EEENS1_30default_config_static_selectorELNS0_4arch9wavefront6targetE1EEEvSW_.numbered_sgpr, 0
	.set _ZN7rocprim17ROCPRIM_400000_NS6detail17trampoline_kernelINS0_14default_configENS1_22reduce_config_selectorIlEEZNS1_11reduce_implILb1ES3_N6thrust23THRUST_200600_302600_NS11hip_rocprim26transform_input_iterator_tIlNS8_12zip_iteratorINS8_5tupleINS8_6detail15normal_iteratorINS8_10device_ptrIsEEEESH_NS8_9null_typeESI_SI_SI_SI_SI_SI_SI_EEEENS9_21zip_adj_not_predicateI22is_equal_div_10_uniqueIsEEEEEPllNS8_4plusIlEEEE10hipError_tPvRmT1_T2_T3_mT4_P12ihipStream_tbEUlT_E1_NS1_11comp_targetILNS1_3genE4ELNS1_11target_archE910ELNS1_3gpuE8ELNS1_3repE0EEENS1_30default_config_static_selectorELNS0_4arch9wavefront6targetE1EEEvSW_.num_named_barrier, 0
	.set _ZN7rocprim17ROCPRIM_400000_NS6detail17trampoline_kernelINS0_14default_configENS1_22reduce_config_selectorIlEEZNS1_11reduce_implILb1ES3_N6thrust23THRUST_200600_302600_NS11hip_rocprim26transform_input_iterator_tIlNS8_12zip_iteratorINS8_5tupleINS8_6detail15normal_iteratorINS8_10device_ptrIsEEEESH_NS8_9null_typeESI_SI_SI_SI_SI_SI_SI_EEEENS9_21zip_adj_not_predicateI22is_equal_div_10_uniqueIsEEEEEPllNS8_4plusIlEEEE10hipError_tPvRmT1_T2_T3_mT4_P12ihipStream_tbEUlT_E1_NS1_11comp_targetILNS1_3genE4ELNS1_11target_archE910ELNS1_3gpuE8ELNS1_3repE0EEENS1_30default_config_static_selectorELNS0_4arch9wavefront6targetE1EEEvSW_.private_seg_size, 0
	.set _ZN7rocprim17ROCPRIM_400000_NS6detail17trampoline_kernelINS0_14default_configENS1_22reduce_config_selectorIlEEZNS1_11reduce_implILb1ES3_N6thrust23THRUST_200600_302600_NS11hip_rocprim26transform_input_iterator_tIlNS8_12zip_iteratorINS8_5tupleINS8_6detail15normal_iteratorINS8_10device_ptrIsEEEESH_NS8_9null_typeESI_SI_SI_SI_SI_SI_SI_EEEENS9_21zip_adj_not_predicateI22is_equal_div_10_uniqueIsEEEEEPllNS8_4plusIlEEEE10hipError_tPvRmT1_T2_T3_mT4_P12ihipStream_tbEUlT_E1_NS1_11comp_targetILNS1_3genE4ELNS1_11target_archE910ELNS1_3gpuE8ELNS1_3repE0EEENS1_30default_config_static_selectorELNS0_4arch9wavefront6targetE1EEEvSW_.uses_vcc, 0
	.set _ZN7rocprim17ROCPRIM_400000_NS6detail17trampoline_kernelINS0_14default_configENS1_22reduce_config_selectorIlEEZNS1_11reduce_implILb1ES3_N6thrust23THRUST_200600_302600_NS11hip_rocprim26transform_input_iterator_tIlNS8_12zip_iteratorINS8_5tupleINS8_6detail15normal_iteratorINS8_10device_ptrIsEEEESH_NS8_9null_typeESI_SI_SI_SI_SI_SI_SI_EEEENS9_21zip_adj_not_predicateI22is_equal_div_10_uniqueIsEEEEEPllNS8_4plusIlEEEE10hipError_tPvRmT1_T2_T3_mT4_P12ihipStream_tbEUlT_E1_NS1_11comp_targetILNS1_3genE4ELNS1_11target_archE910ELNS1_3gpuE8ELNS1_3repE0EEENS1_30default_config_static_selectorELNS0_4arch9wavefront6targetE1EEEvSW_.uses_flat_scratch, 0
	.set _ZN7rocprim17ROCPRIM_400000_NS6detail17trampoline_kernelINS0_14default_configENS1_22reduce_config_selectorIlEEZNS1_11reduce_implILb1ES3_N6thrust23THRUST_200600_302600_NS11hip_rocprim26transform_input_iterator_tIlNS8_12zip_iteratorINS8_5tupleINS8_6detail15normal_iteratorINS8_10device_ptrIsEEEESH_NS8_9null_typeESI_SI_SI_SI_SI_SI_SI_EEEENS9_21zip_adj_not_predicateI22is_equal_div_10_uniqueIsEEEEEPllNS8_4plusIlEEEE10hipError_tPvRmT1_T2_T3_mT4_P12ihipStream_tbEUlT_E1_NS1_11comp_targetILNS1_3genE4ELNS1_11target_archE910ELNS1_3gpuE8ELNS1_3repE0EEENS1_30default_config_static_selectorELNS0_4arch9wavefront6targetE1EEEvSW_.has_dyn_sized_stack, 0
	.set _ZN7rocprim17ROCPRIM_400000_NS6detail17trampoline_kernelINS0_14default_configENS1_22reduce_config_selectorIlEEZNS1_11reduce_implILb1ES3_N6thrust23THRUST_200600_302600_NS11hip_rocprim26transform_input_iterator_tIlNS8_12zip_iteratorINS8_5tupleINS8_6detail15normal_iteratorINS8_10device_ptrIsEEEESH_NS8_9null_typeESI_SI_SI_SI_SI_SI_SI_EEEENS9_21zip_adj_not_predicateI22is_equal_div_10_uniqueIsEEEEEPllNS8_4plusIlEEEE10hipError_tPvRmT1_T2_T3_mT4_P12ihipStream_tbEUlT_E1_NS1_11comp_targetILNS1_3genE4ELNS1_11target_archE910ELNS1_3gpuE8ELNS1_3repE0EEENS1_30default_config_static_selectorELNS0_4arch9wavefront6targetE1EEEvSW_.has_recursion, 0
	.set _ZN7rocprim17ROCPRIM_400000_NS6detail17trampoline_kernelINS0_14default_configENS1_22reduce_config_selectorIlEEZNS1_11reduce_implILb1ES3_N6thrust23THRUST_200600_302600_NS11hip_rocprim26transform_input_iterator_tIlNS8_12zip_iteratorINS8_5tupleINS8_6detail15normal_iteratorINS8_10device_ptrIsEEEESH_NS8_9null_typeESI_SI_SI_SI_SI_SI_SI_EEEENS9_21zip_adj_not_predicateI22is_equal_div_10_uniqueIsEEEEEPllNS8_4plusIlEEEE10hipError_tPvRmT1_T2_T3_mT4_P12ihipStream_tbEUlT_E1_NS1_11comp_targetILNS1_3genE4ELNS1_11target_archE910ELNS1_3gpuE8ELNS1_3repE0EEENS1_30default_config_static_selectorELNS0_4arch9wavefront6targetE1EEEvSW_.has_indirect_call, 0
	.section	.AMDGPU.csdata,"",@progbits
; Kernel info:
; codeLenInByte = 0
; TotalNumSgprs: 4
; NumVgprs: 0
; ScratchSize: 0
; MemoryBound: 0
; FloatMode: 240
; IeeeMode: 1
; LDSByteSize: 0 bytes/workgroup (compile time only)
; SGPRBlocks: 0
; VGPRBlocks: 0
; NumSGPRsForWavesPerEU: 4
; NumVGPRsForWavesPerEU: 1
; Occupancy: 10
; WaveLimiterHint : 0
; COMPUTE_PGM_RSRC2:SCRATCH_EN: 0
; COMPUTE_PGM_RSRC2:USER_SGPR: 6
; COMPUTE_PGM_RSRC2:TRAP_HANDLER: 0
; COMPUTE_PGM_RSRC2:TGID_X_EN: 1
; COMPUTE_PGM_RSRC2:TGID_Y_EN: 0
; COMPUTE_PGM_RSRC2:TGID_Z_EN: 0
; COMPUTE_PGM_RSRC2:TIDIG_COMP_CNT: 0
	.section	.text._ZN7rocprim17ROCPRIM_400000_NS6detail17trampoline_kernelINS0_14default_configENS1_22reduce_config_selectorIlEEZNS1_11reduce_implILb1ES3_N6thrust23THRUST_200600_302600_NS11hip_rocprim26transform_input_iterator_tIlNS8_12zip_iteratorINS8_5tupleINS8_6detail15normal_iteratorINS8_10device_ptrIsEEEESH_NS8_9null_typeESI_SI_SI_SI_SI_SI_SI_EEEENS9_21zip_adj_not_predicateI22is_equal_div_10_uniqueIsEEEEEPllNS8_4plusIlEEEE10hipError_tPvRmT1_T2_T3_mT4_P12ihipStream_tbEUlT_E1_NS1_11comp_targetILNS1_3genE3ELNS1_11target_archE908ELNS1_3gpuE7ELNS1_3repE0EEENS1_30default_config_static_selectorELNS0_4arch9wavefront6targetE1EEEvSW_,"axG",@progbits,_ZN7rocprim17ROCPRIM_400000_NS6detail17trampoline_kernelINS0_14default_configENS1_22reduce_config_selectorIlEEZNS1_11reduce_implILb1ES3_N6thrust23THRUST_200600_302600_NS11hip_rocprim26transform_input_iterator_tIlNS8_12zip_iteratorINS8_5tupleINS8_6detail15normal_iteratorINS8_10device_ptrIsEEEESH_NS8_9null_typeESI_SI_SI_SI_SI_SI_SI_EEEENS9_21zip_adj_not_predicateI22is_equal_div_10_uniqueIsEEEEEPllNS8_4plusIlEEEE10hipError_tPvRmT1_T2_T3_mT4_P12ihipStream_tbEUlT_E1_NS1_11comp_targetILNS1_3genE3ELNS1_11target_archE908ELNS1_3gpuE7ELNS1_3repE0EEENS1_30default_config_static_selectorELNS0_4arch9wavefront6targetE1EEEvSW_,comdat
	.protected	_ZN7rocprim17ROCPRIM_400000_NS6detail17trampoline_kernelINS0_14default_configENS1_22reduce_config_selectorIlEEZNS1_11reduce_implILb1ES3_N6thrust23THRUST_200600_302600_NS11hip_rocprim26transform_input_iterator_tIlNS8_12zip_iteratorINS8_5tupleINS8_6detail15normal_iteratorINS8_10device_ptrIsEEEESH_NS8_9null_typeESI_SI_SI_SI_SI_SI_SI_EEEENS9_21zip_adj_not_predicateI22is_equal_div_10_uniqueIsEEEEEPllNS8_4plusIlEEEE10hipError_tPvRmT1_T2_T3_mT4_P12ihipStream_tbEUlT_E1_NS1_11comp_targetILNS1_3genE3ELNS1_11target_archE908ELNS1_3gpuE7ELNS1_3repE0EEENS1_30default_config_static_selectorELNS0_4arch9wavefront6targetE1EEEvSW_ ; -- Begin function _ZN7rocprim17ROCPRIM_400000_NS6detail17trampoline_kernelINS0_14default_configENS1_22reduce_config_selectorIlEEZNS1_11reduce_implILb1ES3_N6thrust23THRUST_200600_302600_NS11hip_rocprim26transform_input_iterator_tIlNS8_12zip_iteratorINS8_5tupleINS8_6detail15normal_iteratorINS8_10device_ptrIsEEEESH_NS8_9null_typeESI_SI_SI_SI_SI_SI_SI_EEEENS9_21zip_adj_not_predicateI22is_equal_div_10_uniqueIsEEEEEPllNS8_4plusIlEEEE10hipError_tPvRmT1_T2_T3_mT4_P12ihipStream_tbEUlT_E1_NS1_11comp_targetILNS1_3genE3ELNS1_11target_archE908ELNS1_3gpuE7ELNS1_3repE0EEENS1_30default_config_static_selectorELNS0_4arch9wavefront6targetE1EEEvSW_
	.globl	_ZN7rocprim17ROCPRIM_400000_NS6detail17trampoline_kernelINS0_14default_configENS1_22reduce_config_selectorIlEEZNS1_11reduce_implILb1ES3_N6thrust23THRUST_200600_302600_NS11hip_rocprim26transform_input_iterator_tIlNS8_12zip_iteratorINS8_5tupleINS8_6detail15normal_iteratorINS8_10device_ptrIsEEEESH_NS8_9null_typeESI_SI_SI_SI_SI_SI_SI_EEEENS9_21zip_adj_not_predicateI22is_equal_div_10_uniqueIsEEEEEPllNS8_4plusIlEEEE10hipError_tPvRmT1_T2_T3_mT4_P12ihipStream_tbEUlT_E1_NS1_11comp_targetILNS1_3genE3ELNS1_11target_archE908ELNS1_3gpuE7ELNS1_3repE0EEENS1_30default_config_static_selectorELNS0_4arch9wavefront6targetE1EEEvSW_
	.p2align	8
	.type	_ZN7rocprim17ROCPRIM_400000_NS6detail17trampoline_kernelINS0_14default_configENS1_22reduce_config_selectorIlEEZNS1_11reduce_implILb1ES3_N6thrust23THRUST_200600_302600_NS11hip_rocprim26transform_input_iterator_tIlNS8_12zip_iteratorINS8_5tupleINS8_6detail15normal_iteratorINS8_10device_ptrIsEEEESH_NS8_9null_typeESI_SI_SI_SI_SI_SI_SI_EEEENS9_21zip_adj_not_predicateI22is_equal_div_10_uniqueIsEEEEEPllNS8_4plusIlEEEE10hipError_tPvRmT1_T2_T3_mT4_P12ihipStream_tbEUlT_E1_NS1_11comp_targetILNS1_3genE3ELNS1_11target_archE908ELNS1_3gpuE7ELNS1_3repE0EEENS1_30default_config_static_selectorELNS0_4arch9wavefront6targetE1EEEvSW_,@function
_ZN7rocprim17ROCPRIM_400000_NS6detail17trampoline_kernelINS0_14default_configENS1_22reduce_config_selectorIlEEZNS1_11reduce_implILb1ES3_N6thrust23THRUST_200600_302600_NS11hip_rocprim26transform_input_iterator_tIlNS8_12zip_iteratorINS8_5tupleINS8_6detail15normal_iteratorINS8_10device_ptrIsEEEESH_NS8_9null_typeESI_SI_SI_SI_SI_SI_SI_EEEENS9_21zip_adj_not_predicateI22is_equal_div_10_uniqueIsEEEEEPllNS8_4plusIlEEEE10hipError_tPvRmT1_T2_T3_mT4_P12ihipStream_tbEUlT_E1_NS1_11comp_targetILNS1_3genE3ELNS1_11target_archE908ELNS1_3gpuE7ELNS1_3repE0EEENS1_30default_config_static_selectorELNS0_4arch9wavefront6targetE1EEEvSW_: ; @_ZN7rocprim17ROCPRIM_400000_NS6detail17trampoline_kernelINS0_14default_configENS1_22reduce_config_selectorIlEEZNS1_11reduce_implILb1ES3_N6thrust23THRUST_200600_302600_NS11hip_rocprim26transform_input_iterator_tIlNS8_12zip_iteratorINS8_5tupleINS8_6detail15normal_iteratorINS8_10device_ptrIsEEEESH_NS8_9null_typeESI_SI_SI_SI_SI_SI_SI_EEEENS9_21zip_adj_not_predicateI22is_equal_div_10_uniqueIsEEEEEPllNS8_4plusIlEEEE10hipError_tPvRmT1_T2_T3_mT4_P12ihipStream_tbEUlT_E1_NS1_11comp_targetILNS1_3genE3ELNS1_11target_archE908ELNS1_3gpuE7ELNS1_3repE0EEENS1_30default_config_static_selectorELNS0_4arch9wavefront6targetE1EEEvSW_
; %bb.0:
	.section	.rodata,"a",@progbits
	.p2align	6, 0x0
	.amdhsa_kernel _ZN7rocprim17ROCPRIM_400000_NS6detail17trampoline_kernelINS0_14default_configENS1_22reduce_config_selectorIlEEZNS1_11reduce_implILb1ES3_N6thrust23THRUST_200600_302600_NS11hip_rocprim26transform_input_iterator_tIlNS8_12zip_iteratorINS8_5tupleINS8_6detail15normal_iteratorINS8_10device_ptrIsEEEESH_NS8_9null_typeESI_SI_SI_SI_SI_SI_SI_EEEENS9_21zip_adj_not_predicateI22is_equal_div_10_uniqueIsEEEEEPllNS8_4plusIlEEEE10hipError_tPvRmT1_T2_T3_mT4_P12ihipStream_tbEUlT_E1_NS1_11comp_targetILNS1_3genE3ELNS1_11target_archE908ELNS1_3gpuE7ELNS1_3repE0EEENS1_30default_config_static_selectorELNS0_4arch9wavefront6targetE1EEEvSW_
		.amdhsa_group_segment_fixed_size 0
		.amdhsa_private_segment_fixed_size 0
		.amdhsa_kernarg_size 64
		.amdhsa_user_sgpr_count 6
		.amdhsa_user_sgpr_private_segment_buffer 1
		.amdhsa_user_sgpr_dispatch_ptr 0
		.amdhsa_user_sgpr_queue_ptr 0
		.amdhsa_user_sgpr_kernarg_segment_ptr 1
		.amdhsa_user_sgpr_dispatch_id 0
		.amdhsa_user_sgpr_flat_scratch_init 0
		.amdhsa_user_sgpr_private_segment_size 0
		.amdhsa_uses_dynamic_stack 0
		.amdhsa_system_sgpr_private_segment_wavefront_offset 0
		.amdhsa_system_sgpr_workgroup_id_x 1
		.amdhsa_system_sgpr_workgroup_id_y 0
		.amdhsa_system_sgpr_workgroup_id_z 0
		.amdhsa_system_sgpr_workgroup_info 0
		.amdhsa_system_vgpr_workitem_id 0
		.amdhsa_next_free_vgpr 1
		.amdhsa_next_free_sgpr 0
		.amdhsa_reserve_vcc 0
		.amdhsa_reserve_flat_scratch 0
		.amdhsa_float_round_mode_32 0
		.amdhsa_float_round_mode_16_64 0
		.amdhsa_float_denorm_mode_32 3
		.amdhsa_float_denorm_mode_16_64 3
		.amdhsa_dx10_clamp 1
		.amdhsa_ieee_mode 1
		.amdhsa_fp16_overflow 0
		.amdhsa_exception_fp_ieee_invalid_op 0
		.amdhsa_exception_fp_denorm_src 0
		.amdhsa_exception_fp_ieee_div_zero 0
		.amdhsa_exception_fp_ieee_overflow 0
		.amdhsa_exception_fp_ieee_underflow 0
		.amdhsa_exception_fp_ieee_inexact 0
		.amdhsa_exception_int_div_zero 0
	.end_amdhsa_kernel
	.section	.text._ZN7rocprim17ROCPRIM_400000_NS6detail17trampoline_kernelINS0_14default_configENS1_22reduce_config_selectorIlEEZNS1_11reduce_implILb1ES3_N6thrust23THRUST_200600_302600_NS11hip_rocprim26transform_input_iterator_tIlNS8_12zip_iteratorINS8_5tupleINS8_6detail15normal_iteratorINS8_10device_ptrIsEEEESH_NS8_9null_typeESI_SI_SI_SI_SI_SI_SI_EEEENS9_21zip_adj_not_predicateI22is_equal_div_10_uniqueIsEEEEEPllNS8_4plusIlEEEE10hipError_tPvRmT1_T2_T3_mT4_P12ihipStream_tbEUlT_E1_NS1_11comp_targetILNS1_3genE3ELNS1_11target_archE908ELNS1_3gpuE7ELNS1_3repE0EEENS1_30default_config_static_selectorELNS0_4arch9wavefront6targetE1EEEvSW_,"axG",@progbits,_ZN7rocprim17ROCPRIM_400000_NS6detail17trampoline_kernelINS0_14default_configENS1_22reduce_config_selectorIlEEZNS1_11reduce_implILb1ES3_N6thrust23THRUST_200600_302600_NS11hip_rocprim26transform_input_iterator_tIlNS8_12zip_iteratorINS8_5tupleINS8_6detail15normal_iteratorINS8_10device_ptrIsEEEESH_NS8_9null_typeESI_SI_SI_SI_SI_SI_SI_EEEENS9_21zip_adj_not_predicateI22is_equal_div_10_uniqueIsEEEEEPllNS8_4plusIlEEEE10hipError_tPvRmT1_T2_T3_mT4_P12ihipStream_tbEUlT_E1_NS1_11comp_targetILNS1_3genE3ELNS1_11target_archE908ELNS1_3gpuE7ELNS1_3repE0EEENS1_30default_config_static_selectorELNS0_4arch9wavefront6targetE1EEEvSW_,comdat
.Lfunc_end1025:
	.size	_ZN7rocprim17ROCPRIM_400000_NS6detail17trampoline_kernelINS0_14default_configENS1_22reduce_config_selectorIlEEZNS1_11reduce_implILb1ES3_N6thrust23THRUST_200600_302600_NS11hip_rocprim26transform_input_iterator_tIlNS8_12zip_iteratorINS8_5tupleINS8_6detail15normal_iteratorINS8_10device_ptrIsEEEESH_NS8_9null_typeESI_SI_SI_SI_SI_SI_SI_EEEENS9_21zip_adj_not_predicateI22is_equal_div_10_uniqueIsEEEEEPllNS8_4plusIlEEEE10hipError_tPvRmT1_T2_T3_mT4_P12ihipStream_tbEUlT_E1_NS1_11comp_targetILNS1_3genE3ELNS1_11target_archE908ELNS1_3gpuE7ELNS1_3repE0EEENS1_30default_config_static_selectorELNS0_4arch9wavefront6targetE1EEEvSW_, .Lfunc_end1025-_ZN7rocprim17ROCPRIM_400000_NS6detail17trampoline_kernelINS0_14default_configENS1_22reduce_config_selectorIlEEZNS1_11reduce_implILb1ES3_N6thrust23THRUST_200600_302600_NS11hip_rocprim26transform_input_iterator_tIlNS8_12zip_iteratorINS8_5tupleINS8_6detail15normal_iteratorINS8_10device_ptrIsEEEESH_NS8_9null_typeESI_SI_SI_SI_SI_SI_SI_EEEENS9_21zip_adj_not_predicateI22is_equal_div_10_uniqueIsEEEEEPllNS8_4plusIlEEEE10hipError_tPvRmT1_T2_T3_mT4_P12ihipStream_tbEUlT_E1_NS1_11comp_targetILNS1_3genE3ELNS1_11target_archE908ELNS1_3gpuE7ELNS1_3repE0EEENS1_30default_config_static_selectorELNS0_4arch9wavefront6targetE1EEEvSW_
                                        ; -- End function
	.set _ZN7rocprim17ROCPRIM_400000_NS6detail17trampoline_kernelINS0_14default_configENS1_22reduce_config_selectorIlEEZNS1_11reduce_implILb1ES3_N6thrust23THRUST_200600_302600_NS11hip_rocprim26transform_input_iterator_tIlNS8_12zip_iteratorINS8_5tupleINS8_6detail15normal_iteratorINS8_10device_ptrIsEEEESH_NS8_9null_typeESI_SI_SI_SI_SI_SI_SI_EEEENS9_21zip_adj_not_predicateI22is_equal_div_10_uniqueIsEEEEEPllNS8_4plusIlEEEE10hipError_tPvRmT1_T2_T3_mT4_P12ihipStream_tbEUlT_E1_NS1_11comp_targetILNS1_3genE3ELNS1_11target_archE908ELNS1_3gpuE7ELNS1_3repE0EEENS1_30default_config_static_selectorELNS0_4arch9wavefront6targetE1EEEvSW_.num_vgpr, 0
	.set _ZN7rocprim17ROCPRIM_400000_NS6detail17trampoline_kernelINS0_14default_configENS1_22reduce_config_selectorIlEEZNS1_11reduce_implILb1ES3_N6thrust23THRUST_200600_302600_NS11hip_rocprim26transform_input_iterator_tIlNS8_12zip_iteratorINS8_5tupleINS8_6detail15normal_iteratorINS8_10device_ptrIsEEEESH_NS8_9null_typeESI_SI_SI_SI_SI_SI_SI_EEEENS9_21zip_adj_not_predicateI22is_equal_div_10_uniqueIsEEEEEPllNS8_4plusIlEEEE10hipError_tPvRmT1_T2_T3_mT4_P12ihipStream_tbEUlT_E1_NS1_11comp_targetILNS1_3genE3ELNS1_11target_archE908ELNS1_3gpuE7ELNS1_3repE0EEENS1_30default_config_static_selectorELNS0_4arch9wavefront6targetE1EEEvSW_.num_agpr, 0
	.set _ZN7rocprim17ROCPRIM_400000_NS6detail17trampoline_kernelINS0_14default_configENS1_22reduce_config_selectorIlEEZNS1_11reduce_implILb1ES3_N6thrust23THRUST_200600_302600_NS11hip_rocprim26transform_input_iterator_tIlNS8_12zip_iteratorINS8_5tupleINS8_6detail15normal_iteratorINS8_10device_ptrIsEEEESH_NS8_9null_typeESI_SI_SI_SI_SI_SI_SI_EEEENS9_21zip_adj_not_predicateI22is_equal_div_10_uniqueIsEEEEEPllNS8_4plusIlEEEE10hipError_tPvRmT1_T2_T3_mT4_P12ihipStream_tbEUlT_E1_NS1_11comp_targetILNS1_3genE3ELNS1_11target_archE908ELNS1_3gpuE7ELNS1_3repE0EEENS1_30default_config_static_selectorELNS0_4arch9wavefront6targetE1EEEvSW_.numbered_sgpr, 0
	.set _ZN7rocprim17ROCPRIM_400000_NS6detail17trampoline_kernelINS0_14default_configENS1_22reduce_config_selectorIlEEZNS1_11reduce_implILb1ES3_N6thrust23THRUST_200600_302600_NS11hip_rocprim26transform_input_iterator_tIlNS8_12zip_iteratorINS8_5tupleINS8_6detail15normal_iteratorINS8_10device_ptrIsEEEESH_NS8_9null_typeESI_SI_SI_SI_SI_SI_SI_EEEENS9_21zip_adj_not_predicateI22is_equal_div_10_uniqueIsEEEEEPllNS8_4plusIlEEEE10hipError_tPvRmT1_T2_T3_mT4_P12ihipStream_tbEUlT_E1_NS1_11comp_targetILNS1_3genE3ELNS1_11target_archE908ELNS1_3gpuE7ELNS1_3repE0EEENS1_30default_config_static_selectorELNS0_4arch9wavefront6targetE1EEEvSW_.num_named_barrier, 0
	.set _ZN7rocprim17ROCPRIM_400000_NS6detail17trampoline_kernelINS0_14default_configENS1_22reduce_config_selectorIlEEZNS1_11reduce_implILb1ES3_N6thrust23THRUST_200600_302600_NS11hip_rocprim26transform_input_iterator_tIlNS8_12zip_iteratorINS8_5tupleINS8_6detail15normal_iteratorINS8_10device_ptrIsEEEESH_NS8_9null_typeESI_SI_SI_SI_SI_SI_SI_EEEENS9_21zip_adj_not_predicateI22is_equal_div_10_uniqueIsEEEEEPllNS8_4plusIlEEEE10hipError_tPvRmT1_T2_T3_mT4_P12ihipStream_tbEUlT_E1_NS1_11comp_targetILNS1_3genE3ELNS1_11target_archE908ELNS1_3gpuE7ELNS1_3repE0EEENS1_30default_config_static_selectorELNS0_4arch9wavefront6targetE1EEEvSW_.private_seg_size, 0
	.set _ZN7rocprim17ROCPRIM_400000_NS6detail17trampoline_kernelINS0_14default_configENS1_22reduce_config_selectorIlEEZNS1_11reduce_implILb1ES3_N6thrust23THRUST_200600_302600_NS11hip_rocprim26transform_input_iterator_tIlNS8_12zip_iteratorINS8_5tupleINS8_6detail15normal_iteratorINS8_10device_ptrIsEEEESH_NS8_9null_typeESI_SI_SI_SI_SI_SI_SI_EEEENS9_21zip_adj_not_predicateI22is_equal_div_10_uniqueIsEEEEEPllNS8_4plusIlEEEE10hipError_tPvRmT1_T2_T3_mT4_P12ihipStream_tbEUlT_E1_NS1_11comp_targetILNS1_3genE3ELNS1_11target_archE908ELNS1_3gpuE7ELNS1_3repE0EEENS1_30default_config_static_selectorELNS0_4arch9wavefront6targetE1EEEvSW_.uses_vcc, 0
	.set _ZN7rocprim17ROCPRIM_400000_NS6detail17trampoline_kernelINS0_14default_configENS1_22reduce_config_selectorIlEEZNS1_11reduce_implILb1ES3_N6thrust23THRUST_200600_302600_NS11hip_rocprim26transform_input_iterator_tIlNS8_12zip_iteratorINS8_5tupleINS8_6detail15normal_iteratorINS8_10device_ptrIsEEEESH_NS8_9null_typeESI_SI_SI_SI_SI_SI_SI_EEEENS9_21zip_adj_not_predicateI22is_equal_div_10_uniqueIsEEEEEPllNS8_4plusIlEEEE10hipError_tPvRmT1_T2_T3_mT4_P12ihipStream_tbEUlT_E1_NS1_11comp_targetILNS1_3genE3ELNS1_11target_archE908ELNS1_3gpuE7ELNS1_3repE0EEENS1_30default_config_static_selectorELNS0_4arch9wavefront6targetE1EEEvSW_.uses_flat_scratch, 0
	.set _ZN7rocprim17ROCPRIM_400000_NS6detail17trampoline_kernelINS0_14default_configENS1_22reduce_config_selectorIlEEZNS1_11reduce_implILb1ES3_N6thrust23THRUST_200600_302600_NS11hip_rocprim26transform_input_iterator_tIlNS8_12zip_iteratorINS8_5tupleINS8_6detail15normal_iteratorINS8_10device_ptrIsEEEESH_NS8_9null_typeESI_SI_SI_SI_SI_SI_SI_EEEENS9_21zip_adj_not_predicateI22is_equal_div_10_uniqueIsEEEEEPllNS8_4plusIlEEEE10hipError_tPvRmT1_T2_T3_mT4_P12ihipStream_tbEUlT_E1_NS1_11comp_targetILNS1_3genE3ELNS1_11target_archE908ELNS1_3gpuE7ELNS1_3repE0EEENS1_30default_config_static_selectorELNS0_4arch9wavefront6targetE1EEEvSW_.has_dyn_sized_stack, 0
	.set _ZN7rocprim17ROCPRIM_400000_NS6detail17trampoline_kernelINS0_14default_configENS1_22reduce_config_selectorIlEEZNS1_11reduce_implILb1ES3_N6thrust23THRUST_200600_302600_NS11hip_rocprim26transform_input_iterator_tIlNS8_12zip_iteratorINS8_5tupleINS8_6detail15normal_iteratorINS8_10device_ptrIsEEEESH_NS8_9null_typeESI_SI_SI_SI_SI_SI_SI_EEEENS9_21zip_adj_not_predicateI22is_equal_div_10_uniqueIsEEEEEPllNS8_4plusIlEEEE10hipError_tPvRmT1_T2_T3_mT4_P12ihipStream_tbEUlT_E1_NS1_11comp_targetILNS1_3genE3ELNS1_11target_archE908ELNS1_3gpuE7ELNS1_3repE0EEENS1_30default_config_static_selectorELNS0_4arch9wavefront6targetE1EEEvSW_.has_recursion, 0
	.set _ZN7rocprim17ROCPRIM_400000_NS6detail17trampoline_kernelINS0_14default_configENS1_22reduce_config_selectorIlEEZNS1_11reduce_implILb1ES3_N6thrust23THRUST_200600_302600_NS11hip_rocprim26transform_input_iterator_tIlNS8_12zip_iteratorINS8_5tupleINS8_6detail15normal_iteratorINS8_10device_ptrIsEEEESH_NS8_9null_typeESI_SI_SI_SI_SI_SI_SI_EEEENS9_21zip_adj_not_predicateI22is_equal_div_10_uniqueIsEEEEEPllNS8_4plusIlEEEE10hipError_tPvRmT1_T2_T3_mT4_P12ihipStream_tbEUlT_E1_NS1_11comp_targetILNS1_3genE3ELNS1_11target_archE908ELNS1_3gpuE7ELNS1_3repE0EEENS1_30default_config_static_selectorELNS0_4arch9wavefront6targetE1EEEvSW_.has_indirect_call, 0
	.section	.AMDGPU.csdata,"",@progbits
; Kernel info:
; codeLenInByte = 0
; TotalNumSgprs: 4
; NumVgprs: 0
; ScratchSize: 0
; MemoryBound: 0
; FloatMode: 240
; IeeeMode: 1
; LDSByteSize: 0 bytes/workgroup (compile time only)
; SGPRBlocks: 0
; VGPRBlocks: 0
; NumSGPRsForWavesPerEU: 4
; NumVGPRsForWavesPerEU: 1
; Occupancy: 10
; WaveLimiterHint : 0
; COMPUTE_PGM_RSRC2:SCRATCH_EN: 0
; COMPUTE_PGM_RSRC2:USER_SGPR: 6
; COMPUTE_PGM_RSRC2:TRAP_HANDLER: 0
; COMPUTE_PGM_RSRC2:TGID_X_EN: 1
; COMPUTE_PGM_RSRC2:TGID_Y_EN: 0
; COMPUTE_PGM_RSRC2:TGID_Z_EN: 0
; COMPUTE_PGM_RSRC2:TIDIG_COMP_CNT: 0
	.section	.text._ZN7rocprim17ROCPRIM_400000_NS6detail17trampoline_kernelINS0_14default_configENS1_22reduce_config_selectorIlEEZNS1_11reduce_implILb1ES3_N6thrust23THRUST_200600_302600_NS11hip_rocprim26transform_input_iterator_tIlNS8_12zip_iteratorINS8_5tupleINS8_6detail15normal_iteratorINS8_10device_ptrIsEEEESH_NS8_9null_typeESI_SI_SI_SI_SI_SI_SI_EEEENS9_21zip_adj_not_predicateI22is_equal_div_10_uniqueIsEEEEEPllNS8_4plusIlEEEE10hipError_tPvRmT1_T2_T3_mT4_P12ihipStream_tbEUlT_E1_NS1_11comp_targetILNS1_3genE2ELNS1_11target_archE906ELNS1_3gpuE6ELNS1_3repE0EEENS1_30default_config_static_selectorELNS0_4arch9wavefront6targetE1EEEvSW_,"axG",@progbits,_ZN7rocprim17ROCPRIM_400000_NS6detail17trampoline_kernelINS0_14default_configENS1_22reduce_config_selectorIlEEZNS1_11reduce_implILb1ES3_N6thrust23THRUST_200600_302600_NS11hip_rocprim26transform_input_iterator_tIlNS8_12zip_iteratorINS8_5tupleINS8_6detail15normal_iteratorINS8_10device_ptrIsEEEESH_NS8_9null_typeESI_SI_SI_SI_SI_SI_SI_EEEENS9_21zip_adj_not_predicateI22is_equal_div_10_uniqueIsEEEEEPllNS8_4plusIlEEEE10hipError_tPvRmT1_T2_T3_mT4_P12ihipStream_tbEUlT_E1_NS1_11comp_targetILNS1_3genE2ELNS1_11target_archE906ELNS1_3gpuE6ELNS1_3repE0EEENS1_30default_config_static_selectorELNS0_4arch9wavefront6targetE1EEEvSW_,comdat
	.protected	_ZN7rocprim17ROCPRIM_400000_NS6detail17trampoline_kernelINS0_14default_configENS1_22reduce_config_selectorIlEEZNS1_11reduce_implILb1ES3_N6thrust23THRUST_200600_302600_NS11hip_rocprim26transform_input_iterator_tIlNS8_12zip_iteratorINS8_5tupleINS8_6detail15normal_iteratorINS8_10device_ptrIsEEEESH_NS8_9null_typeESI_SI_SI_SI_SI_SI_SI_EEEENS9_21zip_adj_not_predicateI22is_equal_div_10_uniqueIsEEEEEPllNS8_4plusIlEEEE10hipError_tPvRmT1_T2_T3_mT4_P12ihipStream_tbEUlT_E1_NS1_11comp_targetILNS1_3genE2ELNS1_11target_archE906ELNS1_3gpuE6ELNS1_3repE0EEENS1_30default_config_static_selectorELNS0_4arch9wavefront6targetE1EEEvSW_ ; -- Begin function _ZN7rocprim17ROCPRIM_400000_NS6detail17trampoline_kernelINS0_14default_configENS1_22reduce_config_selectorIlEEZNS1_11reduce_implILb1ES3_N6thrust23THRUST_200600_302600_NS11hip_rocprim26transform_input_iterator_tIlNS8_12zip_iteratorINS8_5tupleINS8_6detail15normal_iteratorINS8_10device_ptrIsEEEESH_NS8_9null_typeESI_SI_SI_SI_SI_SI_SI_EEEENS9_21zip_adj_not_predicateI22is_equal_div_10_uniqueIsEEEEEPllNS8_4plusIlEEEE10hipError_tPvRmT1_T2_T3_mT4_P12ihipStream_tbEUlT_E1_NS1_11comp_targetILNS1_3genE2ELNS1_11target_archE906ELNS1_3gpuE6ELNS1_3repE0EEENS1_30default_config_static_selectorELNS0_4arch9wavefront6targetE1EEEvSW_
	.globl	_ZN7rocprim17ROCPRIM_400000_NS6detail17trampoline_kernelINS0_14default_configENS1_22reduce_config_selectorIlEEZNS1_11reduce_implILb1ES3_N6thrust23THRUST_200600_302600_NS11hip_rocprim26transform_input_iterator_tIlNS8_12zip_iteratorINS8_5tupleINS8_6detail15normal_iteratorINS8_10device_ptrIsEEEESH_NS8_9null_typeESI_SI_SI_SI_SI_SI_SI_EEEENS9_21zip_adj_not_predicateI22is_equal_div_10_uniqueIsEEEEEPllNS8_4plusIlEEEE10hipError_tPvRmT1_T2_T3_mT4_P12ihipStream_tbEUlT_E1_NS1_11comp_targetILNS1_3genE2ELNS1_11target_archE906ELNS1_3gpuE6ELNS1_3repE0EEENS1_30default_config_static_selectorELNS0_4arch9wavefront6targetE1EEEvSW_
	.p2align	8
	.type	_ZN7rocprim17ROCPRIM_400000_NS6detail17trampoline_kernelINS0_14default_configENS1_22reduce_config_selectorIlEEZNS1_11reduce_implILb1ES3_N6thrust23THRUST_200600_302600_NS11hip_rocprim26transform_input_iterator_tIlNS8_12zip_iteratorINS8_5tupleINS8_6detail15normal_iteratorINS8_10device_ptrIsEEEESH_NS8_9null_typeESI_SI_SI_SI_SI_SI_SI_EEEENS9_21zip_adj_not_predicateI22is_equal_div_10_uniqueIsEEEEEPllNS8_4plusIlEEEE10hipError_tPvRmT1_T2_T3_mT4_P12ihipStream_tbEUlT_E1_NS1_11comp_targetILNS1_3genE2ELNS1_11target_archE906ELNS1_3gpuE6ELNS1_3repE0EEENS1_30default_config_static_selectorELNS0_4arch9wavefront6targetE1EEEvSW_,@function
_ZN7rocprim17ROCPRIM_400000_NS6detail17trampoline_kernelINS0_14default_configENS1_22reduce_config_selectorIlEEZNS1_11reduce_implILb1ES3_N6thrust23THRUST_200600_302600_NS11hip_rocprim26transform_input_iterator_tIlNS8_12zip_iteratorINS8_5tupleINS8_6detail15normal_iteratorINS8_10device_ptrIsEEEESH_NS8_9null_typeESI_SI_SI_SI_SI_SI_SI_EEEENS9_21zip_adj_not_predicateI22is_equal_div_10_uniqueIsEEEEEPllNS8_4plusIlEEEE10hipError_tPvRmT1_T2_T3_mT4_P12ihipStream_tbEUlT_E1_NS1_11comp_targetILNS1_3genE2ELNS1_11target_archE906ELNS1_3gpuE6ELNS1_3repE0EEENS1_30default_config_static_selectorELNS0_4arch9wavefront6targetE1EEEvSW_: ; @_ZN7rocprim17ROCPRIM_400000_NS6detail17trampoline_kernelINS0_14default_configENS1_22reduce_config_selectorIlEEZNS1_11reduce_implILb1ES3_N6thrust23THRUST_200600_302600_NS11hip_rocprim26transform_input_iterator_tIlNS8_12zip_iteratorINS8_5tupleINS8_6detail15normal_iteratorINS8_10device_ptrIsEEEESH_NS8_9null_typeESI_SI_SI_SI_SI_SI_SI_EEEENS9_21zip_adj_not_predicateI22is_equal_div_10_uniqueIsEEEEEPllNS8_4plusIlEEEE10hipError_tPvRmT1_T2_T3_mT4_P12ihipStream_tbEUlT_E1_NS1_11comp_targetILNS1_3genE2ELNS1_11target_archE906ELNS1_3gpuE6ELNS1_3repE0EEENS1_30default_config_static_selectorELNS0_4arch9wavefront6targetE1EEEvSW_
; %bb.0:
	s_load_dword s30, s[4:5], 0x4
	s_load_dwordx4 s[24:27], s[4:5], 0x8
	s_load_dwordx4 s[20:23], s[4:5], 0x20
	s_waitcnt lgkmcnt(0)
	s_cmp_lt_i32 s30, 4
	s_cbranch_scc1 .LBB1026_10
; %bb.1:
	s_cmp_gt_i32 s30, 7
	s_cbranch_scc0 .LBB1026_11
; %bb.2:
	s_cmp_gt_i32 s30, 15
	s_cbranch_scc0 .LBB1026_12
; %bb.3:
	s_mov_b64 s[2:3], 0
	s_cmp_eq_u32 s30, 16
	s_mov_b64 s[0:1], 0
                                        ; implicit-def: $vgpr1_vgpr2
                                        ; implicit-def: $vgpr3_vgpr4
	s_cbranch_scc0 .LBB1026_13
; %bb.4:
	s_mov_b32 s7, 0
	s_lshl_b32 s12, s6, 12
	s_mov_b32 s13, s7
	s_lshr_b64 s[0:1], s[20:21], 12
	s_lshl_b64 s[10:11], s[12:13], 1
	s_add_u32 s8, s24, s10
	s_addc_u32 s9, s25, s11
	s_add_u32 s10, s26, s10
	s_addc_u32 s11, s27, s11
	s_cmp_lg_u64 s[0:1], s[6:7]
	s_cbranch_scc0 .LBB1026_21
; %bb.5:
	v_lshlrev_b32_e32 v1, 1, v0
	global_load_sshort v5, v1, s[8:9]
	global_load_sshort v6, v1, s[10:11]
	global_load_sshort v7, v1, s[8:9] offset:512
	global_load_sshort v8, v1, s[10:11] offset:512
	;; [unrolled: 1-line block ×14, first 2 shown]
	v_mov_b32_e32 v2, s9
	v_add_co_u32_e32 v4, vcc, s8, v1
	v_addc_co_u32_e32 v2, vcc, 0, v2, vcc
	v_mov_b32_e32 v3, s11
	v_add_co_u32_e32 v20, vcc, s10, v1
	s_movk_i32 s0, 0x1000
	v_addc_co_u32_e32 v21, vcc, 0, v3, vcc
	v_add_co_u32_e32 v1, vcc, s0, v4
	v_addc_co_u32_e32 v2, vcc, 0, v2, vcc
	v_add_co_u32_e32 v3, vcc, s0, v20
	v_addc_co_u32_e32 v4, vcc, 0, v21, vcc
	global_load_sshort v20, v[1:2], off
	global_load_sshort v21, v[1:2], off offset:512
	global_load_sshort v24, v[1:2], off offset:1024
	global_load_sshort v25, v[1:2], off offset:1536
	global_load_sshort v26, v[3:4], off
	global_load_sshort v27, v[3:4], off offset:512
	global_load_sshort v28, v[3:4], off offset:1024
	global_load_sshort v29, v[3:4], off offset:1536
	v_mov_b32_e32 v16, 0
	s_waitcnt vmcnt(23)
	v_mul_i32_i24_e32 v5, 0x6667, v5
	s_waitcnt vmcnt(22)
	v_mul_i32_i24_e32 v6, 0x6667, v6
	;; [unrolled: 2-line block ×4, first 2 shown]
	v_lshrrev_b32_e32 v30, 31, v5
	v_ashrrev_i32_e32 v5, 18, v5
	v_lshrrev_b32_e32 v31, 31, v6
	v_ashrrev_i32_e32 v6, 18, v6
	s_waitcnt vmcnt(19)
	v_mul_i32_i24_e32 v9, 0x6667, v9
	s_waitcnt vmcnt(18)
	v_mul_i32_i24_e32 v10, 0x6667, v10
	v_add_u16_e32 v5, v5, v30
	v_lshrrev_b32_e32 v30, 31, v7
	v_ashrrev_i32_e32 v7, 18, v7
	v_add_u16_e32 v6, v6, v31
	v_lshrrev_b32_e32 v31, 31, v8
	v_ashrrev_i32_e32 v8, 18, v8
	s_waitcnt vmcnt(17)
	v_mul_i32_i24_e32 v11, 0x6667, v11
	s_waitcnt vmcnt(16)
	v_mul_i32_i24_e32 v12, 0x6667, v12
	v_add_u16_e32 v7, v7, v30
	v_lshrrev_b32_e32 v30, 31, v9
	v_ashrrev_i32_e32 v9, 18, v9
	v_add_u16_e32 v8, v8, v31
	v_lshrrev_b32_e32 v31, 31, v10
	v_ashrrev_i32_e32 v10, 18, v10
	;; [unrolled: 3-line block ×4, first 2 shown]
	s_waitcnt vmcnt(15)
	v_mul_i32_i24_e32 v13, 0x6667, v13
	s_waitcnt vmcnt(14)
	v_mul_i32_i24_e32 v14, 0x6667, v14
	v_add_u16_e32 v11, v11, v30
	v_add_u16_e32 v12, v12, v31
	v_lshrrev_b32_e32 v30, 31, v13
	v_ashrrev_i32_e32 v13, 18, v13
	v_lshrrev_b32_e32 v31, 31, v14
	v_cmp_ne_u16_e32 vcc, v11, v12
	v_ashrrev_i32_e32 v12, 18, v14
	v_add_u16_e32 v13, v13, v30
	v_add_u16_e32 v12, v12, v31
	global_load_sshort v14, v[1:2], off offset:2048
	global_load_sshort v30, v[1:2], off offset:2560
	v_cndmask_b32_e64 v11, 0, 1, vcc
	v_cmp_ne_u16_e32 vcc, v13, v12
	s_waitcnt vmcnt(15)
	v_mul_i32_i24_e32 v12, 0x6667, v15
	global_load_sshort v15, v[3:4], off offset:2048
	global_load_sshort v31, v[3:4], off offset:2560
	v_lshrrev_b32_e32 v13, 31, v12
	v_ashrrev_i32_e32 v12, 18, v12
	v_add_u16_e32 v12, v12, v13
	s_waitcnt vmcnt(16)
	v_mul_i32_i24_e32 v13, 0x6667, v17
	v_lshrrev_b32_e32 v17, 31, v13
	v_ashrrev_i32_e32 v13, 18, v13
	v_add_u16_e32 v13, v13, v17
	s_waitcnt vmcnt(14)
	v_mul_i32_i24_e32 v17, 0x6667, v19
	v_lshrrev_b32_e32 v19, 31, v17
	v_ashrrev_i32_e32 v17, 18, v17
	v_add_u16_e32 v17, v17, v19
	v_mul_i32_i24_e32 v18, 0x6667, v18
	v_cndmask_b32_e64 v19, 0, 1, vcc
	v_cmp_ne_u16_e32 vcc, v13, v17
	global_load_sshort v13, v[1:2], off offset:3072
	v_lshrrev_b32_e32 v17, 31, v18
	v_ashrrev_i32_e32 v18, 18, v18
	v_add_u16_e32 v17, v18, v17
	global_load_sshort v18, v[3:4], off offset:3072
	s_waitcnt vmcnt(15)
	v_mul_i32_i24_e32 v22, 0x6667, v22
	global_load_sshort v1, v[1:2], off offset:3584
	v_lshrrev_b32_e32 v2, 31, v22
	global_load_sshort v3, v[3:4], off offset:3584
	v_ashrrev_i32_e32 v22, 18, v22
	v_add_u16_e32 v2, v22, v2
	s_waitcnt vmcnt(16)
	v_mul_i32_i24_e32 v22, 0x6667, v23
	v_lshrrev_b32_e32 v4, 31, v22
	v_ashrrev_i32_e32 v22, 18, v22
	v_add_u16_e32 v4, v22, v4
	v_cmp_ne_u16_e64 s[0:1], v12, v17
	v_cndmask_b32_e64 v17, 0, 1, vcc
	v_cmp_ne_u16_e32 vcc, v2, v4
	s_waitcnt vmcnt(15)
	v_mul_i32_i24_e32 v4, 0x6667, v20
	v_lshrrev_b32_e32 v20, 31, v4
	v_ashrrev_i32_e32 v4, 18, v4
	v_add_u16_e32 v4, v4, v20
	s_waitcnt vmcnt(11)
	v_mul_i32_i24_e32 v20, 0x6667, v26
	v_lshrrev_b32_e32 v22, 31, v20
	v_ashrrev_i32_e32 v20, 18, v20
	v_add_u16_e32 v20, v20, v22
	v_cndmask_b32_e64 v2, 0, 1, vcc
	v_cmp_ne_u16_e32 vcc, v4, v20
	v_mul_i32_i24_e32 v20, 0x6667, v21
	v_lshrrev_b32_e32 v21, 31, v20
	v_ashrrev_i32_e32 v20, 18, v20
	v_add_u16_e32 v20, v20, v21
	s_waitcnt vmcnt(10)
	v_mul_i32_i24_e32 v21, 0x6667, v27
	v_lshrrev_b32_e32 v22, 31, v21
	v_ashrrev_i32_e32 v21, 18, v21
	v_add_u16_e32 v21, v21, v22
	v_cndmask_b32_e64 v4, 0, 1, vcc
	v_cmp_ne_u16_e32 vcc, v20, v21
	;; [unrolled: 11-line block ×4, first 2 shown]
	v_cndmask_b32_e64 v22, 0, 1, vcc
	s_waitcnt vmcnt(7)
	v_mul_i32_i24_e32 v14, 0x6667, v14
	v_lshrrev_b32_e32 v23, 31, v14
	v_ashrrev_i32_e32 v14, 18, v14
	v_add_u16_e32 v14, v14, v23
	v_cndmask_b32_e64 v12, 0, 1, s[0:1]
	s_waitcnt vmcnt(5)
	v_mul_i32_i24_e32 v15, 0x6667, v15
	v_lshrrev_b32_e32 v23, 31, v15
	v_ashrrev_i32_e32 v15, 18, v15
	v_add_u16_e32 v15, v15, v23
	v_cmp_ne_u16_e32 vcc, v14, v15
	v_mul_i32_i24_e32 v15, 0x6667, v30
	v_lshrrev_b32_e32 v23, 31, v15
	v_ashrrev_i32_e32 v15, 18, v15
	v_add_u16_e32 v15, v15, v23
	s_waitcnt vmcnt(4)
	v_mul_i32_i24_e32 v23, 0x6667, v31
	v_lshrrev_b32_e32 v24, 31, v23
	v_ashrrev_i32_e32 v23, 18, v23
	v_add_u16_e32 v23, v23, v24
	v_cndmask_b32_e64 v14, 0, 1, vcc
	v_cmp_ne_u16_e32 vcc, v15, v23
	v_cndmask_b32_e64 v15, 0, 1, vcc
	s_waitcnt vmcnt(3)
	v_mul_i32_i24_e32 v13, 0x6667, v13
	v_lshrrev_b32_e32 v23, 31, v13
	v_ashrrev_i32_e32 v13, 18, v13
	v_add_u16_e32 v13, v13, v23
	s_waitcnt vmcnt(2)
	v_mul_i32_i24_e32 v18, 0x6667, v18
	v_lshrrev_b32_e32 v23, 31, v18
	v_ashrrev_i32_e32 v18, 18, v18
	v_add_u16_e32 v18, v18, v23
	s_waitcnt vmcnt(1)
	v_mul_i32_i24_e32 v1, 0x6667, v1
	v_cmp_ne_u16_e32 vcc, v13, v18
	v_lshrrev_b32_e32 v18, 31, v1
	v_ashrrev_i32_e32 v1, 18, v1
	s_waitcnt vmcnt(0)
	v_mul_i32_i24_e32 v3, 0x6667, v3
	v_add_u16_e32 v1, v1, v18
	v_lshrrev_b32_e32 v18, 31, v3
	v_ashrrev_i32_e32 v3, 18, v3
	v_add_u16_e32 v3, v3, v18
	v_cndmask_b32_e64 v13, 0, 1, vcc
	v_cmp_ne_u16_e32 vcc, v1, v3
	v_cndmask_b32_e64 v1, 0, 1, vcc
	v_cmp_ne_u16_e32 vcc, v7, v8
	;; [unrolled: 2-line block ×4, first 2 shown]
	v_addc_co_u32_e32 v3, vcc, v3, v5, vcc
	v_add_co_u32_e32 v3, vcc, v3, v11
	v_addc_co_u32_e64 v5, s[0:1], 0, 0, vcc
	v_add_co_u32_e32 v3, vcc, v3, v19
	v_addc_co_u32_e32 v5, vcc, 0, v5, vcc
	v_add_co_u32_e32 v3, vcc, v3, v12
	v_addc_co_u32_e32 v5, vcc, 0, v5, vcc
	;; [unrolled: 2-line block ×12, first 2 shown]
	s_nop 0
	v_mov_b32_dpp v4, v1 quad_perm:[1,0,3,2] row_mask:0xf bank_mask:0xf bound_ctrl:1
	v_add_co_u32_e32 v1, vcc, v1, v4
	v_addc_co_u32_e32 v2, vcc, 0, v2, vcc
	v_mov_b32_dpp v5, v16 quad_perm:[1,0,3,2] row_mask:0xf bank_mask:0xf bound_ctrl:1
	v_add_co_u32_e32 v4, vcc, 0, v1
	v_addc_co_u32_e32 v2, vcc, v5, v2, vcc
	v_mov_b32_dpp v1, v1 quad_perm:[2,3,0,1] row_mask:0xf bank_mask:0xf bound_ctrl:1
	v_add_co_u32_e32 v1, vcc, v4, v1
	v_mov_b32_dpp v5, v2 quad_perm:[2,3,0,1] row_mask:0xf bank_mask:0xf bound_ctrl:1
	v_addc_co_u32_e32 v2, vcc, 0, v2, vcc
	v_add_co_u32_e32 v4, vcc, 0, v1
	v_addc_co_u32_e32 v2, vcc, v2, v5, vcc
	v_mov_b32_dpp v1, v1 row_ror:4 row_mask:0xf bank_mask:0xf bound_ctrl:1
	v_add_co_u32_e32 v1, vcc, v4, v1
	v_mov_b32_dpp v5, v2 row_ror:4 row_mask:0xf bank_mask:0xf bound_ctrl:1
	v_addc_co_u32_e32 v2, vcc, 0, v2, vcc
	v_add_co_u32_e32 v4, vcc, 0, v1
	v_addc_co_u32_e32 v2, vcc, v2, v5, vcc
	v_mov_b32_dpp v1, v1 row_ror:8 row_mask:0xf bank_mask:0xf bound_ctrl:1
	v_add_co_u32_e32 v1, vcc, v4, v1
	v_mov_b32_dpp v5, v2 row_ror:8 row_mask:0xf bank_mask:0xf bound_ctrl:1
	v_addc_co_u32_e32 v2, vcc, 0, v2, vcc
	v_add_co_u32_e32 v4, vcc, 0, v1
	v_addc_co_u32_e32 v2, vcc, v2, v5, vcc
	v_mov_b32_dpp v1, v1 row_bcast:15 row_mask:0xf bank_mask:0xf bound_ctrl:1
	v_add_co_u32_e32 v1, vcc, v4, v1
	v_mov_b32_dpp v5, v2 row_bcast:15 row_mask:0xf bank_mask:0xf bound_ctrl:1
	v_addc_co_u32_e32 v2, vcc, 0, v2, vcc
	v_add_co_u32_e32 v4, vcc, 0, v1
	v_addc_co_u32_e32 v2, vcc, v2, v5, vcc
	v_mov_b32_dpp v1, v1 row_bcast:31 row_mask:0xf bank_mask:0xf bound_ctrl:1
	v_mbcnt_lo_u32_b32 v3, -1, 0
	v_add_co_u32_e32 v1, vcc, v4, v1
	v_mbcnt_hi_u32_b32 v3, -1, v3
	v_addc_co_u32_e32 v4, vcc, 0, v2, vcc
	v_cmp_eq_u32_e32 vcc, 0, v3
	s_nop 0
	v_add_u32_dpp v2, v2, v4 row_bcast:31 row_mask:0xf bank_mask:0xf bound_ctrl:1
	v_lshlrev_b32_e32 v4, 2, v3
	v_or_b32_e32 v5, 0xfc, v4
	ds_bpermute_b32 v1, v5, v1
	ds_bpermute_b32 v2, v5, v2
	s_and_saveexec_b64 s[0:1], vcc
	s_cbranch_execz .LBB1026_7
; %bb.6:
	v_lshrrev_b32_e32 v5, 3, v0
	v_and_b32_e32 v5, 24, v5
	s_waitcnt lgkmcnt(0)
	ds_write_b64 v5, v[1:2]
.LBB1026_7:
	s_or_b64 exec, exec, s[0:1]
	v_cmp_gt_u32_e32 vcc, 64, v0
	s_waitcnt lgkmcnt(0)
	s_barrier
	s_and_saveexec_b64 s[0:1], vcc
	s_cbranch_execz .LBB1026_9
; %bb.8:
	v_and_b32_e32 v5, 3, v3
	v_lshlrev_b32_e32 v1, 3, v5
	ds_read_b64 v[1:2], v1
	v_cmp_ne_u32_e32 vcc, 3, v5
	v_addc_co_u32_e32 v3, vcc, 0, v3, vcc
	v_lshlrev_b32_e32 v3, 2, v3
	s_waitcnt lgkmcnt(0)
	ds_bpermute_b32 v5, v3, v1
	ds_bpermute_b32 v3, v3, v2
	v_or_b32_e32 v4, 8, v4
	s_waitcnt lgkmcnt(1)
	v_add_co_u32_e32 v1, vcc, v1, v5
	v_addc_co_u32_e32 v2, vcc, 0, v2, vcc
	ds_bpermute_b32 v5, v4, v1
	v_add_co_u32_e32 v1, vcc, 0, v1
	s_waitcnt lgkmcnt(1)
	v_addc_co_u32_e32 v2, vcc, v3, v2, vcc
	ds_bpermute_b32 v3, v4, v2
	s_waitcnt lgkmcnt(1)
	v_add_co_u32_e32 v1, vcc, v1, v5
	v_addc_co_u32_e32 v2, vcc, 0, v2, vcc
	v_add_co_u32_e32 v1, vcc, 0, v1
	s_waitcnt lgkmcnt(0)
	v_addc_co_u32_e32 v2, vcc, v2, v3, vcc
.LBB1026_9:
	s_or_b64 exec, exec, s[0:1]
	s_mov_b64 s[0:1], 0
	s_branch .LBB1026_22
.LBB1026_10:
	s_mov_b64 s[0:1], 0
                                        ; implicit-def: $vgpr1_vgpr2
                                        ; implicit-def: $vgpr3_vgpr4
	s_cbranch_execnz .LBB1026_145
	s_branch .LBB1026_206
.LBB1026_11:
	s_mov_b64 s[0:1], 0
                                        ; implicit-def: $vgpr1_vgpr2
                                        ; implicit-def: $vgpr3_vgpr4
	s_cbranch_execnz .LBB1026_110
	s_branch .LBB1026_144
.LBB1026_12:
	s_mov_b64 s[2:3], -1
	s_mov_b64 s[0:1], 0
                                        ; implicit-def: $vgpr1_vgpr2
                                        ; implicit-def: $vgpr3_vgpr4
.LBB1026_13:
	s_and_b64 vcc, exec, s[2:3]
	s_cbranch_vccz .LBB1026_109
.LBB1026_14:
	s_cmp_eq_u32 s30, 8
                                        ; implicit-def: $vgpr1_vgpr2
                                        ; implicit-def: $vgpr3_vgpr4
	s_cbranch_scc0 .LBB1026_109
; %bb.15:
	s_mov_b32 s7, 0
	s_lshl_b32 s0, s6, 11
	s_mov_b32 s1, s7
	s_lshr_b64 s[2:3], s[20:21], 11
	s_lshl_b64 s[8:9], s[0:1], 1
	s_add_u32 s16, s24, s8
	s_addc_u32 s17, s25, s9
	s_add_u32 s18, s26, s8
	s_addc_u32 s19, s27, s9
	s_cmp_lg_u64 s[2:3], s[6:7]
	s_cbranch_scc0 .LBB1026_73
; %bb.16:
	v_lshlrev_b32_e32 v1, 1, v0
	global_load_sshort v2, v1, s[16:17]
	global_load_sshort v3, v1, s[18:19]
	global_load_sshort v4, v1, s[16:17] offset:512
	global_load_sshort v5, v1, s[18:19] offset:512
	;; [unrolled: 1-line block ×13, first 2 shown]
	s_nop 0
	global_load_sshort v1, v1, s[18:19] offset:3584
	s_waitcnt vmcnt(15)
	v_mul_i32_i24_e32 v2, 0x6667, v2
	s_waitcnt vmcnt(14)
	v_mul_i32_i24_e32 v3, 0x6667, v3
	;; [unrolled: 2-line block ×4, first 2 shown]
	v_lshrrev_b32_e32 v19, 31, v4
	v_ashrrev_i32_e32 v4, 18, v4
	s_waitcnt vmcnt(9)
	v_mul_i32_i24_e32 v8, 0x6667, v8
	s_waitcnt vmcnt(8)
	v_mul_i32_i24_e32 v9, 0x6667, v9
	s_waitcnt vmcnt(7)
	v_mul_i32_i24_e32 v10, 0x6667, v10
	s_waitcnt vmcnt(6)
	v_mul_i32_i24_e32 v11, 0x6667, v11
	v_lshrrev_b32_e32 v23, 31, v8
	v_ashrrev_i32_e32 v8, 18, v8
	v_lshrrev_b32_e32 v24, 31, v9
	v_ashrrev_i32_e32 v9, 18, v9
	s_waitcnt vmcnt(5)
	v_mul_i32_i24_e32 v12, 0x6667, v12
	s_waitcnt vmcnt(4)
	v_mul_i32_i24_e32 v13, 0x6667, v13
	v_lshrrev_b32_e32 v25, 31, v10
	v_ashrrev_i32_e32 v10, 18, v10
	v_lshrrev_b32_e32 v26, 31, v11
	v_ashrrev_i32_e32 v11, 18, v11
	v_add_u16_e32 v8, v8, v23
	v_add_u16_e32 v9, v9, v24
	s_waitcnt vmcnt(3)
	v_mul_i32_i24_e32 v14, 0x6667, v14
	s_waitcnt vmcnt(2)
	v_mul_i32_i24_e32 v15, 0x6667, v15
	v_lshrrev_b32_e32 v27, 31, v12
	v_ashrrev_i32_e32 v12, 18, v12
	v_lshrrev_b32_e32 v28, 31, v13
	v_ashrrev_i32_e32 v13, 18, v13
	v_add_u16_e32 v10, v10, v25
	v_add_u16_e32 v11, v11, v26
	v_cmp_ne_u16_e32 vcc, v8, v9
	s_waitcnt vmcnt(1)
	v_mul_i32_i24_e32 v16, 0x6667, v16
	v_lshrrev_b32_e32 v29, 31, v14
	v_ashrrev_i32_e32 v14, 18, v14
	v_lshrrev_b32_e32 v30, 31, v15
	v_ashrrev_i32_e32 v15, 18, v15
	v_add_u16_e32 v12, v12, v27
	v_add_u16_e32 v13, v13, v28
	v_cndmask_b32_e64 v8, 0, 1, vcc
	v_cmp_ne_u16_e32 vcc, v10, v11
	s_waitcnt vmcnt(0)
	v_mul_i32_i24_e32 v1, 0x6667, v1
	v_lshrrev_b32_e32 v31, 31, v16
	v_ashrrev_i32_e32 v16, 18, v16
	v_add_u16_e32 v14, v14, v29
	v_add_u16_e32 v15, v15, v30
	v_cndmask_b32_e64 v9, 0, 1, vcc
	v_cmp_ne_u16_e32 vcc, v12, v13
	v_lshrrev_b32_e32 v12, 31, v1
	v_ashrrev_i32_e32 v1, 18, v1
	v_lshrrev_b32_e32 v20, 31, v5
	v_ashrrev_i32_e32 v5, 18, v5
	v_add_u16_e32 v16, v16, v31
	v_cndmask_b32_e64 v10, 0, 1, vcc
	v_cmp_ne_u16_e32 vcc, v14, v15
	v_add_u16_e32 v1, v1, v12
	v_mul_i32_i24_e32 v6, 0x6667, v6
	v_mul_i32_i24_e32 v7, 0x6667, v7
	v_lshrrev_b32_e32 v17, 31, v2
	v_ashrrev_i32_e32 v2, 18, v2
	v_lshrrev_b32_e32 v18, 31, v3
	v_ashrrev_i32_e32 v3, 18, v3
	v_add_u16_e32 v4, v4, v19
	v_add_u16_e32 v5, v5, v20
	v_cndmask_b32_e64 v11, 0, 1, vcc
	v_cmp_ne_u16_e32 vcc, v16, v1
	v_lshrrev_b32_e32 v21, 31, v6
	v_ashrrev_i32_e32 v6, 18, v6
	v_lshrrev_b32_e32 v22, 31, v7
	v_ashrrev_i32_e32 v7, 18, v7
	v_add_u16_e32 v2, v2, v17
	v_add_u16_e32 v3, v3, v18
	v_cndmask_b32_e64 v1, 0, 1, vcc
	v_cmp_ne_u16_e32 vcc, v4, v5
	v_add_u16_e32 v6, v6, v21
	v_add_u16_e32 v7, v7, v22
	v_cndmask_b32_e64 v4, 0, 1, vcc
	v_cmp_ne_u16_e32 vcc, v2, v3
	v_cndmask_b32_e64 v2, 0, 1, vcc
	v_cmp_ne_u16_e32 vcc, v6, v7
	v_addc_co_u32_e32 v2, vcc, v4, v2, vcc
	v_add_co_u32_e32 v2, vcc, v2, v8
	v_addc_co_u32_e64 v3, s[2:3], 0, 0, vcc
	v_add_co_u32_e32 v2, vcc, v2, v9
	v_addc_co_u32_e32 v3, vcc, 0, v3, vcc
	v_add_co_u32_e32 v2, vcc, v2, v10
	v_addc_co_u32_e32 v3, vcc, 0, v3, vcc
	;; [unrolled: 2-line block ×4, first 2 shown]
	s_nop 0
	v_mov_b32_dpp v5, v1 quad_perm:[1,0,3,2] row_mask:0xf bank_mask:0xf bound_ctrl:1
	v_add_co_u32_e32 v1, vcc, v1, v5
	v_mov_b32_e32 v4, 0
	v_addc_co_u32_e32 v2, vcc, 0, v2, vcc
	s_nop 0
	v_mov_b32_dpp v4, v4 quad_perm:[1,0,3,2] row_mask:0xf bank_mask:0xf bound_ctrl:1
	v_add_co_u32_e32 v5, vcc, 0, v1
	v_addc_co_u32_e32 v2, vcc, v4, v2, vcc
	v_mov_b32_dpp v1, v1 quad_perm:[2,3,0,1] row_mask:0xf bank_mask:0xf bound_ctrl:1
	v_add_co_u32_e32 v1, vcc, v5, v1
	v_mov_b32_dpp v4, v2 quad_perm:[2,3,0,1] row_mask:0xf bank_mask:0xf bound_ctrl:1
	v_addc_co_u32_e32 v2, vcc, 0, v2, vcc
	v_add_co_u32_e32 v5, vcc, 0, v1
	v_addc_co_u32_e32 v2, vcc, v2, v4, vcc
	v_mov_b32_dpp v1, v1 row_ror:4 row_mask:0xf bank_mask:0xf bound_ctrl:1
	v_add_co_u32_e32 v1, vcc, v5, v1
	v_mov_b32_dpp v4, v2 row_ror:4 row_mask:0xf bank_mask:0xf bound_ctrl:1
	v_addc_co_u32_e32 v2, vcc, 0, v2, vcc
	v_add_co_u32_e32 v5, vcc, 0, v1
	v_addc_co_u32_e32 v2, vcc, v2, v4, vcc
	v_mov_b32_dpp v1, v1 row_ror:8 row_mask:0xf bank_mask:0xf bound_ctrl:1
	v_add_co_u32_e32 v1, vcc, v5, v1
	v_mov_b32_dpp v4, v2 row_ror:8 row_mask:0xf bank_mask:0xf bound_ctrl:1
	v_addc_co_u32_e32 v2, vcc, 0, v2, vcc
	v_add_co_u32_e32 v5, vcc, 0, v1
	v_addc_co_u32_e32 v2, vcc, v2, v4, vcc
	v_mov_b32_dpp v1, v1 row_bcast:15 row_mask:0xf bank_mask:0xf bound_ctrl:1
	v_add_co_u32_e32 v1, vcc, v5, v1
	v_mov_b32_dpp v4, v2 row_bcast:15 row_mask:0xf bank_mask:0xf bound_ctrl:1
	v_addc_co_u32_e32 v2, vcc, 0, v2, vcc
	v_add_co_u32_e32 v5, vcc, 0, v1
	v_addc_co_u32_e32 v2, vcc, v2, v4, vcc
	v_mov_b32_dpp v1, v1 row_bcast:31 row_mask:0xf bank_mask:0xf bound_ctrl:1
	v_mbcnt_lo_u32_b32 v3, -1, 0
	v_add_co_u32_e32 v1, vcc, v5, v1
	v_mbcnt_hi_u32_b32 v3, -1, v3
	v_addc_co_u32_e32 v4, vcc, 0, v2, vcc
	v_cmp_eq_u32_e32 vcc, 0, v3
	s_nop 0
	v_add_u32_dpp v2, v2, v4 row_bcast:31 row_mask:0xf bank_mask:0xf bound_ctrl:1
	v_lshlrev_b32_e32 v4, 2, v3
	v_or_b32_e32 v5, 0xfc, v4
	ds_bpermute_b32 v1, v5, v1
	ds_bpermute_b32 v2, v5, v2
	s_and_saveexec_b64 s[2:3], vcc
	s_cbranch_execz .LBB1026_18
; %bb.17:
	v_lshrrev_b32_e32 v5, 3, v0
	v_and_b32_e32 v5, 24, v5
	s_waitcnt lgkmcnt(0)
	ds_write_b64 v5, v[1:2] offset:128
.LBB1026_18:
	s_or_b64 exec, exec, s[2:3]
	v_cmp_gt_u32_e32 vcc, 64, v0
	s_waitcnt lgkmcnt(0)
	s_barrier
	s_and_saveexec_b64 s[2:3], vcc
	s_cbranch_execz .LBB1026_20
; %bb.19:
	v_and_b32_e32 v5, 3, v3
	v_lshlrev_b32_e32 v1, 3, v5
	ds_read_b64 v[1:2], v1 offset:128
	v_cmp_ne_u32_e32 vcc, 3, v5
	v_addc_co_u32_e32 v3, vcc, 0, v3, vcc
	v_lshlrev_b32_e32 v3, 2, v3
	s_waitcnt lgkmcnt(0)
	ds_bpermute_b32 v5, v3, v1
	ds_bpermute_b32 v3, v3, v2
	v_or_b32_e32 v4, 8, v4
	s_waitcnt lgkmcnt(1)
	v_add_co_u32_e32 v1, vcc, v1, v5
	v_addc_co_u32_e32 v2, vcc, 0, v2, vcc
	ds_bpermute_b32 v5, v4, v1
	v_add_co_u32_e32 v1, vcc, 0, v1
	s_waitcnt lgkmcnt(1)
	v_addc_co_u32_e32 v2, vcc, v3, v2, vcc
	ds_bpermute_b32 v3, v4, v2
	s_waitcnt lgkmcnt(1)
	v_add_co_u32_e32 v1, vcc, v1, v5
	v_addc_co_u32_e32 v2, vcc, 0, v2, vcc
	v_add_co_u32_e32 v1, vcc, 0, v1
	s_waitcnt lgkmcnt(0)
	v_addc_co_u32_e32 v2, vcc, v2, v3, vcc
.LBB1026_20:
	s_or_b64 exec, exec, s[2:3]
	s_mov_b64 s[2:3], 0
	s_branch .LBB1026_74
.LBB1026_21:
	s_mov_b64 s[0:1], -1
                                        ; implicit-def: $vgpr1_vgpr2
.LBB1026_22:
	s_and_b64 vcc, exec, s[0:1]
	s_cbranch_vccz .LBB1026_72
; %bb.23:
	s_sub_i32 s12, s20, s12
	v_cmp_gt_u32_e32 vcc, s12, v0
                                        ; implicit-def: $vgpr1_vgpr2
	s_and_saveexec_b64 s[0:1], vcc
	s_cbranch_execz .LBB1026_25
; %bb.24:
	v_lshlrev_b32_e32 v1, 1, v0
	global_load_sshort v2, v1, s[8:9]
	global_load_sshort v3, v1, s[10:11]
	s_mov_b32 s13, 0
	s_waitcnt vmcnt(1)
	v_mul_i32_i24_e32 v1, 0x6667, v2
	s_waitcnt vmcnt(0)
	v_mul_i32_i24_e32 v2, 0x6667, v3
	v_lshrrev_b32_e32 v3, 31, v1
	v_ashrrev_i32_e32 v1, 18, v1
	v_lshrrev_b32_e32 v4, 31, v2
	v_ashrrev_i32_e32 v2, 18, v2
	v_add_u16_e32 v1, v1, v3
	v_add_u16_e32 v2, v2, v4
	v_cmp_ne_u16_e32 vcc, v1, v2
	v_cndmask_b32_e64 v1, 0, 1, vcc
	v_mov_b32_e32 v2, s13
.LBB1026_25:
	s_or_b64 exec, exec, s[0:1]
	v_or_b32_e32 v7, 0x100, v0
	v_mov_b32_e32 v3, 0
	v_mov_b32_e32 v5, 0
	v_mov_b32_e32 v4, 0
	v_mov_b32_e32 v6, 0
	v_cmp_gt_u32_e32 vcc, s12, v7
	s_and_saveexec_b64 s[0:1], vcc
	s_cbranch_execz .LBB1026_27
; %bb.26:
	v_lshlrev_b32_e32 v5, 1, v0
	global_load_sshort v6, v5, s[8:9] offset:512
	global_load_sshort v7, v5, s[10:11] offset:512
	s_mov_b32 s13, 0
	s_waitcnt vmcnt(1)
	v_mul_i32_i24_e32 v5, 0x6667, v6
	s_waitcnt vmcnt(0)
	v_mul_i32_i24_e32 v6, 0x6667, v7
	v_lshrrev_b32_e32 v7, 31, v5
	v_ashrrev_i32_e32 v5, 18, v5
	v_lshrrev_b32_e32 v8, 31, v6
	v_ashrrev_i32_e32 v6, 18, v6
	v_add_u16_e32 v5, v5, v7
	v_add_u16_e32 v6, v6, v8
	v_cmp_ne_u16_e32 vcc, v5, v6
	v_cndmask_b32_e64 v5, 0, 1, vcc
	v_mov_b32_e32 v6, s13
.LBB1026_27:
	s_or_b64 exec, exec, s[0:1]
	v_or_b32_e32 v7, 0x200, v0
	v_cmp_gt_u32_e32 vcc, s12, v7
	s_and_saveexec_b64 s[0:1], vcc
	s_cbranch_execz .LBB1026_29
; %bb.28:
	v_lshlrev_b32_e32 v3, 1, v0
	global_load_sshort v4, v3, s[8:9] offset:1024
	global_load_sshort v7, v3, s[10:11] offset:1024
	s_mov_b32 s13, 0
	s_waitcnt vmcnt(1)
	v_mul_i32_i24_e32 v3, 0x6667, v4
	s_waitcnt vmcnt(0)
	v_mul_i32_i24_e32 v4, 0x6667, v7
	v_lshrrev_b32_e32 v7, 31, v3
	v_ashrrev_i32_e32 v3, 18, v3
	v_lshrrev_b32_e32 v8, 31, v4
	v_ashrrev_i32_e32 v4, 18, v4
	v_add_u16_e32 v3, v3, v7
	v_add_u16_e32 v4, v4, v8
	v_cmp_ne_u16_e32 vcc, v3, v4
	v_cndmask_b32_e64 v3, 0, 1, vcc
	v_mov_b32_e32 v4, s13
.LBB1026_29:
	s_or_b64 exec, exec, s[0:1]
	v_or_b32_e32 v11, 0x300, v0
	v_mov_b32_e32 v7, 0
	v_mov_b32_e32 v9, 0
	v_mov_b32_e32 v8, 0
	v_mov_b32_e32 v10, 0
	v_cmp_gt_u32_e32 vcc, s12, v11
	s_and_saveexec_b64 s[0:1], vcc
	s_cbranch_execz .LBB1026_31
; %bb.30:
	v_lshlrev_b32_e32 v9, 1, v0
	global_load_sshort v10, v9, s[8:9] offset:1536
	global_load_sshort v11, v9, s[10:11] offset:1536
	s_mov_b32 s13, 0
	s_waitcnt vmcnt(1)
	v_mul_i32_i24_e32 v9, 0x6667, v10
	s_waitcnt vmcnt(0)
	v_mul_i32_i24_e32 v10, 0x6667, v11
	v_lshrrev_b32_e32 v11, 31, v9
	v_ashrrev_i32_e32 v9, 18, v9
	v_lshrrev_b32_e32 v12, 31, v10
	v_ashrrev_i32_e32 v10, 18, v10
	v_add_u16_e32 v9, v9, v11
	v_add_u16_e32 v10, v10, v12
	v_cmp_ne_u16_e32 vcc, v9, v10
	v_cndmask_b32_e64 v9, 0, 1, vcc
	v_mov_b32_e32 v10, s13
.LBB1026_31:
	s_or_b64 exec, exec, s[0:1]
	v_or_b32_e32 v11, 0x400, v0
	v_cmp_gt_u32_e32 vcc, s12, v11
	s_and_saveexec_b64 s[0:1], vcc
	s_cbranch_execz .LBB1026_33
; %bb.32:
	v_lshlrev_b32_e32 v7, 1, v0
	global_load_sshort v8, v7, s[8:9] offset:2048
	global_load_sshort v11, v7, s[10:11] offset:2048
	s_mov_b32 s13, 0
	s_waitcnt vmcnt(1)
	v_mul_i32_i24_e32 v7, 0x6667, v8
	s_waitcnt vmcnt(0)
	v_mul_i32_i24_e32 v8, 0x6667, v11
	v_lshrrev_b32_e32 v11, 31, v7
	v_ashrrev_i32_e32 v7, 18, v7
	v_lshrrev_b32_e32 v12, 31, v8
	v_ashrrev_i32_e32 v8, 18, v8
	v_add_u16_e32 v7, v7, v11
	v_add_u16_e32 v8, v8, v12
	v_cmp_ne_u16_e32 vcc, v7, v8
	v_cndmask_b32_e64 v7, 0, 1, vcc
	v_mov_b32_e32 v8, s13
.LBB1026_33:
	;; [unrolled: 52-line block ×3, first 2 shown]
	s_or_b64 exec, exec, s[0:1]
	v_or_b32_e32 v19, 0x700, v0
	v_mov_b32_e32 v15, 0
	v_mov_b32_e32 v17, 0
	;; [unrolled: 1-line block ×4, first 2 shown]
	v_cmp_gt_u32_e32 vcc, s12, v19
	s_and_saveexec_b64 s[0:1], vcc
	s_cbranch_execz .LBB1026_39
; %bb.38:
	v_lshlrev_b32_e32 v17, 1, v0
	global_load_sshort v18, v17, s[8:9] offset:3584
	global_load_sshort v19, v17, s[10:11] offset:3584
	s_mov_b32 s13, 0
	s_waitcnt vmcnt(1)
	v_mul_i32_i24_e32 v17, 0x6667, v18
	s_waitcnt vmcnt(0)
	v_mul_i32_i24_e32 v18, 0x6667, v19
	v_lshrrev_b32_e32 v19, 31, v17
	v_ashrrev_i32_e32 v17, 18, v17
	v_lshrrev_b32_e32 v20, 31, v18
	v_ashrrev_i32_e32 v18, 18, v18
	v_add_u16_e32 v17, v17, v19
	v_add_u16_e32 v18, v18, v20
	v_cmp_ne_u16_e32 vcc, v17, v18
	v_cndmask_b32_e64 v17, 0, 1, vcc
	v_mov_b32_e32 v18, s13
.LBB1026_39:
	s_or_b64 exec, exec, s[0:1]
	v_or_b32_e32 v19, 0x800, v0
	v_cmp_gt_u32_e32 vcc, s12, v19
	s_and_saveexec_b64 s[0:1], vcc
	s_cbranch_execz .LBB1026_41
; %bb.40:
	v_lshlrev_b32_e32 v15, 1, v19
	global_load_sshort v16, v15, s[8:9]
	global_load_sshort v19, v15, s[10:11]
	s_mov_b32 s13, 0
	s_waitcnt vmcnt(1)
	v_mul_i32_i24_e32 v15, 0x6667, v16
	s_waitcnt vmcnt(0)
	v_mul_i32_i24_e32 v16, 0x6667, v19
	v_lshrrev_b32_e32 v19, 31, v15
	v_ashrrev_i32_e32 v15, 18, v15
	v_lshrrev_b32_e32 v20, 31, v16
	v_ashrrev_i32_e32 v16, 18, v16
	v_add_u16_e32 v15, v15, v19
	v_add_u16_e32 v16, v16, v20
	v_cmp_ne_u16_e32 vcc, v15, v16
	v_cndmask_b32_e64 v15, 0, 1, vcc
	v_mov_b32_e32 v16, s13
.LBB1026_41:
	s_or_b64 exec, exec, s[0:1]
	v_or_b32_e32 v23, 0x900, v0
	v_mov_b32_e32 v19, 0
	v_mov_b32_e32 v21, 0
	v_mov_b32_e32 v20, 0
	v_mov_b32_e32 v22, 0
	v_cmp_gt_u32_e32 vcc, s12, v23
	s_and_saveexec_b64 s[0:1], vcc
	s_cbranch_execz .LBB1026_43
; %bb.42:
	v_lshlrev_b32_e32 v21, 1, v23
	global_load_sshort v22, v21, s[8:9]
	global_load_sshort v23, v21, s[10:11]
	s_mov_b32 s13, 0
	s_waitcnt vmcnt(1)
	v_mul_i32_i24_e32 v21, 0x6667, v22
	s_waitcnt vmcnt(0)
	v_mul_i32_i24_e32 v22, 0x6667, v23
	v_lshrrev_b32_e32 v23, 31, v21
	v_ashrrev_i32_e32 v21, 18, v21
	v_lshrrev_b32_e32 v24, 31, v22
	v_ashrrev_i32_e32 v22, 18, v22
	v_add_u16_e32 v21, v21, v23
	v_add_u16_e32 v22, v22, v24
	v_cmp_ne_u16_e32 vcc, v21, v22
	v_cndmask_b32_e64 v21, 0, 1, vcc
	v_mov_b32_e32 v22, s13
.LBB1026_43:
	s_or_b64 exec, exec, s[0:1]
	v_or_b32_e32 v23, 0xa00, v0
	v_cmp_gt_u32_e32 vcc, s12, v23
	s_and_saveexec_b64 s[0:1], vcc
	s_cbranch_execz .LBB1026_45
; %bb.44:
	v_lshlrev_b32_e32 v19, 1, v23
	global_load_sshort v20, v19, s[8:9]
	global_load_sshort v23, v19, s[10:11]
	s_mov_b32 s13, 0
	s_waitcnt vmcnt(1)
	v_mul_i32_i24_e32 v19, 0x6667, v20
	s_waitcnt vmcnt(0)
	v_mul_i32_i24_e32 v20, 0x6667, v23
	v_lshrrev_b32_e32 v23, 31, v19
	v_ashrrev_i32_e32 v19, 18, v19
	v_lshrrev_b32_e32 v24, 31, v20
	v_ashrrev_i32_e32 v20, 18, v20
	v_add_u16_e32 v19, v19, v23
	v_add_u16_e32 v20, v20, v24
	v_cmp_ne_u16_e32 vcc, v19, v20
	v_cndmask_b32_e64 v19, 0, 1, vcc
	v_mov_b32_e32 v20, s13
.LBB1026_45:
	s_or_b64 exec, exec, s[0:1]
	v_or_b32_e32 v27, 0xb00, v0
	v_mov_b32_e32 v23, 0
	v_mov_b32_e32 v25, 0
	v_mov_b32_e32 v24, 0
	v_mov_b32_e32 v26, 0
	v_cmp_gt_u32_e32 vcc, s12, v27
	s_and_saveexec_b64 s[0:1], vcc
	s_cbranch_execz .LBB1026_47
; %bb.46:
	v_lshlrev_b32_e32 v25, 1, v27
	global_load_sshort v26, v25, s[8:9]
	global_load_sshort v27, v25, s[10:11]
	s_mov_b32 s13, 0
	s_waitcnt vmcnt(1)
	v_mul_i32_i24_e32 v25, 0x6667, v26
	s_waitcnt vmcnt(0)
	v_mul_i32_i24_e32 v26, 0x6667, v27
	v_lshrrev_b32_e32 v27, 31, v25
	v_ashrrev_i32_e32 v25, 18, v25
	v_lshrrev_b32_e32 v28, 31, v26
	v_ashrrev_i32_e32 v26, 18, v26
	v_add_u16_e32 v25, v25, v27
	v_add_u16_e32 v26, v26, v28
	v_cmp_ne_u16_e32 vcc, v25, v26
	v_cndmask_b32_e64 v25, 0, 1, vcc
	v_mov_b32_e32 v26, s13
.LBB1026_47:
	s_or_b64 exec, exec, s[0:1]
	v_or_b32_e32 v27, 0xc00, v0
	v_cmp_gt_u32_e32 vcc, s12, v27
	s_and_saveexec_b64 s[0:1], vcc
	s_cbranch_execz .LBB1026_49
; %bb.48:
	v_lshlrev_b32_e32 v23, 1, v27
	global_load_sshort v24, v23, s[8:9]
	global_load_sshort v27, v23, s[10:11]
	s_mov_b32 s13, 0
	s_waitcnt vmcnt(1)
	v_mul_i32_i24_e32 v23, 0x6667, v24
	s_waitcnt vmcnt(0)
	v_mul_i32_i24_e32 v24, 0x6667, v27
	v_lshrrev_b32_e32 v27, 31, v23
	v_ashrrev_i32_e32 v23, 18, v23
	v_lshrrev_b32_e32 v28, 31, v24
	v_ashrrev_i32_e32 v24, 18, v24
	v_add_u16_e32 v23, v23, v27
	v_add_u16_e32 v24, v24, v28
	v_cmp_ne_u16_e32 vcc, v23, v24
	v_cndmask_b32_e64 v23, 0, 1, vcc
	v_mov_b32_e32 v24, s13
.LBB1026_49:
	s_or_b64 exec, exec, s[0:1]
	v_or_b32_e32 v31, 0xd00, v0
	v_mov_b32_e32 v27, 0
	v_mov_b32_e32 v29, 0
	v_mov_b32_e32 v28, 0
	v_mov_b32_e32 v30, 0
	v_cmp_gt_u32_e32 vcc, s12, v31
	s_and_saveexec_b64 s[0:1], vcc
	s_cbranch_execz .LBB1026_51
; %bb.50:
	v_lshlrev_b32_e32 v29, 1, v31
	global_load_sshort v30, v29, s[8:9]
	global_load_sshort v31, v29, s[10:11]
	s_mov_b32 s13, 0
	s_waitcnt vmcnt(1)
	v_mul_i32_i24_e32 v29, 0x6667, v30
	s_waitcnt vmcnt(0)
	v_mul_i32_i24_e32 v30, 0x6667, v31
	v_lshrrev_b32_e32 v31, 31, v29
	v_ashrrev_i32_e32 v29, 18, v29
	v_lshrrev_b32_e32 v32, 31, v30
	v_ashrrev_i32_e32 v30, 18, v30
	v_add_u16_e32 v29, v29, v31
	v_add_u16_e32 v30, v30, v32
	v_cmp_ne_u16_e32 vcc, v29, v30
	v_cndmask_b32_e64 v29, 0, 1, vcc
	v_mov_b32_e32 v30, s13
.LBB1026_51:
	s_or_b64 exec, exec, s[0:1]
	v_or_b32_e32 v31, 0xe00, v0
	v_cmp_gt_u32_e32 vcc, s12, v31
	s_and_saveexec_b64 s[0:1], vcc
	s_cbranch_execz .LBB1026_53
; %bb.52:
	v_lshlrev_b32_e32 v27, 1, v31
	global_load_sshort v28, v27, s[8:9]
	global_load_sshort v31, v27, s[10:11]
	s_mov_b32 s13, 0
	s_waitcnt vmcnt(1)
	v_mul_i32_i24_e32 v27, 0x6667, v28
	s_waitcnt vmcnt(0)
	v_mul_i32_i24_e32 v28, 0x6667, v31
	v_lshrrev_b32_e32 v31, 31, v27
	v_ashrrev_i32_e32 v27, 18, v27
	v_lshrrev_b32_e32 v32, 31, v28
	v_ashrrev_i32_e32 v28, 18, v28
	v_add_u16_e32 v27, v27, v31
	v_add_u16_e32 v28, v28, v32
	v_cmp_ne_u16_e32 vcc, v27, v28
	v_cndmask_b32_e64 v27, 0, 1, vcc
	v_mov_b32_e32 v28, s13
.LBB1026_53:
	s_or_b64 exec, exec, s[0:1]
	v_or_b32_e32 v33, 0xf00, v0
	v_mov_b32_e32 v31, 0
	v_mov_b32_e32 v32, 0
	v_cmp_gt_u32_e32 vcc, s12, v33
	s_and_saveexec_b64 s[0:1], vcc
	s_cbranch_execz .LBB1026_55
; %bb.54:
	v_lshlrev_b32_e32 v31, 1, v33
	global_load_sshort v32, v31, s[8:9]
	global_load_sshort v33, v31, s[10:11]
	s_mov_b32 s8, 0
	s_waitcnt vmcnt(1)
	v_mul_i32_i24_e32 v31, 0x6667, v32
	s_waitcnt vmcnt(0)
	v_mul_i32_i24_e32 v32, 0x6667, v33
	v_lshrrev_b32_e32 v33, 31, v31
	v_ashrrev_i32_e32 v31, 18, v31
	v_lshrrev_b32_e32 v34, 31, v32
	v_ashrrev_i32_e32 v32, 18, v32
	v_add_u16_e32 v31, v31, v33
	v_add_u16_e32 v32, v32, v34
	v_cmp_ne_u16_e32 vcc, v31, v32
	v_cndmask_b32_e64 v31, 0, 1, vcc
	v_mov_b32_e32 v32, s8
.LBB1026_55:
	s_or_b64 exec, exec, s[0:1]
	v_add_co_u32_e32 v1, vcc, v5, v1
	v_addc_co_u32_e32 v2, vcc, v6, v2, vcc
	v_add_co_u32_e32 v1, vcc, v1, v3
	v_addc_co_u32_e32 v2, vcc, v2, v4, vcc
	;; [unrolled: 2-line block ×14, first 2 shown]
	v_mbcnt_lo_u32_b32 v3, -1, 0
	v_add_co_u32_e32 v1, vcc, v1, v31
	v_mbcnt_hi_u32_b32 v3, -1, v3
	v_addc_co_u32_e32 v2, vcc, v2, v32, vcc
	v_and_b32_e32 v4, 63, v3
	v_cmp_ne_u32_e32 vcc, 63, v4
	v_addc_co_u32_e32 v6, vcc, 0, v3, vcc
	v_lshlrev_b32_e32 v6, 2, v6
	ds_bpermute_b32 v8, v6, v1
	ds_bpermute_b32 v7, v6, v2
	s_min_u32 s8, s12, 0x100
	v_and_b32_e32 v5, 0xc0, v0
	v_sub_u32_e64 v5, s8, v5 clamp
	v_add_u32_e32 v6, 1, v4
	v_cmp_lt_u32_e32 vcc, v6, v5
	v_mov_b32_e32 v6, v1
	s_and_saveexec_b64 s[0:1], vcc
	s_cbranch_execz .LBB1026_57
; %bb.56:
	s_waitcnt lgkmcnt(1)
	v_add_co_u32_e32 v6, vcc, v1, v8
	v_addc_co_u32_e32 v2, vcc, 0, v2, vcc
	v_add_co_u32_e32 v1, vcc, 0, v6
	s_waitcnt lgkmcnt(0)
	v_addc_co_u32_e32 v2, vcc, v7, v2, vcc
.LBB1026_57:
	s_or_b64 exec, exec, s[0:1]
	v_cmp_gt_u32_e32 vcc, 62, v4
	s_waitcnt lgkmcnt(0)
	v_cndmask_b32_e64 v7, 0, 2, vcc
	v_add_lshl_u32 v7, v7, v3, 2
	ds_bpermute_b32 v8, v7, v6
	ds_bpermute_b32 v7, v7, v2
	v_add_u32_e32 v9, 2, v4
	v_cmp_lt_u32_e32 vcc, v9, v5
	s_and_saveexec_b64 s[0:1], vcc
	s_cbranch_execz .LBB1026_59
; %bb.58:
	s_waitcnt lgkmcnt(1)
	v_add_co_u32_e32 v6, vcc, v1, v8
	v_addc_co_u32_e32 v2, vcc, 0, v2, vcc
	v_add_co_u32_e32 v1, vcc, 0, v6
	s_waitcnt lgkmcnt(0)
	v_addc_co_u32_e32 v2, vcc, v7, v2, vcc
.LBB1026_59:
	s_or_b64 exec, exec, s[0:1]
	v_cmp_gt_u32_e32 vcc, 60, v4
	s_waitcnt lgkmcnt(0)
	v_cndmask_b32_e64 v7, 0, 4, vcc
	v_add_lshl_u32 v7, v7, v3, 2
	ds_bpermute_b32 v8, v7, v6
	ds_bpermute_b32 v7, v7, v2
	v_add_u32_e32 v9, 4, v4
	v_cmp_lt_u32_e32 vcc, v9, v5
	;; [unrolled: 19-line block ×4, first 2 shown]
	s_and_saveexec_b64 s[0:1], vcc
	s_cbranch_execz .LBB1026_65
; %bb.64:
	s_waitcnt lgkmcnt(1)
	v_add_co_u32_e32 v6, vcc, v1, v8
	v_addc_co_u32_e32 v2, vcc, 0, v2, vcc
	v_add_co_u32_e32 v1, vcc, 0, v6
	s_waitcnt lgkmcnt(0)
	v_addc_co_u32_e32 v2, vcc, v7, v2, vcc
.LBB1026_65:
	s_or_b64 exec, exec, s[0:1]
	s_waitcnt lgkmcnt(0)
	v_lshlrev_b32_e32 v7, 2, v3
	v_or_b32_e32 v8, 0x80, v7
	ds_bpermute_b32 v6, v8, v6
	ds_bpermute_b32 v8, v8, v2
	v_add_u32_e32 v4, 32, v4
	s_waitcnt lgkmcnt(1)
	v_add_co_u32_e32 v6, vcc, v1, v6
	v_addc_co_u32_e32 v9, vcc, 0, v2, vcc
	v_add_co_u32_e32 v6, vcc, 0, v6
	s_waitcnt lgkmcnt(0)
	v_addc_co_u32_e32 v8, vcc, v9, v8, vcc
	v_cmp_lt_u32_e32 vcc, v4, v5
	v_cndmask_b32_e32 v2, v2, v8, vcc
	v_cndmask_b32_e32 v1, v1, v6, vcc
	v_cmp_eq_u32_e32 vcc, 0, v3
	s_and_saveexec_b64 s[0:1], vcc
; %bb.66:
	v_lshrrev_b32_e32 v4, 3, v0
	v_and_b32_e32 v4, 24, v4
	ds_write_b64 v4, v[1:2] offset:160
; %bb.67:
	s_or_b64 exec, exec, s[0:1]
	v_cmp_gt_u32_e32 vcc, 4, v0
	s_waitcnt lgkmcnt(0)
	s_barrier
	s_and_saveexec_b64 s[0:1], vcc
	s_cbranch_execz .LBB1026_71
; %bb.68:
	v_lshlrev_b32_e32 v1, 3, v3
	ds_read_b64 v[1:2], v1 offset:160
	v_and_b32_e32 v4, 3, v3
	v_cmp_ne_u32_e32 vcc, 3, v4
	v_addc_co_u32_e32 v3, vcc, 0, v3, vcc
	v_lshlrev_b32_e32 v3, 2, v3
	s_waitcnt lgkmcnt(0)
	ds_bpermute_b32 v6, v3, v1
	ds_bpermute_b32 v5, v3, v2
	s_add_i32 s8, s8, 63
	s_lshr_b32 s10, s8, 6
	v_add_u32_e32 v3, 1, v4
	v_cmp_gt_u32_e32 vcc, s10, v3
	v_mov_b32_e32 v3, v1
	s_and_saveexec_b64 s[8:9], vcc
	s_cbranch_execz .LBB1026_70
; %bb.69:
	s_waitcnt lgkmcnt(1)
	v_add_co_u32_e32 v3, vcc, v1, v6
	v_addc_co_u32_e32 v2, vcc, 0, v2, vcc
	v_add_co_u32_e32 v1, vcc, 0, v3
	s_waitcnt lgkmcnt(0)
	v_addc_co_u32_e32 v2, vcc, v5, v2, vcc
.LBB1026_70:
	s_or_b64 exec, exec, s[8:9]
	s_waitcnt lgkmcnt(0)
	v_or_b32_e32 v5, 8, v7
	ds_bpermute_b32 v3, v5, v3
	ds_bpermute_b32 v5, v5, v2
	v_add_u32_e32 v4, 2, v4
	s_waitcnt lgkmcnt(1)
	v_add_co_u32_e32 v3, vcc, v1, v3
	v_addc_co_u32_e32 v6, vcc, 0, v2, vcc
	v_add_co_u32_e32 v3, vcc, 0, v3
	s_waitcnt lgkmcnt(0)
	v_addc_co_u32_e32 v5, vcc, v6, v5, vcc
	v_cmp_gt_u32_e32 vcc, s10, v4
	v_cndmask_b32_e32 v2, v2, v5, vcc
	v_cndmask_b32_e32 v1, v1, v3, vcc
.LBB1026_71:
	s_or_b64 exec, exec, s[0:1]
.LBB1026_72:
	v_mov_b32_e32 v3, s6
	v_cmp_eq_u32_e64 s[0:1], 0, v0
	v_mov_b32_e32 v4, s7
	s_and_b64 vcc, exec, s[2:3]
	s_cbranch_vccnz .LBB1026_14
	s_branch .LBB1026_109
.LBB1026_73:
	s_mov_b64 s[2:3], -1
                                        ; implicit-def: $vgpr1_vgpr2
.LBB1026_74:
	s_and_b64 vcc, exec, s[2:3]
	s_cbranch_vccz .LBB1026_108
; %bb.75:
	s_sub_i32 s31, s20, s0
	v_mov_b32_e32 v1, 0
	v_cmp_gt_u32_e32 vcc, s31, v0
	v_mov_b32_e32 v2, v1
	v_mov_b32_e32 v3, v1
	;; [unrolled: 1-line block ×15, first 2 shown]
	s_and_saveexec_b64 s[0:1], vcc
	s_cbranch_execz .LBB1026_77
; %bb.76:
	v_mov_b32_e32 v2, v1
	v_mov_b32_e32 v3, v1
	;; [unrolled: 1-line block ×15, first 2 shown]
	v_lshlrev_b32_e32 v1, 1, v0
	global_load_sshort v17, v1, s[16:17]
	global_load_sshort v18, v1, s[18:19]
	s_waitcnt vmcnt(1)
	v_mul_i32_i24_e32 v1, 0x6667, v17
	s_waitcnt vmcnt(0)
	v_mul_i32_i24_e32 v17, 0x6667, v18
	v_lshrrev_b32_e32 v18, 31, v1
	v_ashrrev_i32_e32 v1, 18, v1
	v_lshrrev_b32_e32 v19, 31, v17
	v_ashrrev_i32_e32 v17, 18, v17
	v_add_u16_e32 v1, v1, v18
	v_add_u16_e32 v17, v17, v19
	v_cmp_ne_u16_e32 vcc, v1, v17
	v_cndmask_b32_e64 v1, 0, 1, vcc
	v_and_b32_e32 v1, 0xffff, v1
.LBB1026_77:
	s_or_b64 exec, exec, s[0:1]
	v_or_b32_e32 v17, 0x100, v0
	v_cmp_gt_u32_e32 vcc, s31, v17
	s_and_saveexec_b64 s[2:3], vcc
	s_cbranch_execz .LBB1026_79
; %bb.78:
	v_lshlrev_b32_e32 v3, 1, v0
	global_load_sshort v4, v3, s[16:17] offset:512
	global_load_sshort v17, v3, s[18:19] offset:512
	s_mov_b32 s8, 0
	s_waitcnt vmcnt(1)
	v_mul_i32_i24_e32 v3, 0x6667, v4
	s_waitcnt vmcnt(0)
	v_mul_i32_i24_e32 v4, 0x6667, v17
	v_lshrrev_b32_e32 v17, 31, v3
	v_ashrrev_i32_e32 v3, 18, v3
	v_lshrrev_b32_e32 v18, 31, v4
	v_ashrrev_i32_e32 v4, 18, v4
	v_add_u16_e32 v3, v3, v17
	v_add_u16_e32 v4, v4, v18
	v_cmp_ne_u16_e64 s[0:1], v3, v4
	v_cndmask_b32_e64 v3, 0, 1, s[0:1]
	v_mov_b32_e32 v4, s8
.LBB1026_79:
	s_or_b64 exec, exec, s[2:3]
	v_or_b32_e32 v17, 0x200, v0
	v_cmp_gt_u32_e64 s[0:1], s31, v17
	s_and_saveexec_b64 s[8:9], s[0:1]
	s_cbranch_execz .LBB1026_81
; %bb.80:
	v_lshlrev_b32_e32 v5, 1, v0
	global_load_sshort v6, v5, s[16:17] offset:1024
	global_load_sshort v17, v5, s[18:19] offset:1024
	s_mov_b32 s10, 0
	s_waitcnt vmcnt(1)
	v_mul_i32_i24_e32 v5, 0x6667, v6
	s_waitcnt vmcnt(0)
	v_mul_i32_i24_e32 v6, 0x6667, v17
	v_lshrrev_b32_e32 v17, 31, v5
	v_ashrrev_i32_e32 v5, 18, v5
	v_lshrrev_b32_e32 v18, 31, v6
	v_ashrrev_i32_e32 v6, 18, v6
	v_add_u16_e32 v5, v5, v17
	v_add_u16_e32 v6, v6, v18
	v_cmp_ne_u16_e64 s[2:3], v5, v6
	v_cndmask_b32_e64 v5, 0, 1, s[2:3]
	v_mov_b32_e32 v6, s10
.LBB1026_81:
	s_or_b64 exec, exec, s[8:9]
	v_or_b32_e32 v17, 0x300, v0
	v_cmp_gt_u32_e64 s[2:3], s31, v17
	s_and_saveexec_b64 s[10:11], s[2:3]
	;; [unrolled: 24-line block ×6, first 2 shown]
	s_cbranch_execz .LBB1026_91
; %bb.90:
	v_lshlrev_b32_e32 v15, 1, v0
	global_load_sshort v16, v15, s[16:17] offset:3584
	global_load_sshort v17, v15, s[18:19] offset:3584
	s_mov_b32 s18, 0
	s_waitcnt vmcnt(1)
	v_mul_i32_i24_e32 v15, 0x6667, v16
	s_waitcnt vmcnt(0)
	v_mul_i32_i24_e32 v16, 0x6667, v17
	v_lshrrev_b32_e32 v17, 31, v15
	v_ashrrev_i32_e32 v15, 18, v15
	v_lshrrev_b32_e32 v18, 31, v16
	v_ashrrev_i32_e32 v16, 18, v16
	v_add_u16_e32 v15, v15, v17
	v_add_u16_e32 v16, v16, v18
	v_cmp_ne_u16_e64 s[16:17], v15, v16
	v_cndmask_b32_e64 v15, 0, 1, s[16:17]
	v_mov_b32_e32 v16, s18
.LBB1026_91:
	s_or_b64 exec, exec, s[28:29]
	v_cndmask_b32_e32 v3, 0, v3, vcc
	v_cndmask_b32_e32 v4, 0, v4, vcc
	v_add_co_u32_e32 v1, vcc, v3, v1
	v_addc_co_u32_e32 v2, vcc, v4, v2, vcc
	v_cndmask_b32_e64 v4, 0, v5, s[0:1]
	v_cndmask_b32_e64 v3, 0, v6, s[0:1]
	v_add_co_u32_e32 v1, vcc, v1, v4
	v_addc_co_u32_e32 v2, vcc, v2, v3, vcc
	v_cndmask_b32_e64 v4, 0, v7, s[2:3]
	v_cndmask_b32_e64 v3, 0, v8, s[2:3]
	;; [unrolled: 4-line block ×6, first 2 shown]
	v_add_co_u32_e32 v1, vcc, v1, v4
	v_addc_co_u32_e32 v2, vcc, v2, v3, vcc
	v_mbcnt_lo_u32_b32 v3, -1, 0
	v_mbcnt_hi_u32_b32 v3, -1, v3
	v_and_b32_e32 v4, 63, v3
	v_cmp_ne_u32_e32 vcc, 63, v4
	v_addc_co_u32_e32 v6, vcc, 0, v3, vcc
	v_lshlrev_b32_e32 v6, 2, v6
	ds_bpermute_b32 v8, v6, v1
	ds_bpermute_b32 v7, v6, v2
	s_min_u32 s2, s31, 0x100
	v_and_b32_e32 v5, 0xc0, v0
	v_sub_u32_e64 v5, s2, v5 clamp
	v_add_u32_e32 v6, 1, v4
	v_cmp_lt_u32_e32 vcc, v6, v5
	v_mov_b32_e32 v6, v1
	s_and_saveexec_b64 s[0:1], vcc
	s_cbranch_execz .LBB1026_93
; %bb.92:
	s_waitcnt lgkmcnt(1)
	v_add_co_u32_e32 v6, vcc, v1, v8
	v_addc_co_u32_e32 v2, vcc, 0, v2, vcc
	v_add_co_u32_e32 v1, vcc, 0, v6
	s_waitcnt lgkmcnt(0)
	v_addc_co_u32_e32 v2, vcc, v2, v7, vcc
.LBB1026_93:
	s_or_b64 exec, exec, s[0:1]
	v_cmp_gt_u32_e32 vcc, 62, v4
	s_waitcnt lgkmcnt(0)
	v_cndmask_b32_e64 v7, 0, 2, vcc
	v_add_lshl_u32 v7, v7, v3, 2
	ds_bpermute_b32 v8, v7, v6
	ds_bpermute_b32 v7, v7, v2
	v_add_u32_e32 v9, 2, v4
	v_cmp_lt_u32_e32 vcc, v9, v5
	s_and_saveexec_b64 s[0:1], vcc
	s_cbranch_execz .LBB1026_95
; %bb.94:
	s_waitcnt lgkmcnt(1)
	v_add_co_u32_e32 v6, vcc, v1, v8
	v_addc_co_u32_e32 v2, vcc, 0, v2, vcc
	v_add_co_u32_e32 v1, vcc, 0, v6
	s_waitcnt lgkmcnt(0)
	v_addc_co_u32_e32 v2, vcc, v7, v2, vcc
.LBB1026_95:
	s_or_b64 exec, exec, s[0:1]
	v_cmp_gt_u32_e32 vcc, 60, v4
	s_waitcnt lgkmcnt(0)
	v_cndmask_b32_e64 v7, 0, 4, vcc
	v_add_lshl_u32 v7, v7, v3, 2
	ds_bpermute_b32 v8, v7, v6
	ds_bpermute_b32 v7, v7, v2
	v_add_u32_e32 v9, 4, v4
	v_cmp_lt_u32_e32 vcc, v9, v5
	;; [unrolled: 19-line block ×4, first 2 shown]
	s_and_saveexec_b64 s[0:1], vcc
	s_cbranch_execz .LBB1026_101
; %bb.100:
	s_waitcnt lgkmcnt(1)
	v_add_co_u32_e32 v6, vcc, v1, v8
	v_addc_co_u32_e32 v2, vcc, 0, v2, vcc
	v_add_co_u32_e32 v1, vcc, 0, v6
	s_waitcnt lgkmcnt(0)
	v_addc_co_u32_e32 v2, vcc, v7, v2, vcc
.LBB1026_101:
	s_or_b64 exec, exec, s[0:1]
	s_waitcnt lgkmcnt(0)
	v_lshlrev_b32_e32 v7, 2, v3
	v_or_b32_e32 v8, 0x80, v7
	ds_bpermute_b32 v6, v8, v6
	ds_bpermute_b32 v8, v8, v2
	v_add_u32_e32 v4, 32, v4
	s_waitcnt lgkmcnt(1)
	v_add_co_u32_e32 v6, vcc, v1, v6
	v_addc_co_u32_e32 v9, vcc, 0, v2, vcc
	v_add_co_u32_e32 v6, vcc, 0, v6
	s_waitcnt lgkmcnt(0)
	v_addc_co_u32_e32 v8, vcc, v9, v8, vcc
	v_cmp_lt_u32_e32 vcc, v4, v5
	v_cndmask_b32_e32 v2, v2, v8, vcc
	v_cndmask_b32_e32 v1, v1, v6, vcc
	v_cmp_eq_u32_e32 vcc, 0, v3
	s_and_saveexec_b64 s[0:1], vcc
; %bb.102:
	v_lshrrev_b32_e32 v4, 3, v0
	v_and_b32_e32 v4, 24, v4
	ds_write_b64 v4, v[1:2] offset:160
; %bb.103:
	s_or_b64 exec, exec, s[0:1]
	v_cmp_gt_u32_e32 vcc, 4, v0
	s_waitcnt lgkmcnt(0)
	s_barrier
	s_and_saveexec_b64 s[0:1], vcc
	s_cbranch_execz .LBB1026_107
; %bb.104:
	v_lshlrev_b32_e32 v1, 3, v3
	ds_read_b64 v[1:2], v1 offset:160
	v_and_b32_e32 v4, 3, v3
	v_cmp_ne_u32_e32 vcc, 3, v4
	v_addc_co_u32_e32 v3, vcc, 0, v3, vcc
	v_lshlrev_b32_e32 v3, 2, v3
	s_waitcnt lgkmcnt(0)
	ds_bpermute_b32 v6, v3, v1
	ds_bpermute_b32 v5, v3, v2
	s_add_i32 s2, s2, 63
	s_lshr_b32 s8, s2, 6
	v_add_u32_e32 v3, 1, v4
	v_cmp_gt_u32_e32 vcc, s8, v3
	v_mov_b32_e32 v3, v1
	s_and_saveexec_b64 s[2:3], vcc
	s_cbranch_execz .LBB1026_106
; %bb.105:
	s_waitcnt lgkmcnt(1)
	v_add_co_u32_e32 v3, vcc, v1, v6
	v_addc_co_u32_e32 v2, vcc, 0, v2, vcc
	v_add_co_u32_e32 v1, vcc, 0, v3
	s_waitcnt lgkmcnt(0)
	v_addc_co_u32_e32 v2, vcc, v5, v2, vcc
.LBB1026_106:
	s_or_b64 exec, exec, s[2:3]
	s_waitcnt lgkmcnt(0)
	v_or_b32_e32 v5, 8, v7
	ds_bpermute_b32 v3, v5, v3
	ds_bpermute_b32 v5, v5, v2
	v_add_u32_e32 v4, 2, v4
	s_waitcnt lgkmcnt(1)
	v_add_co_u32_e32 v3, vcc, v1, v3
	v_addc_co_u32_e32 v6, vcc, 0, v2, vcc
	v_add_co_u32_e32 v3, vcc, 0, v3
	s_waitcnt lgkmcnt(0)
	v_addc_co_u32_e32 v5, vcc, v6, v5, vcc
	v_cmp_gt_u32_e32 vcc, s8, v4
	v_cndmask_b32_e32 v2, v2, v5, vcc
	v_cndmask_b32_e32 v1, v1, v3, vcc
.LBB1026_107:
	s_or_b64 exec, exec, s[0:1]
.LBB1026_108:
	v_mov_b32_e32 v3, s6
	v_cmp_eq_u32_e64 s[0:1], 0, v0
	v_mov_b32_e32 v4, s7
.LBB1026_109:
	s_branch .LBB1026_144
.LBB1026_110:
	s_cmp_eq_u32 s30, 4
                                        ; implicit-def: $vgpr1_vgpr2
                                        ; implicit-def: $vgpr3_vgpr4
	s_cbranch_scc0 .LBB1026_144
; %bb.111:
	s_mov_b32 s7, 0
	s_lshl_b32 s0, s6, 10
	s_mov_b32 s1, s7
	s_lshr_b64 s[2:3], s[20:21], 10
	s_lshl_b64 s[10:11], s[0:1], 1
	s_add_u32 s8, s24, s10
	s_addc_u32 s9, s25, s11
	s_add_u32 s10, s26, s10
	s_addc_u32 s11, s27, s11
	s_cmp_lg_u64 s[2:3], s[6:7]
	s_cbranch_scc0 .LBB1026_117
; %bb.112:
	v_lshlrev_b32_e32 v1, 1, v0
	global_load_sshort v2, v1, s[8:9]
	global_load_sshort v4, v1, s[10:11]
	global_load_sshort v5, v1, s[8:9] offset:512
	global_load_sshort v6, v1, s[10:11] offset:512
	;; [unrolled: 1-line block ×6, first 2 shown]
	v_mov_b32_e32 v1, 0
	v_mbcnt_lo_u32_b32 v3, -1, 0
	v_mbcnt_hi_u32_b32 v3, -1, v3
	v_mov_b32_dpp v1, v1 quad_perm:[1,0,3,2] row_mask:0xf bank_mask:0xf bound_ctrl:1
	s_waitcnt vmcnt(7)
	v_mul_i32_i24_e32 v2, 0x6667, v2
	s_waitcnt vmcnt(6)
	v_mul_i32_i24_e32 v4, 0x6667, v4
	s_waitcnt vmcnt(5)
	v_mul_i32_i24_e32 v5, 0x6667, v5
	s_waitcnt vmcnt(4)
	v_mul_i32_i24_e32 v6, 0x6667, v6
	v_lshrrev_b32_e32 v13, 31, v5
	v_ashrrev_i32_e32 v5, 18, v5
	s_waitcnt vmcnt(1)
	v_mul_i32_i24_e32 v9, 0x6667, v9
	s_waitcnt vmcnt(0)
	v_mul_i32_i24_e32 v10, 0x6667, v10
	v_lshrrev_b32_e32 v17, 31, v10
	v_ashrrev_i32_e32 v10, 18, v10
	v_lshrrev_b32_e32 v18, 31, v9
	v_ashrrev_i32_e32 v9, 18, v9
	;; [unrolled: 2-line block ×3, first 2 shown]
	v_add_u16_e32 v10, v10, v17
	v_add_u16_e32 v9, v9, v18
	v_mul_i32_i24_e32 v7, 0x6667, v7
	v_mul_i32_i24_e32 v8, 0x6667, v8
	v_lshrrev_b32_e32 v11, 31, v2
	v_ashrrev_i32_e32 v2, 18, v2
	v_lshrrev_b32_e32 v12, 31, v4
	v_ashrrev_i32_e32 v4, 18, v4
	v_add_u16_e32 v5, v5, v13
	v_add_u16_e32 v6, v6, v14
	v_cmp_ne_u16_e32 vcc, v10, v9
	v_lshrrev_b32_e32 v15, 31, v7
	v_ashrrev_i32_e32 v7, 18, v7
	v_lshrrev_b32_e32 v16, 31, v8
	v_ashrrev_i32_e32 v8, 18, v8
	v_add_u16_e32 v2, v2, v11
	v_add_u16_e32 v4, v4, v12
	v_cndmask_b32_e64 v9, 0, 1, vcc
	v_cmp_ne_u16_e32 vcc, v5, v6
	v_add_u16_e32 v7, v7, v15
	v_add_u16_e32 v8, v8, v16
	v_cndmask_b32_e64 v5, 0, 1, vcc
	v_cmp_ne_u16_e32 vcc, v2, v4
	v_cndmask_b32_e64 v2, 0, 1, vcc
	v_cmp_ne_u16_e32 vcc, v7, v8
	v_addc_co_u32_e32 v2, vcc, v5, v2, vcc
	v_add_co_u32_e32 v2, vcc, v2, v9
	v_addc_co_u32_e64 v4, s[2:3], 0, 0, vcc
	s_nop 0
	v_mov_b32_dpp v5, v2 quad_perm:[1,0,3,2] row_mask:0xf bank_mask:0xf bound_ctrl:1
	v_add_co_u32_e32 v2, vcc, v2, v5
	v_addc_co_u32_e32 v4, vcc, 0, v4, vcc
	v_add_co_u32_e32 v5, vcc, 0, v2
	v_addc_co_u32_e32 v1, vcc, v1, v4, vcc
	v_mov_b32_dpp v2, v2 quad_perm:[2,3,0,1] row_mask:0xf bank_mask:0xf bound_ctrl:1
	v_add_co_u32_e32 v2, vcc, v5, v2
	v_mov_b32_dpp v4, v1 quad_perm:[2,3,0,1] row_mask:0xf bank_mask:0xf bound_ctrl:1
	v_addc_co_u32_e32 v1, vcc, 0, v1, vcc
	v_add_co_u32_e32 v5, vcc, 0, v2
	v_addc_co_u32_e32 v1, vcc, v1, v4, vcc
	v_mov_b32_dpp v2, v2 row_ror:4 row_mask:0xf bank_mask:0xf bound_ctrl:1
	v_add_co_u32_e32 v2, vcc, v5, v2
	v_mov_b32_dpp v4, v1 row_ror:4 row_mask:0xf bank_mask:0xf bound_ctrl:1
	v_addc_co_u32_e32 v1, vcc, 0, v1, vcc
	v_add_co_u32_e32 v5, vcc, 0, v2
	v_addc_co_u32_e32 v1, vcc, v1, v4, vcc
	v_mov_b32_dpp v2, v2 row_ror:8 row_mask:0xf bank_mask:0xf bound_ctrl:1
	v_add_co_u32_e32 v2, vcc, v5, v2
	v_mov_b32_dpp v4, v1 row_ror:8 row_mask:0xf bank_mask:0xf bound_ctrl:1
	v_addc_co_u32_e32 v1, vcc, 0, v1, vcc
	v_add_co_u32_e32 v5, vcc, 0, v2
	v_addc_co_u32_e32 v1, vcc, v1, v4, vcc
	v_mov_b32_dpp v2, v2 row_bcast:15 row_mask:0xf bank_mask:0xf bound_ctrl:1
	v_add_co_u32_e32 v2, vcc, v5, v2
	v_mov_b32_dpp v4, v1 row_bcast:15 row_mask:0xf bank_mask:0xf bound_ctrl:1
	v_addc_co_u32_e32 v1, vcc, 0, v1, vcc
	v_add_co_u32_e32 v5, vcc, 0, v2
	v_addc_co_u32_e32 v1, vcc, v1, v4, vcc
	v_mov_b32_dpp v2, v2 row_bcast:31 row_mask:0xf bank_mask:0xf bound_ctrl:1
	v_add_co_u32_e32 v2, vcc, v5, v2
	v_addc_co_u32_e32 v4, vcc, 0, v1, vcc
	v_cmp_eq_u32_e32 vcc, 0, v3
	s_nop 0
	v_add_u32_dpp v5, v1, v4 row_bcast:31 row_mask:0xf bank_mask:0xf bound_ctrl:1
	v_lshlrev_b32_e32 v4, 2, v3
	v_or_b32_e32 v6, 0xfc, v4
	ds_bpermute_b32 v1, v6, v2
	ds_bpermute_b32 v2, v6, v5
	s_and_saveexec_b64 s[2:3], vcc
	s_cbranch_execz .LBB1026_114
; %bb.113:
	v_lshrrev_b32_e32 v5, 3, v0
	v_and_b32_e32 v5, 24, v5
	s_waitcnt lgkmcnt(0)
	ds_write_b64 v5, v[1:2] offset:96
.LBB1026_114:
	s_or_b64 exec, exec, s[2:3]
	v_cmp_gt_u32_e32 vcc, 64, v0
	s_waitcnt lgkmcnt(0)
	s_barrier
	s_and_saveexec_b64 s[2:3], vcc
	s_cbranch_execz .LBB1026_116
; %bb.115:
	v_and_b32_e32 v5, 3, v3
	v_lshlrev_b32_e32 v1, 3, v5
	ds_read_b64 v[1:2], v1 offset:96
	v_cmp_ne_u32_e32 vcc, 3, v5
	v_addc_co_u32_e32 v3, vcc, 0, v3, vcc
	v_lshlrev_b32_e32 v3, 2, v3
	s_waitcnt lgkmcnt(0)
	ds_bpermute_b32 v5, v3, v1
	ds_bpermute_b32 v3, v3, v2
	v_or_b32_e32 v4, 8, v4
	s_waitcnt lgkmcnt(1)
	v_add_co_u32_e32 v1, vcc, v1, v5
	v_addc_co_u32_e32 v2, vcc, 0, v2, vcc
	ds_bpermute_b32 v5, v4, v1
	v_add_co_u32_e32 v1, vcc, 0, v1
	s_waitcnt lgkmcnt(1)
	v_addc_co_u32_e32 v2, vcc, v3, v2, vcc
	ds_bpermute_b32 v3, v4, v2
	s_waitcnt lgkmcnt(1)
	v_add_co_u32_e32 v1, vcc, v1, v5
	v_addc_co_u32_e32 v2, vcc, 0, v2, vcc
	v_add_co_u32_e32 v1, vcc, 0, v1
	s_waitcnt lgkmcnt(0)
	v_addc_co_u32_e32 v2, vcc, v2, v3, vcc
.LBB1026_116:
	s_or_b64 exec, exec, s[2:3]
	s_branch .LBB1026_143
.LBB1026_117:
                                        ; implicit-def: $vgpr1_vgpr2
	s_cbranch_execz .LBB1026_143
; %bb.118:
	s_sub_i32 s14, s20, s0
	v_mov_b32_e32 v1, 0
	v_cmp_gt_u32_e32 vcc, s14, v0
	v_mov_b32_e32 v2, v1
	v_mov_b32_e32 v3, v1
	;; [unrolled: 1-line block ×7, first 2 shown]
	s_and_saveexec_b64 s[0:1], vcc
	s_cbranch_execz .LBB1026_120
; %bb.119:
	v_lshlrev_b32_e32 v2, 1, v0
	global_load_sshort v9, v2, s[8:9]
	global_load_sshort v10, v2, s[10:11]
	v_mov_b32_e32 v3, v1
	v_mov_b32_e32 v4, v1
	;; [unrolled: 1-line block ×6, first 2 shown]
	s_waitcnt vmcnt(1)
	v_mul_i32_i24_e32 v2, 0x6667, v9
	s_waitcnt vmcnt(0)
	v_mul_i32_i24_e32 v9, 0x6667, v10
	v_lshrrev_b32_e32 v10, 31, v2
	v_ashrrev_i32_e32 v2, 18, v2
	v_lshrrev_b32_e32 v11, 31, v9
	v_ashrrev_i32_e32 v9, 18, v9
	v_add_u16_e32 v2, v2, v10
	v_add_u16_e32 v9, v9, v11
	v_cmp_ne_u16_e32 vcc, v2, v9
	v_cndmask_b32_e64 v2, 0, 1, vcc
	v_and_b32_e32 v2, 0xffff, v2
	v_mov_b32_e32 v9, v1
	v_mov_b32_e32 v1, v2
	;; [unrolled: 1-line block ×9, first 2 shown]
.LBB1026_120:
	s_or_b64 exec, exec, s[0:1]
	v_or_b32_e32 v9, 0x100, v0
	v_cmp_gt_u32_e32 vcc, s14, v9
	s_and_saveexec_b64 s[2:3], vcc
	s_cbranch_execz .LBB1026_122
; %bb.121:
	v_lshlrev_b32_e32 v3, 1, v0
	global_load_sshort v4, v3, s[8:9] offset:512
	global_load_sshort v9, v3, s[10:11] offset:512
	s_mov_b32 s12, 0
	s_waitcnt vmcnt(1)
	v_mul_i32_i24_e32 v3, 0x6667, v4
	s_waitcnt vmcnt(0)
	v_mul_i32_i24_e32 v4, 0x6667, v9
	v_lshrrev_b32_e32 v9, 31, v3
	v_ashrrev_i32_e32 v3, 18, v3
	v_lshrrev_b32_e32 v10, 31, v4
	v_ashrrev_i32_e32 v4, 18, v4
	v_add_u16_e32 v3, v3, v9
	v_add_u16_e32 v4, v4, v10
	v_cmp_ne_u16_e64 s[0:1], v3, v4
	v_cndmask_b32_e64 v3, 0, 1, s[0:1]
	v_mov_b32_e32 v4, s12
.LBB1026_122:
	s_or_b64 exec, exec, s[2:3]
	v_or_b32_e32 v9, 0x200, v0
	v_cmp_gt_u32_e64 s[0:1], s14, v9
	s_and_saveexec_b64 s[12:13], s[0:1]
	s_cbranch_execz .LBB1026_124
; %bb.123:
	v_lshlrev_b32_e32 v5, 1, v0
	global_load_sshort v6, v5, s[8:9] offset:1024
	global_load_sshort v9, v5, s[10:11] offset:1024
	s_mov_b32 s15, 0
	s_waitcnt vmcnt(1)
	v_mul_i32_i24_e32 v5, 0x6667, v6
	s_waitcnt vmcnt(0)
	v_mul_i32_i24_e32 v6, 0x6667, v9
	v_lshrrev_b32_e32 v9, 31, v5
	v_ashrrev_i32_e32 v5, 18, v5
	v_lshrrev_b32_e32 v10, 31, v6
	v_ashrrev_i32_e32 v6, 18, v6
	v_add_u16_e32 v5, v5, v9
	v_add_u16_e32 v6, v6, v10
	v_cmp_ne_u16_e64 s[2:3], v5, v6
	v_cndmask_b32_e64 v5, 0, 1, s[2:3]
	v_mov_b32_e32 v6, s15
.LBB1026_124:
	s_or_b64 exec, exec, s[12:13]
	v_or_b32_e32 v9, 0x300, v0
	v_cmp_gt_u32_e64 s[2:3], s14, v9
	s_and_saveexec_b64 s[12:13], s[2:3]
	s_cbranch_execz .LBB1026_126
; %bb.125:
	v_lshlrev_b32_e32 v7, 1, v0
	global_load_sshort v8, v7, s[8:9] offset:1536
	global_load_sshort v9, v7, s[10:11] offset:1536
	s_mov_b32 s10, 0
	s_waitcnt vmcnt(1)
	v_mul_i32_i24_e32 v7, 0x6667, v8
	s_waitcnt vmcnt(0)
	v_mul_i32_i24_e32 v8, 0x6667, v9
	v_lshrrev_b32_e32 v9, 31, v7
	v_ashrrev_i32_e32 v7, 18, v7
	v_lshrrev_b32_e32 v10, 31, v8
	v_ashrrev_i32_e32 v8, 18, v8
	v_add_u16_e32 v7, v7, v9
	v_add_u16_e32 v8, v8, v10
	v_cmp_ne_u16_e64 s[8:9], v7, v8
	v_cndmask_b32_e64 v7, 0, 1, s[8:9]
	v_mov_b32_e32 v8, s10
.LBB1026_126:
	s_or_b64 exec, exec, s[12:13]
	v_cndmask_b32_e32 v3, 0, v3, vcc
	v_cndmask_b32_e32 v4, 0, v4, vcc
	v_add_co_u32_e32 v1, vcc, v3, v1
	v_addc_co_u32_e32 v2, vcc, v4, v2, vcc
	v_cndmask_b32_e64 v4, 0, v5, s[0:1]
	v_cndmask_b32_e64 v3, 0, v6, s[0:1]
	v_add_co_u32_e32 v1, vcc, v1, v4
	v_addc_co_u32_e32 v2, vcc, v2, v3, vcc
	v_cndmask_b32_e64 v4, 0, v7, s[2:3]
	v_cndmask_b32_e64 v3, 0, v8, s[2:3]
	v_add_co_u32_e32 v1, vcc, v1, v4
	v_addc_co_u32_e32 v2, vcc, v2, v3, vcc
	v_mbcnt_lo_u32_b32 v3, -1, 0
	v_mbcnt_hi_u32_b32 v3, -1, v3
	v_and_b32_e32 v4, 63, v3
	v_cmp_ne_u32_e32 vcc, 63, v4
	v_addc_co_u32_e32 v6, vcc, 0, v3, vcc
	v_lshlrev_b32_e32 v6, 2, v6
	ds_bpermute_b32 v8, v6, v1
	ds_bpermute_b32 v7, v6, v2
	s_min_u32 s2, s14, 0x100
	v_and_b32_e32 v5, 0xc0, v0
	v_sub_u32_e64 v5, s2, v5 clamp
	v_add_u32_e32 v6, 1, v4
	v_cmp_lt_u32_e32 vcc, v6, v5
	v_mov_b32_e32 v6, v1
	s_and_saveexec_b64 s[0:1], vcc
	s_cbranch_execz .LBB1026_128
; %bb.127:
	s_waitcnt lgkmcnt(1)
	v_add_co_u32_e32 v6, vcc, v1, v8
	v_addc_co_u32_e32 v2, vcc, 0, v2, vcc
	v_add_co_u32_e32 v1, vcc, 0, v6
	s_waitcnt lgkmcnt(0)
	v_addc_co_u32_e32 v2, vcc, v7, v2, vcc
.LBB1026_128:
	s_or_b64 exec, exec, s[0:1]
	v_cmp_gt_u32_e32 vcc, 62, v4
	s_waitcnt lgkmcnt(0)
	v_cndmask_b32_e64 v7, 0, 2, vcc
	v_add_lshl_u32 v7, v7, v3, 2
	ds_bpermute_b32 v8, v7, v6
	ds_bpermute_b32 v7, v7, v2
	v_add_u32_e32 v9, 2, v4
	v_cmp_lt_u32_e32 vcc, v9, v5
	s_and_saveexec_b64 s[0:1], vcc
	s_cbranch_execz .LBB1026_130
; %bb.129:
	s_waitcnt lgkmcnt(1)
	v_add_co_u32_e32 v6, vcc, v1, v8
	v_addc_co_u32_e32 v2, vcc, 0, v2, vcc
	v_add_co_u32_e32 v1, vcc, 0, v6
	s_waitcnt lgkmcnt(0)
	v_addc_co_u32_e32 v2, vcc, v7, v2, vcc
.LBB1026_130:
	s_or_b64 exec, exec, s[0:1]
	v_cmp_gt_u32_e32 vcc, 60, v4
	s_waitcnt lgkmcnt(0)
	v_cndmask_b32_e64 v7, 0, 4, vcc
	v_add_lshl_u32 v7, v7, v3, 2
	ds_bpermute_b32 v8, v7, v6
	ds_bpermute_b32 v7, v7, v2
	v_add_u32_e32 v9, 4, v4
	v_cmp_lt_u32_e32 vcc, v9, v5
	;; [unrolled: 19-line block ×4, first 2 shown]
	s_and_saveexec_b64 s[0:1], vcc
	s_cbranch_execz .LBB1026_136
; %bb.135:
	s_waitcnt lgkmcnt(1)
	v_add_co_u32_e32 v6, vcc, v1, v8
	v_addc_co_u32_e32 v2, vcc, 0, v2, vcc
	v_add_co_u32_e32 v1, vcc, 0, v6
	s_waitcnt lgkmcnt(0)
	v_addc_co_u32_e32 v2, vcc, v7, v2, vcc
.LBB1026_136:
	s_or_b64 exec, exec, s[0:1]
	s_waitcnt lgkmcnt(0)
	v_lshlrev_b32_e32 v7, 2, v3
	v_or_b32_e32 v8, 0x80, v7
	ds_bpermute_b32 v6, v8, v6
	ds_bpermute_b32 v8, v8, v2
	v_add_u32_e32 v4, 32, v4
	s_waitcnt lgkmcnt(1)
	v_add_co_u32_e32 v6, vcc, v1, v6
	v_addc_co_u32_e32 v9, vcc, 0, v2, vcc
	v_add_co_u32_e32 v6, vcc, 0, v6
	s_waitcnt lgkmcnt(0)
	v_addc_co_u32_e32 v8, vcc, v9, v8, vcc
	v_cmp_lt_u32_e32 vcc, v4, v5
	v_cndmask_b32_e32 v2, v2, v8, vcc
	v_cndmask_b32_e32 v1, v1, v6, vcc
	v_cmp_eq_u32_e32 vcc, 0, v3
	s_and_saveexec_b64 s[0:1], vcc
; %bb.137:
	v_lshrrev_b32_e32 v4, 3, v0
	v_and_b32_e32 v4, 24, v4
	ds_write_b64 v4, v[1:2] offset:160
; %bb.138:
	s_or_b64 exec, exec, s[0:1]
	v_cmp_gt_u32_e32 vcc, 4, v0
	s_waitcnt lgkmcnt(0)
	s_barrier
	s_and_saveexec_b64 s[0:1], vcc
	s_cbranch_execz .LBB1026_142
; %bb.139:
	v_lshlrev_b32_e32 v1, 3, v3
	ds_read_b64 v[1:2], v1 offset:160
	v_and_b32_e32 v4, 3, v3
	v_cmp_ne_u32_e32 vcc, 3, v4
	v_addc_co_u32_e32 v3, vcc, 0, v3, vcc
	v_lshlrev_b32_e32 v3, 2, v3
	s_waitcnt lgkmcnt(0)
	ds_bpermute_b32 v6, v3, v1
	ds_bpermute_b32 v5, v3, v2
	s_add_i32 s2, s2, 63
	s_lshr_b32 s8, s2, 6
	v_add_u32_e32 v3, 1, v4
	v_cmp_gt_u32_e32 vcc, s8, v3
	v_mov_b32_e32 v3, v1
	s_and_saveexec_b64 s[2:3], vcc
	s_cbranch_execz .LBB1026_141
; %bb.140:
	s_waitcnt lgkmcnt(1)
	v_add_co_u32_e32 v3, vcc, v1, v6
	v_addc_co_u32_e32 v2, vcc, 0, v2, vcc
	v_add_co_u32_e32 v1, vcc, 0, v3
	s_waitcnt lgkmcnt(0)
	v_addc_co_u32_e32 v2, vcc, v5, v2, vcc
.LBB1026_141:
	s_or_b64 exec, exec, s[2:3]
	s_waitcnt lgkmcnt(0)
	v_or_b32_e32 v5, 8, v7
	ds_bpermute_b32 v3, v5, v3
	ds_bpermute_b32 v5, v5, v2
	v_add_u32_e32 v4, 2, v4
	s_waitcnt lgkmcnt(1)
	v_add_co_u32_e32 v3, vcc, v1, v3
	v_addc_co_u32_e32 v6, vcc, 0, v2, vcc
	v_add_co_u32_e32 v3, vcc, 0, v3
	s_waitcnt lgkmcnt(0)
	v_addc_co_u32_e32 v5, vcc, v6, v5, vcc
	v_cmp_gt_u32_e32 vcc, s8, v4
	v_cndmask_b32_e32 v2, v2, v5, vcc
	v_cndmask_b32_e32 v1, v1, v3, vcc
.LBB1026_142:
	s_or_b64 exec, exec, s[0:1]
.LBB1026_143:
	v_mov_b32_e32 v3, s6
	v_cmp_eq_u32_e64 s[0:1], 0, v0
	v_mov_b32_e32 v4, s7
.LBB1026_144:
	s_branch .LBB1026_206
.LBB1026_145:
	s_cmp_gt_i32 s30, 1
	s_cbranch_scc0 .LBB1026_153
; %bb.146:
	s_cmp_eq_u32 s30, 2
                                        ; implicit-def: $vgpr1_vgpr2
                                        ; implicit-def: $vgpr3_vgpr4
	s_cbranch_scc0 .LBB1026_154
; %bb.147:
	s_mov_b32 s7, 0
	s_lshl_b32 s8, s6, 9
	s_mov_b32 s9, s7
	s_lshr_b64 s[10:11], s[20:21], 9
	s_lshl_b64 s[2:3], s[8:9], 1
	s_add_u32 s0, s24, s2
	s_addc_u32 s1, s25, s3
	s_add_u32 s2, s26, s2
	s_addc_u32 s3, s27, s3
	s_cmp_lg_u64 s[10:11], s[6:7]
	s_cbranch_scc0 .LBB1026_155
; %bb.148:
	v_lshlrev_b32_e32 v1, 1, v0
	global_load_sshort v2, v1, s[0:1]
	global_load_sshort v5, v1, s[2:3]
	global_load_sshort v6, v1, s[2:3] offset:512
	global_load_sshort v7, v1, s[0:1] offset:512
	v_mov_b32_e32 v1, 0
	v_mbcnt_lo_u32_b32 v3, -1, 0
	v_mbcnt_hi_u32_b32 v3, -1, v3
	v_mov_b32_dpp v1, v1 quad_perm:[1,0,3,2] row_mask:0xf bank_mask:0xf bound_ctrl:1
	v_lshlrev_b32_e32 v4, 2, v3
	v_or_b32_e32 v8, 0xfc, v4
	s_waitcnt vmcnt(3)
	v_mul_i32_i24_e32 v2, 0x6667, v2
	s_waitcnt vmcnt(2)
	v_mul_i32_i24_e32 v5, 0x6667, v5
	;; [unrolled: 2-line block ×4, first 2 shown]
	v_lshrrev_b32_e32 v9, 31, v2
	v_ashrrev_i32_e32 v2, 18, v2
	v_lshrrev_b32_e32 v10, 31, v5
	v_ashrrev_i32_e32 v5, 18, v5
	;; [unrolled: 2-line block ×4, first 2 shown]
	v_add_u16_e32 v2, v2, v9
	v_add_u16_e32 v5, v5, v10
	;; [unrolled: 1-line block ×4, first 2 shown]
	v_cmp_ne_u16_e32 vcc, v2, v5
	v_cndmask_b32_e64 v2, 0, 1, vcc
	v_cmp_ne_u16_e32 vcc, v7, v6
	v_addc_co_u32_e32 v2, vcc, 0, v2, vcc
	s_nop 1
	v_mov_b32_dpp v5, v2 quad_perm:[1,0,3,2] row_mask:0xf bank_mask:0xf bound_ctrl:1
	v_add_co_u32_e32 v2, vcc, v2, v5
	v_addc_co_u32_e64 v5, s[10:11], 0, 0, vcc
	v_add_co_u32_e32 v6, vcc, 0, v2
	v_addc_co_u32_e32 v1, vcc, v1, v5, vcc
	v_mov_b32_dpp v2, v2 quad_perm:[2,3,0,1] row_mask:0xf bank_mask:0xf bound_ctrl:1
	v_add_co_u32_e32 v2, vcc, v6, v2
	v_mov_b32_dpp v5, v1 quad_perm:[2,3,0,1] row_mask:0xf bank_mask:0xf bound_ctrl:1
	v_addc_co_u32_e32 v1, vcc, 0, v1, vcc
	v_add_co_u32_e32 v6, vcc, 0, v2
	v_addc_co_u32_e32 v1, vcc, v1, v5, vcc
	v_mov_b32_dpp v2, v2 row_ror:4 row_mask:0xf bank_mask:0xf bound_ctrl:1
	v_add_co_u32_e32 v2, vcc, v6, v2
	v_mov_b32_dpp v5, v1 row_ror:4 row_mask:0xf bank_mask:0xf bound_ctrl:1
	v_addc_co_u32_e32 v1, vcc, 0, v1, vcc
	v_add_co_u32_e32 v6, vcc, 0, v2
	v_addc_co_u32_e32 v1, vcc, v1, v5, vcc
	v_mov_b32_dpp v2, v2 row_ror:8 row_mask:0xf bank_mask:0xf bound_ctrl:1
	v_add_co_u32_e32 v2, vcc, v6, v2
	v_mov_b32_dpp v5, v1 row_ror:8 row_mask:0xf bank_mask:0xf bound_ctrl:1
	v_addc_co_u32_e32 v1, vcc, 0, v1, vcc
	v_add_co_u32_e32 v6, vcc, 0, v2
	v_addc_co_u32_e32 v1, vcc, v1, v5, vcc
	v_mov_b32_dpp v2, v2 row_bcast:15 row_mask:0xf bank_mask:0xf bound_ctrl:1
	v_add_co_u32_e32 v2, vcc, v6, v2
	v_mov_b32_dpp v5, v1 row_bcast:15 row_mask:0xf bank_mask:0xf bound_ctrl:1
	v_addc_co_u32_e32 v1, vcc, 0, v1, vcc
	v_add_co_u32_e32 v6, vcc, 0, v2
	v_addc_co_u32_e32 v1, vcc, v1, v5, vcc
	v_mov_b32_dpp v2, v2 row_bcast:31 row_mask:0xf bank_mask:0xf bound_ctrl:1
	v_add_co_u32_e32 v2, vcc, v6, v2
	v_addc_co_u32_e32 v5, vcc, 0, v1, vcc
	v_cmp_eq_u32_e32 vcc, 0, v3
	s_nop 0
	v_add_u32_dpp v5, v1, v5 row_bcast:31 row_mask:0xf bank_mask:0xf bound_ctrl:1
	ds_bpermute_b32 v1, v8, v2
	ds_bpermute_b32 v2, v8, v5
	s_and_saveexec_b64 s[10:11], vcc
	s_cbranch_execz .LBB1026_150
; %bb.149:
	v_lshrrev_b32_e32 v5, 3, v0
	v_and_b32_e32 v5, 24, v5
	s_waitcnt lgkmcnt(0)
	ds_write_b64 v5, v[1:2] offset:64
.LBB1026_150:
	s_or_b64 exec, exec, s[10:11]
	v_cmp_gt_u32_e32 vcc, 64, v0
	s_waitcnt lgkmcnt(0)
	s_barrier
	s_and_saveexec_b64 s[10:11], vcc
	s_cbranch_execz .LBB1026_152
; %bb.151:
	v_and_b32_e32 v5, 3, v3
	v_lshlrev_b32_e32 v1, 3, v5
	ds_read_b64 v[1:2], v1 offset:64
	v_cmp_ne_u32_e32 vcc, 3, v5
	v_addc_co_u32_e32 v3, vcc, 0, v3, vcc
	v_lshlrev_b32_e32 v3, 2, v3
	s_waitcnt lgkmcnt(0)
	ds_bpermute_b32 v5, v3, v1
	ds_bpermute_b32 v3, v3, v2
	v_or_b32_e32 v4, 8, v4
	s_waitcnt lgkmcnt(1)
	v_add_co_u32_e32 v1, vcc, v1, v5
	v_addc_co_u32_e32 v2, vcc, 0, v2, vcc
	ds_bpermute_b32 v5, v4, v1
	v_add_co_u32_e32 v1, vcc, 0, v1
	s_waitcnt lgkmcnt(1)
	v_addc_co_u32_e32 v2, vcc, v3, v2, vcc
	ds_bpermute_b32 v3, v4, v2
	s_waitcnt lgkmcnt(1)
	v_add_co_u32_e32 v1, vcc, v1, v5
	v_addc_co_u32_e32 v2, vcc, 0, v2, vcc
	v_add_co_u32_e32 v1, vcc, 0, v1
	s_waitcnt lgkmcnt(0)
	v_addc_co_u32_e32 v2, vcc, v2, v3, vcc
.LBB1026_152:
	s_or_b64 exec, exec, s[10:11]
	s_branch .LBB1026_177
.LBB1026_153:
                                        ; implicit-def: $vgpr1_vgpr2
                                        ; implicit-def: $vgpr3_vgpr4
	s_cbranch_execnz .LBB1026_178
	s_branch .LBB1026_206
.LBB1026_154:
	s_branch .LBB1026_206
.LBB1026_155:
                                        ; implicit-def: $vgpr1_vgpr2
	s_cbranch_execz .LBB1026_177
; %bb.156:
	s_sub_i32 s10, s20, s8
	v_mov_b32_e32 v1, 0
	v_cmp_gt_u32_e32 vcc, s10, v0
	v_mov_b32_e32 v2, v1
	v_mov_b32_e32 v3, v1
	;; [unrolled: 1-line block ×3, first 2 shown]
	s_and_saveexec_b64 s[8:9], vcc
	s_cbranch_execz .LBB1026_158
; %bb.157:
	v_lshlrev_b32_e32 v2, 1, v0
	global_load_sshort v5, v2, s[0:1]
	global_load_sshort v6, v2, s[2:3]
	v_mov_b32_e32 v3, v1
	v_mov_b32_e32 v4, v1
	s_waitcnt vmcnt(1)
	v_mul_i32_i24_e32 v2, 0x6667, v5
	s_waitcnt vmcnt(0)
	v_mul_i32_i24_e32 v5, 0x6667, v6
	v_lshrrev_b32_e32 v6, 31, v2
	v_ashrrev_i32_e32 v2, 18, v2
	v_lshrrev_b32_e32 v7, 31, v5
	v_ashrrev_i32_e32 v5, 18, v5
	v_add_u16_e32 v2, v2, v6
	v_add_u16_e32 v5, v5, v7
	v_cmp_ne_u16_e32 vcc, v2, v5
	v_cndmask_b32_e64 v2, 0, 1, vcc
	v_and_b32_e32 v2, 0xffff, v2
	v_mov_b32_e32 v5, v1
	v_mov_b32_e32 v1, v2
	;; [unrolled: 1-line block ×5, first 2 shown]
.LBB1026_158:
	s_or_b64 exec, exec, s[8:9]
	v_or_b32_e32 v5, 0x100, v0
	v_cmp_gt_u32_e32 vcc, s10, v5
	s_and_saveexec_b64 s[8:9], vcc
	s_cbranch_execz .LBB1026_160
; %bb.159:
	v_lshlrev_b32_e32 v3, 1, v0
	global_load_sshort v4, v3, s[0:1] offset:512
	global_load_sshort v5, v3, s[2:3] offset:512
	s_mov_b32 s2, 0
	s_waitcnt vmcnt(1)
	v_mul_i32_i24_e32 v3, 0x6667, v4
	s_waitcnt vmcnt(0)
	v_mul_i32_i24_e32 v4, 0x6667, v5
	v_lshrrev_b32_e32 v5, 31, v3
	v_ashrrev_i32_e32 v3, 18, v3
	v_lshrrev_b32_e32 v6, 31, v4
	v_ashrrev_i32_e32 v4, 18, v4
	v_add_u16_e32 v3, v3, v5
	v_add_u16_e32 v4, v4, v6
	v_cmp_ne_u16_e64 s[0:1], v3, v4
	v_cndmask_b32_e64 v3, 0, 1, s[0:1]
	v_mov_b32_e32 v4, s2
.LBB1026_160:
	s_or_b64 exec, exec, s[8:9]
	v_cndmask_b32_e32 v3, 0, v3, vcc
	v_cndmask_b32_e32 v4, 0, v4, vcc
	v_add_co_u32_e32 v1, vcc, v3, v1
	v_mbcnt_lo_u32_b32 v3, -1, 0
	v_mbcnt_hi_u32_b32 v3, -1, v3
	v_addc_co_u32_e32 v2, vcc, v4, v2, vcc
	v_and_b32_e32 v4, 63, v3
	v_cmp_ne_u32_e32 vcc, 63, v4
	v_addc_co_u32_e32 v6, vcc, 0, v3, vcc
	v_lshlrev_b32_e32 v6, 2, v6
	ds_bpermute_b32 v8, v6, v1
	ds_bpermute_b32 v7, v6, v2
	s_min_u32 s2, s10, 0x100
	v_and_b32_e32 v5, 0xc0, v0
	v_sub_u32_e64 v5, s2, v5 clamp
	v_add_u32_e32 v6, 1, v4
	v_cmp_lt_u32_e32 vcc, v6, v5
	v_mov_b32_e32 v6, v1
	s_and_saveexec_b64 s[0:1], vcc
	s_cbranch_execz .LBB1026_162
; %bb.161:
	s_waitcnt lgkmcnt(1)
	v_add_co_u32_e32 v6, vcc, v1, v8
	v_addc_co_u32_e32 v2, vcc, 0, v2, vcc
	v_add_co_u32_e32 v1, vcc, 0, v6
	s_waitcnt lgkmcnt(0)
	v_addc_co_u32_e32 v2, vcc, v7, v2, vcc
.LBB1026_162:
	s_or_b64 exec, exec, s[0:1]
	v_cmp_gt_u32_e32 vcc, 62, v4
	s_waitcnt lgkmcnt(0)
	v_cndmask_b32_e64 v7, 0, 2, vcc
	v_add_lshl_u32 v7, v7, v3, 2
	ds_bpermute_b32 v8, v7, v6
	ds_bpermute_b32 v7, v7, v2
	v_add_u32_e32 v9, 2, v4
	v_cmp_lt_u32_e32 vcc, v9, v5
	s_and_saveexec_b64 s[0:1], vcc
	s_cbranch_execz .LBB1026_164
; %bb.163:
	s_waitcnt lgkmcnt(1)
	v_add_co_u32_e32 v6, vcc, v1, v8
	v_addc_co_u32_e32 v2, vcc, 0, v2, vcc
	v_add_co_u32_e32 v1, vcc, 0, v6
	s_waitcnt lgkmcnt(0)
	v_addc_co_u32_e32 v2, vcc, v7, v2, vcc
.LBB1026_164:
	s_or_b64 exec, exec, s[0:1]
	v_cmp_gt_u32_e32 vcc, 60, v4
	s_waitcnt lgkmcnt(0)
	v_cndmask_b32_e64 v7, 0, 4, vcc
	v_add_lshl_u32 v7, v7, v3, 2
	ds_bpermute_b32 v8, v7, v6
	ds_bpermute_b32 v7, v7, v2
	v_add_u32_e32 v9, 4, v4
	v_cmp_lt_u32_e32 vcc, v9, v5
	;; [unrolled: 19-line block ×4, first 2 shown]
	s_and_saveexec_b64 s[0:1], vcc
	s_cbranch_execz .LBB1026_170
; %bb.169:
	s_waitcnt lgkmcnt(1)
	v_add_co_u32_e32 v6, vcc, v1, v8
	v_addc_co_u32_e32 v2, vcc, 0, v2, vcc
	v_add_co_u32_e32 v1, vcc, 0, v6
	s_waitcnt lgkmcnt(0)
	v_addc_co_u32_e32 v2, vcc, v7, v2, vcc
.LBB1026_170:
	s_or_b64 exec, exec, s[0:1]
	s_waitcnt lgkmcnt(0)
	v_lshlrev_b32_e32 v7, 2, v3
	v_or_b32_e32 v8, 0x80, v7
	ds_bpermute_b32 v6, v8, v6
	ds_bpermute_b32 v8, v8, v2
	v_add_u32_e32 v4, 32, v4
	s_waitcnt lgkmcnt(1)
	v_add_co_u32_e32 v6, vcc, v1, v6
	v_addc_co_u32_e32 v9, vcc, 0, v2, vcc
	v_add_co_u32_e32 v6, vcc, 0, v6
	s_waitcnt lgkmcnt(0)
	v_addc_co_u32_e32 v8, vcc, v9, v8, vcc
	v_cmp_lt_u32_e32 vcc, v4, v5
	v_cndmask_b32_e32 v2, v2, v8, vcc
	v_cndmask_b32_e32 v1, v1, v6, vcc
	v_cmp_eq_u32_e32 vcc, 0, v3
	s_and_saveexec_b64 s[0:1], vcc
; %bb.171:
	v_lshrrev_b32_e32 v4, 3, v0
	v_and_b32_e32 v4, 24, v4
	ds_write_b64 v4, v[1:2] offset:160
; %bb.172:
	s_or_b64 exec, exec, s[0:1]
	v_cmp_gt_u32_e32 vcc, 4, v0
	s_waitcnt lgkmcnt(0)
	s_barrier
	s_and_saveexec_b64 s[0:1], vcc
	s_cbranch_execz .LBB1026_176
; %bb.173:
	v_lshlrev_b32_e32 v1, 3, v3
	ds_read_b64 v[1:2], v1 offset:160
	v_and_b32_e32 v4, 3, v3
	v_cmp_ne_u32_e32 vcc, 3, v4
	v_addc_co_u32_e32 v3, vcc, 0, v3, vcc
	v_lshlrev_b32_e32 v3, 2, v3
	s_waitcnt lgkmcnt(0)
	ds_bpermute_b32 v6, v3, v1
	ds_bpermute_b32 v5, v3, v2
	s_add_i32 s2, s2, 63
	s_lshr_b32 s8, s2, 6
	v_add_u32_e32 v3, 1, v4
	v_cmp_gt_u32_e32 vcc, s8, v3
	v_mov_b32_e32 v3, v1
	s_and_saveexec_b64 s[2:3], vcc
	s_cbranch_execz .LBB1026_175
; %bb.174:
	s_waitcnt lgkmcnt(1)
	v_add_co_u32_e32 v3, vcc, v1, v6
	v_addc_co_u32_e32 v2, vcc, 0, v2, vcc
	v_add_co_u32_e32 v1, vcc, 0, v3
	s_waitcnt lgkmcnt(0)
	v_addc_co_u32_e32 v2, vcc, v5, v2, vcc
.LBB1026_175:
	s_or_b64 exec, exec, s[2:3]
	s_waitcnt lgkmcnt(0)
	v_or_b32_e32 v5, 8, v7
	ds_bpermute_b32 v3, v5, v3
	ds_bpermute_b32 v5, v5, v2
	v_add_u32_e32 v4, 2, v4
	s_waitcnt lgkmcnt(1)
	v_add_co_u32_e32 v3, vcc, v1, v3
	v_addc_co_u32_e32 v6, vcc, 0, v2, vcc
	v_add_co_u32_e32 v3, vcc, 0, v3
	s_waitcnt lgkmcnt(0)
	v_addc_co_u32_e32 v5, vcc, v6, v5, vcc
	v_cmp_gt_u32_e32 vcc, s8, v4
	v_cndmask_b32_e32 v2, v2, v5, vcc
	v_cndmask_b32_e32 v1, v1, v3, vcc
.LBB1026_176:
	s_or_b64 exec, exec, s[0:1]
.LBB1026_177:
	v_mov_b32_e32 v3, s6
	v_cmp_eq_u32_e64 s[0:1], 0, v0
	v_mov_b32_e32 v4, s7
	s_branch .LBB1026_206
.LBB1026_178:
	s_cmp_eq_u32 s30, 1
                                        ; implicit-def: $vgpr1_vgpr2
                                        ; implicit-def: $vgpr3_vgpr4
	s_cbranch_scc0 .LBB1026_206
; %bb.179:
	s_mov_b32 s1, 0
	s_lshl_b32 s0, s6, 8
	s_mov_b32 s7, s1
	s_lshr_b64 s[2:3], s[20:21], 8
	s_cmp_lg_u64 s[2:3], s[6:7]
	v_mbcnt_lo_u32_b32 v3, -1, 0
	s_cbranch_scc0 .LBB1026_185
; %bb.180:
	s_lshl_b64 s[2:3], s[0:1], 1
	s_add_u32 s8, s24, s2
	s_addc_u32 s9, s25, s3
	v_lshlrev_b32_e32 v1, 1, v0
	s_add_u32 s2, s26, s2
	global_load_sshort v2, v1, s[8:9]
	s_addc_u32 s3, s27, s3
	global_load_sshort v1, v1, s[2:3]
	v_mov_b32_e32 v5, 0
	v_mbcnt_hi_u32_b32 v4, -1, v3
	s_waitcnt vmcnt(1)
	v_mul_i32_i24_e32 v2, 0x6667, v2
	v_lshrrev_b32_e32 v8, 31, v2
	v_ashrrev_i32_e32 v2, 18, v2
	s_waitcnt vmcnt(0)
	v_mul_i32_i24_e32 v1, 0x6667, v1
	v_add_u16_e32 v2, v2, v8
	v_lshrrev_b32_e32 v8, 31, v1
	v_ashrrev_i32_e32 v1, 18, v1
	v_add_u16_e32 v1, v1, v8
	v_cmp_ne_u16_e32 vcc, v2, v1
	v_cndmask_b32_e64 v1, 0, 1, vcc
	v_mov_b32_dpp v6, v5 quad_perm:[1,0,3,2] row_mask:0xf bank_mask:0xf bound_ctrl:1
	v_lshlrev_b32_e32 v5, 2, v4
	v_mov_b32_dpp v2, v1 quad_perm:[1,0,3,2] row_mask:0xf bank_mask:0xf bound_ctrl:1
	v_add_co_u32_e32 v1, vcc, v2, v1
	v_addc_co_u32_e64 v2, s[2:3], 0, 0, vcc
	v_add_co_u32_e32 v8, vcc, 0, v1
	v_addc_co_u32_e32 v2, vcc, v6, v2, vcc
	v_mov_b32_dpp v1, v1 quad_perm:[2,3,0,1] row_mask:0xf bank_mask:0xf bound_ctrl:1
	v_add_co_u32_e32 v1, vcc, v8, v1
	v_mov_b32_dpp v6, v2 quad_perm:[2,3,0,1] row_mask:0xf bank_mask:0xf bound_ctrl:1
	v_addc_co_u32_e32 v2, vcc, 0, v2, vcc
	v_add_co_u32_e32 v8, vcc, 0, v1
	v_addc_co_u32_e32 v2, vcc, v2, v6, vcc
	v_mov_b32_dpp v1, v1 row_ror:4 row_mask:0xf bank_mask:0xf bound_ctrl:1
	v_add_co_u32_e32 v1, vcc, v8, v1
	v_mov_b32_dpp v6, v2 row_ror:4 row_mask:0xf bank_mask:0xf bound_ctrl:1
	v_addc_co_u32_e32 v2, vcc, 0, v2, vcc
	v_add_co_u32_e32 v8, vcc, 0, v1
	v_addc_co_u32_e32 v2, vcc, v2, v6, vcc
	v_mov_b32_dpp v1, v1 row_ror:8 row_mask:0xf bank_mask:0xf bound_ctrl:1
	v_add_co_u32_e32 v1, vcc, v8, v1
	v_mov_b32_dpp v6, v2 row_ror:8 row_mask:0xf bank_mask:0xf bound_ctrl:1
	v_addc_co_u32_e32 v2, vcc, 0, v2, vcc
	v_add_co_u32_e32 v8, vcc, 0, v1
	v_addc_co_u32_e32 v2, vcc, v2, v6, vcc
	v_mov_b32_dpp v1, v1 row_bcast:15 row_mask:0xf bank_mask:0xf bound_ctrl:1
	v_add_co_u32_e32 v1, vcc, v8, v1
	v_mov_b32_dpp v6, v2 row_bcast:15 row_mask:0xf bank_mask:0xf bound_ctrl:1
	v_addc_co_u32_e32 v2, vcc, 0, v2, vcc
	v_add_co_u32_e32 v8, vcc, 0, v1
	v_addc_co_u32_e32 v2, vcc, v2, v6, vcc
	v_mov_b32_dpp v1, v1 row_bcast:31 row_mask:0xf bank_mask:0xf bound_ctrl:1
	v_add_co_u32_e32 v1, vcc, v8, v1
	v_addc_co_u32_e32 v6, vcc, 0, v2, vcc
	v_or_b32_e32 v7, 0xfc, v5
	s_nop 0
	v_add_u32_dpp v2, v2, v6 row_bcast:31 row_mask:0xf bank_mask:0xf bound_ctrl:1
	ds_bpermute_b32 v1, v7, v1
	ds_bpermute_b32 v2, v7, v2
	v_cmp_eq_u32_e32 vcc, 0, v4
	s_and_saveexec_b64 s[2:3], vcc
	s_cbranch_execz .LBB1026_182
; %bb.181:
	v_lshrrev_b32_e32 v6, 3, v0
	v_and_b32_e32 v6, 24, v6
	s_waitcnt lgkmcnt(0)
	ds_write_b64 v6, v[1:2] offset:32
.LBB1026_182:
	s_or_b64 exec, exec, s[2:3]
	v_cmp_gt_u32_e32 vcc, 64, v0
	s_waitcnt lgkmcnt(0)
	s_barrier
	s_and_saveexec_b64 s[2:3], vcc
	s_cbranch_execz .LBB1026_184
; %bb.183:
	v_and_b32_e32 v6, 3, v4
	v_lshlrev_b32_e32 v1, 3, v6
	ds_read_b64 v[1:2], v1 offset:32
	v_cmp_ne_u32_e32 vcc, 3, v6
	v_addc_co_u32_e32 v4, vcc, 0, v4, vcc
	v_lshlrev_b32_e32 v4, 2, v4
	s_waitcnt lgkmcnt(0)
	ds_bpermute_b32 v6, v4, v1
	ds_bpermute_b32 v4, v4, v2
	v_or_b32_e32 v5, 8, v5
	s_waitcnt lgkmcnt(1)
	v_add_co_u32_e32 v1, vcc, v1, v6
	v_addc_co_u32_e32 v2, vcc, 0, v2, vcc
	ds_bpermute_b32 v6, v5, v1
	v_add_co_u32_e32 v1, vcc, 0, v1
	s_waitcnt lgkmcnt(1)
	v_addc_co_u32_e32 v2, vcc, v4, v2, vcc
	ds_bpermute_b32 v4, v5, v2
	s_waitcnt lgkmcnt(1)
	v_add_co_u32_e32 v1, vcc, v1, v6
	v_addc_co_u32_e32 v2, vcc, 0, v2, vcc
	v_add_co_u32_e32 v1, vcc, 0, v1
	s_waitcnt lgkmcnt(0)
	v_addc_co_u32_e32 v2, vcc, v2, v4, vcc
.LBB1026_184:
	s_or_b64 exec, exec, s[2:3]
	s_branch .LBB1026_205
.LBB1026_185:
                                        ; implicit-def: $vgpr1_vgpr2
	s_cbranch_execz .LBB1026_205
; %bb.186:
	s_sub_i32 s8, s20, s0
	v_cmp_gt_u32_e32 vcc, s8, v0
                                        ; implicit-def: $vgpr1_vgpr2
	s_and_saveexec_b64 s[2:3], vcc
	s_cbranch_execz .LBB1026_188
; %bb.187:
	s_lshl_b64 s[0:1], s[0:1], 1
	s_add_u32 s10, s26, s0
	s_addc_u32 s11, s27, s1
	s_add_u32 s0, s24, s0
	s_addc_u32 s1, s25, s1
	v_lshlrev_b32_e32 v1, 1, v0
	global_load_sshort v2, v1, s[0:1]
	global_load_sshort v4, v1, s[10:11]
	s_mov_b32 s0, 0
	s_waitcnt vmcnt(1)
	v_mul_i32_i24_e32 v1, 0x6667, v2
	s_waitcnt vmcnt(0)
	v_mul_i32_i24_e32 v2, 0x6667, v4
	v_lshrrev_b32_e32 v4, 31, v1
	v_ashrrev_i32_e32 v1, 18, v1
	v_lshrrev_b32_e32 v5, 31, v2
	v_ashrrev_i32_e32 v2, 18, v2
	v_add_u16_e32 v1, v1, v4
	v_add_u16_e32 v2, v2, v5
	v_cmp_ne_u16_e32 vcc, v1, v2
	v_cndmask_b32_e64 v1, 0, 1, vcc
	v_mov_b32_e32 v2, s0
.LBB1026_188:
	s_or_b64 exec, exec, s[2:3]
	v_mbcnt_hi_u32_b32 v3, -1, v3
	v_and_b32_e32 v4, 63, v3
	v_cmp_ne_u32_e32 vcc, 63, v4
	v_addc_co_u32_e32 v6, vcc, 0, v3, vcc
	v_lshlrev_b32_e32 v6, 2, v6
	ds_bpermute_b32 v8, v6, v1
	ds_bpermute_b32 v7, v6, v2
	s_min_u32 s2, s8, 0x100
	v_and_b32_e32 v5, 0xc0, v0
	v_sub_u32_e64 v5, s2, v5 clamp
	v_add_u32_e32 v6, 1, v4
	v_cmp_lt_u32_e32 vcc, v6, v5
	v_mov_b32_e32 v6, v1
	s_and_saveexec_b64 s[0:1], vcc
	s_cbranch_execz .LBB1026_190
; %bb.189:
	s_waitcnt lgkmcnt(1)
	v_add_co_u32_e32 v6, vcc, v1, v8
	v_addc_co_u32_e32 v2, vcc, 0, v2, vcc
	v_add_co_u32_e32 v1, vcc, 0, v6
	s_waitcnt lgkmcnt(0)
	v_addc_co_u32_e32 v2, vcc, v7, v2, vcc
.LBB1026_190:
	s_or_b64 exec, exec, s[0:1]
	v_cmp_gt_u32_e32 vcc, 62, v4
	s_waitcnt lgkmcnt(0)
	v_cndmask_b32_e64 v7, 0, 2, vcc
	v_add_lshl_u32 v7, v7, v3, 2
	ds_bpermute_b32 v8, v7, v6
	ds_bpermute_b32 v7, v7, v2
	v_add_u32_e32 v9, 2, v4
	v_cmp_lt_u32_e32 vcc, v9, v5
	s_and_saveexec_b64 s[0:1], vcc
	s_cbranch_execz .LBB1026_192
; %bb.191:
	s_waitcnt lgkmcnt(1)
	v_add_co_u32_e32 v6, vcc, v1, v8
	v_addc_co_u32_e32 v2, vcc, 0, v2, vcc
	v_add_co_u32_e32 v1, vcc, 0, v6
	s_waitcnt lgkmcnt(0)
	v_addc_co_u32_e32 v2, vcc, v7, v2, vcc
.LBB1026_192:
	s_or_b64 exec, exec, s[0:1]
	v_cmp_gt_u32_e32 vcc, 60, v4
	s_waitcnt lgkmcnt(0)
	v_cndmask_b32_e64 v7, 0, 4, vcc
	v_add_lshl_u32 v7, v7, v3, 2
	ds_bpermute_b32 v8, v7, v6
	ds_bpermute_b32 v7, v7, v2
	v_add_u32_e32 v9, 4, v4
	v_cmp_lt_u32_e32 vcc, v9, v5
	;; [unrolled: 19-line block ×4, first 2 shown]
	s_and_saveexec_b64 s[0:1], vcc
	s_cbranch_execz .LBB1026_198
; %bb.197:
	s_waitcnt lgkmcnt(1)
	v_add_co_u32_e32 v6, vcc, v1, v8
	v_addc_co_u32_e32 v2, vcc, 0, v2, vcc
	v_add_co_u32_e32 v1, vcc, 0, v6
	s_waitcnt lgkmcnt(0)
	v_addc_co_u32_e32 v2, vcc, v7, v2, vcc
.LBB1026_198:
	s_or_b64 exec, exec, s[0:1]
	s_waitcnt lgkmcnt(0)
	v_lshlrev_b32_e32 v7, 2, v3
	v_or_b32_e32 v8, 0x80, v7
	ds_bpermute_b32 v6, v8, v6
	ds_bpermute_b32 v8, v8, v2
	v_add_u32_e32 v4, 32, v4
	s_waitcnt lgkmcnt(1)
	v_add_co_u32_e32 v6, vcc, v1, v6
	v_addc_co_u32_e32 v9, vcc, 0, v2, vcc
	v_add_co_u32_e32 v6, vcc, 0, v6
	s_waitcnt lgkmcnt(0)
	v_addc_co_u32_e32 v8, vcc, v9, v8, vcc
	v_cmp_lt_u32_e32 vcc, v4, v5
	v_cndmask_b32_e32 v2, v2, v8, vcc
	v_cndmask_b32_e32 v1, v1, v6, vcc
	v_cmp_eq_u32_e32 vcc, 0, v3
	s_and_saveexec_b64 s[0:1], vcc
; %bb.199:
	v_lshrrev_b32_e32 v4, 3, v0
	v_and_b32_e32 v4, 24, v4
	ds_write_b64 v4, v[1:2] offset:160
; %bb.200:
	s_or_b64 exec, exec, s[0:1]
	v_cmp_gt_u32_e32 vcc, 4, v0
	s_waitcnt lgkmcnt(0)
	s_barrier
	s_and_saveexec_b64 s[0:1], vcc
	s_cbranch_execz .LBB1026_204
; %bb.201:
	v_lshlrev_b32_e32 v1, 3, v3
	ds_read_b64 v[1:2], v1 offset:160
	v_and_b32_e32 v4, 3, v3
	v_cmp_ne_u32_e32 vcc, 3, v4
	v_addc_co_u32_e32 v3, vcc, 0, v3, vcc
	v_lshlrev_b32_e32 v3, 2, v3
	s_waitcnt lgkmcnt(0)
	ds_bpermute_b32 v6, v3, v1
	ds_bpermute_b32 v5, v3, v2
	s_add_i32 s2, s2, 63
	s_lshr_b32 s8, s2, 6
	v_add_u32_e32 v3, 1, v4
	v_cmp_gt_u32_e32 vcc, s8, v3
	v_mov_b32_e32 v3, v1
	s_and_saveexec_b64 s[2:3], vcc
	s_cbranch_execz .LBB1026_203
; %bb.202:
	s_waitcnt lgkmcnt(1)
	v_add_co_u32_e32 v3, vcc, v1, v6
	v_addc_co_u32_e32 v2, vcc, 0, v2, vcc
	v_add_co_u32_e32 v1, vcc, 0, v3
	s_waitcnt lgkmcnt(0)
	v_addc_co_u32_e32 v2, vcc, v5, v2, vcc
.LBB1026_203:
	s_or_b64 exec, exec, s[2:3]
	s_waitcnt lgkmcnt(0)
	v_or_b32_e32 v5, 8, v7
	ds_bpermute_b32 v3, v5, v3
	ds_bpermute_b32 v5, v5, v2
	v_add_u32_e32 v4, 2, v4
	s_waitcnt lgkmcnt(1)
	v_add_co_u32_e32 v3, vcc, v1, v3
	v_addc_co_u32_e32 v6, vcc, 0, v2, vcc
	v_add_co_u32_e32 v3, vcc, 0, v3
	s_waitcnt lgkmcnt(0)
	v_addc_co_u32_e32 v5, vcc, v6, v5, vcc
	v_cmp_gt_u32_e32 vcc, s8, v4
	v_cndmask_b32_e32 v2, v2, v5, vcc
	v_cndmask_b32_e32 v1, v1, v3, vcc
.LBB1026_204:
	s_or_b64 exec, exec, s[0:1]
.LBB1026_205:
	v_mov_b32_e32 v3, s6
	v_cmp_eq_u32_e64 s[0:1], 0, v0
	v_mov_b32_e32 v4, s7
.LBB1026_206:
	s_and_saveexec_b64 s[2:3], s[0:1]
	s_cbranch_execz .LBB1026_208
; %bb.207:
	v_lshlrev_b64 v[3:4], 3, v[3:4]
	s_load_dwordx2 s[0:1], s[4:5], 0x30
	v_mov_b32_e32 v0, s23
	v_add_co_u32_e32 v3, vcc, s22, v3
	v_addc_co_u32_e32 v4, vcc, v0, v4, vcc
	s_cmp_lg_u64 s[20:21], 0
	s_cselect_b64 vcc, -1, 0
	v_cndmask_b32_e32 v0, 0, v1, vcc
	v_cndmask_b32_e32 v2, 0, v2, vcc
	s_waitcnt lgkmcnt(0)
	v_mov_b32_e32 v1, s1
	v_add_co_u32_e32 v0, vcc, s0, v0
	v_addc_co_u32_e32 v1, vcc, v2, v1, vcc
	global_store_dwordx2 v[3:4], v[0:1], off
.LBB1026_208:
	s_endpgm
	.section	.rodata,"a",@progbits
	.p2align	6, 0x0
	.amdhsa_kernel _ZN7rocprim17ROCPRIM_400000_NS6detail17trampoline_kernelINS0_14default_configENS1_22reduce_config_selectorIlEEZNS1_11reduce_implILb1ES3_N6thrust23THRUST_200600_302600_NS11hip_rocprim26transform_input_iterator_tIlNS8_12zip_iteratorINS8_5tupleINS8_6detail15normal_iteratorINS8_10device_ptrIsEEEESH_NS8_9null_typeESI_SI_SI_SI_SI_SI_SI_EEEENS9_21zip_adj_not_predicateI22is_equal_div_10_uniqueIsEEEEEPllNS8_4plusIlEEEE10hipError_tPvRmT1_T2_T3_mT4_P12ihipStream_tbEUlT_E1_NS1_11comp_targetILNS1_3genE2ELNS1_11target_archE906ELNS1_3gpuE6ELNS1_3repE0EEENS1_30default_config_static_selectorELNS0_4arch9wavefront6targetE1EEEvSW_
		.amdhsa_group_segment_fixed_size 192
		.amdhsa_private_segment_fixed_size 0
		.amdhsa_kernarg_size 64
		.amdhsa_user_sgpr_count 6
		.amdhsa_user_sgpr_private_segment_buffer 1
		.amdhsa_user_sgpr_dispatch_ptr 0
		.amdhsa_user_sgpr_queue_ptr 0
		.amdhsa_user_sgpr_kernarg_segment_ptr 1
		.amdhsa_user_sgpr_dispatch_id 0
		.amdhsa_user_sgpr_flat_scratch_init 0
		.amdhsa_user_sgpr_private_segment_size 0
		.amdhsa_uses_dynamic_stack 0
		.amdhsa_system_sgpr_private_segment_wavefront_offset 0
		.amdhsa_system_sgpr_workgroup_id_x 1
		.amdhsa_system_sgpr_workgroup_id_y 0
		.amdhsa_system_sgpr_workgroup_id_z 0
		.amdhsa_system_sgpr_workgroup_info 0
		.amdhsa_system_vgpr_workitem_id 0
		.amdhsa_next_free_vgpr 35
		.amdhsa_next_free_sgpr 34
		.amdhsa_reserve_vcc 1
		.amdhsa_reserve_flat_scratch 0
		.amdhsa_float_round_mode_32 0
		.amdhsa_float_round_mode_16_64 0
		.amdhsa_float_denorm_mode_32 3
		.amdhsa_float_denorm_mode_16_64 3
		.amdhsa_dx10_clamp 1
		.amdhsa_ieee_mode 1
		.amdhsa_fp16_overflow 0
		.amdhsa_exception_fp_ieee_invalid_op 0
		.amdhsa_exception_fp_denorm_src 0
		.amdhsa_exception_fp_ieee_div_zero 0
		.amdhsa_exception_fp_ieee_overflow 0
		.amdhsa_exception_fp_ieee_underflow 0
		.amdhsa_exception_fp_ieee_inexact 0
		.amdhsa_exception_int_div_zero 0
	.end_amdhsa_kernel
	.section	.text._ZN7rocprim17ROCPRIM_400000_NS6detail17trampoline_kernelINS0_14default_configENS1_22reduce_config_selectorIlEEZNS1_11reduce_implILb1ES3_N6thrust23THRUST_200600_302600_NS11hip_rocprim26transform_input_iterator_tIlNS8_12zip_iteratorINS8_5tupleINS8_6detail15normal_iteratorINS8_10device_ptrIsEEEESH_NS8_9null_typeESI_SI_SI_SI_SI_SI_SI_EEEENS9_21zip_adj_not_predicateI22is_equal_div_10_uniqueIsEEEEEPllNS8_4plusIlEEEE10hipError_tPvRmT1_T2_T3_mT4_P12ihipStream_tbEUlT_E1_NS1_11comp_targetILNS1_3genE2ELNS1_11target_archE906ELNS1_3gpuE6ELNS1_3repE0EEENS1_30default_config_static_selectorELNS0_4arch9wavefront6targetE1EEEvSW_,"axG",@progbits,_ZN7rocprim17ROCPRIM_400000_NS6detail17trampoline_kernelINS0_14default_configENS1_22reduce_config_selectorIlEEZNS1_11reduce_implILb1ES3_N6thrust23THRUST_200600_302600_NS11hip_rocprim26transform_input_iterator_tIlNS8_12zip_iteratorINS8_5tupleINS8_6detail15normal_iteratorINS8_10device_ptrIsEEEESH_NS8_9null_typeESI_SI_SI_SI_SI_SI_SI_EEEENS9_21zip_adj_not_predicateI22is_equal_div_10_uniqueIsEEEEEPllNS8_4plusIlEEEE10hipError_tPvRmT1_T2_T3_mT4_P12ihipStream_tbEUlT_E1_NS1_11comp_targetILNS1_3genE2ELNS1_11target_archE906ELNS1_3gpuE6ELNS1_3repE0EEENS1_30default_config_static_selectorELNS0_4arch9wavefront6targetE1EEEvSW_,comdat
.Lfunc_end1026:
	.size	_ZN7rocprim17ROCPRIM_400000_NS6detail17trampoline_kernelINS0_14default_configENS1_22reduce_config_selectorIlEEZNS1_11reduce_implILb1ES3_N6thrust23THRUST_200600_302600_NS11hip_rocprim26transform_input_iterator_tIlNS8_12zip_iteratorINS8_5tupleINS8_6detail15normal_iteratorINS8_10device_ptrIsEEEESH_NS8_9null_typeESI_SI_SI_SI_SI_SI_SI_EEEENS9_21zip_adj_not_predicateI22is_equal_div_10_uniqueIsEEEEEPllNS8_4plusIlEEEE10hipError_tPvRmT1_T2_T3_mT4_P12ihipStream_tbEUlT_E1_NS1_11comp_targetILNS1_3genE2ELNS1_11target_archE906ELNS1_3gpuE6ELNS1_3repE0EEENS1_30default_config_static_selectorELNS0_4arch9wavefront6targetE1EEEvSW_, .Lfunc_end1026-_ZN7rocprim17ROCPRIM_400000_NS6detail17trampoline_kernelINS0_14default_configENS1_22reduce_config_selectorIlEEZNS1_11reduce_implILb1ES3_N6thrust23THRUST_200600_302600_NS11hip_rocprim26transform_input_iterator_tIlNS8_12zip_iteratorINS8_5tupleINS8_6detail15normal_iteratorINS8_10device_ptrIsEEEESH_NS8_9null_typeESI_SI_SI_SI_SI_SI_SI_EEEENS9_21zip_adj_not_predicateI22is_equal_div_10_uniqueIsEEEEEPllNS8_4plusIlEEEE10hipError_tPvRmT1_T2_T3_mT4_P12ihipStream_tbEUlT_E1_NS1_11comp_targetILNS1_3genE2ELNS1_11target_archE906ELNS1_3gpuE6ELNS1_3repE0EEENS1_30default_config_static_selectorELNS0_4arch9wavefront6targetE1EEEvSW_
                                        ; -- End function
	.set _ZN7rocprim17ROCPRIM_400000_NS6detail17trampoline_kernelINS0_14default_configENS1_22reduce_config_selectorIlEEZNS1_11reduce_implILb1ES3_N6thrust23THRUST_200600_302600_NS11hip_rocprim26transform_input_iterator_tIlNS8_12zip_iteratorINS8_5tupleINS8_6detail15normal_iteratorINS8_10device_ptrIsEEEESH_NS8_9null_typeESI_SI_SI_SI_SI_SI_SI_EEEENS9_21zip_adj_not_predicateI22is_equal_div_10_uniqueIsEEEEEPllNS8_4plusIlEEEE10hipError_tPvRmT1_T2_T3_mT4_P12ihipStream_tbEUlT_E1_NS1_11comp_targetILNS1_3genE2ELNS1_11target_archE906ELNS1_3gpuE6ELNS1_3repE0EEENS1_30default_config_static_selectorELNS0_4arch9wavefront6targetE1EEEvSW_.num_vgpr, 35
	.set _ZN7rocprim17ROCPRIM_400000_NS6detail17trampoline_kernelINS0_14default_configENS1_22reduce_config_selectorIlEEZNS1_11reduce_implILb1ES3_N6thrust23THRUST_200600_302600_NS11hip_rocprim26transform_input_iterator_tIlNS8_12zip_iteratorINS8_5tupleINS8_6detail15normal_iteratorINS8_10device_ptrIsEEEESH_NS8_9null_typeESI_SI_SI_SI_SI_SI_SI_EEEENS9_21zip_adj_not_predicateI22is_equal_div_10_uniqueIsEEEEEPllNS8_4plusIlEEEE10hipError_tPvRmT1_T2_T3_mT4_P12ihipStream_tbEUlT_E1_NS1_11comp_targetILNS1_3genE2ELNS1_11target_archE906ELNS1_3gpuE6ELNS1_3repE0EEENS1_30default_config_static_selectorELNS0_4arch9wavefront6targetE1EEEvSW_.num_agpr, 0
	.set _ZN7rocprim17ROCPRIM_400000_NS6detail17trampoline_kernelINS0_14default_configENS1_22reduce_config_selectorIlEEZNS1_11reduce_implILb1ES3_N6thrust23THRUST_200600_302600_NS11hip_rocprim26transform_input_iterator_tIlNS8_12zip_iteratorINS8_5tupleINS8_6detail15normal_iteratorINS8_10device_ptrIsEEEESH_NS8_9null_typeESI_SI_SI_SI_SI_SI_SI_EEEENS9_21zip_adj_not_predicateI22is_equal_div_10_uniqueIsEEEEEPllNS8_4plusIlEEEE10hipError_tPvRmT1_T2_T3_mT4_P12ihipStream_tbEUlT_E1_NS1_11comp_targetILNS1_3genE2ELNS1_11target_archE906ELNS1_3gpuE6ELNS1_3repE0EEENS1_30default_config_static_selectorELNS0_4arch9wavefront6targetE1EEEvSW_.numbered_sgpr, 34
	.set _ZN7rocprim17ROCPRIM_400000_NS6detail17trampoline_kernelINS0_14default_configENS1_22reduce_config_selectorIlEEZNS1_11reduce_implILb1ES3_N6thrust23THRUST_200600_302600_NS11hip_rocprim26transform_input_iterator_tIlNS8_12zip_iteratorINS8_5tupleINS8_6detail15normal_iteratorINS8_10device_ptrIsEEEESH_NS8_9null_typeESI_SI_SI_SI_SI_SI_SI_EEEENS9_21zip_adj_not_predicateI22is_equal_div_10_uniqueIsEEEEEPllNS8_4plusIlEEEE10hipError_tPvRmT1_T2_T3_mT4_P12ihipStream_tbEUlT_E1_NS1_11comp_targetILNS1_3genE2ELNS1_11target_archE906ELNS1_3gpuE6ELNS1_3repE0EEENS1_30default_config_static_selectorELNS0_4arch9wavefront6targetE1EEEvSW_.num_named_barrier, 0
	.set _ZN7rocprim17ROCPRIM_400000_NS6detail17trampoline_kernelINS0_14default_configENS1_22reduce_config_selectorIlEEZNS1_11reduce_implILb1ES3_N6thrust23THRUST_200600_302600_NS11hip_rocprim26transform_input_iterator_tIlNS8_12zip_iteratorINS8_5tupleINS8_6detail15normal_iteratorINS8_10device_ptrIsEEEESH_NS8_9null_typeESI_SI_SI_SI_SI_SI_SI_EEEENS9_21zip_adj_not_predicateI22is_equal_div_10_uniqueIsEEEEEPllNS8_4plusIlEEEE10hipError_tPvRmT1_T2_T3_mT4_P12ihipStream_tbEUlT_E1_NS1_11comp_targetILNS1_3genE2ELNS1_11target_archE906ELNS1_3gpuE6ELNS1_3repE0EEENS1_30default_config_static_selectorELNS0_4arch9wavefront6targetE1EEEvSW_.private_seg_size, 0
	.set _ZN7rocprim17ROCPRIM_400000_NS6detail17trampoline_kernelINS0_14default_configENS1_22reduce_config_selectorIlEEZNS1_11reduce_implILb1ES3_N6thrust23THRUST_200600_302600_NS11hip_rocprim26transform_input_iterator_tIlNS8_12zip_iteratorINS8_5tupleINS8_6detail15normal_iteratorINS8_10device_ptrIsEEEESH_NS8_9null_typeESI_SI_SI_SI_SI_SI_SI_EEEENS9_21zip_adj_not_predicateI22is_equal_div_10_uniqueIsEEEEEPllNS8_4plusIlEEEE10hipError_tPvRmT1_T2_T3_mT4_P12ihipStream_tbEUlT_E1_NS1_11comp_targetILNS1_3genE2ELNS1_11target_archE906ELNS1_3gpuE6ELNS1_3repE0EEENS1_30default_config_static_selectorELNS0_4arch9wavefront6targetE1EEEvSW_.uses_vcc, 1
	.set _ZN7rocprim17ROCPRIM_400000_NS6detail17trampoline_kernelINS0_14default_configENS1_22reduce_config_selectorIlEEZNS1_11reduce_implILb1ES3_N6thrust23THRUST_200600_302600_NS11hip_rocprim26transform_input_iterator_tIlNS8_12zip_iteratorINS8_5tupleINS8_6detail15normal_iteratorINS8_10device_ptrIsEEEESH_NS8_9null_typeESI_SI_SI_SI_SI_SI_SI_EEEENS9_21zip_adj_not_predicateI22is_equal_div_10_uniqueIsEEEEEPllNS8_4plusIlEEEE10hipError_tPvRmT1_T2_T3_mT4_P12ihipStream_tbEUlT_E1_NS1_11comp_targetILNS1_3genE2ELNS1_11target_archE906ELNS1_3gpuE6ELNS1_3repE0EEENS1_30default_config_static_selectorELNS0_4arch9wavefront6targetE1EEEvSW_.uses_flat_scratch, 0
	.set _ZN7rocprim17ROCPRIM_400000_NS6detail17trampoline_kernelINS0_14default_configENS1_22reduce_config_selectorIlEEZNS1_11reduce_implILb1ES3_N6thrust23THRUST_200600_302600_NS11hip_rocprim26transform_input_iterator_tIlNS8_12zip_iteratorINS8_5tupleINS8_6detail15normal_iteratorINS8_10device_ptrIsEEEESH_NS8_9null_typeESI_SI_SI_SI_SI_SI_SI_EEEENS9_21zip_adj_not_predicateI22is_equal_div_10_uniqueIsEEEEEPllNS8_4plusIlEEEE10hipError_tPvRmT1_T2_T3_mT4_P12ihipStream_tbEUlT_E1_NS1_11comp_targetILNS1_3genE2ELNS1_11target_archE906ELNS1_3gpuE6ELNS1_3repE0EEENS1_30default_config_static_selectorELNS0_4arch9wavefront6targetE1EEEvSW_.has_dyn_sized_stack, 0
	.set _ZN7rocprim17ROCPRIM_400000_NS6detail17trampoline_kernelINS0_14default_configENS1_22reduce_config_selectorIlEEZNS1_11reduce_implILb1ES3_N6thrust23THRUST_200600_302600_NS11hip_rocprim26transform_input_iterator_tIlNS8_12zip_iteratorINS8_5tupleINS8_6detail15normal_iteratorINS8_10device_ptrIsEEEESH_NS8_9null_typeESI_SI_SI_SI_SI_SI_SI_EEEENS9_21zip_adj_not_predicateI22is_equal_div_10_uniqueIsEEEEEPllNS8_4plusIlEEEE10hipError_tPvRmT1_T2_T3_mT4_P12ihipStream_tbEUlT_E1_NS1_11comp_targetILNS1_3genE2ELNS1_11target_archE906ELNS1_3gpuE6ELNS1_3repE0EEENS1_30default_config_static_selectorELNS0_4arch9wavefront6targetE1EEEvSW_.has_recursion, 0
	.set _ZN7rocprim17ROCPRIM_400000_NS6detail17trampoline_kernelINS0_14default_configENS1_22reduce_config_selectorIlEEZNS1_11reduce_implILb1ES3_N6thrust23THRUST_200600_302600_NS11hip_rocprim26transform_input_iterator_tIlNS8_12zip_iteratorINS8_5tupleINS8_6detail15normal_iteratorINS8_10device_ptrIsEEEESH_NS8_9null_typeESI_SI_SI_SI_SI_SI_SI_EEEENS9_21zip_adj_not_predicateI22is_equal_div_10_uniqueIsEEEEEPllNS8_4plusIlEEEE10hipError_tPvRmT1_T2_T3_mT4_P12ihipStream_tbEUlT_E1_NS1_11comp_targetILNS1_3genE2ELNS1_11target_archE906ELNS1_3gpuE6ELNS1_3repE0EEENS1_30default_config_static_selectorELNS0_4arch9wavefront6targetE1EEEvSW_.has_indirect_call, 0
	.section	.AMDGPU.csdata,"",@progbits
; Kernel info:
; codeLenInByte = 13276
; TotalNumSgprs: 38
; NumVgprs: 35
; ScratchSize: 0
; MemoryBound: 0
; FloatMode: 240
; IeeeMode: 1
; LDSByteSize: 192 bytes/workgroup (compile time only)
; SGPRBlocks: 4
; VGPRBlocks: 8
; NumSGPRsForWavesPerEU: 38
; NumVGPRsForWavesPerEU: 35
; Occupancy: 7
; WaveLimiterHint : 0
; COMPUTE_PGM_RSRC2:SCRATCH_EN: 0
; COMPUTE_PGM_RSRC2:USER_SGPR: 6
; COMPUTE_PGM_RSRC2:TRAP_HANDLER: 0
; COMPUTE_PGM_RSRC2:TGID_X_EN: 1
; COMPUTE_PGM_RSRC2:TGID_Y_EN: 0
; COMPUTE_PGM_RSRC2:TGID_Z_EN: 0
; COMPUTE_PGM_RSRC2:TIDIG_COMP_CNT: 0
	.section	.text._ZN7rocprim17ROCPRIM_400000_NS6detail17trampoline_kernelINS0_14default_configENS1_22reduce_config_selectorIlEEZNS1_11reduce_implILb1ES3_N6thrust23THRUST_200600_302600_NS11hip_rocprim26transform_input_iterator_tIlNS8_12zip_iteratorINS8_5tupleINS8_6detail15normal_iteratorINS8_10device_ptrIsEEEESH_NS8_9null_typeESI_SI_SI_SI_SI_SI_SI_EEEENS9_21zip_adj_not_predicateI22is_equal_div_10_uniqueIsEEEEEPllNS8_4plusIlEEEE10hipError_tPvRmT1_T2_T3_mT4_P12ihipStream_tbEUlT_E1_NS1_11comp_targetILNS1_3genE10ELNS1_11target_archE1201ELNS1_3gpuE5ELNS1_3repE0EEENS1_30default_config_static_selectorELNS0_4arch9wavefront6targetE1EEEvSW_,"axG",@progbits,_ZN7rocprim17ROCPRIM_400000_NS6detail17trampoline_kernelINS0_14default_configENS1_22reduce_config_selectorIlEEZNS1_11reduce_implILb1ES3_N6thrust23THRUST_200600_302600_NS11hip_rocprim26transform_input_iterator_tIlNS8_12zip_iteratorINS8_5tupleINS8_6detail15normal_iteratorINS8_10device_ptrIsEEEESH_NS8_9null_typeESI_SI_SI_SI_SI_SI_SI_EEEENS9_21zip_adj_not_predicateI22is_equal_div_10_uniqueIsEEEEEPllNS8_4plusIlEEEE10hipError_tPvRmT1_T2_T3_mT4_P12ihipStream_tbEUlT_E1_NS1_11comp_targetILNS1_3genE10ELNS1_11target_archE1201ELNS1_3gpuE5ELNS1_3repE0EEENS1_30default_config_static_selectorELNS0_4arch9wavefront6targetE1EEEvSW_,comdat
	.protected	_ZN7rocprim17ROCPRIM_400000_NS6detail17trampoline_kernelINS0_14default_configENS1_22reduce_config_selectorIlEEZNS1_11reduce_implILb1ES3_N6thrust23THRUST_200600_302600_NS11hip_rocprim26transform_input_iterator_tIlNS8_12zip_iteratorINS8_5tupleINS8_6detail15normal_iteratorINS8_10device_ptrIsEEEESH_NS8_9null_typeESI_SI_SI_SI_SI_SI_SI_EEEENS9_21zip_adj_not_predicateI22is_equal_div_10_uniqueIsEEEEEPllNS8_4plusIlEEEE10hipError_tPvRmT1_T2_T3_mT4_P12ihipStream_tbEUlT_E1_NS1_11comp_targetILNS1_3genE10ELNS1_11target_archE1201ELNS1_3gpuE5ELNS1_3repE0EEENS1_30default_config_static_selectorELNS0_4arch9wavefront6targetE1EEEvSW_ ; -- Begin function _ZN7rocprim17ROCPRIM_400000_NS6detail17trampoline_kernelINS0_14default_configENS1_22reduce_config_selectorIlEEZNS1_11reduce_implILb1ES3_N6thrust23THRUST_200600_302600_NS11hip_rocprim26transform_input_iterator_tIlNS8_12zip_iteratorINS8_5tupleINS8_6detail15normal_iteratorINS8_10device_ptrIsEEEESH_NS8_9null_typeESI_SI_SI_SI_SI_SI_SI_EEEENS9_21zip_adj_not_predicateI22is_equal_div_10_uniqueIsEEEEEPllNS8_4plusIlEEEE10hipError_tPvRmT1_T2_T3_mT4_P12ihipStream_tbEUlT_E1_NS1_11comp_targetILNS1_3genE10ELNS1_11target_archE1201ELNS1_3gpuE5ELNS1_3repE0EEENS1_30default_config_static_selectorELNS0_4arch9wavefront6targetE1EEEvSW_
	.globl	_ZN7rocprim17ROCPRIM_400000_NS6detail17trampoline_kernelINS0_14default_configENS1_22reduce_config_selectorIlEEZNS1_11reduce_implILb1ES3_N6thrust23THRUST_200600_302600_NS11hip_rocprim26transform_input_iterator_tIlNS8_12zip_iteratorINS8_5tupleINS8_6detail15normal_iteratorINS8_10device_ptrIsEEEESH_NS8_9null_typeESI_SI_SI_SI_SI_SI_SI_EEEENS9_21zip_adj_not_predicateI22is_equal_div_10_uniqueIsEEEEEPllNS8_4plusIlEEEE10hipError_tPvRmT1_T2_T3_mT4_P12ihipStream_tbEUlT_E1_NS1_11comp_targetILNS1_3genE10ELNS1_11target_archE1201ELNS1_3gpuE5ELNS1_3repE0EEENS1_30default_config_static_selectorELNS0_4arch9wavefront6targetE1EEEvSW_
	.p2align	8
	.type	_ZN7rocprim17ROCPRIM_400000_NS6detail17trampoline_kernelINS0_14default_configENS1_22reduce_config_selectorIlEEZNS1_11reduce_implILb1ES3_N6thrust23THRUST_200600_302600_NS11hip_rocprim26transform_input_iterator_tIlNS8_12zip_iteratorINS8_5tupleINS8_6detail15normal_iteratorINS8_10device_ptrIsEEEESH_NS8_9null_typeESI_SI_SI_SI_SI_SI_SI_EEEENS9_21zip_adj_not_predicateI22is_equal_div_10_uniqueIsEEEEEPllNS8_4plusIlEEEE10hipError_tPvRmT1_T2_T3_mT4_P12ihipStream_tbEUlT_E1_NS1_11comp_targetILNS1_3genE10ELNS1_11target_archE1201ELNS1_3gpuE5ELNS1_3repE0EEENS1_30default_config_static_selectorELNS0_4arch9wavefront6targetE1EEEvSW_,@function
_ZN7rocprim17ROCPRIM_400000_NS6detail17trampoline_kernelINS0_14default_configENS1_22reduce_config_selectorIlEEZNS1_11reduce_implILb1ES3_N6thrust23THRUST_200600_302600_NS11hip_rocprim26transform_input_iterator_tIlNS8_12zip_iteratorINS8_5tupleINS8_6detail15normal_iteratorINS8_10device_ptrIsEEEESH_NS8_9null_typeESI_SI_SI_SI_SI_SI_SI_EEEENS9_21zip_adj_not_predicateI22is_equal_div_10_uniqueIsEEEEEPllNS8_4plusIlEEEE10hipError_tPvRmT1_T2_T3_mT4_P12ihipStream_tbEUlT_E1_NS1_11comp_targetILNS1_3genE10ELNS1_11target_archE1201ELNS1_3gpuE5ELNS1_3repE0EEENS1_30default_config_static_selectorELNS0_4arch9wavefront6targetE1EEEvSW_: ; @_ZN7rocprim17ROCPRIM_400000_NS6detail17trampoline_kernelINS0_14default_configENS1_22reduce_config_selectorIlEEZNS1_11reduce_implILb1ES3_N6thrust23THRUST_200600_302600_NS11hip_rocprim26transform_input_iterator_tIlNS8_12zip_iteratorINS8_5tupleINS8_6detail15normal_iteratorINS8_10device_ptrIsEEEESH_NS8_9null_typeESI_SI_SI_SI_SI_SI_SI_EEEENS9_21zip_adj_not_predicateI22is_equal_div_10_uniqueIsEEEEEPllNS8_4plusIlEEEE10hipError_tPvRmT1_T2_T3_mT4_P12ihipStream_tbEUlT_E1_NS1_11comp_targetILNS1_3genE10ELNS1_11target_archE1201ELNS1_3gpuE5ELNS1_3repE0EEENS1_30default_config_static_selectorELNS0_4arch9wavefront6targetE1EEEvSW_
; %bb.0:
	.section	.rodata,"a",@progbits
	.p2align	6, 0x0
	.amdhsa_kernel _ZN7rocprim17ROCPRIM_400000_NS6detail17trampoline_kernelINS0_14default_configENS1_22reduce_config_selectorIlEEZNS1_11reduce_implILb1ES3_N6thrust23THRUST_200600_302600_NS11hip_rocprim26transform_input_iterator_tIlNS8_12zip_iteratorINS8_5tupleINS8_6detail15normal_iteratorINS8_10device_ptrIsEEEESH_NS8_9null_typeESI_SI_SI_SI_SI_SI_SI_EEEENS9_21zip_adj_not_predicateI22is_equal_div_10_uniqueIsEEEEEPllNS8_4plusIlEEEE10hipError_tPvRmT1_T2_T3_mT4_P12ihipStream_tbEUlT_E1_NS1_11comp_targetILNS1_3genE10ELNS1_11target_archE1201ELNS1_3gpuE5ELNS1_3repE0EEENS1_30default_config_static_selectorELNS0_4arch9wavefront6targetE1EEEvSW_
		.amdhsa_group_segment_fixed_size 0
		.amdhsa_private_segment_fixed_size 0
		.amdhsa_kernarg_size 64
		.amdhsa_user_sgpr_count 6
		.amdhsa_user_sgpr_private_segment_buffer 1
		.amdhsa_user_sgpr_dispatch_ptr 0
		.amdhsa_user_sgpr_queue_ptr 0
		.amdhsa_user_sgpr_kernarg_segment_ptr 1
		.amdhsa_user_sgpr_dispatch_id 0
		.amdhsa_user_sgpr_flat_scratch_init 0
		.amdhsa_user_sgpr_private_segment_size 0
		.amdhsa_uses_dynamic_stack 0
		.amdhsa_system_sgpr_private_segment_wavefront_offset 0
		.amdhsa_system_sgpr_workgroup_id_x 1
		.amdhsa_system_sgpr_workgroup_id_y 0
		.amdhsa_system_sgpr_workgroup_id_z 0
		.amdhsa_system_sgpr_workgroup_info 0
		.amdhsa_system_vgpr_workitem_id 0
		.amdhsa_next_free_vgpr 1
		.amdhsa_next_free_sgpr 0
		.amdhsa_reserve_vcc 0
		.amdhsa_reserve_flat_scratch 0
		.amdhsa_float_round_mode_32 0
		.amdhsa_float_round_mode_16_64 0
		.amdhsa_float_denorm_mode_32 3
		.amdhsa_float_denorm_mode_16_64 3
		.amdhsa_dx10_clamp 1
		.amdhsa_ieee_mode 1
		.amdhsa_fp16_overflow 0
		.amdhsa_exception_fp_ieee_invalid_op 0
		.amdhsa_exception_fp_denorm_src 0
		.amdhsa_exception_fp_ieee_div_zero 0
		.amdhsa_exception_fp_ieee_overflow 0
		.amdhsa_exception_fp_ieee_underflow 0
		.amdhsa_exception_fp_ieee_inexact 0
		.amdhsa_exception_int_div_zero 0
	.end_amdhsa_kernel
	.section	.text._ZN7rocprim17ROCPRIM_400000_NS6detail17trampoline_kernelINS0_14default_configENS1_22reduce_config_selectorIlEEZNS1_11reduce_implILb1ES3_N6thrust23THRUST_200600_302600_NS11hip_rocprim26transform_input_iterator_tIlNS8_12zip_iteratorINS8_5tupleINS8_6detail15normal_iteratorINS8_10device_ptrIsEEEESH_NS8_9null_typeESI_SI_SI_SI_SI_SI_SI_EEEENS9_21zip_adj_not_predicateI22is_equal_div_10_uniqueIsEEEEEPllNS8_4plusIlEEEE10hipError_tPvRmT1_T2_T3_mT4_P12ihipStream_tbEUlT_E1_NS1_11comp_targetILNS1_3genE10ELNS1_11target_archE1201ELNS1_3gpuE5ELNS1_3repE0EEENS1_30default_config_static_selectorELNS0_4arch9wavefront6targetE1EEEvSW_,"axG",@progbits,_ZN7rocprim17ROCPRIM_400000_NS6detail17trampoline_kernelINS0_14default_configENS1_22reduce_config_selectorIlEEZNS1_11reduce_implILb1ES3_N6thrust23THRUST_200600_302600_NS11hip_rocprim26transform_input_iterator_tIlNS8_12zip_iteratorINS8_5tupleINS8_6detail15normal_iteratorINS8_10device_ptrIsEEEESH_NS8_9null_typeESI_SI_SI_SI_SI_SI_SI_EEEENS9_21zip_adj_not_predicateI22is_equal_div_10_uniqueIsEEEEEPllNS8_4plusIlEEEE10hipError_tPvRmT1_T2_T3_mT4_P12ihipStream_tbEUlT_E1_NS1_11comp_targetILNS1_3genE10ELNS1_11target_archE1201ELNS1_3gpuE5ELNS1_3repE0EEENS1_30default_config_static_selectorELNS0_4arch9wavefront6targetE1EEEvSW_,comdat
.Lfunc_end1027:
	.size	_ZN7rocprim17ROCPRIM_400000_NS6detail17trampoline_kernelINS0_14default_configENS1_22reduce_config_selectorIlEEZNS1_11reduce_implILb1ES3_N6thrust23THRUST_200600_302600_NS11hip_rocprim26transform_input_iterator_tIlNS8_12zip_iteratorINS8_5tupleINS8_6detail15normal_iteratorINS8_10device_ptrIsEEEESH_NS8_9null_typeESI_SI_SI_SI_SI_SI_SI_EEEENS9_21zip_adj_not_predicateI22is_equal_div_10_uniqueIsEEEEEPllNS8_4plusIlEEEE10hipError_tPvRmT1_T2_T3_mT4_P12ihipStream_tbEUlT_E1_NS1_11comp_targetILNS1_3genE10ELNS1_11target_archE1201ELNS1_3gpuE5ELNS1_3repE0EEENS1_30default_config_static_selectorELNS0_4arch9wavefront6targetE1EEEvSW_, .Lfunc_end1027-_ZN7rocprim17ROCPRIM_400000_NS6detail17trampoline_kernelINS0_14default_configENS1_22reduce_config_selectorIlEEZNS1_11reduce_implILb1ES3_N6thrust23THRUST_200600_302600_NS11hip_rocprim26transform_input_iterator_tIlNS8_12zip_iteratorINS8_5tupleINS8_6detail15normal_iteratorINS8_10device_ptrIsEEEESH_NS8_9null_typeESI_SI_SI_SI_SI_SI_SI_EEEENS9_21zip_adj_not_predicateI22is_equal_div_10_uniqueIsEEEEEPllNS8_4plusIlEEEE10hipError_tPvRmT1_T2_T3_mT4_P12ihipStream_tbEUlT_E1_NS1_11comp_targetILNS1_3genE10ELNS1_11target_archE1201ELNS1_3gpuE5ELNS1_3repE0EEENS1_30default_config_static_selectorELNS0_4arch9wavefront6targetE1EEEvSW_
                                        ; -- End function
	.set _ZN7rocprim17ROCPRIM_400000_NS6detail17trampoline_kernelINS0_14default_configENS1_22reduce_config_selectorIlEEZNS1_11reduce_implILb1ES3_N6thrust23THRUST_200600_302600_NS11hip_rocprim26transform_input_iterator_tIlNS8_12zip_iteratorINS8_5tupleINS8_6detail15normal_iteratorINS8_10device_ptrIsEEEESH_NS8_9null_typeESI_SI_SI_SI_SI_SI_SI_EEEENS9_21zip_adj_not_predicateI22is_equal_div_10_uniqueIsEEEEEPllNS8_4plusIlEEEE10hipError_tPvRmT1_T2_T3_mT4_P12ihipStream_tbEUlT_E1_NS1_11comp_targetILNS1_3genE10ELNS1_11target_archE1201ELNS1_3gpuE5ELNS1_3repE0EEENS1_30default_config_static_selectorELNS0_4arch9wavefront6targetE1EEEvSW_.num_vgpr, 0
	.set _ZN7rocprim17ROCPRIM_400000_NS6detail17trampoline_kernelINS0_14default_configENS1_22reduce_config_selectorIlEEZNS1_11reduce_implILb1ES3_N6thrust23THRUST_200600_302600_NS11hip_rocprim26transform_input_iterator_tIlNS8_12zip_iteratorINS8_5tupleINS8_6detail15normal_iteratorINS8_10device_ptrIsEEEESH_NS8_9null_typeESI_SI_SI_SI_SI_SI_SI_EEEENS9_21zip_adj_not_predicateI22is_equal_div_10_uniqueIsEEEEEPllNS8_4plusIlEEEE10hipError_tPvRmT1_T2_T3_mT4_P12ihipStream_tbEUlT_E1_NS1_11comp_targetILNS1_3genE10ELNS1_11target_archE1201ELNS1_3gpuE5ELNS1_3repE0EEENS1_30default_config_static_selectorELNS0_4arch9wavefront6targetE1EEEvSW_.num_agpr, 0
	.set _ZN7rocprim17ROCPRIM_400000_NS6detail17trampoline_kernelINS0_14default_configENS1_22reduce_config_selectorIlEEZNS1_11reduce_implILb1ES3_N6thrust23THRUST_200600_302600_NS11hip_rocprim26transform_input_iterator_tIlNS8_12zip_iteratorINS8_5tupleINS8_6detail15normal_iteratorINS8_10device_ptrIsEEEESH_NS8_9null_typeESI_SI_SI_SI_SI_SI_SI_EEEENS9_21zip_adj_not_predicateI22is_equal_div_10_uniqueIsEEEEEPllNS8_4plusIlEEEE10hipError_tPvRmT1_T2_T3_mT4_P12ihipStream_tbEUlT_E1_NS1_11comp_targetILNS1_3genE10ELNS1_11target_archE1201ELNS1_3gpuE5ELNS1_3repE0EEENS1_30default_config_static_selectorELNS0_4arch9wavefront6targetE1EEEvSW_.numbered_sgpr, 0
	.set _ZN7rocprim17ROCPRIM_400000_NS6detail17trampoline_kernelINS0_14default_configENS1_22reduce_config_selectorIlEEZNS1_11reduce_implILb1ES3_N6thrust23THRUST_200600_302600_NS11hip_rocprim26transform_input_iterator_tIlNS8_12zip_iteratorINS8_5tupleINS8_6detail15normal_iteratorINS8_10device_ptrIsEEEESH_NS8_9null_typeESI_SI_SI_SI_SI_SI_SI_EEEENS9_21zip_adj_not_predicateI22is_equal_div_10_uniqueIsEEEEEPllNS8_4plusIlEEEE10hipError_tPvRmT1_T2_T3_mT4_P12ihipStream_tbEUlT_E1_NS1_11comp_targetILNS1_3genE10ELNS1_11target_archE1201ELNS1_3gpuE5ELNS1_3repE0EEENS1_30default_config_static_selectorELNS0_4arch9wavefront6targetE1EEEvSW_.num_named_barrier, 0
	.set _ZN7rocprim17ROCPRIM_400000_NS6detail17trampoline_kernelINS0_14default_configENS1_22reduce_config_selectorIlEEZNS1_11reduce_implILb1ES3_N6thrust23THRUST_200600_302600_NS11hip_rocprim26transform_input_iterator_tIlNS8_12zip_iteratorINS8_5tupleINS8_6detail15normal_iteratorINS8_10device_ptrIsEEEESH_NS8_9null_typeESI_SI_SI_SI_SI_SI_SI_EEEENS9_21zip_adj_not_predicateI22is_equal_div_10_uniqueIsEEEEEPllNS8_4plusIlEEEE10hipError_tPvRmT1_T2_T3_mT4_P12ihipStream_tbEUlT_E1_NS1_11comp_targetILNS1_3genE10ELNS1_11target_archE1201ELNS1_3gpuE5ELNS1_3repE0EEENS1_30default_config_static_selectorELNS0_4arch9wavefront6targetE1EEEvSW_.private_seg_size, 0
	.set _ZN7rocprim17ROCPRIM_400000_NS6detail17trampoline_kernelINS0_14default_configENS1_22reduce_config_selectorIlEEZNS1_11reduce_implILb1ES3_N6thrust23THRUST_200600_302600_NS11hip_rocprim26transform_input_iterator_tIlNS8_12zip_iteratorINS8_5tupleINS8_6detail15normal_iteratorINS8_10device_ptrIsEEEESH_NS8_9null_typeESI_SI_SI_SI_SI_SI_SI_EEEENS9_21zip_adj_not_predicateI22is_equal_div_10_uniqueIsEEEEEPllNS8_4plusIlEEEE10hipError_tPvRmT1_T2_T3_mT4_P12ihipStream_tbEUlT_E1_NS1_11comp_targetILNS1_3genE10ELNS1_11target_archE1201ELNS1_3gpuE5ELNS1_3repE0EEENS1_30default_config_static_selectorELNS0_4arch9wavefront6targetE1EEEvSW_.uses_vcc, 0
	.set _ZN7rocprim17ROCPRIM_400000_NS6detail17trampoline_kernelINS0_14default_configENS1_22reduce_config_selectorIlEEZNS1_11reduce_implILb1ES3_N6thrust23THRUST_200600_302600_NS11hip_rocprim26transform_input_iterator_tIlNS8_12zip_iteratorINS8_5tupleINS8_6detail15normal_iteratorINS8_10device_ptrIsEEEESH_NS8_9null_typeESI_SI_SI_SI_SI_SI_SI_EEEENS9_21zip_adj_not_predicateI22is_equal_div_10_uniqueIsEEEEEPllNS8_4plusIlEEEE10hipError_tPvRmT1_T2_T3_mT4_P12ihipStream_tbEUlT_E1_NS1_11comp_targetILNS1_3genE10ELNS1_11target_archE1201ELNS1_3gpuE5ELNS1_3repE0EEENS1_30default_config_static_selectorELNS0_4arch9wavefront6targetE1EEEvSW_.uses_flat_scratch, 0
	.set _ZN7rocprim17ROCPRIM_400000_NS6detail17trampoline_kernelINS0_14default_configENS1_22reduce_config_selectorIlEEZNS1_11reduce_implILb1ES3_N6thrust23THRUST_200600_302600_NS11hip_rocprim26transform_input_iterator_tIlNS8_12zip_iteratorINS8_5tupleINS8_6detail15normal_iteratorINS8_10device_ptrIsEEEESH_NS8_9null_typeESI_SI_SI_SI_SI_SI_SI_EEEENS9_21zip_adj_not_predicateI22is_equal_div_10_uniqueIsEEEEEPllNS8_4plusIlEEEE10hipError_tPvRmT1_T2_T3_mT4_P12ihipStream_tbEUlT_E1_NS1_11comp_targetILNS1_3genE10ELNS1_11target_archE1201ELNS1_3gpuE5ELNS1_3repE0EEENS1_30default_config_static_selectorELNS0_4arch9wavefront6targetE1EEEvSW_.has_dyn_sized_stack, 0
	.set _ZN7rocprim17ROCPRIM_400000_NS6detail17trampoline_kernelINS0_14default_configENS1_22reduce_config_selectorIlEEZNS1_11reduce_implILb1ES3_N6thrust23THRUST_200600_302600_NS11hip_rocprim26transform_input_iterator_tIlNS8_12zip_iteratorINS8_5tupleINS8_6detail15normal_iteratorINS8_10device_ptrIsEEEESH_NS8_9null_typeESI_SI_SI_SI_SI_SI_SI_EEEENS9_21zip_adj_not_predicateI22is_equal_div_10_uniqueIsEEEEEPllNS8_4plusIlEEEE10hipError_tPvRmT1_T2_T3_mT4_P12ihipStream_tbEUlT_E1_NS1_11comp_targetILNS1_3genE10ELNS1_11target_archE1201ELNS1_3gpuE5ELNS1_3repE0EEENS1_30default_config_static_selectorELNS0_4arch9wavefront6targetE1EEEvSW_.has_recursion, 0
	.set _ZN7rocprim17ROCPRIM_400000_NS6detail17trampoline_kernelINS0_14default_configENS1_22reduce_config_selectorIlEEZNS1_11reduce_implILb1ES3_N6thrust23THRUST_200600_302600_NS11hip_rocprim26transform_input_iterator_tIlNS8_12zip_iteratorINS8_5tupleINS8_6detail15normal_iteratorINS8_10device_ptrIsEEEESH_NS8_9null_typeESI_SI_SI_SI_SI_SI_SI_EEEENS9_21zip_adj_not_predicateI22is_equal_div_10_uniqueIsEEEEEPllNS8_4plusIlEEEE10hipError_tPvRmT1_T2_T3_mT4_P12ihipStream_tbEUlT_E1_NS1_11comp_targetILNS1_3genE10ELNS1_11target_archE1201ELNS1_3gpuE5ELNS1_3repE0EEENS1_30default_config_static_selectorELNS0_4arch9wavefront6targetE1EEEvSW_.has_indirect_call, 0
	.section	.AMDGPU.csdata,"",@progbits
; Kernel info:
; codeLenInByte = 0
; TotalNumSgprs: 4
; NumVgprs: 0
; ScratchSize: 0
; MemoryBound: 0
; FloatMode: 240
; IeeeMode: 1
; LDSByteSize: 0 bytes/workgroup (compile time only)
; SGPRBlocks: 0
; VGPRBlocks: 0
; NumSGPRsForWavesPerEU: 4
; NumVGPRsForWavesPerEU: 1
; Occupancy: 10
; WaveLimiterHint : 0
; COMPUTE_PGM_RSRC2:SCRATCH_EN: 0
; COMPUTE_PGM_RSRC2:USER_SGPR: 6
; COMPUTE_PGM_RSRC2:TRAP_HANDLER: 0
; COMPUTE_PGM_RSRC2:TGID_X_EN: 1
; COMPUTE_PGM_RSRC2:TGID_Y_EN: 0
; COMPUTE_PGM_RSRC2:TGID_Z_EN: 0
; COMPUTE_PGM_RSRC2:TIDIG_COMP_CNT: 0
	.section	.text._ZN7rocprim17ROCPRIM_400000_NS6detail17trampoline_kernelINS0_14default_configENS1_22reduce_config_selectorIlEEZNS1_11reduce_implILb1ES3_N6thrust23THRUST_200600_302600_NS11hip_rocprim26transform_input_iterator_tIlNS8_12zip_iteratorINS8_5tupleINS8_6detail15normal_iteratorINS8_10device_ptrIsEEEESH_NS8_9null_typeESI_SI_SI_SI_SI_SI_SI_EEEENS9_21zip_adj_not_predicateI22is_equal_div_10_uniqueIsEEEEEPllNS8_4plusIlEEEE10hipError_tPvRmT1_T2_T3_mT4_P12ihipStream_tbEUlT_E1_NS1_11comp_targetILNS1_3genE10ELNS1_11target_archE1200ELNS1_3gpuE4ELNS1_3repE0EEENS1_30default_config_static_selectorELNS0_4arch9wavefront6targetE1EEEvSW_,"axG",@progbits,_ZN7rocprim17ROCPRIM_400000_NS6detail17trampoline_kernelINS0_14default_configENS1_22reduce_config_selectorIlEEZNS1_11reduce_implILb1ES3_N6thrust23THRUST_200600_302600_NS11hip_rocprim26transform_input_iterator_tIlNS8_12zip_iteratorINS8_5tupleINS8_6detail15normal_iteratorINS8_10device_ptrIsEEEESH_NS8_9null_typeESI_SI_SI_SI_SI_SI_SI_EEEENS9_21zip_adj_not_predicateI22is_equal_div_10_uniqueIsEEEEEPllNS8_4plusIlEEEE10hipError_tPvRmT1_T2_T3_mT4_P12ihipStream_tbEUlT_E1_NS1_11comp_targetILNS1_3genE10ELNS1_11target_archE1200ELNS1_3gpuE4ELNS1_3repE0EEENS1_30default_config_static_selectorELNS0_4arch9wavefront6targetE1EEEvSW_,comdat
	.protected	_ZN7rocprim17ROCPRIM_400000_NS6detail17trampoline_kernelINS0_14default_configENS1_22reduce_config_selectorIlEEZNS1_11reduce_implILb1ES3_N6thrust23THRUST_200600_302600_NS11hip_rocprim26transform_input_iterator_tIlNS8_12zip_iteratorINS8_5tupleINS8_6detail15normal_iteratorINS8_10device_ptrIsEEEESH_NS8_9null_typeESI_SI_SI_SI_SI_SI_SI_EEEENS9_21zip_adj_not_predicateI22is_equal_div_10_uniqueIsEEEEEPllNS8_4plusIlEEEE10hipError_tPvRmT1_T2_T3_mT4_P12ihipStream_tbEUlT_E1_NS1_11comp_targetILNS1_3genE10ELNS1_11target_archE1200ELNS1_3gpuE4ELNS1_3repE0EEENS1_30default_config_static_selectorELNS0_4arch9wavefront6targetE1EEEvSW_ ; -- Begin function _ZN7rocprim17ROCPRIM_400000_NS6detail17trampoline_kernelINS0_14default_configENS1_22reduce_config_selectorIlEEZNS1_11reduce_implILb1ES3_N6thrust23THRUST_200600_302600_NS11hip_rocprim26transform_input_iterator_tIlNS8_12zip_iteratorINS8_5tupleINS8_6detail15normal_iteratorINS8_10device_ptrIsEEEESH_NS8_9null_typeESI_SI_SI_SI_SI_SI_SI_EEEENS9_21zip_adj_not_predicateI22is_equal_div_10_uniqueIsEEEEEPllNS8_4plusIlEEEE10hipError_tPvRmT1_T2_T3_mT4_P12ihipStream_tbEUlT_E1_NS1_11comp_targetILNS1_3genE10ELNS1_11target_archE1200ELNS1_3gpuE4ELNS1_3repE0EEENS1_30default_config_static_selectorELNS0_4arch9wavefront6targetE1EEEvSW_
	.globl	_ZN7rocprim17ROCPRIM_400000_NS6detail17trampoline_kernelINS0_14default_configENS1_22reduce_config_selectorIlEEZNS1_11reduce_implILb1ES3_N6thrust23THRUST_200600_302600_NS11hip_rocprim26transform_input_iterator_tIlNS8_12zip_iteratorINS8_5tupleINS8_6detail15normal_iteratorINS8_10device_ptrIsEEEESH_NS8_9null_typeESI_SI_SI_SI_SI_SI_SI_EEEENS9_21zip_adj_not_predicateI22is_equal_div_10_uniqueIsEEEEEPllNS8_4plusIlEEEE10hipError_tPvRmT1_T2_T3_mT4_P12ihipStream_tbEUlT_E1_NS1_11comp_targetILNS1_3genE10ELNS1_11target_archE1200ELNS1_3gpuE4ELNS1_3repE0EEENS1_30default_config_static_selectorELNS0_4arch9wavefront6targetE1EEEvSW_
	.p2align	8
	.type	_ZN7rocprim17ROCPRIM_400000_NS6detail17trampoline_kernelINS0_14default_configENS1_22reduce_config_selectorIlEEZNS1_11reduce_implILb1ES3_N6thrust23THRUST_200600_302600_NS11hip_rocprim26transform_input_iterator_tIlNS8_12zip_iteratorINS8_5tupleINS8_6detail15normal_iteratorINS8_10device_ptrIsEEEESH_NS8_9null_typeESI_SI_SI_SI_SI_SI_SI_EEEENS9_21zip_adj_not_predicateI22is_equal_div_10_uniqueIsEEEEEPllNS8_4plusIlEEEE10hipError_tPvRmT1_T2_T3_mT4_P12ihipStream_tbEUlT_E1_NS1_11comp_targetILNS1_3genE10ELNS1_11target_archE1200ELNS1_3gpuE4ELNS1_3repE0EEENS1_30default_config_static_selectorELNS0_4arch9wavefront6targetE1EEEvSW_,@function
_ZN7rocprim17ROCPRIM_400000_NS6detail17trampoline_kernelINS0_14default_configENS1_22reduce_config_selectorIlEEZNS1_11reduce_implILb1ES3_N6thrust23THRUST_200600_302600_NS11hip_rocprim26transform_input_iterator_tIlNS8_12zip_iteratorINS8_5tupleINS8_6detail15normal_iteratorINS8_10device_ptrIsEEEESH_NS8_9null_typeESI_SI_SI_SI_SI_SI_SI_EEEENS9_21zip_adj_not_predicateI22is_equal_div_10_uniqueIsEEEEEPllNS8_4plusIlEEEE10hipError_tPvRmT1_T2_T3_mT4_P12ihipStream_tbEUlT_E1_NS1_11comp_targetILNS1_3genE10ELNS1_11target_archE1200ELNS1_3gpuE4ELNS1_3repE0EEENS1_30default_config_static_selectorELNS0_4arch9wavefront6targetE1EEEvSW_: ; @_ZN7rocprim17ROCPRIM_400000_NS6detail17trampoline_kernelINS0_14default_configENS1_22reduce_config_selectorIlEEZNS1_11reduce_implILb1ES3_N6thrust23THRUST_200600_302600_NS11hip_rocprim26transform_input_iterator_tIlNS8_12zip_iteratorINS8_5tupleINS8_6detail15normal_iteratorINS8_10device_ptrIsEEEESH_NS8_9null_typeESI_SI_SI_SI_SI_SI_SI_EEEENS9_21zip_adj_not_predicateI22is_equal_div_10_uniqueIsEEEEEPllNS8_4plusIlEEEE10hipError_tPvRmT1_T2_T3_mT4_P12ihipStream_tbEUlT_E1_NS1_11comp_targetILNS1_3genE10ELNS1_11target_archE1200ELNS1_3gpuE4ELNS1_3repE0EEENS1_30default_config_static_selectorELNS0_4arch9wavefront6targetE1EEEvSW_
; %bb.0:
	.section	.rodata,"a",@progbits
	.p2align	6, 0x0
	.amdhsa_kernel _ZN7rocprim17ROCPRIM_400000_NS6detail17trampoline_kernelINS0_14default_configENS1_22reduce_config_selectorIlEEZNS1_11reduce_implILb1ES3_N6thrust23THRUST_200600_302600_NS11hip_rocprim26transform_input_iterator_tIlNS8_12zip_iteratorINS8_5tupleINS8_6detail15normal_iteratorINS8_10device_ptrIsEEEESH_NS8_9null_typeESI_SI_SI_SI_SI_SI_SI_EEEENS9_21zip_adj_not_predicateI22is_equal_div_10_uniqueIsEEEEEPllNS8_4plusIlEEEE10hipError_tPvRmT1_T2_T3_mT4_P12ihipStream_tbEUlT_E1_NS1_11comp_targetILNS1_3genE10ELNS1_11target_archE1200ELNS1_3gpuE4ELNS1_3repE0EEENS1_30default_config_static_selectorELNS0_4arch9wavefront6targetE1EEEvSW_
		.amdhsa_group_segment_fixed_size 0
		.amdhsa_private_segment_fixed_size 0
		.amdhsa_kernarg_size 64
		.amdhsa_user_sgpr_count 6
		.amdhsa_user_sgpr_private_segment_buffer 1
		.amdhsa_user_sgpr_dispatch_ptr 0
		.amdhsa_user_sgpr_queue_ptr 0
		.amdhsa_user_sgpr_kernarg_segment_ptr 1
		.amdhsa_user_sgpr_dispatch_id 0
		.amdhsa_user_sgpr_flat_scratch_init 0
		.amdhsa_user_sgpr_private_segment_size 0
		.amdhsa_uses_dynamic_stack 0
		.amdhsa_system_sgpr_private_segment_wavefront_offset 0
		.amdhsa_system_sgpr_workgroup_id_x 1
		.amdhsa_system_sgpr_workgroup_id_y 0
		.amdhsa_system_sgpr_workgroup_id_z 0
		.amdhsa_system_sgpr_workgroup_info 0
		.amdhsa_system_vgpr_workitem_id 0
		.amdhsa_next_free_vgpr 1
		.amdhsa_next_free_sgpr 0
		.amdhsa_reserve_vcc 0
		.amdhsa_reserve_flat_scratch 0
		.amdhsa_float_round_mode_32 0
		.amdhsa_float_round_mode_16_64 0
		.amdhsa_float_denorm_mode_32 3
		.amdhsa_float_denorm_mode_16_64 3
		.amdhsa_dx10_clamp 1
		.amdhsa_ieee_mode 1
		.amdhsa_fp16_overflow 0
		.amdhsa_exception_fp_ieee_invalid_op 0
		.amdhsa_exception_fp_denorm_src 0
		.amdhsa_exception_fp_ieee_div_zero 0
		.amdhsa_exception_fp_ieee_overflow 0
		.amdhsa_exception_fp_ieee_underflow 0
		.amdhsa_exception_fp_ieee_inexact 0
		.amdhsa_exception_int_div_zero 0
	.end_amdhsa_kernel
	.section	.text._ZN7rocprim17ROCPRIM_400000_NS6detail17trampoline_kernelINS0_14default_configENS1_22reduce_config_selectorIlEEZNS1_11reduce_implILb1ES3_N6thrust23THRUST_200600_302600_NS11hip_rocprim26transform_input_iterator_tIlNS8_12zip_iteratorINS8_5tupleINS8_6detail15normal_iteratorINS8_10device_ptrIsEEEESH_NS8_9null_typeESI_SI_SI_SI_SI_SI_SI_EEEENS9_21zip_adj_not_predicateI22is_equal_div_10_uniqueIsEEEEEPllNS8_4plusIlEEEE10hipError_tPvRmT1_T2_T3_mT4_P12ihipStream_tbEUlT_E1_NS1_11comp_targetILNS1_3genE10ELNS1_11target_archE1200ELNS1_3gpuE4ELNS1_3repE0EEENS1_30default_config_static_selectorELNS0_4arch9wavefront6targetE1EEEvSW_,"axG",@progbits,_ZN7rocprim17ROCPRIM_400000_NS6detail17trampoline_kernelINS0_14default_configENS1_22reduce_config_selectorIlEEZNS1_11reduce_implILb1ES3_N6thrust23THRUST_200600_302600_NS11hip_rocprim26transform_input_iterator_tIlNS8_12zip_iteratorINS8_5tupleINS8_6detail15normal_iteratorINS8_10device_ptrIsEEEESH_NS8_9null_typeESI_SI_SI_SI_SI_SI_SI_EEEENS9_21zip_adj_not_predicateI22is_equal_div_10_uniqueIsEEEEEPllNS8_4plusIlEEEE10hipError_tPvRmT1_T2_T3_mT4_P12ihipStream_tbEUlT_E1_NS1_11comp_targetILNS1_3genE10ELNS1_11target_archE1200ELNS1_3gpuE4ELNS1_3repE0EEENS1_30default_config_static_selectorELNS0_4arch9wavefront6targetE1EEEvSW_,comdat
.Lfunc_end1028:
	.size	_ZN7rocprim17ROCPRIM_400000_NS6detail17trampoline_kernelINS0_14default_configENS1_22reduce_config_selectorIlEEZNS1_11reduce_implILb1ES3_N6thrust23THRUST_200600_302600_NS11hip_rocprim26transform_input_iterator_tIlNS8_12zip_iteratorINS8_5tupleINS8_6detail15normal_iteratorINS8_10device_ptrIsEEEESH_NS8_9null_typeESI_SI_SI_SI_SI_SI_SI_EEEENS9_21zip_adj_not_predicateI22is_equal_div_10_uniqueIsEEEEEPllNS8_4plusIlEEEE10hipError_tPvRmT1_T2_T3_mT4_P12ihipStream_tbEUlT_E1_NS1_11comp_targetILNS1_3genE10ELNS1_11target_archE1200ELNS1_3gpuE4ELNS1_3repE0EEENS1_30default_config_static_selectorELNS0_4arch9wavefront6targetE1EEEvSW_, .Lfunc_end1028-_ZN7rocprim17ROCPRIM_400000_NS6detail17trampoline_kernelINS0_14default_configENS1_22reduce_config_selectorIlEEZNS1_11reduce_implILb1ES3_N6thrust23THRUST_200600_302600_NS11hip_rocprim26transform_input_iterator_tIlNS8_12zip_iteratorINS8_5tupleINS8_6detail15normal_iteratorINS8_10device_ptrIsEEEESH_NS8_9null_typeESI_SI_SI_SI_SI_SI_SI_EEEENS9_21zip_adj_not_predicateI22is_equal_div_10_uniqueIsEEEEEPllNS8_4plusIlEEEE10hipError_tPvRmT1_T2_T3_mT4_P12ihipStream_tbEUlT_E1_NS1_11comp_targetILNS1_3genE10ELNS1_11target_archE1200ELNS1_3gpuE4ELNS1_3repE0EEENS1_30default_config_static_selectorELNS0_4arch9wavefront6targetE1EEEvSW_
                                        ; -- End function
	.set _ZN7rocprim17ROCPRIM_400000_NS6detail17trampoline_kernelINS0_14default_configENS1_22reduce_config_selectorIlEEZNS1_11reduce_implILb1ES3_N6thrust23THRUST_200600_302600_NS11hip_rocprim26transform_input_iterator_tIlNS8_12zip_iteratorINS8_5tupleINS8_6detail15normal_iteratorINS8_10device_ptrIsEEEESH_NS8_9null_typeESI_SI_SI_SI_SI_SI_SI_EEEENS9_21zip_adj_not_predicateI22is_equal_div_10_uniqueIsEEEEEPllNS8_4plusIlEEEE10hipError_tPvRmT1_T2_T3_mT4_P12ihipStream_tbEUlT_E1_NS1_11comp_targetILNS1_3genE10ELNS1_11target_archE1200ELNS1_3gpuE4ELNS1_3repE0EEENS1_30default_config_static_selectorELNS0_4arch9wavefront6targetE1EEEvSW_.num_vgpr, 0
	.set _ZN7rocprim17ROCPRIM_400000_NS6detail17trampoline_kernelINS0_14default_configENS1_22reduce_config_selectorIlEEZNS1_11reduce_implILb1ES3_N6thrust23THRUST_200600_302600_NS11hip_rocprim26transform_input_iterator_tIlNS8_12zip_iteratorINS8_5tupleINS8_6detail15normal_iteratorINS8_10device_ptrIsEEEESH_NS8_9null_typeESI_SI_SI_SI_SI_SI_SI_EEEENS9_21zip_adj_not_predicateI22is_equal_div_10_uniqueIsEEEEEPllNS8_4plusIlEEEE10hipError_tPvRmT1_T2_T3_mT4_P12ihipStream_tbEUlT_E1_NS1_11comp_targetILNS1_3genE10ELNS1_11target_archE1200ELNS1_3gpuE4ELNS1_3repE0EEENS1_30default_config_static_selectorELNS0_4arch9wavefront6targetE1EEEvSW_.num_agpr, 0
	.set _ZN7rocprim17ROCPRIM_400000_NS6detail17trampoline_kernelINS0_14default_configENS1_22reduce_config_selectorIlEEZNS1_11reduce_implILb1ES3_N6thrust23THRUST_200600_302600_NS11hip_rocprim26transform_input_iterator_tIlNS8_12zip_iteratorINS8_5tupleINS8_6detail15normal_iteratorINS8_10device_ptrIsEEEESH_NS8_9null_typeESI_SI_SI_SI_SI_SI_SI_EEEENS9_21zip_adj_not_predicateI22is_equal_div_10_uniqueIsEEEEEPllNS8_4plusIlEEEE10hipError_tPvRmT1_T2_T3_mT4_P12ihipStream_tbEUlT_E1_NS1_11comp_targetILNS1_3genE10ELNS1_11target_archE1200ELNS1_3gpuE4ELNS1_3repE0EEENS1_30default_config_static_selectorELNS0_4arch9wavefront6targetE1EEEvSW_.numbered_sgpr, 0
	.set _ZN7rocprim17ROCPRIM_400000_NS6detail17trampoline_kernelINS0_14default_configENS1_22reduce_config_selectorIlEEZNS1_11reduce_implILb1ES3_N6thrust23THRUST_200600_302600_NS11hip_rocprim26transform_input_iterator_tIlNS8_12zip_iteratorINS8_5tupleINS8_6detail15normal_iteratorINS8_10device_ptrIsEEEESH_NS8_9null_typeESI_SI_SI_SI_SI_SI_SI_EEEENS9_21zip_adj_not_predicateI22is_equal_div_10_uniqueIsEEEEEPllNS8_4plusIlEEEE10hipError_tPvRmT1_T2_T3_mT4_P12ihipStream_tbEUlT_E1_NS1_11comp_targetILNS1_3genE10ELNS1_11target_archE1200ELNS1_3gpuE4ELNS1_3repE0EEENS1_30default_config_static_selectorELNS0_4arch9wavefront6targetE1EEEvSW_.num_named_barrier, 0
	.set _ZN7rocprim17ROCPRIM_400000_NS6detail17trampoline_kernelINS0_14default_configENS1_22reduce_config_selectorIlEEZNS1_11reduce_implILb1ES3_N6thrust23THRUST_200600_302600_NS11hip_rocprim26transform_input_iterator_tIlNS8_12zip_iteratorINS8_5tupleINS8_6detail15normal_iteratorINS8_10device_ptrIsEEEESH_NS8_9null_typeESI_SI_SI_SI_SI_SI_SI_EEEENS9_21zip_adj_not_predicateI22is_equal_div_10_uniqueIsEEEEEPllNS8_4plusIlEEEE10hipError_tPvRmT1_T2_T3_mT4_P12ihipStream_tbEUlT_E1_NS1_11comp_targetILNS1_3genE10ELNS1_11target_archE1200ELNS1_3gpuE4ELNS1_3repE0EEENS1_30default_config_static_selectorELNS0_4arch9wavefront6targetE1EEEvSW_.private_seg_size, 0
	.set _ZN7rocprim17ROCPRIM_400000_NS6detail17trampoline_kernelINS0_14default_configENS1_22reduce_config_selectorIlEEZNS1_11reduce_implILb1ES3_N6thrust23THRUST_200600_302600_NS11hip_rocprim26transform_input_iterator_tIlNS8_12zip_iteratorINS8_5tupleINS8_6detail15normal_iteratorINS8_10device_ptrIsEEEESH_NS8_9null_typeESI_SI_SI_SI_SI_SI_SI_EEEENS9_21zip_adj_not_predicateI22is_equal_div_10_uniqueIsEEEEEPllNS8_4plusIlEEEE10hipError_tPvRmT1_T2_T3_mT4_P12ihipStream_tbEUlT_E1_NS1_11comp_targetILNS1_3genE10ELNS1_11target_archE1200ELNS1_3gpuE4ELNS1_3repE0EEENS1_30default_config_static_selectorELNS0_4arch9wavefront6targetE1EEEvSW_.uses_vcc, 0
	.set _ZN7rocprim17ROCPRIM_400000_NS6detail17trampoline_kernelINS0_14default_configENS1_22reduce_config_selectorIlEEZNS1_11reduce_implILb1ES3_N6thrust23THRUST_200600_302600_NS11hip_rocprim26transform_input_iterator_tIlNS8_12zip_iteratorINS8_5tupleINS8_6detail15normal_iteratorINS8_10device_ptrIsEEEESH_NS8_9null_typeESI_SI_SI_SI_SI_SI_SI_EEEENS9_21zip_adj_not_predicateI22is_equal_div_10_uniqueIsEEEEEPllNS8_4plusIlEEEE10hipError_tPvRmT1_T2_T3_mT4_P12ihipStream_tbEUlT_E1_NS1_11comp_targetILNS1_3genE10ELNS1_11target_archE1200ELNS1_3gpuE4ELNS1_3repE0EEENS1_30default_config_static_selectorELNS0_4arch9wavefront6targetE1EEEvSW_.uses_flat_scratch, 0
	.set _ZN7rocprim17ROCPRIM_400000_NS6detail17trampoline_kernelINS0_14default_configENS1_22reduce_config_selectorIlEEZNS1_11reduce_implILb1ES3_N6thrust23THRUST_200600_302600_NS11hip_rocprim26transform_input_iterator_tIlNS8_12zip_iteratorINS8_5tupleINS8_6detail15normal_iteratorINS8_10device_ptrIsEEEESH_NS8_9null_typeESI_SI_SI_SI_SI_SI_SI_EEEENS9_21zip_adj_not_predicateI22is_equal_div_10_uniqueIsEEEEEPllNS8_4plusIlEEEE10hipError_tPvRmT1_T2_T3_mT4_P12ihipStream_tbEUlT_E1_NS1_11comp_targetILNS1_3genE10ELNS1_11target_archE1200ELNS1_3gpuE4ELNS1_3repE0EEENS1_30default_config_static_selectorELNS0_4arch9wavefront6targetE1EEEvSW_.has_dyn_sized_stack, 0
	.set _ZN7rocprim17ROCPRIM_400000_NS6detail17trampoline_kernelINS0_14default_configENS1_22reduce_config_selectorIlEEZNS1_11reduce_implILb1ES3_N6thrust23THRUST_200600_302600_NS11hip_rocprim26transform_input_iterator_tIlNS8_12zip_iteratorINS8_5tupleINS8_6detail15normal_iteratorINS8_10device_ptrIsEEEESH_NS8_9null_typeESI_SI_SI_SI_SI_SI_SI_EEEENS9_21zip_adj_not_predicateI22is_equal_div_10_uniqueIsEEEEEPllNS8_4plusIlEEEE10hipError_tPvRmT1_T2_T3_mT4_P12ihipStream_tbEUlT_E1_NS1_11comp_targetILNS1_3genE10ELNS1_11target_archE1200ELNS1_3gpuE4ELNS1_3repE0EEENS1_30default_config_static_selectorELNS0_4arch9wavefront6targetE1EEEvSW_.has_recursion, 0
	.set _ZN7rocprim17ROCPRIM_400000_NS6detail17trampoline_kernelINS0_14default_configENS1_22reduce_config_selectorIlEEZNS1_11reduce_implILb1ES3_N6thrust23THRUST_200600_302600_NS11hip_rocprim26transform_input_iterator_tIlNS8_12zip_iteratorINS8_5tupleINS8_6detail15normal_iteratorINS8_10device_ptrIsEEEESH_NS8_9null_typeESI_SI_SI_SI_SI_SI_SI_EEEENS9_21zip_adj_not_predicateI22is_equal_div_10_uniqueIsEEEEEPllNS8_4plusIlEEEE10hipError_tPvRmT1_T2_T3_mT4_P12ihipStream_tbEUlT_E1_NS1_11comp_targetILNS1_3genE10ELNS1_11target_archE1200ELNS1_3gpuE4ELNS1_3repE0EEENS1_30default_config_static_selectorELNS0_4arch9wavefront6targetE1EEEvSW_.has_indirect_call, 0
	.section	.AMDGPU.csdata,"",@progbits
; Kernel info:
; codeLenInByte = 0
; TotalNumSgprs: 4
; NumVgprs: 0
; ScratchSize: 0
; MemoryBound: 0
; FloatMode: 240
; IeeeMode: 1
; LDSByteSize: 0 bytes/workgroup (compile time only)
; SGPRBlocks: 0
; VGPRBlocks: 0
; NumSGPRsForWavesPerEU: 4
; NumVGPRsForWavesPerEU: 1
; Occupancy: 10
; WaveLimiterHint : 0
; COMPUTE_PGM_RSRC2:SCRATCH_EN: 0
; COMPUTE_PGM_RSRC2:USER_SGPR: 6
; COMPUTE_PGM_RSRC2:TRAP_HANDLER: 0
; COMPUTE_PGM_RSRC2:TGID_X_EN: 1
; COMPUTE_PGM_RSRC2:TGID_Y_EN: 0
; COMPUTE_PGM_RSRC2:TGID_Z_EN: 0
; COMPUTE_PGM_RSRC2:TIDIG_COMP_CNT: 0
	.section	.text._ZN7rocprim17ROCPRIM_400000_NS6detail17trampoline_kernelINS0_14default_configENS1_22reduce_config_selectorIlEEZNS1_11reduce_implILb1ES3_N6thrust23THRUST_200600_302600_NS11hip_rocprim26transform_input_iterator_tIlNS8_12zip_iteratorINS8_5tupleINS8_6detail15normal_iteratorINS8_10device_ptrIsEEEESH_NS8_9null_typeESI_SI_SI_SI_SI_SI_SI_EEEENS9_21zip_adj_not_predicateI22is_equal_div_10_uniqueIsEEEEEPllNS8_4plusIlEEEE10hipError_tPvRmT1_T2_T3_mT4_P12ihipStream_tbEUlT_E1_NS1_11comp_targetILNS1_3genE9ELNS1_11target_archE1100ELNS1_3gpuE3ELNS1_3repE0EEENS1_30default_config_static_selectorELNS0_4arch9wavefront6targetE1EEEvSW_,"axG",@progbits,_ZN7rocprim17ROCPRIM_400000_NS6detail17trampoline_kernelINS0_14default_configENS1_22reduce_config_selectorIlEEZNS1_11reduce_implILb1ES3_N6thrust23THRUST_200600_302600_NS11hip_rocprim26transform_input_iterator_tIlNS8_12zip_iteratorINS8_5tupleINS8_6detail15normal_iteratorINS8_10device_ptrIsEEEESH_NS8_9null_typeESI_SI_SI_SI_SI_SI_SI_EEEENS9_21zip_adj_not_predicateI22is_equal_div_10_uniqueIsEEEEEPllNS8_4plusIlEEEE10hipError_tPvRmT1_T2_T3_mT4_P12ihipStream_tbEUlT_E1_NS1_11comp_targetILNS1_3genE9ELNS1_11target_archE1100ELNS1_3gpuE3ELNS1_3repE0EEENS1_30default_config_static_selectorELNS0_4arch9wavefront6targetE1EEEvSW_,comdat
	.protected	_ZN7rocprim17ROCPRIM_400000_NS6detail17trampoline_kernelINS0_14default_configENS1_22reduce_config_selectorIlEEZNS1_11reduce_implILb1ES3_N6thrust23THRUST_200600_302600_NS11hip_rocprim26transform_input_iterator_tIlNS8_12zip_iteratorINS8_5tupleINS8_6detail15normal_iteratorINS8_10device_ptrIsEEEESH_NS8_9null_typeESI_SI_SI_SI_SI_SI_SI_EEEENS9_21zip_adj_not_predicateI22is_equal_div_10_uniqueIsEEEEEPllNS8_4plusIlEEEE10hipError_tPvRmT1_T2_T3_mT4_P12ihipStream_tbEUlT_E1_NS1_11comp_targetILNS1_3genE9ELNS1_11target_archE1100ELNS1_3gpuE3ELNS1_3repE0EEENS1_30default_config_static_selectorELNS0_4arch9wavefront6targetE1EEEvSW_ ; -- Begin function _ZN7rocprim17ROCPRIM_400000_NS6detail17trampoline_kernelINS0_14default_configENS1_22reduce_config_selectorIlEEZNS1_11reduce_implILb1ES3_N6thrust23THRUST_200600_302600_NS11hip_rocprim26transform_input_iterator_tIlNS8_12zip_iteratorINS8_5tupleINS8_6detail15normal_iteratorINS8_10device_ptrIsEEEESH_NS8_9null_typeESI_SI_SI_SI_SI_SI_SI_EEEENS9_21zip_adj_not_predicateI22is_equal_div_10_uniqueIsEEEEEPllNS8_4plusIlEEEE10hipError_tPvRmT1_T2_T3_mT4_P12ihipStream_tbEUlT_E1_NS1_11comp_targetILNS1_3genE9ELNS1_11target_archE1100ELNS1_3gpuE3ELNS1_3repE0EEENS1_30default_config_static_selectorELNS0_4arch9wavefront6targetE1EEEvSW_
	.globl	_ZN7rocprim17ROCPRIM_400000_NS6detail17trampoline_kernelINS0_14default_configENS1_22reduce_config_selectorIlEEZNS1_11reduce_implILb1ES3_N6thrust23THRUST_200600_302600_NS11hip_rocprim26transform_input_iterator_tIlNS8_12zip_iteratorINS8_5tupleINS8_6detail15normal_iteratorINS8_10device_ptrIsEEEESH_NS8_9null_typeESI_SI_SI_SI_SI_SI_SI_EEEENS9_21zip_adj_not_predicateI22is_equal_div_10_uniqueIsEEEEEPllNS8_4plusIlEEEE10hipError_tPvRmT1_T2_T3_mT4_P12ihipStream_tbEUlT_E1_NS1_11comp_targetILNS1_3genE9ELNS1_11target_archE1100ELNS1_3gpuE3ELNS1_3repE0EEENS1_30default_config_static_selectorELNS0_4arch9wavefront6targetE1EEEvSW_
	.p2align	8
	.type	_ZN7rocprim17ROCPRIM_400000_NS6detail17trampoline_kernelINS0_14default_configENS1_22reduce_config_selectorIlEEZNS1_11reduce_implILb1ES3_N6thrust23THRUST_200600_302600_NS11hip_rocprim26transform_input_iterator_tIlNS8_12zip_iteratorINS8_5tupleINS8_6detail15normal_iteratorINS8_10device_ptrIsEEEESH_NS8_9null_typeESI_SI_SI_SI_SI_SI_SI_EEEENS9_21zip_adj_not_predicateI22is_equal_div_10_uniqueIsEEEEEPllNS8_4plusIlEEEE10hipError_tPvRmT1_T2_T3_mT4_P12ihipStream_tbEUlT_E1_NS1_11comp_targetILNS1_3genE9ELNS1_11target_archE1100ELNS1_3gpuE3ELNS1_3repE0EEENS1_30default_config_static_selectorELNS0_4arch9wavefront6targetE1EEEvSW_,@function
_ZN7rocprim17ROCPRIM_400000_NS6detail17trampoline_kernelINS0_14default_configENS1_22reduce_config_selectorIlEEZNS1_11reduce_implILb1ES3_N6thrust23THRUST_200600_302600_NS11hip_rocprim26transform_input_iterator_tIlNS8_12zip_iteratorINS8_5tupleINS8_6detail15normal_iteratorINS8_10device_ptrIsEEEESH_NS8_9null_typeESI_SI_SI_SI_SI_SI_SI_EEEENS9_21zip_adj_not_predicateI22is_equal_div_10_uniqueIsEEEEEPllNS8_4plusIlEEEE10hipError_tPvRmT1_T2_T3_mT4_P12ihipStream_tbEUlT_E1_NS1_11comp_targetILNS1_3genE9ELNS1_11target_archE1100ELNS1_3gpuE3ELNS1_3repE0EEENS1_30default_config_static_selectorELNS0_4arch9wavefront6targetE1EEEvSW_: ; @_ZN7rocprim17ROCPRIM_400000_NS6detail17trampoline_kernelINS0_14default_configENS1_22reduce_config_selectorIlEEZNS1_11reduce_implILb1ES3_N6thrust23THRUST_200600_302600_NS11hip_rocprim26transform_input_iterator_tIlNS8_12zip_iteratorINS8_5tupleINS8_6detail15normal_iteratorINS8_10device_ptrIsEEEESH_NS8_9null_typeESI_SI_SI_SI_SI_SI_SI_EEEENS9_21zip_adj_not_predicateI22is_equal_div_10_uniqueIsEEEEEPllNS8_4plusIlEEEE10hipError_tPvRmT1_T2_T3_mT4_P12ihipStream_tbEUlT_E1_NS1_11comp_targetILNS1_3genE9ELNS1_11target_archE1100ELNS1_3gpuE3ELNS1_3repE0EEENS1_30default_config_static_selectorELNS0_4arch9wavefront6targetE1EEEvSW_
; %bb.0:
	.section	.rodata,"a",@progbits
	.p2align	6, 0x0
	.amdhsa_kernel _ZN7rocprim17ROCPRIM_400000_NS6detail17trampoline_kernelINS0_14default_configENS1_22reduce_config_selectorIlEEZNS1_11reduce_implILb1ES3_N6thrust23THRUST_200600_302600_NS11hip_rocprim26transform_input_iterator_tIlNS8_12zip_iteratorINS8_5tupleINS8_6detail15normal_iteratorINS8_10device_ptrIsEEEESH_NS8_9null_typeESI_SI_SI_SI_SI_SI_SI_EEEENS9_21zip_adj_not_predicateI22is_equal_div_10_uniqueIsEEEEEPllNS8_4plusIlEEEE10hipError_tPvRmT1_T2_T3_mT4_P12ihipStream_tbEUlT_E1_NS1_11comp_targetILNS1_3genE9ELNS1_11target_archE1100ELNS1_3gpuE3ELNS1_3repE0EEENS1_30default_config_static_selectorELNS0_4arch9wavefront6targetE1EEEvSW_
		.amdhsa_group_segment_fixed_size 0
		.amdhsa_private_segment_fixed_size 0
		.amdhsa_kernarg_size 64
		.amdhsa_user_sgpr_count 6
		.amdhsa_user_sgpr_private_segment_buffer 1
		.amdhsa_user_sgpr_dispatch_ptr 0
		.amdhsa_user_sgpr_queue_ptr 0
		.amdhsa_user_sgpr_kernarg_segment_ptr 1
		.amdhsa_user_sgpr_dispatch_id 0
		.amdhsa_user_sgpr_flat_scratch_init 0
		.amdhsa_user_sgpr_private_segment_size 0
		.amdhsa_uses_dynamic_stack 0
		.amdhsa_system_sgpr_private_segment_wavefront_offset 0
		.amdhsa_system_sgpr_workgroup_id_x 1
		.amdhsa_system_sgpr_workgroup_id_y 0
		.amdhsa_system_sgpr_workgroup_id_z 0
		.amdhsa_system_sgpr_workgroup_info 0
		.amdhsa_system_vgpr_workitem_id 0
		.amdhsa_next_free_vgpr 1
		.amdhsa_next_free_sgpr 0
		.amdhsa_reserve_vcc 0
		.amdhsa_reserve_flat_scratch 0
		.amdhsa_float_round_mode_32 0
		.amdhsa_float_round_mode_16_64 0
		.amdhsa_float_denorm_mode_32 3
		.amdhsa_float_denorm_mode_16_64 3
		.amdhsa_dx10_clamp 1
		.amdhsa_ieee_mode 1
		.amdhsa_fp16_overflow 0
		.amdhsa_exception_fp_ieee_invalid_op 0
		.amdhsa_exception_fp_denorm_src 0
		.amdhsa_exception_fp_ieee_div_zero 0
		.amdhsa_exception_fp_ieee_overflow 0
		.amdhsa_exception_fp_ieee_underflow 0
		.amdhsa_exception_fp_ieee_inexact 0
		.amdhsa_exception_int_div_zero 0
	.end_amdhsa_kernel
	.section	.text._ZN7rocprim17ROCPRIM_400000_NS6detail17trampoline_kernelINS0_14default_configENS1_22reduce_config_selectorIlEEZNS1_11reduce_implILb1ES3_N6thrust23THRUST_200600_302600_NS11hip_rocprim26transform_input_iterator_tIlNS8_12zip_iteratorINS8_5tupleINS8_6detail15normal_iteratorINS8_10device_ptrIsEEEESH_NS8_9null_typeESI_SI_SI_SI_SI_SI_SI_EEEENS9_21zip_adj_not_predicateI22is_equal_div_10_uniqueIsEEEEEPllNS8_4plusIlEEEE10hipError_tPvRmT1_T2_T3_mT4_P12ihipStream_tbEUlT_E1_NS1_11comp_targetILNS1_3genE9ELNS1_11target_archE1100ELNS1_3gpuE3ELNS1_3repE0EEENS1_30default_config_static_selectorELNS0_4arch9wavefront6targetE1EEEvSW_,"axG",@progbits,_ZN7rocprim17ROCPRIM_400000_NS6detail17trampoline_kernelINS0_14default_configENS1_22reduce_config_selectorIlEEZNS1_11reduce_implILb1ES3_N6thrust23THRUST_200600_302600_NS11hip_rocprim26transform_input_iterator_tIlNS8_12zip_iteratorINS8_5tupleINS8_6detail15normal_iteratorINS8_10device_ptrIsEEEESH_NS8_9null_typeESI_SI_SI_SI_SI_SI_SI_EEEENS9_21zip_adj_not_predicateI22is_equal_div_10_uniqueIsEEEEEPllNS8_4plusIlEEEE10hipError_tPvRmT1_T2_T3_mT4_P12ihipStream_tbEUlT_E1_NS1_11comp_targetILNS1_3genE9ELNS1_11target_archE1100ELNS1_3gpuE3ELNS1_3repE0EEENS1_30default_config_static_selectorELNS0_4arch9wavefront6targetE1EEEvSW_,comdat
.Lfunc_end1029:
	.size	_ZN7rocprim17ROCPRIM_400000_NS6detail17trampoline_kernelINS0_14default_configENS1_22reduce_config_selectorIlEEZNS1_11reduce_implILb1ES3_N6thrust23THRUST_200600_302600_NS11hip_rocprim26transform_input_iterator_tIlNS8_12zip_iteratorINS8_5tupleINS8_6detail15normal_iteratorINS8_10device_ptrIsEEEESH_NS8_9null_typeESI_SI_SI_SI_SI_SI_SI_EEEENS9_21zip_adj_not_predicateI22is_equal_div_10_uniqueIsEEEEEPllNS8_4plusIlEEEE10hipError_tPvRmT1_T2_T3_mT4_P12ihipStream_tbEUlT_E1_NS1_11comp_targetILNS1_3genE9ELNS1_11target_archE1100ELNS1_3gpuE3ELNS1_3repE0EEENS1_30default_config_static_selectorELNS0_4arch9wavefront6targetE1EEEvSW_, .Lfunc_end1029-_ZN7rocprim17ROCPRIM_400000_NS6detail17trampoline_kernelINS0_14default_configENS1_22reduce_config_selectorIlEEZNS1_11reduce_implILb1ES3_N6thrust23THRUST_200600_302600_NS11hip_rocprim26transform_input_iterator_tIlNS8_12zip_iteratorINS8_5tupleINS8_6detail15normal_iteratorINS8_10device_ptrIsEEEESH_NS8_9null_typeESI_SI_SI_SI_SI_SI_SI_EEEENS9_21zip_adj_not_predicateI22is_equal_div_10_uniqueIsEEEEEPllNS8_4plusIlEEEE10hipError_tPvRmT1_T2_T3_mT4_P12ihipStream_tbEUlT_E1_NS1_11comp_targetILNS1_3genE9ELNS1_11target_archE1100ELNS1_3gpuE3ELNS1_3repE0EEENS1_30default_config_static_selectorELNS0_4arch9wavefront6targetE1EEEvSW_
                                        ; -- End function
	.set _ZN7rocprim17ROCPRIM_400000_NS6detail17trampoline_kernelINS0_14default_configENS1_22reduce_config_selectorIlEEZNS1_11reduce_implILb1ES3_N6thrust23THRUST_200600_302600_NS11hip_rocprim26transform_input_iterator_tIlNS8_12zip_iteratorINS8_5tupleINS8_6detail15normal_iteratorINS8_10device_ptrIsEEEESH_NS8_9null_typeESI_SI_SI_SI_SI_SI_SI_EEEENS9_21zip_adj_not_predicateI22is_equal_div_10_uniqueIsEEEEEPllNS8_4plusIlEEEE10hipError_tPvRmT1_T2_T3_mT4_P12ihipStream_tbEUlT_E1_NS1_11comp_targetILNS1_3genE9ELNS1_11target_archE1100ELNS1_3gpuE3ELNS1_3repE0EEENS1_30default_config_static_selectorELNS0_4arch9wavefront6targetE1EEEvSW_.num_vgpr, 0
	.set _ZN7rocprim17ROCPRIM_400000_NS6detail17trampoline_kernelINS0_14default_configENS1_22reduce_config_selectorIlEEZNS1_11reduce_implILb1ES3_N6thrust23THRUST_200600_302600_NS11hip_rocprim26transform_input_iterator_tIlNS8_12zip_iteratorINS8_5tupleINS8_6detail15normal_iteratorINS8_10device_ptrIsEEEESH_NS8_9null_typeESI_SI_SI_SI_SI_SI_SI_EEEENS9_21zip_adj_not_predicateI22is_equal_div_10_uniqueIsEEEEEPllNS8_4plusIlEEEE10hipError_tPvRmT1_T2_T3_mT4_P12ihipStream_tbEUlT_E1_NS1_11comp_targetILNS1_3genE9ELNS1_11target_archE1100ELNS1_3gpuE3ELNS1_3repE0EEENS1_30default_config_static_selectorELNS0_4arch9wavefront6targetE1EEEvSW_.num_agpr, 0
	.set _ZN7rocprim17ROCPRIM_400000_NS6detail17trampoline_kernelINS0_14default_configENS1_22reduce_config_selectorIlEEZNS1_11reduce_implILb1ES3_N6thrust23THRUST_200600_302600_NS11hip_rocprim26transform_input_iterator_tIlNS8_12zip_iteratorINS8_5tupleINS8_6detail15normal_iteratorINS8_10device_ptrIsEEEESH_NS8_9null_typeESI_SI_SI_SI_SI_SI_SI_EEEENS9_21zip_adj_not_predicateI22is_equal_div_10_uniqueIsEEEEEPllNS8_4plusIlEEEE10hipError_tPvRmT1_T2_T3_mT4_P12ihipStream_tbEUlT_E1_NS1_11comp_targetILNS1_3genE9ELNS1_11target_archE1100ELNS1_3gpuE3ELNS1_3repE0EEENS1_30default_config_static_selectorELNS0_4arch9wavefront6targetE1EEEvSW_.numbered_sgpr, 0
	.set _ZN7rocprim17ROCPRIM_400000_NS6detail17trampoline_kernelINS0_14default_configENS1_22reduce_config_selectorIlEEZNS1_11reduce_implILb1ES3_N6thrust23THRUST_200600_302600_NS11hip_rocprim26transform_input_iterator_tIlNS8_12zip_iteratorINS8_5tupleINS8_6detail15normal_iteratorINS8_10device_ptrIsEEEESH_NS8_9null_typeESI_SI_SI_SI_SI_SI_SI_EEEENS9_21zip_adj_not_predicateI22is_equal_div_10_uniqueIsEEEEEPllNS8_4plusIlEEEE10hipError_tPvRmT1_T2_T3_mT4_P12ihipStream_tbEUlT_E1_NS1_11comp_targetILNS1_3genE9ELNS1_11target_archE1100ELNS1_3gpuE3ELNS1_3repE0EEENS1_30default_config_static_selectorELNS0_4arch9wavefront6targetE1EEEvSW_.num_named_barrier, 0
	.set _ZN7rocprim17ROCPRIM_400000_NS6detail17trampoline_kernelINS0_14default_configENS1_22reduce_config_selectorIlEEZNS1_11reduce_implILb1ES3_N6thrust23THRUST_200600_302600_NS11hip_rocprim26transform_input_iterator_tIlNS8_12zip_iteratorINS8_5tupleINS8_6detail15normal_iteratorINS8_10device_ptrIsEEEESH_NS8_9null_typeESI_SI_SI_SI_SI_SI_SI_EEEENS9_21zip_adj_not_predicateI22is_equal_div_10_uniqueIsEEEEEPllNS8_4plusIlEEEE10hipError_tPvRmT1_T2_T3_mT4_P12ihipStream_tbEUlT_E1_NS1_11comp_targetILNS1_3genE9ELNS1_11target_archE1100ELNS1_3gpuE3ELNS1_3repE0EEENS1_30default_config_static_selectorELNS0_4arch9wavefront6targetE1EEEvSW_.private_seg_size, 0
	.set _ZN7rocprim17ROCPRIM_400000_NS6detail17trampoline_kernelINS0_14default_configENS1_22reduce_config_selectorIlEEZNS1_11reduce_implILb1ES3_N6thrust23THRUST_200600_302600_NS11hip_rocprim26transform_input_iterator_tIlNS8_12zip_iteratorINS8_5tupleINS8_6detail15normal_iteratorINS8_10device_ptrIsEEEESH_NS8_9null_typeESI_SI_SI_SI_SI_SI_SI_EEEENS9_21zip_adj_not_predicateI22is_equal_div_10_uniqueIsEEEEEPllNS8_4plusIlEEEE10hipError_tPvRmT1_T2_T3_mT4_P12ihipStream_tbEUlT_E1_NS1_11comp_targetILNS1_3genE9ELNS1_11target_archE1100ELNS1_3gpuE3ELNS1_3repE0EEENS1_30default_config_static_selectorELNS0_4arch9wavefront6targetE1EEEvSW_.uses_vcc, 0
	.set _ZN7rocprim17ROCPRIM_400000_NS6detail17trampoline_kernelINS0_14default_configENS1_22reduce_config_selectorIlEEZNS1_11reduce_implILb1ES3_N6thrust23THRUST_200600_302600_NS11hip_rocprim26transform_input_iterator_tIlNS8_12zip_iteratorINS8_5tupleINS8_6detail15normal_iteratorINS8_10device_ptrIsEEEESH_NS8_9null_typeESI_SI_SI_SI_SI_SI_SI_EEEENS9_21zip_adj_not_predicateI22is_equal_div_10_uniqueIsEEEEEPllNS8_4plusIlEEEE10hipError_tPvRmT1_T2_T3_mT4_P12ihipStream_tbEUlT_E1_NS1_11comp_targetILNS1_3genE9ELNS1_11target_archE1100ELNS1_3gpuE3ELNS1_3repE0EEENS1_30default_config_static_selectorELNS0_4arch9wavefront6targetE1EEEvSW_.uses_flat_scratch, 0
	.set _ZN7rocprim17ROCPRIM_400000_NS6detail17trampoline_kernelINS0_14default_configENS1_22reduce_config_selectorIlEEZNS1_11reduce_implILb1ES3_N6thrust23THRUST_200600_302600_NS11hip_rocprim26transform_input_iterator_tIlNS8_12zip_iteratorINS8_5tupleINS8_6detail15normal_iteratorINS8_10device_ptrIsEEEESH_NS8_9null_typeESI_SI_SI_SI_SI_SI_SI_EEEENS9_21zip_adj_not_predicateI22is_equal_div_10_uniqueIsEEEEEPllNS8_4plusIlEEEE10hipError_tPvRmT1_T2_T3_mT4_P12ihipStream_tbEUlT_E1_NS1_11comp_targetILNS1_3genE9ELNS1_11target_archE1100ELNS1_3gpuE3ELNS1_3repE0EEENS1_30default_config_static_selectorELNS0_4arch9wavefront6targetE1EEEvSW_.has_dyn_sized_stack, 0
	.set _ZN7rocprim17ROCPRIM_400000_NS6detail17trampoline_kernelINS0_14default_configENS1_22reduce_config_selectorIlEEZNS1_11reduce_implILb1ES3_N6thrust23THRUST_200600_302600_NS11hip_rocprim26transform_input_iterator_tIlNS8_12zip_iteratorINS8_5tupleINS8_6detail15normal_iteratorINS8_10device_ptrIsEEEESH_NS8_9null_typeESI_SI_SI_SI_SI_SI_SI_EEEENS9_21zip_adj_not_predicateI22is_equal_div_10_uniqueIsEEEEEPllNS8_4plusIlEEEE10hipError_tPvRmT1_T2_T3_mT4_P12ihipStream_tbEUlT_E1_NS1_11comp_targetILNS1_3genE9ELNS1_11target_archE1100ELNS1_3gpuE3ELNS1_3repE0EEENS1_30default_config_static_selectorELNS0_4arch9wavefront6targetE1EEEvSW_.has_recursion, 0
	.set _ZN7rocprim17ROCPRIM_400000_NS6detail17trampoline_kernelINS0_14default_configENS1_22reduce_config_selectorIlEEZNS1_11reduce_implILb1ES3_N6thrust23THRUST_200600_302600_NS11hip_rocprim26transform_input_iterator_tIlNS8_12zip_iteratorINS8_5tupleINS8_6detail15normal_iteratorINS8_10device_ptrIsEEEESH_NS8_9null_typeESI_SI_SI_SI_SI_SI_SI_EEEENS9_21zip_adj_not_predicateI22is_equal_div_10_uniqueIsEEEEEPllNS8_4plusIlEEEE10hipError_tPvRmT1_T2_T3_mT4_P12ihipStream_tbEUlT_E1_NS1_11comp_targetILNS1_3genE9ELNS1_11target_archE1100ELNS1_3gpuE3ELNS1_3repE0EEENS1_30default_config_static_selectorELNS0_4arch9wavefront6targetE1EEEvSW_.has_indirect_call, 0
	.section	.AMDGPU.csdata,"",@progbits
; Kernel info:
; codeLenInByte = 0
; TotalNumSgprs: 4
; NumVgprs: 0
; ScratchSize: 0
; MemoryBound: 0
; FloatMode: 240
; IeeeMode: 1
; LDSByteSize: 0 bytes/workgroup (compile time only)
; SGPRBlocks: 0
; VGPRBlocks: 0
; NumSGPRsForWavesPerEU: 4
; NumVGPRsForWavesPerEU: 1
; Occupancy: 10
; WaveLimiterHint : 0
; COMPUTE_PGM_RSRC2:SCRATCH_EN: 0
; COMPUTE_PGM_RSRC2:USER_SGPR: 6
; COMPUTE_PGM_RSRC2:TRAP_HANDLER: 0
; COMPUTE_PGM_RSRC2:TGID_X_EN: 1
; COMPUTE_PGM_RSRC2:TGID_Y_EN: 0
; COMPUTE_PGM_RSRC2:TGID_Z_EN: 0
; COMPUTE_PGM_RSRC2:TIDIG_COMP_CNT: 0
	.section	.text._ZN7rocprim17ROCPRIM_400000_NS6detail17trampoline_kernelINS0_14default_configENS1_22reduce_config_selectorIlEEZNS1_11reduce_implILb1ES3_N6thrust23THRUST_200600_302600_NS11hip_rocprim26transform_input_iterator_tIlNS8_12zip_iteratorINS8_5tupleINS8_6detail15normal_iteratorINS8_10device_ptrIsEEEESH_NS8_9null_typeESI_SI_SI_SI_SI_SI_SI_EEEENS9_21zip_adj_not_predicateI22is_equal_div_10_uniqueIsEEEEEPllNS8_4plusIlEEEE10hipError_tPvRmT1_T2_T3_mT4_P12ihipStream_tbEUlT_E1_NS1_11comp_targetILNS1_3genE8ELNS1_11target_archE1030ELNS1_3gpuE2ELNS1_3repE0EEENS1_30default_config_static_selectorELNS0_4arch9wavefront6targetE1EEEvSW_,"axG",@progbits,_ZN7rocprim17ROCPRIM_400000_NS6detail17trampoline_kernelINS0_14default_configENS1_22reduce_config_selectorIlEEZNS1_11reduce_implILb1ES3_N6thrust23THRUST_200600_302600_NS11hip_rocprim26transform_input_iterator_tIlNS8_12zip_iteratorINS8_5tupleINS8_6detail15normal_iteratorINS8_10device_ptrIsEEEESH_NS8_9null_typeESI_SI_SI_SI_SI_SI_SI_EEEENS9_21zip_adj_not_predicateI22is_equal_div_10_uniqueIsEEEEEPllNS8_4plusIlEEEE10hipError_tPvRmT1_T2_T3_mT4_P12ihipStream_tbEUlT_E1_NS1_11comp_targetILNS1_3genE8ELNS1_11target_archE1030ELNS1_3gpuE2ELNS1_3repE0EEENS1_30default_config_static_selectorELNS0_4arch9wavefront6targetE1EEEvSW_,comdat
	.protected	_ZN7rocprim17ROCPRIM_400000_NS6detail17trampoline_kernelINS0_14default_configENS1_22reduce_config_selectorIlEEZNS1_11reduce_implILb1ES3_N6thrust23THRUST_200600_302600_NS11hip_rocprim26transform_input_iterator_tIlNS8_12zip_iteratorINS8_5tupleINS8_6detail15normal_iteratorINS8_10device_ptrIsEEEESH_NS8_9null_typeESI_SI_SI_SI_SI_SI_SI_EEEENS9_21zip_adj_not_predicateI22is_equal_div_10_uniqueIsEEEEEPllNS8_4plusIlEEEE10hipError_tPvRmT1_T2_T3_mT4_P12ihipStream_tbEUlT_E1_NS1_11comp_targetILNS1_3genE8ELNS1_11target_archE1030ELNS1_3gpuE2ELNS1_3repE0EEENS1_30default_config_static_selectorELNS0_4arch9wavefront6targetE1EEEvSW_ ; -- Begin function _ZN7rocprim17ROCPRIM_400000_NS6detail17trampoline_kernelINS0_14default_configENS1_22reduce_config_selectorIlEEZNS1_11reduce_implILb1ES3_N6thrust23THRUST_200600_302600_NS11hip_rocprim26transform_input_iterator_tIlNS8_12zip_iteratorINS8_5tupleINS8_6detail15normal_iteratorINS8_10device_ptrIsEEEESH_NS8_9null_typeESI_SI_SI_SI_SI_SI_SI_EEEENS9_21zip_adj_not_predicateI22is_equal_div_10_uniqueIsEEEEEPllNS8_4plusIlEEEE10hipError_tPvRmT1_T2_T3_mT4_P12ihipStream_tbEUlT_E1_NS1_11comp_targetILNS1_3genE8ELNS1_11target_archE1030ELNS1_3gpuE2ELNS1_3repE0EEENS1_30default_config_static_selectorELNS0_4arch9wavefront6targetE1EEEvSW_
	.globl	_ZN7rocprim17ROCPRIM_400000_NS6detail17trampoline_kernelINS0_14default_configENS1_22reduce_config_selectorIlEEZNS1_11reduce_implILb1ES3_N6thrust23THRUST_200600_302600_NS11hip_rocprim26transform_input_iterator_tIlNS8_12zip_iteratorINS8_5tupleINS8_6detail15normal_iteratorINS8_10device_ptrIsEEEESH_NS8_9null_typeESI_SI_SI_SI_SI_SI_SI_EEEENS9_21zip_adj_not_predicateI22is_equal_div_10_uniqueIsEEEEEPllNS8_4plusIlEEEE10hipError_tPvRmT1_T2_T3_mT4_P12ihipStream_tbEUlT_E1_NS1_11comp_targetILNS1_3genE8ELNS1_11target_archE1030ELNS1_3gpuE2ELNS1_3repE0EEENS1_30default_config_static_selectorELNS0_4arch9wavefront6targetE1EEEvSW_
	.p2align	8
	.type	_ZN7rocprim17ROCPRIM_400000_NS6detail17trampoline_kernelINS0_14default_configENS1_22reduce_config_selectorIlEEZNS1_11reduce_implILb1ES3_N6thrust23THRUST_200600_302600_NS11hip_rocprim26transform_input_iterator_tIlNS8_12zip_iteratorINS8_5tupleINS8_6detail15normal_iteratorINS8_10device_ptrIsEEEESH_NS8_9null_typeESI_SI_SI_SI_SI_SI_SI_EEEENS9_21zip_adj_not_predicateI22is_equal_div_10_uniqueIsEEEEEPllNS8_4plusIlEEEE10hipError_tPvRmT1_T2_T3_mT4_P12ihipStream_tbEUlT_E1_NS1_11comp_targetILNS1_3genE8ELNS1_11target_archE1030ELNS1_3gpuE2ELNS1_3repE0EEENS1_30default_config_static_selectorELNS0_4arch9wavefront6targetE1EEEvSW_,@function
_ZN7rocprim17ROCPRIM_400000_NS6detail17trampoline_kernelINS0_14default_configENS1_22reduce_config_selectorIlEEZNS1_11reduce_implILb1ES3_N6thrust23THRUST_200600_302600_NS11hip_rocprim26transform_input_iterator_tIlNS8_12zip_iteratorINS8_5tupleINS8_6detail15normal_iteratorINS8_10device_ptrIsEEEESH_NS8_9null_typeESI_SI_SI_SI_SI_SI_SI_EEEENS9_21zip_adj_not_predicateI22is_equal_div_10_uniqueIsEEEEEPllNS8_4plusIlEEEE10hipError_tPvRmT1_T2_T3_mT4_P12ihipStream_tbEUlT_E1_NS1_11comp_targetILNS1_3genE8ELNS1_11target_archE1030ELNS1_3gpuE2ELNS1_3repE0EEENS1_30default_config_static_selectorELNS0_4arch9wavefront6targetE1EEEvSW_: ; @_ZN7rocprim17ROCPRIM_400000_NS6detail17trampoline_kernelINS0_14default_configENS1_22reduce_config_selectorIlEEZNS1_11reduce_implILb1ES3_N6thrust23THRUST_200600_302600_NS11hip_rocprim26transform_input_iterator_tIlNS8_12zip_iteratorINS8_5tupleINS8_6detail15normal_iteratorINS8_10device_ptrIsEEEESH_NS8_9null_typeESI_SI_SI_SI_SI_SI_SI_EEEENS9_21zip_adj_not_predicateI22is_equal_div_10_uniqueIsEEEEEPllNS8_4plusIlEEEE10hipError_tPvRmT1_T2_T3_mT4_P12ihipStream_tbEUlT_E1_NS1_11comp_targetILNS1_3genE8ELNS1_11target_archE1030ELNS1_3gpuE2ELNS1_3repE0EEENS1_30default_config_static_selectorELNS0_4arch9wavefront6targetE1EEEvSW_
; %bb.0:
	.section	.rodata,"a",@progbits
	.p2align	6, 0x0
	.amdhsa_kernel _ZN7rocprim17ROCPRIM_400000_NS6detail17trampoline_kernelINS0_14default_configENS1_22reduce_config_selectorIlEEZNS1_11reduce_implILb1ES3_N6thrust23THRUST_200600_302600_NS11hip_rocprim26transform_input_iterator_tIlNS8_12zip_iteratorINS8_5tupleINS8_6detail15normal_iteratorINS8_10device_ptrIsEEEESH_NS8_9null_typeESI_SI_SI_SI_SI_SI_SI_EEEENS9_21zip_adj_not_predicateI22is_equal_div_10_uniqueIsEEEEEPllNS8_4plusIlEEEE10hipError_tPvRmT1_T2_T3_mT4_P12ihipStream_tbEUlT_E1_NS1_11comp_targetILNS1_3genE8ELNS1_11target_archE1030ELNS1_3gpuE2ELNS1_3repE0EEENS1_30default_config_static_selectorELNS0_4arch9wavefront6targetE1EEEvSW_
		.amdhsa_group_segment_fixed_size 0
		.amdhsa_private_segment_fixed_size 0
		.amdhsa_kernarg_size 64
		.amdhsa_user_sgpr_count 6
		.amdhsa_user_sgpr_private_segment_buffer 1
		.amdhsa_user_sgpr_dispatch_ptr 0
		.amdhsa_user_sgpr_queue_ptr 0
		.amdhsa_user_sgpr_kernarg_segment_ptr 1
		.amdhsa_user_sgpr_dispatch_id 0
		.amdhsa_user_sgpr_flat_scratch_init 0
		.amdhsa_user_sgpr_private_segment_size 0
		.amdhsa_uses_dynamic_stack 0
		.amdhsa_system_sgpr_private_segment_wavefront_offset 0
		.amdhsa_system_sgpr_workgroup_id_x 1
		.amdhsa_system_sgpr_workgroup_id_y 0
		.amdhsa_system_sgpr_workgroup_id_z 0
		.amdhsa_system_sgpr_workgroup_info 0
		.amdhsa_system_vgpr_workitem_id 0
		.amdhsa_next_free_vgpr 1
		.amdhsa_next_free_sgpr 0
		.amdhsa_reserve_vcc 0
		.amdhsa_reserve_flat_scratch 0
		.amdhsa_float_round_mode_32 0
		.amdhsa_float_round_mode_16_64 0
		.amdhsa_float_denorm_mode_32 3
		.amdhsa_float_denorm_mode_16_64 3
		.amdhsa_dx10_clamp 1
		.amdhsa_ieee_mode 1
		.amdhsa_fp16_overflow 0
		.amdhsa_exception_fp_ieee_invalid_op 0
		.amdhsa_exception_fp_denorm_src 0
		.amdhsa_exception_fp_ieee_div_zero 0
		.amdhsa_exception_fp_ieee_overflow 0
		.amdhsa_exception_fp_ieee_underflow 0
		.amdhsa_exception_fp_ieee_inexact 0
		.amdhsa_exception_int_div_zero 0
	.end_amdhsa_kernel
	.section	.text._ZN7rocprim17ROCPRIM_400000_NS6detail17trampoline_kernelINS0_14default_configENS1_22reduce_config_selectorIlEEZNS1_11reduce_implILb1ES3_N6thrust23THRUST_200600_302600_NS11hip_rocprim26transform_input_iterator_tIlNS8_12zip_iteratorINS8_5tupleINS8_6detail15normal_iteratorINS8_10device_ptrIsEEEESH_NS8_9null_typeESI_SI_SI_SI_SI_SI_SI_EEEENS9_21zip_adj_not_predicateI22is_equal_div_10_uniqueIsEEEEEPllNS8_4plusIlEEEE10hipError_tPvRmT1_T2_T3_mT4_P12ihipStream_tbEUlT_E1_NS1_11comp_targetILNS1_3genE8ELNS1_11target_archE1030ELNS1_3gpuE2ELNS1_3repE0EEENS1_30default_config_static_selectorELNS0_4arch9wavefront6targetE1EEEvSW_,"axG",@progbits,_ZN7rocprim17ROCPRIM_400000_NS6detail17trampoline_kernelINS0_14default_configENS1_22reduce_config_selectorIlEEZNS1_11reduce_implILb1ES3_N6thrust23THRUST_200600_302600_NS11hip_rocprim26transform_input_iterator_tIlNS8_12zip_iteratorINS8_5tupleINS8_6detail15normal_iteratorINS8_10device_ptrIsEEEESH_NS8_9null_typeESI_SI_SI_SI_SI_SI_SI_EEEENS9_21zip_adj_not_predicateI22is_equal_div_10_uniqueIsEEEEEPllNS8_4plusIlEEEE10hipError_tPvRmT1_T2_T3_mT4_P12ihipStream_tbEUlT_E1_NS1_11comp_targetILNS1_3genE8ELNS1_11target_archE1030ELNS1_3gpuE2ELNS1_3repE0EEENS1_30default_config_static_selectorELNS0_4arch9wavefront6targetE1EEEvSW_,comdat
.Lfunc_end1030:
	.size	_ZN7rocprim17ROCPRIM_400000_NS6detail17trampoline_kernelINS0_14default_configENS1_22reduce_config_selectorIlEEZNS1_11reduce_implILb1ES3_N6thrust23THRUST_200600_302600_NS11hip_rocprim26transform_input_iterator_tIlNS8_12zip_iteratorINS8_5tupleINS8_6detail15normal_iteratorINS8_10device_ptrIsEEEESH_NS8_9null_typeESI_SI_SI_SI_SI_SI_SI_EEEENS9_21zip_adj_not_predicateI22is_equal_div_10_uniqueIsEEEEEPllNS8_4plusIlEEEE10hipError_tPvRmT1_T2_T3_mT4_P12ihipStream_tbEUlT_E1_NS1_11comp_targetILNS1_3genE8ELNS1_11target_archE1030ELNS1_3gpuE2ELNS1_3repE0EEENS1_30default_config_static_selectorELNS0_4arch9wavefront6targetE1EEEvSW_, .Lfunc_end1030-_ZN7rocprim17ROCPRIM_400000_NS6detail17trampoline_kernelINS0_14default_configENS1_22reduce_config_selectorIlEEZNS1_11reduce_implILb1ES3_N6thrust23THRUST_200600_302600_NS11hip_rocprim26transform_input_iterator_tIlNS8_12zip_iteratorINS8_5tupleINS8_6detail15normal_iteratorINS8_10device_ptrIsEEEESH_NS8_9null_typeESI_SI_SI_SI_SI_SI_SI_EEEENS9_21zip_adj_not_predicateI22is_equal_div_10_uniqueIsEEEEEPllNS8_4plusIlEEEE10hipError_tPvRmT1_T2_T3_mT4_P12ihipStream_tbEUlT_E1_NS1_11comp_targetILNS1_3genE8ELNS1_11target_archE1030ELNS1_3gpuE2ELNS1_3repE0EEENS1_30default_config_static_selectorELNS0_4arch9wavefront6targetE1EEEvSW_
                                        ; -- End function
	.set _ZN7rocprim17ROCPRIM_400000_NS6detail17trampoline_kernelINS0_14default_configENS1_22reduce_config_selectorIlEEZNS1_11reduce_implILb1ES3_N6thrust23THRUST_200600_302600_NS11hip_rocprim26transform_input_iterator_tIlNS8_12zip_iteratorINS8_5tupleINS8_6detail15normal_iteratorINS8_10device_ptrIsEEEESH_NS8_9null_typeESI_SI_SI_SI_SI_SI_SI_EEEENS9_21zip_adj_not_predicateI22is_equal_div_10_uniqueIsEEEEEPllNS8_4plusIlEEEE10hipError_tPvRmT1_T2_T3_mT4_P12ihipStream_tbEUlT_E1_NS1_11comp_targetILNS1_3genE8ELNS1_11target_archE1030ELNS1_3gpuE2ELNS1_3repE0EEENS1_30default_config_static_selectorELNS0_4arch9wavefront6targetE1EEEvSW_.num_vgpr, 0
	.set _ZN7rocprim17ROCPRIM_400000_NS6detail17trampoline_kernelINS0_14default_configENS1_22reduce_config_selectorIlEEZNS1_11reduce_implILb1ES3_N6thrust23THRUST_200600_302600_NS11hip_rocprim26transform_input_iterator_tIlNS8_12zip_iteratorINS8_5tupleINS8_6detail15normal_iteratorINS8_10device_ptrIsEEEESH_NS8_9null_typeESI_SI_SI_SI_SI_SI_SI_EEEENS9_21zip_adj_not_predicateI22is_equal_div_10_uniqueIsEEEEEPllNS8_4plusIlEEEE10hipError_tPvRmT1_T2_T3_mT4_P12ihipStream_tbEUlT_E1_NS1_11comp_targetILNS1_3genE8ELNS1_11target_archE1030ELNS1_3gpuE2ELNS1_3repE0EEENS1_30default_config_static_selectorELNS0_4arch9wavefront6targetE1EEEvSW_.num_agpr, 0
	.set _ZN7rocprim17ROCPRIM_400000_NS6detail17trampoline_kernelINS0_14default_configENS1_22reduce_config_selectorIlEEZNS1_11reduce_implILb1ES3_N6thrust23THRUST_200600_302600_NS11hip_rocprim26transform_input_iterator_tIlNS8_12zip_iteratorINS8_5tupleINS8_6detail15normal_iteratorINS8_10device_ptrIsEEEESH_NS8_9null_typeESI_SI_SI_SI_SI_SI_SI_EEEENS9_21zip_adj_not_predicateI22is_equal_div_10_uniqueIsEEEEEPllNS8_4plusIlEEEE10hipError_tPvRmT1_T2_T3_mT4_P12ihipStream_tbEUlT_E1_NS1_11comp_targetILNS1_3genE8ELNS1_11target_archE1030ELNS1_3gpuE2ELNS1_3repE0EEENS1_30default_config_static_selectorELNS0_4arch9wavefront6targetE1EEEvSW_.numbered_sgpr, 0
	.set _ZN7rocprim17ROCPRIM_400000_NS6detail17trampoline_kernelINS0_14default_configENS1_22reduce_config_selectorIlEEZNS1_11reduce_implILb1ES3_N6thrust23THRUST_200600_302600_NS11hip_rocprim26transform_input_iterator_tIlNS8_12zip_iteratorINS8_5tupleINS8_6detail15normal_iteratorINS8_10device_ptrIsEEEESH_NS8_9null_typeESI_SI_SI_SI_SI_SI_SI_EEEENS9_21zip_adj_not_predicateI22is_equal_div_10_uniqueIsEEEEEPllNS8_4plusIlEEEE10hipError_tPvRmT1_T2_T3_mT4_P12ihipStream_tbEUlT_E1_NS1_11comp_targetILNS1_3genE8ELNS1_11target_archE1030ELNS1_3gpuE2ELNS1_3repE0EEENS1_30default_config_static_selectorELNS0_4arch9wavefront6targetE1EEEvSW_.num_named_barrier, 0
	.set _ZN7rocprim17ROCPRIM_400000_NS6detail17trampoline_kernelINS0_14default_configENS1_22reduce_config_selectorIlEEZNS1_11reduce_implILb1ES3_N6thrust23THRUST_200600_302600_NS11hip_rocprim26transform_input_iterator_tIlNS8_12zip_iteratorINS8_5tupleINS8_6detail15normal_iteratorINS8_10device_ptrIsEEEESH_NS8_9null_typeESI_SI_SI_SI_SI_SI_SI_EEEENS9_21zip_adj_not_predicateI22is_equal_div_10_uniqueIsEEEEEPllNS8_4plusIlEEEE10hipError_tPvRmT1_T2_T3_mT4_P12ihipStream_tbEUlT_E1_NS1_11comp_targetILNS1_3genE8ELNS1_11target_archE1030ELNS1_3gpuE2ELNS1_3repE0EEENS1_30default_config_static_selectorELNS0_4arch9wavefront6targetE1EEEvSW_.private_seg_size, 0
	.set _ZN7rocprim17ROCPRIM_400000_NS6detail17trampoline_kernelINS0_14default_configENS1_22reduce_config_selectorIlEEZNS1_11reduce_implILb1ES3_N6thrust23THRUST_200600_302600_NS11hip_rocprim26transform_input_iterator_tIlNS8_12zip_iteratorINS8_5tupleINS8_6detail15normal_iteratorINS8_10device_ptrIsEEEESH_NS8_9null_typeESI_SI_SI_SI_SI_SI_SI_EEEENS9_21zip_adj_not_predicateI22is_equal_div_10_uniqueIsEEEEEPllNS8_4plusIlEEEE10hipError_tPvRmT1_T2_T3_mT4_P12ihipStream_tbEUlT_E1_NS1_11comp_targetILNS1_3genE8ELNS1_11target_archE1030ELNS1_3gpuE2ELNS1_3repE0EEENS1_30default_config_static_selectorELNS0_4arch9wavefront6targetE1EEEvSW_.uses_vcc, 0
	.set _ZN7rocprim17ROCPRIM_400000_NS6detail17trampoline_kernelINS0_14default_configENS1_22reduce_config_selectorIlEEZNS1_11reduce_implILb1ES3_N6thrust23THRUST_200600_302600_NS11hip_rocprim26transform_input_iterator_tIlNS8_12zip_iteratorINS8_5tupleINS8_6detail15normal_iteratorINS8_10device_ptrIsEEEESH_NS8_9null_typeESI_SI_SI_SI_SI_SI_SI_EEEENS9_21zip_adj_not_predicateI22is_equal_div_10_uniqueIsEEEEEPllNS8_4plusIlEEEE10hipError_tPvRmT1_T2_T3_mT4_P12ihipStream_tbEUlT_E1_NS1_11comp_targetILNS1_3genE8ELNS1_11target_archE1030ELNS1_3gpuE2ELNS1_3repE0EEENS1_30default_config_static_selectorELNS0_4arch9wavefront6targetE1EEEvSW_.uses_flat_scratch, 0
	.set _ZN7rocprim17ROCPRIM_400000_NS6detail17trampoline_kernelINS0_14default_configENS1_22reduce_config_selectorIlEEZNS1_11reduce_implILb1ES3_N6thrust23THRUST_200600_302600_NS11hip_rocprim26transform_input_iterator_tIlNS8_12zip_iteratorINS8_5tupleINS8_6detail15normal_iteratorINS8_10device_ptrIsEEEESH_NS8_9null_typeESI_SI_SI_SI_SI_SI_SI_EEEENS9_21zip_adj_not_predicateI22is_equal_div_10_uniqueIsEEEEEPllNS8_4plusIlEEEE10hipError_tPvRmT1_T2_T3_mT4_P12ihipStream_tbEUlT_E1_NS1_11comp_targetILNS1_3genE8ELNS1_11target_archE1030ELNS1_3gpuE2ELNS1_3repE0EEENS1_30default_config_static_selectorELNS0_4arch9wavefront6targetE1EEEvSW_.has_dyn_sized_stack, 0
	.set _ZN7rocprim17ROCPRIM_400000_NS6detail17trampoline_kernelINS0_14default_configENS1_22reduce_config_selectorIlEEZNS1_11reduce_implILb1ES3_N6thrust23THRUST_200600_302600_NS11hip_rocprim26transform_input_iterator_tIlNS8_12zip_iteratorINS8_5tupleINS8_6detail15normal_iteratorINS8_10device_ptrIsEEEESH_NS8_9null_typeESI_SI_SI_SI_SI_SI_SI_EEEENS9_21zip_adj_not_predicateI22is_equal_div_10_uniqueIsEEEEEPllNS8_4plusIlEEEE10hipError_tPvRmT1_T2_T3_mT4_P12ihipStream_tbEUlT_E1_NS1_11comp_targetILNS1_3genE8ELNS1_11target_archE1030ELNS1_3gpuE2ELNS1_3repE0EEENS1_30default_config_static_selectorELNS0_4arch9wavefront6targetE1EEEvSW_.has_recursion, 0
	.set _ZN7rocprim17ROCPRIM_400000_NS6detail17trampoline_kernelINS0_14default_configENS1_22reduce_config_selectorIlEEZNS1_11reduce_implILb1ES3_N6thrust23THRUST_200600_302600_NS11hip_rocprim26transform_input_iterator_tIlNS8_12zip_iteratorINS8_5tupleINS8_6detail15normal_iteratorINS8_10device_ptrIsEEEESH_NS8_9null_typeESI_SI_SI_SI_SI_SI_SI_EEEENS9_21zip_adj_not_predicateI22is_equal_div_10_uniqueIsEEEEEPllNS8_4plusIlEEEE10hipError_tPvRmT1_T2_T3_mT4_P12ihipStream_tbEUlT_E1_NS1_11comp_targetILNS1_3genE8ELNS1_11target_archE1030ELNS1_3gpuE2ELNS1_3repE0EEENS1_30default_config_static_selectorELNS0_4arch9wavefront6targetE1EEEvSW_.has_indirect_call, 0
	.section	.AMDGPU.csdata,"",@progbits
; Kernel info:
; codeLenInByte = 0
; TotalNumSgprs: 4
; NumVgprs: 0
; ScratchSize: 0
; MemoryBound: 0
; FloatMode: 240
; IeeeMode: 1
; LDSByteSize: 0 bytes/workgroup (compile time only)
; SGPRBlocks: 0
; VGPRBlocks: 0
; NumSGPRsForWavesPerEU: 4
; NumVGPRsForWavesPerEU: 1
; Occupancy: 10
; WaveLimiterHint : 0
; COMPUTE_PGM_RSRC2:SCRATCH_EN: 0
; COMPUTE_PGM_RSRC2:USER_SGPR: 6
; COMPUTE_PGM_RSRC2:TRAP_HANDLER: 0
; COMPUTE_PGM_RSRC2:TGID_X_EN: 1
; COMPUTE_PGM_RSRC2:TGID_Y_EN: 0
; COMPUTE_PGM_RSRC2:TGID_Z_EN: 0
; COMPUTE_PGM_RSRC2:TIDIG_COMP_CNT: 0
	.section	.text._ZN7rocprim17ROCPRIM_400000_NS6detail17trampoline_kernelINS0_14default_configENS1_25partition_config_selectorILNS1_17partition_subalgoE8EiNS0_10empty_typeEbEEZZNS1_14partition_implILS5_8ELb0ES3_jN6thrust23THRUST_200600_302600_NS10device_ptrIiEEPS6_PKS6_NS0_5tupleIJSC_S6_EEENSG_IJSD_SD_EEENS0_18inequality_wrapperINSA_8equal_toIiEEEEPmJS6_EEE10hipError_tPvRmT3_T4_T5_T6_T7_T9_mT8_P12ihipStream_tbDpT10_ENKUlT_T0_E_clISt17integral_constantIbLb0EES17_EEDaS12_S13_EUlS12_E_NS1_11comp_targetILNS1_3genE0ELNS1_11target_archE4294967295ELNS1_3gpuE0ELNS1_3repE0EEENS1_30default_config_static_selectorELNS0_4arch9wavefront6targetE1EEEvT1_,"axG",@progbits,_ZN7rocprim17ROCPRIM_400000_NS6detail17trampoline_kernelINS0_14default_configENS1_25partition_config_selectorILNS1_17partition_subalgoE8EiNS0_10empty_typeEbEEZZNS1_14partition_implILS5_8ELb0ES3_jN6thrust23THRUST_200600_302600_NS10device_ptrIiEEPS6_PKS6_NS0_5tupleIJSC_S6_EEENSG_IJSD_SD_EEENS0_18inequality_wrapperINSA_8equal_toIiEEEEPmJS6_EEE10hipError_tPvRmT3_T4_T5_T6_T7_T9_mT8_P12ihipStream_tbDpT10_ENKUlT_T0_E_clISt17integral_constantIbLb0EES17_EEDaS12_S13_EUlS12_E_NS1_11comp_targetILNS1_3genE0ELNS1_11target_archE4294967295ELNS1_3gpuE0ELNS1_3repE0EEENS1_30default_config_static_selectorELNS0_4arch9wavefront6targetE1EEEvT1_,comdat
	.protected	_ZN7rocprim17ROCPRIM_400000_NS6detail17trampoline_kernelINS0_14default_configENS1_25partition_config_selectorILNS1_17partition_subalgoE8EiNS0_10empty_typeEbEEZZNS1_14partition_implILS5_8ELb0ES3_jN6thrust23THRUST_200600_302600_NS10device_ptrIiEEPS6_PKS6_NS0_5tupleIJSC_S6_EEENSG_IJSD_SD_EEENS0_18inequality_wrapperINSA_8equal_toIiEEEEPmJS6_EEE10hipError_tPvRmT3_T4_T5_T6_T7_T9_mT8_P12ihipStream_tbDpT10_ENKUlT_T0_E_clISt17integral_constantIbLb0EES17_EEDaS12_S13_EUlS12_E_NS1_11comp_targetILNS1_3genE0ELNS1_11target_archE4294967295ELNS1_3gpuE0ELNS1_3repE0EEENS1_30default_config_static_selectorELNS0_4arch9wavefront6targetE1EEEvT1_ ; -- Begin function _ZN7rocprim17ROCPRIM_400000_NS6detail17trampoline_kernelINS0_14default_configENS1_25partition_config_selectorILNS1_17partition_subalgoE8EiNS0_10empty_typeEbEEZZNS1_14partition_implILS5_8ELb0ES3_jN6thrust23THRUST_200600_302600_NS10device_ptrIiEEPS6_PKS6_NS0_5tupleIJSC_S6_EEENSG_IJSD_SD_EEENS0_18inequality_wrapperINSA_8equal_toIiEEEEPmJS6_EEE10hipError_tPvRmT3_T4_T5_T6_T7_T9_mT8_P12ihipStream_tbDpT10_ENKUlT_T0_E_clISt17integral_constantIbLb0EES17_EEDaS12_S13_EUlS12_E_NS1_11comp_targetILNS1_3genE0ELNS1_11target_archE4294967295ELNS1_3gpuE0ELNS1_3repE0EEENS1_30default_config_static_selectorELNS0_4arch9wavefront6targetE1EEEvT1_
	.globl	_ZN7rocprim17ROCPRIM_400000_NS6detail17trampoline_kernelINS0_14default_configENS1_25partition_config_selectorILNS1_17partition_subalgoE8EiNS0_10empty_typeEbEEZZNS1_14partition_implILS5_8ELb0ES3_jN6thrust23THRUST_200600_302600_NS10device_ptrIiEEPS6_PKS6_NS0_5tupleIJSC_S6_EEENSG_IJSD_SD_EEENS0_18inequality_wrapperINSA_8equal_toIiEEEEPmJS6_EEE10hipError_tPvRmT3_T4_T5_T6_T7_T9_mT8_P12ihipStream_tbDpT10_ENKUlT_T0_E_clISt17integral_constantIbLb0EES17_EEDaS12_S13_EUlS12_E_NS1_11comp_targetILNS1_3genE0ELNS1_11target_archE4294967295ELNS1_3gpuE0ELNS1_3repE0EEENS1_30default_config_static_selectorELNS0_4arch9wavefront6targetE1EEEvT1_
	.p2align	8
	.type	_ZN7rocprim17ROCPRIM_400000_NS6detail17trampoline_kernelINS0_14default_configENS1_25partition_config_selectorILNS1_17partition_subalgoE8EiNS0_10empty_typeEbEEZZNS1_14partition_implILS5_8ELb0ES3_jN6thrust23THRUST_200600_302600_NS10device_ptrIiEEPS6_PKS6_NS0_5tupleIJSC_S6_EEENSG_IJSD_SD_EEENS0_18inequality_wrapperINSA_8equal_toIiEEEEPmJS6_EEE10hipError_tPvRmT3_T4_T5_T6_T7_T9_mT8_P12ihipStream_tbDpT10_ENKUlT_T0_E_clISt17integral_constantIbLb0EES17_EEDaS12_S13_EUlS12_E_NS1_11comp_targetILNS1_3genE0ELNS1_11target_archE4294967295ELNS1_3gpuE0ELNS1_3repE0EEENS1_30default_config_static_selectorELNS0_4arch9wavefront6targetE1EEEvT1_,@function
_ZN7rocprim17ROCPRIM_400000_NS6detail17trampoline_kernelINS0_14default_configENS1_25partition_config_selectorILNS1_17partition_subalgoE8EiNS0_10empty_typeEbEEZZNS1_14partition_implILS5_8ELb0ES3_jN6thrust23THRUST_200600_302600_NS10device_ptrIiEEPS6_PKS6_NS0_5tupleIJSC_S6_EEENSG_IJSD_SD_EEENS0_18inequality_wrapperINSA_8equal_toIiEEEEPmJS6_EEE10hipError_tPvRmT3_T4_T5_T6_T7_T9_mT8_P12ihipStream_tbDpT10_ENKUlT_T0_E_clISt17integral_constantIbLb0EES17_EEDaS12_S13_EUlS12_E_NS1_11comp_targetILNS1_3genE0ELNS1_11target_archE4294967295ELNS1_3gpuE0ELNS1_3repE0EEENS1_30default_config_static_selectorELNS0_4arch9wavefront6targetE1EEEvT1_: ; @_ZN7rocprim17ROCPRIM_400000_NS6detail17trampoline_kernelINS0_14default_configENS1_25partition_config_selectorILNS1_17partition_subalgoE8EiNS0_10empty_typeEbEEZZNS1_14partition_implILS5_8ELb0ES3_jN6thrust23THRUST_200600_302600_NS10device_ptrIiEEPS6_PKS6_NS0_5tupleIJSC_S6_EEENSG_IJSD_SD_EEENS0_18inequality_wrapperINSA_8equal_toIiEEEEPmJS6_EEE10hipError_tPvRmT3_T4_T5_T6_T7_T9_mT8_P12ihipStream_tbDpT10_ENKUlT_T0_E_clISt17integral_constantIbLb0EES17_EEDaS12_S13_EUlS12_E_NS1_11comp_targetILNS1_3genE0ELNS1_11target_archE4294967295ELNS1_3gpuE0ELNS1_3repE0EEENS1_30default_config_static_selectorELNS0_4arch9wavefront6targetE1EEEvT1_
; %bb.0:
	.section	.rodata,"a",@progbits
	.p2align	6, 0x0
	.amdhsa_kernel _ZN7rocprim17ROCPRIM_400000_NS6detail17trampoline_kernelINS0_14default_configENS1_25partition_config_selectorILNS1_17partition_subalgoE8EiNS0_10empty_typeEbEEZZNS1_14partition_implILS5_8ELb0ES3_jN6thrust23THRUST_200600_302600_NS10device_ptrIiEEPS6_PKS6_NS0_5tupleIJSC_S6_EEENSG_IJSD_SD_EEENS0_18inequality_wrapperINSA_8equal_toIiEEEEPmJS6_EEE10hipError_tPvRmT3_T4_T5_T6_T7_T9_mT8_P12ihipStream_tbDpT10_ENKUlT_T0_E_clISt17integral_constantIbLb0EES17_EEDaS12_S13_EUlS12_E_NS1_11comp_targetILNS1_3genE0ELNS1_11target_archE4294967295ELNS1_3gpuE0ELNS1_3repE0EEENS1_30default_config_static_selectorELNS0_4arch9wavefront6targetE1EEEvT1_
		.amdhsa_group_segment_fixed_size 0
		.amdhsa_private_segment_fixed_size 0
		.amdhsa_kernarg_size 112
		.amdhsa_user_sgpr_count 6
		.amdhsa_user_sgpr_private_segment_buffer 1
		.amdhsa_user_sgpr_dispatch_ptr 0
		.amdhsa_user_sgpr_queue_ptr 0
		.amdhsa_user_sgpr_kernarg_segment_ptr 1
		.amdhsa_user_sgpr_dispatch_id 0
		.amdhsa_user_sgpr_flat_scratch_init 0
		.amdhsa_user_sgpr_private_segment_size 0
		.amdhsa_uses_dynamic_stack 0
		.amdhsa_system_sgpr_private_segment_wavefront_offset 0
		.amdhsa_system_sgpr_workgroup_id_x 1
		.amdhsa_system_sgpr_workgroup_id_y 0
		.amdhsa_system_sgpr_workgroup_id_z 0
		.amdhsa_system_sgpr_workgroup_info 0
		.amdhsa_system_vgpr_workitem_id 0
		.amdhsa_next_free_vgpr 1
		.amdhsa_next_free_sgpr 0
		.amdhsa_reserve_vcc 0
		.amdhsa_reserve_flat_scratch 0
		.amdhsa_float_round_mode_32 0
		.amdhsa_float_round_mode_16_64 0
		.amdhsa_float_denorm_mode_32 3
		.amdhsa_float_denorm_mode_16_64 3
		.amdhsa_dx10_clamp 1
		.amdhsa_ieee_mode 1
		.amdhsa_fp16_overflow 0
		.amdhsa_exception_fp_ieee_invalid_op 0
		.amdhsa_exception_fp_denorm_src 0
		.amdhsa_exception_fp_ieee_div_zero 0
		.amdhsa_exception_fp_ieee_overflow 0
		.amdhsa_exception_fp_ieee_underflow 0
		.amdhsa_exception_fp_ieee_inexact 0
		.amdhsa_exception_int_div_zero 0
	.end_amdhsa_kernel
	.section	.text._ZN7rocprim17ROCPRIM_400000_NS6detail17trampoline_kernelINS0_14default_configENS1_25partition_config_selectorILNS1_17partition_subalgoE8EiNS0_10empty_typeEbEEZZNS1_14partition_implILS5_8ELb0ES3_jN6thrust23THRUST_200600_302600_NS10device_ptrIiEEPS6_PKS6_NS0_5tupleIJSC_S6_EEENSG_IJSD_SD_EEENS0_18inequality_wrapperINSA_8equal_toIiEEEEPmJS6_EEE10hipError_tPvRmT3_T4_T5_T6_T7_T9_mT8_P12ihipStream_tbDpT10_ENKUlT_T0_E_clISt17integral_constantIbLb0EES17_EEDaS12_S13_EUlS12_E_NS1_11comp_targetILNS1_3genE0ELNS1_11target_archE4294967295ELNS1_3gpuE0ELNS1_3repE0EEENS1_30default_config_static_selectorELNS0_4arch9wavefront6targetE1EEEvT1_,"axG",@progbits,_ZN7rocprim17ROCPRIM_400000_NS6detail17trampoline_kernelINS0_14default_configENS1_25partition_config_selectorILNS1_17partition_subalgoE8EiNS0_10empty_typeEbEEZZNS1_14partition_implILS5_8ELb0ES3_jN6thrust23THRUST_200600_302600_NS10device_ptrIiEEPS6_PKS6_NS0_5tupleIJSC_S6_EEENSG_IJSD_SD_EEENS0_18inequality_wrapperINSA_8equal_toIiEEEEPmJS6_EEE10hipError_tPvRmT3_T4_T5_T6_T7_T9_mT8_P12ihipStream_tbDpT10_ENKUlT_T0_E_clISt17integral_constantIbLb0EES17_EEDaS12_S13_EUlS12_E_NS1_11comp_targetILNS1_3genE0ELNS1_11target_archE4294967295ELNS1_3gpuE0ELNS1_3repE0EEENS1_30default_config_static_selectorELNS0_4arch9wavefront6targetE1EEEvT1_,comdat
.Lfunc_end1031:
	.size	_ZN7rocprim17ROCPRIM_400000_NS6detail17trampoline_kernelINS0_14default_configENS1_25partition_config_selectorILNS1_17partition_subalgoE8EiNS0_10empty_typeEbEEZZNS1_14partition_implILS5_8ELb0ES3_jN6thrust23THRUST_200600_302600_NS10device_ptrIiEEPS6_PKS6_NS0_5tupleIJSC_S6_EEENSG_IJSD_SD_EEENS0_18inequality_wrapperINSA_8equal_toIiEEEEPmJS6_EEE10hipError_tPvRmT3_T4_T5_T6_T7_T9_mT8_P12ihipStream_tbDpT10_ENKUlT_T0_E_clISt17integral_constantIbLb0EES17_EEDaS12_S13_EUlS12_E_NS1_11comp_targetILNS1_3genE0ELNS1_11target_archE4294967295ELNS1_3gpuE0ELNS1_3repE0EEENS1_30default_config_static_selectorELNS0_4arch9wavefront6targetE1EEEvT1_, .Lfunc_end1031-_ZN7rocprim17ROCPRIM_400000_NS6detail17trampoline_kernelINS0_14default_configENS1_25partition_config_selectorILNS1_17partition_subalgoE8EiNS0_10empty_typeEbEEZZNS1_14partition_implILS5_8ELb0ES3_jN6thrust23THRUST_200600_302600_NS10device_ptrIiEEPS6_PKS6_NS0_5tupleIJSC_S6_EEENSG_IJSD_SD_EEENS0_18inequality_wrapperINSA_8equal_toIiEEEEPmJS6_EEE10hipError_tPvRmT3_T4_T5_T6_T7_T9_mT8_P12ihipStream_tbDpT10_ENKUlT_T0_E_clISt17integral_constantIbLb0EES17_EEDaS12_S13_EUlS12_E_NS1_11comp_targetILNS1_3genE0ELNS1_11target_archE4294967295ELNS1_3gpuE0ELNS1_3repE0EEENS1_30default_config_static_selectorELNS0_4arch9wavefront6targetE1EEEvT1_
                                        ; -- End function
	.set _ZN7rocprim17ROCPRIM_400000_NS6detail17trampoline_kernelINS0_14default_configENS1_25partition_config_selectorILNS1_17partition_subalgoE8EiNS0_10empty_typeEbEEZZNS1_14partition_implILS5_8ELb0ES3_jN6thrust23THRUST_200600_302600_NS10device_ptrIiEEPS6_PKS6_NS0_5tupleIJSC_S6_EEENSG_IJSD_SD_EEENS0_18inequality_wrapperINSA_8equal_toIiEEEEPmJS6_EEE10hipError_tPvRmT3_T4_T5_T6_T7_T9_mT8_P12ihipStream_tbDpT10_ENKUlT_T0_E_clISt17integral_constantIbLb0EES17_EEDaS12_S13_EUlS12_E_NS1_11comp_targetILNS1_3genE0ELNS1_11target_archE4294967295ELNS1_3gpuE0ELNS1_3repE0EEENS1_30default_config_static_selectorELNS0_4arch9wavefront6targetE1EEEvT1_.num_vgpr, 0
	.set _ZN7rocprim17ROCPRIM_400000_NS6detail17trampoline_kernelINS0_14default_configENS1_25partition_config_selectorILNS1_17partition_subalgoE8EiNS0_10empty_typeEbEEZZNS1_14partition_implILS5_8ELb0ES3_jN6thrust23THRUST_200600_302600_NS10device_ptrIiEEPS6_PKS6_NS0_5tupleIJSC_S6_EEENSG_IJSD_SD_EEENS0_18inequality_wrapperINSA_8equal_toIiEEEEPmJS6_EEE10hipError_tPvRmT3_T4_T5_T6_T7_T9_mT8_P12ihipStream_tbDpT10_ENKUlT_T0_E_clISt17integral_constantIbLb0EES17_EEDaS12_S13_EUlS12_E_NS1_11comp_targetILNS1_3genE0ELNS1_11target_archE4294967295ELNS1_3gpuE0ELNS1_3repE0EEENS1_30default_config_static_selectorELNS0_4arch9wavefront6targetE1EEEvT1_.num_agpr, 0
	.set _ZN7rocprim17ROCPRIM_400000_NS6detail17trampoline_kernelINS0_14default_configENS1_25partition_config_selectorILNS1_17partition_subalgoE8EiNS0_10empty_typeEbEEZZNS1_14partition_implILS5_8ELb0ES3_jN6thrust23THRUST_200600_302600_NS10device_ptrIiEEPS6_PKS6_NS0_5tupleIJSC_S6_EEENSG_IJSD_SD_EEENS0_18inequality_wrapperINSA_8equal_toIiEEEEPmJS6_EEE10hipError_tPvRmT3_T4_T5_T6_T7_T9_mT8_P12ihipStream_tbDpT10_ENKUlT_T0_E_clISt17integral_constantIbLb0EES17_EEDaS12_S13_EUlS12_E_NS1_11comp_targetILNS1_3genE0ELNS1_11target_archE4294967295ELNS1_3gpuE0ELNS1_3repE0EEENS1_30default_config_static_selectorELNS0_4arch9wavefront6targetE1EEEvT1_.numbered_sgpr, 0
	.set _ZN7rocprim17ROCPRIM_400000_NS6detail17trampoline_kernelINS0_14default_configENS1_25partition_config_selectorILNS1_17partition_subalgoE8EiNS0_10empty_typeEbEEZZNS1_14partition_implILS5_8ELb0ES3_jN6thrust23THRUST_200600_302600_NS10device_ptrIiEEPS6_PKS6_NS0_5tupleIJSC_S6_EEENSG_IJSD_SD_EEENS0_18inequality_wrapperINSA_8equal_toIiEEEEPmJS6_EEE10hipError_tPvRmT3_T4_T5_T6_T7_T9_mT8_P12ihipStream_tbDpT10_ENKUlT_T0_E_clISt17integral_constantIbLb0EES17_EEDaS12_S13_EUlS12_E_NS1_11comp_targetILNS1_3genE0ELNS1_11target_archE4294967295ELNS1_3gpuE0ELNS1_3repE0EEENS1_30default_config_static_selectorELNS0_4arch9wavefront6targetE1EEEvT1_.num_named_barrier, 0
	.set _ZN7rocprim17ROCPRIM_400000_NS6detail17trampoline_kernelINS0_14default_configENS1_25partition_config_selectorILNS1_17partition_subalgoE8EiNS0_10empty_typeEbEEZZNS1_14partition_implILS5_8ELb0ES3_jN6thrust23THRUST_200600_302600_NS10device_ptrIiEEPS6_PKS6_NS0_5tupleIJSC_S6_EEENSG_IJSD_SD_EEENS0_18inequality_wrapperINSA_8equal_toIiEEEEPmJS6_EEE10hipError_tPvRmT3_T4_T5_T6_T7_T9_mT8_P12ihipStream_tbDpT10_ENKUlT_T0_E_clISt17integral_constantIbLb0EES17_EEDaS12_S13_EUlS12_E_NS1_11comp_targetILNS1_3genE0ELNS1_11target_archE4294967295ELNS1_3gpuE0ELNS1_3repE0EEENS1_30default_config_static_selectorELNS0_4arch9wavefront6targetE1EEEvT1_.private_seg_size, 0
	.set _ZN7rocprim17ROCPRIM_400000_NS6detail17trampoline_kernelINS0_14default_configENS1_25partition_config_selectorILNS1_17partition_subalgoE8EiNS0_10empty_typeEbEEZZNS1_14partition_implILS5_8ELb0ES3_jN6thrust23THRUST_200600_302600_NS10device_ptrIiEEPS6_PKS6_NS0_5tupleIJSC_S6_EEENSG_IJSD_SD_EEENS0_18inequality_wrapperINSA_8equal_toIiEEEEPmJS6_EEE10hipError_tPvRmT3_T4_T5_T6_T7_T9_mT8_P12ihipStream_tbDpT10_ENKUlT_T0_E_clISt17integral_constantIbLb0EES17_EEDaS12_S13_EUlS12_E_NS1_11comp_targetILNS1_3genE0ELNS1_11target_archE4294967295ELNS1_3gpuE0ELNS1_3repE0EEENS1_30default_config_static_selectorELNS0_4arch9wavefront6targetE1EEEvT1_.uses_vcc, 0
	.set _ZN7rocprim17ROCPRIM_400000_NS6detail17trampoline_kernelINS0_14default_configENS1_25partition_config_selectorILNS1_17partition_subalgoE8EiNS0_10empty_typeEbEEZZNS1_14partition_implILS5_8ELb0ES3_jN6thrust23THRUST_200600_302600_NS10device_ptrIiEEPS6_PKS6_NS0_5tupleIJSC_S6_EEENSG_IJSD_SD_EEENS0_18inequality_wrapperINSA_8equal_toIiEEEEPmJS6_EEE10hipError_tPvRmT3_T4_T5_T6_T7_T9_mT8_P12ihipStream_tbDpT10_ENKUlT_T0_E_clISt17integral_constantIbLb0EES17_EEDaS12_S13_EUlS12_E_NS1_11comp_targetILNS1_3genE0ELNS1_11target_archE4294967295ELNS1_3gpuE0ELNS1_3repE0EEENS1_30default_config_static_selectorELNS0_4arch9wavefront6targetE1EEEvT1_.uses_flat_scratch, 0
	.set _ZN7rocprim17ROCPRIM_400000_NS6detail17trampoline_kernelINS0_14default_configENS1_25partition_config_selectorILNS1_17partition_subalgoE8EiNS0_10empty_typeEbEEZZNS1_14partition_implILS5_8ELb0ES3_jN6thrust23THRUST_200600_302600_NS10device_ptrIiEEPS6_PKS6_NS0_5tupleIJSC_S6_EEENSG_IJSD_SD_EEENS0_18inequality_wrapperINSA_8equal_toIiEEEEPmJS6_EEE10hipError_tPvRmT3_T4_T5_T6_T7_T9_mT8_P12ihipStream_tbDpT10_ENKUlT_T0_E_clISt17integral_constantIbLb0EES17_EEDaS12_S13_EUlS12_E_NS1_11comp_targetILNS1_3genE0ELNS1_11target_archE4294967295ELNS1_3gpuE0ELNS1_3repE0EEENS1_30default_config_static_selectorELNS0_4arch9wavefront6targetE1EEEvT1_.has_dyn_sized_stack, 0
	.set _ZN7rocprim17ROCPRIM_400000_NS6detail17trampoline_kernelINS0_14default_configENS1_25partition_config_selectorILNS1_17partition_subalgoE8EiNS0_10empty_typeEbEEZZNS1_14partition_implILS5_8ELb0ES3_jN6thrust23THRUST_200600_302600_NS10device_ptrIiEEPS6_PKS6_NS0_5tupleIJSC_S6_EEENSG_IJSD_SD_EEENS0_18inequality_wrapperINSA_8equal_toIiEEEEPmJS6_EEE10hipError_tPvRmT3_T4_T5_T6_T7_T9_mT8_P12ihipStream_tbDpT10_ENKUlT_T0_E_clISt17integral_constantIbLb0EES17_EEDaS12_S13_EUlS12_E_NS1_11comp_targetILNS1_3genE0ELNS1_11target_archE4294967295ELNS1_3gpuE0ELNS1_3repE0EEENS1_30default_config_static_selectorELNS0_4arch9wavefront6targetE1EEEvT1_.has_recursion, 0
	.set _ZN7rocprim17ROCPRIM_400000_NS6detail17trampoline_kernelINS0_14default_configENS1_25partition_config_selectorILNS1_17partition_subalgoE8EiNS0_10empty_typeEbEEZZNS1_14partition_implILS5_8ELb0ES3_jN6thrust23THRUST_200600_302600_NS10device_ptrIiEEPS6_PKS6_NS0_5tupleIJSC_S6_EEENSG_IJSD_SD_EEENS0_18inequality_wrapperINSA_8equal_toIiEEEEPmJS6_EEE10hipError_tPvRmT3_T4_T5_T6_T7_T9_mT8_P12ihipStream_tbDpT10_ENKUlT_T0_E_clISt17integral_constantIbLb0EES17_EEDaS12_S13_EUlS12_E_NS1_11comp_targetILNS1_3genE0ELNS1_11target_archE4294967295ELNS1_3gpuE0ELNS1_3repE0EEENS1_30default_config_static_selectorELNS0_4arch9wavefront6targetE1EEEvT1_.has_indirect_call, 0
	.section	.AMDGPU.csdata,"",@progbits
; Kernel info:
; codeLenInByte = 0
; TotalNumSgprs: 4
; NumVgprs: 0
; ScratchSize: 0
; MemoryBound: 0
; FloatMode: 240
; IeeeMode: 1
; LDSByteSize: 0 bytes/workgroup (compile time only)
; SGPRBlocks: 0
; VGPRBlocks: 0
; NumSGPRsForWavesPerEU: 4
; NumVGPRsForWavesPerEU: 1
; Occupancy: 10
; WaveLimiterHint : 0
; COMPUTE_PGM_RSRC2:SCRATCH_EN: 0
; COMPUTE_PGM_RSRC2:USER_SGPR: 6
; COMPUTE_PGM_RSRC2:TRAP_HANDLER: 0
; COMPUTE_PGM_RSRC2:TGID_X_EN: 1
; COMPUTE_PGM_RSRC2:TGID_Y_EN: 0
; COMPUTE_PGM_RSRC2:TGID_Z_EN: 0
; COMPUTE_PGM_RSRC2:TIDIG_COMP_CNT: 0
	.section	.text._ZN7rocprim17ROCPRIM_400000_NS6detail17trampoline_kernelINS0_14default_configENS1_25partition_config_selectorILNS1_17partition_subalgoE8EiNS0_10empty_typeEbEEZZNS1_14partition_implILS5_8ELb0ES3_jN6thrust23THRUST_200600_302600_NS10device_ptrIiEEPS6_PKS6_NS0_5tupleIJSC_S6_EEENSG_IJSD_SD_EEENS0_18inequality_wrapperINSA_8equal_toIiEEEEPmJS6_EEE10hipError_tPvRmT3_T4_T5_T6_T7_T9_mT8_P12ihipStream_tbDpT10_ENKUlT_T0_E_clISt17integral_constantIbLb0EES17_EEDaS12_S13_EUlS12_E_NS1_11comp_targetILNS1_3genE5ELNS1_11target_archE942ELNS1_3gpuE9ELNS1_3repE0EEENS1_30default_config_static_selectorELNS0_4arch9wavefront6targetE1EEEvT1_,"axG",@progbits,_ZN7rocprim17ROCPRIM_400000_NS6detail17trampoline_kernelINS0_14default_configENS1_25partition_config_selectorILNS1_17partition_subalgoE8EiNS0_10empty_typeEbEEZZNS1_14partition_implILS5_8ELb0ES3_jN6thrust23THRUST_200600_302600_NS10device_ptrIiEEPS6_PKS6_NS0_5tupleIJSC_S6_EEENSG_IJSD_SD_EEENS0_18inequality_wrapperINSA_8equal_toIiEEEEPmJS6_EEE10hipError_tPvRmT3_T4_T5_T6_T7_T9_mT8_P12ihipStream_tbDpT10_ENKUlT_T0_E_clISt17integral_constantIbLb0EES17_EEDaS12_S13_EUlS12_E_NS1_11comp_targetILNS1_3genE5ELNS1_11target_archE942ELNS1_3gpuE9ELNS1_3repE0EEENS1_30default_config_static_selectorELNS0_4arch9wavefront6targetE1EEEvT1_,comdat
	.protected	_ZN7rocprim17ROCPRIM_400000_NS6detail17trampoline_kernelINS0_14default_configENS1_25partition_config_selectorILNS1_17partition_subalgoE8EiNS0_10empty_typeEbEEZZNS1_14partition_implILS5_8ELb0ES3_jN6thrust23THRUST_200600_302600_NS10device_ptrIiEEPS6_PKS6_NS0_5tupleIJSC_S6_EEENSG_IJSD_SD_EEENS0_18inequality_wrapperINSA_8equal_toIiEEEEPmJS6_EEE10hipError_tPvRmT3_T4_T5_T6_T7_T9_mT8_P12ihipStream_tbDpT10_ENKUlT_T0_E_clISt17integral_constantIbLb0EES17_EEDaS12_S13_EUlS12_E_NS1_11comp_targetILNS1_3genE5ELNS1_11target_archE942ELNS1_3gpuE9ELNS1_3repE0EEENS1_30default_config_static_selectorELNS0_4arch9wavefront6targetE1EEEvT1_ ; -- Begin function _ZN7rocprim17ROCPRIM_400000_NS6detail17trampoline_kernelINS0_14default_configENS1_25partition_config_selectorILNS1_17partition_subalgoE8EiNS0_10empty_typeEbEEZZNS1_14partition_implILS5_8ELb0ES3_jN6thrust23THRUST_200600_302600_NS10device_ptrIiEEPS6_PKS6_NS0_5tupleIJSC_S6_EEENSG_IJSD_SD_EEENS0_18inequality_wrapperINSA_8equal_toIiEEEEPmJS6_EEE10hipError_tPvRmT3_T4_T5_T6_T7_T9_mT8_P12ihipStream_tbDpT10_ENKUlT_T0_E_clISt17integral_constantIbLb0EES17_EEDaS12_S13_EUlS12_E_NS1_11comp_targetILNS1_3genE5ELNS1_11target_archE942ELNS1_3gpuE9ELNS1_3repE0EEENS1_30default_config_static_selectorELNS0_4arch9wavefront6targetE1EEEvT1_
	.globl	_ZN7rocprim17ROCPRIM_400000_NS6detail17trampoline_kernelINS0_14default_configENS1_25partition_config_selectorILNS1_17partition_subalgoE8EiNS0_10empty_typeEbEEZZNS1_14partition_implILS5_8ELb0ES3_jN6thrust23THRUST_200600_302600_NS10device_ptrIiEEPS6_PKS6_NS0_5tupleIJSC_S6_EEENSG_IJSD_SD_EEENS0_18inequality_wrapperINSA_8equal_toIiEEEEPmJS6_EEE10hipError_tPvRmT3_T4_T5_T6_T7_T9_mT8_P12ihipStream_tbDpT10_ENKUlT_T0_E_clISt17integral_constantIbLb0EES17_EEDaS12_S13_EUlS12_E_NS1_11comp_targetILNS1_3genE5ELNS1_11target_archE942ELNS1_3gpuE9ELNS1_3repE0EEENS1_30default_config_static_selectorELNS0_4arch9wavefront6targetE1EEEvT1_
	.p2align	8
	.type	_ZN7rocprim17ROCPRIM_400000_NS6detail17trampoline_kernelINS0_14default_configENS1_25partition_config_selectorILNS1_17partition_subalgoE8EiNS0_10empty_typeEbEEZZNS1_14partition_implILS5_8ELb0ES3_jN6thrust23THRUST_200600_302600_NS10device_ptrIiEEPS6_PKS6_NS0_5tupleIJSC_S6_EEENSG_IJSD_SD_EEENS0_18inequality_wrapperINSA_8equal_toIiEEEEPmJS6_EEE10hipError_tPvRmT3_T4_T5_T6_T7_T9_mT8_P12ihipStream_tbDpT10_ENKUlT_T0_E_clISt17integral_constantIbLb0EES17_EEDaS12_S13_EUlS12_E_NS1_11comp_targetILNS1_3genE5ELNS1_11target_archE942ELNS1_3gpuE9ELNS1_3repE0EEENS1_30default_config_static_selectorELNS0_4arch9wavefront6targetE1EEEvT1_,@function
_ZN7rocprim17ROCPRIM_400000_NS6detail17trampoline_kernelINS0_14default_configENS1_25partition_config_selectorILNS1_17partition_subalgoE8EiNS0_10empty_typeEbEEZZNS1_14partition_implILS5_8ELb0ES3_jN6thrust23THRUST_200600_302600_NS10device_ptrIiEEPS6_PKS6_NS0_5tupleIJSC_S6_EEENSG_IJSD_SD_EEENS0_18inequality_wrapperINSA_8equal_toIiEEEEPmJS6_EEE10hipError_tPvRmT3_T4_T5_T6_T7_T9_mT8_P12ihipStream_tbDpT10_ENKUlT_T0_E_clISt17integral_constantIbLb0EES17_EEDaS12_S13_EUlS12_E_NS1_11comp_targetILNS1_3genE5ELNS1_11target_archE942ELNS1_3gpuE9ELNS1_3repE0EEENS1_30default_config_static_selectorELNS0_4arch9wavefront6targetE1EEEvT1_: ; @_ZN7rocprim17ROCPRIM_400000_NS6detail17trampoline_kernelINS0_14default_configENS1_25partition_config_selectorILNS1_17partition_subalgoE8EiNS0_10empty_typeEbEEZZNS1_14partition_implILS5_8ELb0ES3_jN6thrust23THRUST_200600_302600_NS10device_ptrIiEEPS6_PKS6_NS0_5tupleIJSC_S6_EEENSG_IJSD_SD_EEENS0_18inequality_wrapperINSA_8equal_toIiEEEEPmJS6_EEE10hipError_tPvRmT3_T4_T5_T6_T7_T9_mT8_P12ihipStream_tbDpT10_ENKUlT_T0_E_clISt17integral_constantIbLb0EES17_EEDaS12_S13_EUlS12_E_NS1_11comp_targetILNS1_3genE5ELNS1_11target_archE942ELNS1_3gpuE9ELNS1_3repE0EEENS1_30default_config_static_selectorELNS0_4arch9wavefront6targetE1EEEvT1_
; %bb.0:
	.section	.rodata,"a",@progbits
	.p2align	6, 0x0
	.amdhsa_kernel _ZN7rocprim17ROCPRIM_400000_NS6detail17trampoline_kernelINS0_14default_configENS1_25partition_config_selectorILNS1_17partition_subalgoE8EiNS0_10empty_typeEbEEZZNS1_14partition_implILS5_8ELb0ES3_jN6thrust23THRUST_200600_302600_NS10device_ptrIiEEPS6_PKS6_NS0_5tupleIJSC_S6_EEENSG_IJSD_SD_EEENS0_18inequality_wrapperINSA_8equal_toIiEEEEPmJS6_EEE10hipError_tPvRmT3_T4_T5_T6_T7_T9_mT8_P12ihipStream_tbDpT10_ENKUlT_T0_E_clISt17integral_constantIbLb0EES17_EEDaS12_S13_EUlS12_E_NS1_11comp_targetILNS1_3genE5ELNS1_11target_archE942ELNS1_3gpuE9ELNS1_3repE0EEENS1_30default_config_static_selectorELNS0_4arch9wavefront6targetE1EEEvT1_
		.amdhsa_group_segment_fixed_size 0
		.amdhsa_private_segment_fixed_size 0
		.amdhsa_kernarg_size 112
		.amdhsa_user_sgpr_count 6
		.amdhsa_user_sgpr_private_segment_buffer 1
		.amdhsa_user_sgpr_dispatch_ptr 0
		.amdhsa_user_sgpr_queue_ptr 0
		.amdhsa_user_sgpr_kernarg_segment_ptr 1
		.amdhsa_user_sgpr_dispatch_id 0
		.amdhsa_user_sgpr_flat_scratch_init 0
		.amdhsa_user_sgpr_private_segment_size 0
		.amdhsa_uses_dynamic_stack 0
		.amdhsa_system_sgpr_private_segment_wavefront_offset 0
		.amdhsa_system_sgpr_workgroup_id_x 1
		.amdhsa_system_sgpr_workgroup_id_y 0
		.amdhsa_system_sgpr_workgroup_id_z 0
		.amdhsa_system_sgpr_workgroup_info 0
		.amdhsa_system_vgpr_workitem_id 0
		.amdhsa_next_free_vgpr 1
		.amdhsa_next_free_sgpr 0
		.amdhsa_reserve_vcc 0
		.amdhsa_reserve_flat_scratch 0
		.amdhsa_float_round_mode_32 0
		.amdhsa_float_round_mode_16_64 0
		.amdhsa_float_denorm_mode_32 3
		.amdhsa_float_denorm_mode_16_64 3
		.amdhsa_dx10_clamp 1
		.amdhsa_ieee_mode 1
		.amdhsa_fp16_overflow 0
		.amdhsa_exception_fp_ieee_invalid_op 0
		.amdhsa_exception_fp_denorm_src 0
		.amdhsa_exception_fp_ieee_div_zero 0
		.amdhsa_exception_fp_ieee_overflow 0
		.amdhsa_exception_fp_ieee_underflow 0
		.amdhsa_exception_fp_ieee_inexact 0
		.amdhsa_exception_int_div_zero 0
	.end_amdhsa_kernel
	.section	.text._ZN7rocprim17ROCPRIM_400000_NS6detail17trampoline_kernelINS0_14default_configENS1_25partition_config_selectorILNS1_17partition_subalgoE8EiNS0_10empty_typeEbEEZZNS1_14partition_implILS5_8ELb0ES3_jN6thrust23THRUST_200600_302600_NS10device_ptrIiEEPS6_PKS6_NS0_5tupleIJSC_S6_EEENSG_IJSD_SD_EEENS0_18inequality_wrapperINSA_8equal_toIiEEEEPmJS6_EEE10hipError_tPvRmT3_T4_T5_T6_T7_T9_mT8_P12ihipStream_tbDpT10_ENKUlT_T0_E_clISt17integral_constantIbLb0EES17_EEDaS12_S13_EUlS12_E_NS1_11comp_targetILNS1_3genE5ELNS1_11target_archE942ELNS1_3gpuE9ELNS1_3repE0EEENS1_30default_config_static_selectorELNS0_4arch9wavefront6targetE1EEEvT1_,"axG",@progbits,_ZN7rocprim17ROCPRIM_400000_NS6detail17trampoline_kernelINS0_14default_configENS1_25partition_config_selectorILNS1_17partition_subalgoE8EiNS0_10empty_typeEbEEZZNS1_14partition_implILS5_8ELb0ES3_jN6thrust23THRUST_200600_302600_NS10device_ptrIiEEPS6_PKS6_NS0_5tupleIJSC_S6_EEENSG_IJSD_SD_EEENS0_18inequality_wrapperINSA_8equal_toIiEEEEPmJS6_EEE10hipError_tPvRmT3_T4_T5_T6_T7_T9_mT8_P12ihipStream_tbDpT10_ENKUlT_T0_E_clISt17integral_constantIbLb0EES17_EEDaS12_S13_EUlS12_E_NS1_11comp_targetILNS1_3genE5ELNS1_11target_archE942ELNS1_3gpuE9ELNS1_3repE0EEENS1_30default_config_static_selectorELNS0_4arch9wavefront6targetE1EEEvT1_,comdat
.Lfunc_end1032:
	.size	_ZN7rocprim17ROCPRIM_400000_NS6detail17trampoline_kernelINS0_14default_configENS1_25partition_config_selectorILNS1_17partition_subalgoE8EiNS0_10empty_typeEbEEZZNS1_14partition_implILS5_8ELb0ES3_jN6thrust23THRUST_200600_302600_NS10device_ptrIiEEPS6_PKS6_NS0_5tupleIJSC_S6_EEENSG_IJSD_SD_EEENS0_18inequality_wrapperINSA_8equal_toIiEEEEPmJS6_EEE10hipError_tPvRmT3_T4_T5_T6_T7_T9_mT8_P12ihipStream_tbDpT10_ENKUlT_T0_E_clISt17integral_constantIbLb0EES17_EEDaS12_S13_EUlS12_E_NS1_11comp_targetILNS1_3genE5ELNS1_11target_archE942ELNS1_3gpuE9ELNS1_3repE0EEENS1_30default_config_static_selectorELNS0_4arch9wavefront6targetE1EEEvT1_, .Lfunc_end1032-_ZN7rocprim17ROCPRIM_400000_NS6detail17trampoline_kernelINS0_14default_configENS1_25partition_config_selectorILNS1_17partition_subalgoE8EiNS0_10empty_typeEbEEZZNS1_14partition_implILS5_8ELb0ES3_jN6thrust23THRUST_200600_302600_NS10device_ptrIiEEPS6_PKS6_NS0_5tupleIJSC_S6_EEENSG_IJSD_SD_EEENS0_18inequality_wrapperINSA_8equal_toIiEEEEPmJS6_EEE10hipError_tPvRmT3_T4_T5_T6_T7_T9_mT8_P12ihipStream_tbDpT10_ENKUlT_T0_E_clISt17integral_constantIbLb0EES17_EEDaS12_S13_EUlS12_E_NS1_11comp_targetILNS1_3genE5ELNS1_11target_archE942ELNS1_3gpuE9ELNS1_3repE0EEENS1_30default_config_static_selectorELNS0_4arch9wavefront6targetE1EEEvT1_
                                        ; -- End function
	.set _ZN7rocprim17ROCPRIM_400000_NS6detail17trampoline_kernelINS0_14default_configENS1_25partition_config_selectorILNS1_17partition_subalgoE8EiNS0_10empty_typeEbEEZZNS1_14partition_implILS5_8ELb0ES3_jN6thrust23THRUST_200600_302600_NS10device_ptrIiEEPS6_PKS6_NS0_5tupleIJSC_S6_EEENSG_IJSD_SD_EEENS0_18inequality_wrapperINSA_8equal_toIiEEEEPmJS6_EEE10hipError_tPvRmT3_T4_T5_T6_T7_T9_mT8_P12ihipStream_tbDpT10_ENKUlT_T0_E_clISt17integral_constantIbLb0EES17_EEDaS12_S13_EUlS12_E_NS1_11comp_targetILNS1_3genE5ELNS1_11target_archE942ELNS1_3gpuE9ELNS1_3repE0EEENS1_30default_config_static_selectorELNS0_4arch9wavefront6targetE1EEEvT1_.num_vgpr, 0
	.set _ZN7rocprim17ROCPRIM_400000_NS6detail17trampoline_kernelINS0_14default_configENS1_25partition_config_selectorILNS1_17partition_subalgoE8EiNS0_10empty_typeEbEEZZNS1_14partition_implILS5_8ELb0ES3_jN6thrust23THRUST_200600_302600_NS10device_ptrIiEEPS6_PKS6_NS0_5tupleIJSC_S6_EEENSG_IJSD_SD_EEENS0_18inequality_wrapperINSA_8equal_toIiEEEEPmJS6_EEE10hipError_tPvRmT3_T4_T5_T6_T7_T9_mT8_P12ihipStream_tbDpT10_ENKUlT_T0_E_clISt17integral_constantIbLb0EES17_EEDaS12_S13_EUlS12_E_NS1_11comp_targetILNS1_3genE5ELNS1_11target_archE942ELNS1_3gpuE9ELNS1_3repE0EEENS1_30default_config_static_selectorELNS0_4arch9wavefront6targetE1EEEvT1_.num_agpr, 0
	.set _ZN7rocprim17ROCPRIM_400000_NS6detail17trampoline_kernelINS0_14default_configENS1_25partition_config_selectorILNS1_17partition_subalgoE8EiNS0_10empty_typeEbEEZZNS1_14partition_implILS5_8ELb0ES3_jN6thrust23THRUST_200600_302600_NS10device_ptrIiEEPS6_PKS6_NS0_5tupleIJSC_S6_EEENSG_IJSD_SD_EEENS0_18inequality_wrapperINSA_8equal_toIiEEEEPmJS6_EEE10hipError_tPvRmT3_T4_T5_T6_T7_T9_mT8_P12ihipStream_tbDpT10_ENKUlT_T0_E_clISt17integral_constantIbLb0EES17_EEDaS12_S13_EUlS12_E_NS1_11comp_targetILNS1_3genE5ELNS1_11target_archE942ELNS1_3gpuE9ELNS1_3repE0EEENS1_30default_config_static_selectorELNS0_4arch9wavefront6targetE1EEEvT1_.numbered_sgpr, 0
	.set _ZN7rocprim17ROCPRIM_400000_NS6detail17trampoline_kernelINS0_14default_configENS1_25partition_config_selectorILNS1_17partition_subalgoE8EiNS0_10empty_typeEbEEZZNS1_14partition_implILS5_8ELb0ES3_jN6thrust23THRUST_200600_302600_NS10device_ptrIiEEPS6_PKS6_NS0_5tupleIJSC_S6_EEENSG_IJSD_SD_EEENS0_18inequality_wrapperINSA_8equal_toIiEEEEPmJS6_EEE10hipError_tPvRmT3_T4_T5_T6_T7_T9_mT8_P12ihipStream_tbDpT10_ENKUlT_T0_E_clISt17integral_constantIbLb0EES17_EEDaS12_S13_EUlS12_E_NS1_11comp_targetILNS1_3genE5ELNS1_11target_archE942ELNS1_3gpuE9ELNS1_3repE0EEENS1_30default_config_static_selectorELNS0_4arch9wavefront6targetE1EEEvT1_.num_named_barrier, 0
	.set _ZN7rocprim17ROCPRIM_400000_NS6detail17trampoline_kernelINS0_14default_configENS1_25partition_config_selectorILNS1_17partition_subalgoE8EiNS0_10empty_typeEbEEZZNS1_14partition_implILS5_8ELb0ES3_jN6thrust23THRUST_200600_302600_NS10device_ptrIiEEPS6_PKS6_NS0_5tupleIJSC_S6_EEENSG_IJSD_SD_EEENS0_18inequality_wrapperINSA_8equal_toIiEEEEPmJS6_EEE10hipError_tPvRmT3_T4_T5_T6_T7_T9_mT8_P12ihipStream_tbDpT10_ENKUlT_T0_E_clISt17integral_constantIbLb0EES17_EEDaS12_S13_EUlS12_E_NS1_11comp_targetILNS1_3genE5ELNS1_11target_archE942ELNS1_3gpuE9ELNS1_3repE0EEENS1_30default_config_static_selectorELNS0_4arch9wavefront6targetE1EEEvT1_.private_seg_size, 0
	.set _ZN7rocprim17ROCPRIM_400000_NS6detail17trampoline_kernelINS0_14default_configENS1_25partition_config_selectorILNS1_17partition_subalgoE8EiNS0_10empty_typeEbEEZZNS1_14partition_implILS5_8ELb0ES3_jN6thrust23THRUST_200600_302600_NS10device_ptrIiEEPS6_PKS6_NS0_5tupleIJSC_S6_EEENSG_IJSD_SD_EEENS0_18inequality_wrapperINSA_8equal_toIiEEEEPmJS6_EEE10hipError_tPvRmT3_T4_T5_T6_T7_T9_mT8_P12ihipStream_tbDpT10_ENKUlT_T0_E_clISt17integral_constantIbLb0EES17_EEDaS12_S13_EUlS12_E_NS1_11comp_targetILNS1_3genE5ELNS1_11target_archE942ELNS1_3gpuE9ELNS1_3repE0EEENS1_30default_config_static_selectorELNS0_4arch9wavefront6targetE1EEEvT1_.uses_vcc, 0
	.set _ZN7rocprim17ROCPRIM_400000_NS6detail17trampoline_kernelINS0_14default_configENS1_25partition_config_selectorILNS1_17partition_subalgoE8EiNS0_10empty_typeEbEEZZNS1_14partition_implILS5_8ELb0ES3_jN6thrust23THRUST_200600_302600_NS10device_ptrIiEEPS6_PKS6_NS0_5tupleIJSC_S6_EEENSG_IJSD_SD_EEENS0_18inequality_wrapperINSA_8equal_toIiEEEEPmJS6_EEE10hipError_tPvRmT3_T4_T5_T6_T7_T9_mT8_P12ihipStream_tbDpT10_ENKUlT_T0_E_clISt17integral_constantIbLb0EES17_EEDaS12_S13_EUlS12_E_NS1_11comp_targetILNS1_3genE5ELNS1_11target_archE942ELNS1_3gpuE9ELNS1_3repE0EEENS1_30default_config_static_selectorELNS0_4arch9wavefront6targetE1EEEvT1_.uses_flat_scratch, 0
	.set _ZN7rocprim17ROCPRIM_400000_NS6detail17trampoline_kernelINS0_14default_configENS1_25partition_config_selectorILNS1_17partition_subalgoE8EiNS0_10empty_typeEbEEZZNS1_14partition_implILS5_8ELb0ES3_jN6thrust23THRUST_200600_302600_NS10device_ptrIiEEPS6_PKS6_NS0_5tupleIJSC_S6_EEENSG_IJSD_SD_EEENS0_18inequality_wrapperINSA_8equal_toIiEEEEPmJS6_EEE10hipError_tPvRmT3_T4_T5_T6_T7_T9_mT8_P12ihipStream_tbDpT10_ENKUlT_T0_E_clISt17integral_constantIbLb0EES17_EEDaS12_S13_EUlS12_E_NS1_11comp_targetILNS1_3genE5ELNS1_11target_archE942ELNS1_3gpuE9ELNS1_3repE0EEENS1_30default_config_static_selectorELNS0_4arch9wavefront6targetE1EEEvT1_.has_dyn_sized_stack, 0
	.set _ZN7rocprim17ROCPRIM_400000_NS6detail17trampoline_kernelINS0_14default_configENS1_25partition_config_selectorILNS1_17partition_subalgoE8EiNS0_10empty_typeEbEEZZNS1_14partition_implILS5_8ELb0ES3_jN6thrust23THRUST_200600_302600_NS10device_ptrIiEEPS6_PKS6_NS0_5tupleIJSC_S6_EEENSG_IJSD_SD_EEENS0_18inequality_wrapperINSA_8equal_toIiEEEEPmJS6_EEE10hipError_tPvRmT3_T4_T5_T6_T7_T9_mT8_P12ihipStream_tbDpT10_ENKUlT_T0_E_clISt17integral_constantIbLb0EES17_EEDaS12_S13_EUlS12_E_NS1_11comp_targetILNS1_3genE5ELNS1_11target_archE942ELNS1_3gpuE9ELNS1_3repE0EEENS1_30default_config_static_selectorELNS0_4arch9wavefront6targetE1EEEvT1_.has_recursion, 0
	.set _ZN7rocprim17ROCPRIM_400000_NS6detail17trampoline_kernelINS0_14default_configENS1_25partition_config_selectorILNS1_17partition_subalgoE8EiNS0_10empty_typeEbEEZZNS1_14partition_implILS5_8ELb0ES3_jN6thrust23THRUST_200600_302600_NS10device_ptrIiEEPS6_PKS6_NS0_5tupleIJSC_S6_EEENSG_IJSD_SD_EEENS0_18inequality_wrapperINSA_8equal_toIiEEEEPmJS6_EEE10hipError_tPvRmT3_T4_T5_T6_T7_T9_mT8_P12ihipStream_tbDpT10_ENKUlT_T0_E_clISt17integral_constantIbLb0EES17_EEDaS12_S13_EUlS12_E_NS1_11comp_targetILNS1_3genE5ELNS1_11target_archE942ELNS1_3gpuE9ELNS1_3repE0EEENS1_30default_config_static_selectorELNS0_4arch9wavefront6targetE1EEEvT1_.has_indirect_call, 0
	.section	.AMDGPU.csdata,"",@progbits
; Kernel info:
; codeLenInByte = 0
; TotalNumSgprs: 4
; NumVgprs: 0
; ScratchSize: 0
; MemoryBound: 0
; FloatMode: 240
; IeeeMode: 1
; LDSByteSize: 0 bytes/workgroup (compile time only)
; SGPRBlocks: 0
; VGPRBlocks: 0
; NumSGPRsForWavesPerEU: 4
; NumVGPRsForWavesPerEU: 1
; Occupancy: 10
; WaveLimiterHint : 0
; COMPUTE_PGM_RSRC2:SCRATCH_EN: 0
; COMPUTE_PGM_RSRC2:USER_SGPR: 6
; COMPUTE_PGM_RSRC2:TRAP_HANDLER: 0
; COMPUTE_PGM_RSRC2:TGID_X_EN: 1
; COMPUTE_PGM_RSRC2:TGID_Y_EN: 0
; COMPUTE_PGM_RSRC2:TGID_Z_EN: 0
; COMPUTE_PGM_RSRC2:TIDIG_COMP_CNT: 0
	.section	.text._ZN7rocprim17ROCPRIM_400000_NS6detail17trampoline_kernelINS0_14default_configENS1_25partition_config_selectorILNS1_17partition_subalgoE8EiNS0_10empty_typeEbEEZZNS1_14partition_implILS5_8ELb0ES3_jN6thrust23THRUST_200600_302600_NS10device_ptrIiEEPS6_PKS6_NS0_5tupleIJSC_S6_EEENSG_IJSD_SD_EEENS0_18inequality_wrapperINSA_8equal_toIiEEEEPmJS6_EEE10hipError_tPvRmT3_T4_T5_T6_T7_T9_mT8_P12ihipStream_tbDpT10_ENKUlT_T0_E_clISt17integral_constantIbLb0EES17_EEDaS12_S13_EUlS12_E_NS1_11comp_targetILNS1_3genE4ELNS1_11target_archE910ELNS1_3gpuE8ELNS1_3repE0EEENS1_30default_config_static_selectorELNS0_4arch9wavefront6targetE1EEEvT1_,"axG",@progbits,_ZN7rocprim17ROCPRIM_400000_NS6detail17trampoline_kernelINS0_14default_configENS1_25partition_config_selectorILNS1_17partition_subalgoE8EiNS0_10empty_typeEbEEZZNS1_14partition_implILS5_8ELb0ES3_jN6thrust23THRUST_200600_302600_NS10device_ptrIiEEPS6_PKS6_NS0_5tupleIJSC_S6_EEENSG_IJSD_SD_EEENS0_18inequality_wrapperINSA_8equal_toIiEEEEPmJS6_EEE10hipError_tPvRmT3_T4_T5_T6_T7_T9_mT8_P12ihipStream_tbDpT10_ENKUlT_T0_E_clISt17integral_constantIbLb0EES17_EEDaS12_S13_EUlS12_E_NS1_11comp_targetILNS1_3genE4ELNS1_11target_archE910ELNS1_3gpuE8ELNS1_3repE0EEENS1_30default_config_static_selectorELNS0_4arch9wavefront6targetE1EEEvT1_,comdat
	.protected	_ZN7rocprim17ROCPRIM_400000_NS6detail17trampoline_kernelINS0_14default_configENS1_25partition_config_selectorILNS1_17partition_subalgoE8EiNS0_10empty_typeEbEEZZNS1_14partition_implILS5_8ELb0ES3_jN6thrust23THRUST_200600_302600_NS10device_ptrIiEEPS6_PKS6_NS0_5tupleIJSC_S6_EEENSG_IJSD_SD_EEENS0_18inequality_wrapperINSA_8equal_toIiEEEEPmJS6_EEE10hipError_tPvRmT3_T4_T5_T6_T7_T9_mT8_P12ihipStream_tbDpT10_ENKUlT_T0_E_clISt17integral_constantIbLb0EES17_EEDaS12_S13_EUlS12_E_NS1_11comp_targetILNS1_3genE4ELNS1_11target_archE910ELNS1_3gpuE8ELNS1_3repE0EEENS1_30default_config_static_selectorELNS0_4arch9wavefront6targetE1EEEvT1_ ; -- Begin function _ZN7rocprim17ROCPRIM_400000_NS6detail17trampoline_kernelINS0_14default_configENS1_25partition_config_selectorILNS1_17partition_subalgoE8EiNS0_10empty_typeEbEEZZNS1_14partition_implILS5_8ELb0ES3_jN6thrust23THRUST_200600_302600_NS10device_ptrIiEEPS6_PKS6_NS0_5tupleIJSC_S6_EEENSG_IJSD_SD_EEENS0_18inequality_wrapperINSA_8equal_toIiEEEEPmJS6_EEE10hipError_tPvRmT3_T4_T5_T6_T7_T9_mT8_P12ihipStream_tbDpT10_ENKUlT_T0_E_clISt17integral_constantIbLb0EES17_EEDaS12_S13_EUlS12_E_NS1_11comp_targetILNS1_3genE4ELNS1_11target_archE910ELNS1_3gpuE8ELNS1_3repE0EEENS1_30default_config_static_selectorELNS0_4arch9wavefront6targetE1EEEvT1_
	.globl	_ZN7rocprim17ROCPRIM_400000_NS6detail17trampoline_kernelINS0_14default_configENS1_25partition_config_selectorILNS1_17partition_subalgoE8EiNS0_10empty_typeEbEEZZNS1_14partition_implILS5_8ELb0ES3_jN6thrust23THRUST_200600_302600_NS10device_ptrIiEEPS6_PKS6_NS0_5tupleIJSC_S6_EEENSG_IJSD_SD_EEENS0_18inequality_wrapperINSA_8equal_toIiEEEEPmJS6_EEE10hipError_tPvRmT3_T4_T5_T6_T7_T9_mT8_P12ihipStream_tbDpT10_ENKUlT_T0_E_clISt17integral_constantIbLb0EES17_EEDaS12_S13_EUlS12_E_NS1_11comp_targetILNS1_3genE4ELNS1_11target_archE910ELNS1_3gpuE8ELNS1_3repE0EEENS1_30default_config_static_selectorELNS0_4arch9wavefront6targetE1EEEvT1_
	.p2align	8
	.type	_ZN7rocprim17ROCPRIM_400000_NS6detail17trampoline_kernelINS0_14default_configENS1_25partition_config_selectorILNS1_17partition_subalgoE8EiNS0_10empty_typeEbEEZZNS1_14partition_implILS5_8ELb0ES3_jN6thrust23THRUST_200600_302600_NS10device_ptrIiEEPS6_PKS6_NS0_5tupleIJSC_S6_EEENSG_IJSD_SD_EEENS0_18inequality_wrapperINSA_8equal_toIiEEEEPmJS6_EEE10hipError_tPvRmT3_T4_T5_T6_T7_T9_mT8_P12ihipStream_tbDpT10_ENKUlT_T0_E_clISt17integral_constantIbLb0EES17_EEDaS12_S13_EUlS12_E_NS1_11comp_targetILNS1_3genE4ELNS1_11target_archE910ELNS1_3gpuE8ELNS1_3repE0EEENS1_30default_config_static_selectorELNS0_4arch9wavefront6targetE1EEEvT1_,@function
_ZN7rocprim17ROCPRIM_400000_NS6detail17trampoline_kernelINS0_14default_configENS1_25partition_config_selectorILNS1_17partition_subalgoE8EiNS0_10empty_typeEbEEZZNS1_14partition_implILS5_8ELb0ES3_jN6thrust23THRUST_200600_302600_NS10device_ptrIiEEPS6_PKS6_NS0_5tupleIJSC_S6_EEENSG_IJSD_SD_EEENS0_18inequality_wrapperINSA_8equal_toIiEEEEPmJS6_EEE10hipError_tPvRmT3_T4_T5_T6_T7_T9_mT8_P12ihipStream_tbDpT10_ENKUlT_T0_E_clISt17integral_constantIbLb0EES17_EEDaS12_S13_EUlS12_E_NS1_11comp_targetILNS1_3genE4ELNS1_11target_archE910ELNS1_3gpuE8ELNS1_3repE0EEENS1_30default_config_static_selectorELNS0_4arch9wavefront6targetE1EEEvT1_: ; @_ZN7rocprim17ROCPRIM_400000_NS6detail17trampoline_kernelINS0_14default_configENS1_25partition_config_selectorILNS1_17partition_subalgoE8EiNS0_10empty_typeEbEEZZNS1_14partition_implILS5_8ELb0ES3_jN6thrust23THRUST_200600_302600_NS10device_ptrIiEEPS6_PKS6_NS0_5tupleIJSC_S6_EEENSG_IJSD_SD_EEENS0_18inequality_wrapperINSA_8equal_toIiEEEEPmJS6_EEE10hipError_tPvRmT3_T4_T5_T6_T7_T9_mT8_P12ihipStream_tbDpT10_ENKUlT_T0_E_clISt17integral_constantIbLb0EES17_EEDaS12_S13_EUlS12_E_NS1_11comp_targetILNS1_3genE4ELNS1_11target_archE910ELNS1_3gpuE8ELNS1_3repE0EEENS1_30default_config_static_selectorELNS0_4arch9wavefront6targetE1EEEvT1_
; %bb.0:
	.section	.rodata,"a",@progbits
	.p2align	6, 0x0
	.amdhsa_kernel _ZN7rocprim17ROCPRIM_400000_NS6detail17trampoline_kernelINS0_14default_configENS1_25partition_config_selectorILNS1_17partition_subalgoE8EiNS0_10empty_typeEbEEZZNS1_14partition_implILS5_8ELb0ES3_jN6thrust23THRUST_200600_302600_NS10device_ptrIiEEPS6_PKS6_NS0_5tupleIJSC_S6_EEENSG_IJSD_SD_EEENS0_18inequality_wrapperINSA_8equal_toIiEEEEPmJS6_EEE10hipError_tPvRmT3_T4_T5_T6_T7_T9_mT8_P12ihipStream_tbDpT10_ENKUlT_T0_E_clISt17integral_constantIbLb0EES17_EEDaS12_S13_EUlS12_E_NS1_11comp_targetILNS1_3genE4ELNS1_11target_archE910ELNS1_3gpuE8ELNS1_3repE0EEENS1_30default_config_static_selectorELNS0_4arch9wavefront6targetE1EEEvT1_
		.amdhsa_group_segment_fixed_size 0
		.amdhsa_private_segment_fixed_size 0
		.amdhsa_kernarg_size 112
		.amdhsa_user_sgpr_count 6
		.amdhsa_user_sgpr_private_segment_buffer 1
		.amdhsa_user_sgpr_dispatch_ptr 0
		.amdhsa_user_sgpr_queue_ptr 0
		.amdhsa_user_sgpr_kernarg_segment_ptr 1
		.amdhsa_user_sgpr_dispatch_id 0
		.amdhsa_user_sgpr_flat_scratch_init 0
		.amdhsa_user_sgpr_private_segment_size 0
		.amdhsa_uses_dynamic_stack 0
		.amdhsa_system_sgpr_private_segment_wavefront_offset 0
		.amdhsa_system_sgpr_workgroup_id_x 1
		.amdhsa_system_sgpr_workgroup_id_y 0
		.amdhsa_system_sgpr_workgroup_id_z 0
		.amdhsa_system_sgpr_workgroup_info 0
		.amdhsa_system_vgpr_workitem_id 0
		.amdhsa_next_free_vgpr 1
		.amdhsa_next_free_sgpr 0
		.amdhsa_reserve_vcc 0
		.amdhsa_reserve_flat_scratch 0
		.amdhsa_float_round_mode_32 0
		.amdhsa_float_round_mode_16_64 0
		.amdhsa_float_denorm_mode_32 3
		.amdhsa_float_denorm_mode_16_64 3
		.amdhsa_dx10_clamp 1
		.amdhsa_ieee_mode 1
		.amdhsa_fp16_overflow 0
		.amdhsa_exception_fp_ieee_invalid_op 0
		.amdhsa_exception_fp_denorm_src 0
		.amdhsa_exception_fp_ieee_div_zero 0
		.amdhsa_exception_fp_ieee_overflow 0
		.amdhsa_exception_fp_ieee_underflow 0
		.amdhsa_exception_fp_ieee_inexact 0
		.amdhsa_exception_int_div_zero 0
	.end_amdhsa_kernel
	.section	.text._ZN7rocprim17ROCPRIM_400000_NS6detail17trampoline_kernelINS0_14default_configENS1_25partition_config_selectorILNS1_17partition_subalgoE8EiNS0_10empty_typeEbEEZZNS1_14partition_implILS5_8ELb0ES3_jN6thrust23THRUST_200600_302600_NS10device_ptrIiEEPS6_PKS6_NS0_5tupleIJSC_S6_EEENSG_IJSD_SD_EEENS0_18inequality_wrapperINSA_8equal_toIiEEEEPmJS6_EEE10hipError_tPvRmT3_T4_T5_T6_T7_T9_mT8_P12ihipStream_tbDpT10_ENKUlT_T0_E_clISt17integral_constantIbLb0EES17_EEDaS12_S13_EUlS12_E_NS1_11comp_targetILNS1_3genE4ELNS1_11target_archE910ELNS1_3gpuE8ELNS1_3repE0EEENS1_30default_config_static_selectorELNS0_4arch9wavefront6targetE1EEEvT1_,"axG",@progbits,_ZN7rocprim17ROCPRIM_400000_NS6detail17trampoline_kernelINS0_14default_configENS1_25partition_config_selectorILNS1_17partition_subalgoE8EiNS0_10empty_typeEbEEZZNS1_14partition_implILS5_8ELb0ES3_jN6thrust23THRUST_200600_302600_NS10device_ptrIiEEPS6_PKS6_NS0_5tupleIJSC_S6_EEENSG_IJSD_SD_EEENS0_18inequality_wrapperINSA_8equal_toIiEEEEPmJS6_EEE10hipError_tPvRmT3_T4_T5_T6_T7_T9_mT8_P12ihipStream_tbDpT10_ENKUlT_T0_E_clISt17integral_constantIbLb0EES17_EEDaS12_S13_EUlS12_E_NS1_11comp_targetILNS1_3genE4ELNS1_11target_archE910ELNS1_3gpuE8ELNS1_3repE0EEENS1_30default_config_static_selectorELNS0_4arch9wavefront6targetE1EEEvT1_,comdat
.Lfunc_end1033:
	.size	_ZN7rocprim17ROCPRIM_400000_NS6detail17trampoline_kernelINS0_14default_configENS1_25partition_config_selectorILNS1_17partition_subalgoE8EiNS0_10empty_typeEbEEZZNS1_14partition_implILS5_8ELb0ES3_jN6thrust23THRUST_200600_302600_NS10device_ptrIiEEPS6_PKS6_NS0_5tupleIJSC_S6_EEENSG_IJSD_SD_EEENS0_18inequality_wrapperINSA_8equal_toIiEEEEPmJS6_EEE10hipError_tPvRmT3_T4_T5_T6_T7_T9_mT8_P12ihipStream_tbDpT10_ENKUlT_T0_E_clISt17integral_constantIbLb0EES17_EEDaS12_S13_EUlS12_E_NS1_11comp_targetILNS1_3genE4ELNS1_11target_archE910ELNS1_3gpuE8ELNS1_3repE0EEENS1_30default_config_static_selectorELNS0_4arch9wavefront6targetE1EEEvT1_, .Lfunc_end1033-_ZN7rocprim17ROCPRIM_400000_NS6detail17trampoline_kernelINS0_14default_configENS1_25partition_config_selectorILNS1_17partition_subalgoE8EiNS0_10empty_typeEbEEZZNS1_14partition_implILS5_8ELb0ES3_jN6thrust23THRUST_200600_302600_NS10device_ptrIiEEPS6_PKS6_NS0_5tupleIJSC_S6_EEENSG_IJSD_SD_EEENS0_18inequality_wrapperINSA_8equal_toIiEEEEPmJS6_EEE10hipError_tPvRmT3_T4_T5_T6_T7_T9_mT8_P12ihipStream_tbDpT10_ENKUlT_T0_E_clISt17integral_constantIbLb0EES17_EEDaS12_S13_EUlS12_E_NS1_11comp_targetILNS1_3genE4ELNS1_11target_archE910ELNS1_3gpuE8ELNS1_3repE0EEENS1_30default_config_static_selectorELNS0_4arch9wavefront6targetE1EEEvT1_
                                        ; -- End function
	.set _ZN7rocprim17ROCPRIM_400000_NS6detail17trampoline_kernelINS0_14default_configENS1_25partition_config_selectorILNS1_17partition_subalgoE8EiNS0_10empty_typeEbEEZZNS1_14partition_implILS5_8ELb0ES3_jN6thrust23THRUST_200600_302600_NS10device_ptrIiEEPS6_PKS6_NS0_5tupleIJSC_S6_EEENSG_IJSD_SD_EEENS0_18inequality_wrapperINSA_8equal_toIiEEEEPmJS6_EEE10hipError_tPvRmT3_T4_T5_T6_T7_T9_mT8_P12ihipStream_tbDpT10_ENKUlT_T0_E_clISt17integral_constantIbLb0EES17_EEDaS12_S13_EUlS12_E_NS1_11comp_targetILNS1_3genE4ELNS1_11target_archE910ELNS1_3gpuE8ELNS1_3repE0EEENS1_30default_config_static_selectorELNS0_4arch9wavefront6targetE1EEEvT1_.num_vgpr, 0
	.set _ZN7rocprim17ROCPRIM_400000_NS6detail17trampoline_kernelINS0_14default_configENS1_25partition_config_selectorILNS1_17partition_subalgoE8EiNS0_10empty_typeEbEEZZNS1_14partition_implILS5_8ELb0ES3_jN6thrust23THRUST_200600_302600_NS10device_ptrIiEEPS6_PKS6_NS0_5tupleIJSC_S6_EEENSG_IJSD_SD_EEENS0_18inequality_wrapperINSA_8equal_toIiEEEEPmJS6_EEE10hipError_tPvRmT3_T4_T5_T6_T7_T9_mT8_P12ihipStream_tbDpT10_ENKUlT_T0_E_clISt17integral_constantIbLb0EES17_EEDaS12_S13_EUlS12_E_NS1_11comp_targetILNS1_3genE4ELNS1_11target_archE910ELNS1_3gpuE8ELNS1_3repE0EEENS1_30default_config_static_selectorELNS0_4arch9wavefront6targetE1EEEvT1_.num_agpr, 0
	.set _ZN7rocprim17ROCPRIM_400000_NS6detail17trampoline_kernelINS0_14default_configENS1_25partition_config_selectorILNS1_17partition_subalgoE8EiNS0_10empty_typeEbEEZZNS1_14partition_implILS5_8ELb0ES3_jN6thrust23THRUST_200600_302600_NS10device_ptrIiEEPS6_PKS6_NS0_5tupleIJSC_S6_EEENSG_IJSD_SD_EEENS0_18inequality_wrapperINSA_8equal_toIiEEEEPmJS6_EEE10hipError_tPvRmT3_T4_T5_T6_T7_T9_mT8_P12ihipStream_tbDpT10_ENKUlT_T0_E_clISt17integral_constantIbLb0EES17_EEDaS12_S13_EUlS12_E_NS1_11comp_targetILNS1_3genE4ELNS1_11target_archE910ELNS1_3gpuE8ELNS1_3repE0EEENS1_30default_config_static_selectorELNS0_4arch9wavefront6targetE1EEEvT1_.numbered_sgpr, 0
	.set _ZN7rocprim17ROCPRIM_400000_NS6detail17trampoline_kernelINS0_14default_configENS1_25partition_config_selectorILNS1_17partition_subalgoE8EiNS0_10empty_typeEbEEZZNS1_14partition_implILS5_8ELb0ES3_jN6thrust23THRUST_200600_302600_NS10device_ptrIiEEPS6_PKS6_NS0_5tupleIJSC_S6_EEENSG_IJSD_SD_EEENS0_18inequality_wrapperINSA_8equal_toIiEEEEPmJS6_EEE10hipError_tPvRmT3_T4_T5_T6_T7_T9_mT8_P12ihipStream_tbDpT10_ENKUlT_T0_E_clISt17integral_constantIbLb0EES17_EEDaS12_S13_EUlS12_E_NS1_11comp_targetILNS1_3genE4ELNS1_11target_archE910ELNS1_3gpuE8ELNS1_3repE0EEENS1_30default_config_static_selectorELNS0_4arch9wavefront6targetE1EEEvT1_.num_named_barrier, 0
	.set _ZN7rocprim17ROCPRIM_400000_NS6detail17trampoline_kernelINS0_14default_configENS1_25partition_config_selectorILNS1_17partition_subalgoE8EiNS0_10empty_typeEbEEZZNS1_14partition_implILS5_8ELb0ES3_jN6thrust23THRUST_200600_302600_NS10device_ptrIiEEPS6_PKS6_NS0_5tupleIJSC_S6_EEENSG_IJSD_SD_EEENS0_18inequality_wrapperINSA_8equal_toIiEEEEPmJS6_EEE10hipError_tPvRmT3_T4_T5_T6_T7_T9_mT8_P12ihipStream_tbDpT10_ENKUlT_T0_E_clISt17integral_constantIbLb0EES17_EEDaS12_S13_EUlS12_E_NS1_11comp_targetILNS1_3genE4ELNS1_11target_archE910ELNS1_3gpuE8ELNS1_3repE0EEENS1_30default_config_static_selectorELNS0_4arch9wavefront6targetE1EEEvT1_.private_seg_size, 0
	.set _ZN7rocprim17ROCPRIM_400000_NS6detail17trampoline_kernelINS0_14default_configENS1_25partition_config_selectorILNS1_17partition_subalgoE8EiNS0_10empty_typeEbEEZZNS1_14partition_implILS5_8ELb0ES3_jN6thrust23THRUST_200600_302600_NS10device_ptrIiEEPS6_PKS6_NS0_5tupleIJSC_S6_EEENSG_IJSD_SD_EEENS0_18inequality_wrapperINSA_8equal_toIiEEEEPmJS6_EEE10hipError_tPvRmT3_T4_T5_T6_T7_T9_mT8_P12ihipStream_tbDpT10_ENKUlT_T0_E_clISt17integral_constantIbLb0EES17_EEDaS12_S13_EUlS12_E_NS1_11comp_targetILNS1_3genE4ELNS1_11target_archE910ELNS1_3gpuE8ELNS1_3repE0EEENS1_30default_config_static_selectorELNS0_4arch9wavefront6targetE1EEEvT1_.uses_vcc, 0
	.set _ZN7rocprim17ROCPRIM_400000_NS6detail17trampoline_kernelINS0_14default_configENS1_25partition_config_selectorILNS1_17partition_subalgoE8EiNS0_10empty_typeEbEEZZNS1_14partition_implILS5_8ELb0ES3_jN6thrust23THRUST_200600_302600_NS10device_ptrIiEEPS6_PKS6_NS0_5tupleIJSC_S6_EEENSG_IJSD_SD_EEENS0_18inequality_wrapperINSA_8equal_toIiEEEEPmJS6_EEE10hipError_tPvRmT3_T4_T5_T6_T7_T9_mT8_P12ihipStream_tbDpT10_ENKUlT_T0_E_clISt17integral_constantIbLb0EES17_EEDaS12_S13_EUlS12_E_NS1_11comp_targetILNS1_3genE4ELNS1_11target_archE910ELNS1_3gpuE8ELNS1_3repE0EEENS1_30default_config_static_selectorELNS0_4arch9wavefront6targetE1EEEvT1_.uses_flat_scratch, 0
	.set _ZN7rocprim17ROCPRIM_400000_NS6detail17trampoline_kernelINS0_14default_configENS1_25partition_config_selectorILNS1_17partition_subalgoE8EiNS0_10empty_typeEbEEZZNS1_14partition_implILS5_8ELb0ES3_jN6thrust23THRUST_200600_302600_NS10device_ptrIiEEPS6_PKS6_NS0_5tupleIJSC_S6_EEENSG_IJSD_SD_EEENS0_18inequality_wrapperINSA_8equal_toIiEEEEPmJS6_EEE10hipError_tPvRmT3_T4_T5_T6_T7_T9_mT8_P12ihipStream_tbDpT10_ENKUlT_T0_E_clISt17integral_constantIbLb0EES17_EEDaS12_S13_EUlS12_E_NS1_11comp_targetILNS1_3genE4ELNS1_11target_archE910ELNS1_3gpuE8ELNS1_3repE0EEENS1_30default_config_static_selectorELNS0_4arch9wavefront6targetE1EEEvT1_.has_dyn_sized_stack, 0
	.set _ZN7rocprim17ROCPRIM_400000_NS6detail17trampoline_kernelINS0_14default_configENS1_25partition_config_selectorILNS1_17partition_subalgoE8EiNS0_10empty_typeEbEEZZNS1_14partition_implILS5_8ELb0ES3_jN6thrust23THRUST_200600_302600_NS10device_ptrIiEEPS6_PKS6_NS0_5tupleIJSC_S6_EEENSG_IJSD_SD_EEENS0_18inequality_wrapperINSA_8equal_toIiEEEEPmJS6_EEE10hipError_tPvRmT3_T4_T5_T6_T7_T9_mT8_P12ihipStream_tbDpT10_ENKUlT_T0_E_clISt17integral_constantIbLb0EES17_EEDaS12_S13_EUlS12_E_NS1_11comp_targetILNS1_3genE4ELNS1_11target_archE910ELNS1_3gpuE8ELNS1_3repE0EEENS1_30default_config_static_selectorELNS0_4arch9wavefront6targetE1EEEvT1_.has_recursion, 0
	.set _ZN7rocprim17ROCPRIM_400000_NS6detail17trampoline_kernelINS0_14default_configENS1_25partition_config_selectorILNS1_17partition_subalgoE8EiNS0_10empty_typeEbEEZZNS1_14partition_implILS5_8ELb0ES3_jN6thrust23THRUST_200600_302600_NS10device_ptrIiEEPS6_PKS6_NS0_5tupleIJSC_S6_EEENSG_IJSD_SD_EEENS0_18inequality_wrapperINSA_8equal_toIiEEEEPmJS6_EEE10hipError_tPvRmT3_T4_T5_T6_T7_T9_mT8_P12ihipStream_tbDpT10_ENKUlT_T0_E_clISt17integral_constantIbLb0EES17_EEDaS12_S13_EUlS12_E_NS1_11comp_targetILNS1_3genE4ELNS1_11target_archE910ELNS1_3gpuE8ELNS1_3repE0EEENS1_30default_config_static_selectorELNS0_4arch9wavefront6targetE1EEEvT1_.has_indirect_call, 0
	.section	.AMDGPU.csdata,"",@progbits
; Kernel info:
; codeLenInByte = 0
; TotalNumSgprs: 4
; NumVgprs: 0
; ScratchSize: 0
; MemoryBound: 0
; FloatMode: 240
; IeeeMode: 1
; LDSByteSize: 0 bytes/workgroup (compile time only)
; SGPRBlocks: 0
; VGPRBlocks: 0
; NumSGPRsForWavesPerEU: 4
; NumVGPRsForWavesPerEU: 1
; Occupancy: 10
; WaveLimiterHint : 0
; COMPUTE_PGM_RSRC2:SCRATCH_EN: 0
; COMPUTE_PGM_RSRC2:USER_SGPR: 6
; COMPUTE_PGM_RSRC2:TRAP_HANDLER: 0
; COMPUTE_PGM_RSRC2:TGID_X_EN: 1
; COMPUTE_PGM_RSRC2:TGID_Y_EN: 0
; COMPUTE_PGM_RSRC2:TGID_Z_EN: 0
; COMPUTE_PGM_RSRC2:TIDIG_COMP_CNT: 0
	.section	.text._ZN7rocprim17ROCPRIM_400000_NS6detail17trampoline_kernelINS0_14default_configENS1_25partition_config_selectorILNS1_17partition_subalgoE8EiNS0_10empty_typeEbEEZZNS1_14partition_implILS5_8ELb0ES3_jN6thrust23THRUST_200600_302600_NS10device_ptrIiEEPS6_PKS6_NS0_5tupleIJSC_S6_EEENSG_IJSD_SD_EEENS0_18inequality_wrapperINSA_8equal_toIiEEEEPmJS6_EEE10hipError_tPvRmT3_T4_T5_T6_T7_T9_mT8_P12ihipStream_tbDpT10_ENKUlT_T0_E_clISt17integral_constantIbLb0EES17_EEDaS12_S13_EUlS12_E_NS1_11comp_targetILNS1_3genE3ELNS1_11target_archE908ELNS1_3gpuE7ELNS1_3repE0EEENS1_30default_config_static_selectorELNS0_4arch9wavefront6targetE1EEEvT1_,"axG",@progbits,_ZN7rocprim17ROCPRIM_400000_NS6detail17trampoline_kernelINS0_14default_configENS1_25partition_config_selectorILNS1_17partition_subalgoE8EiNS0_10empty_typeEbEEZZNS1_14partition_implILS5_8ELb0ES3_jN6thrust23THRUST_200600_302600_NS10device_ptrIiEEPS6_PKS6_NS0_5tupleIJSC_S6_EEENSG_IJSD_SD_EEENS0_18inequality_wrapperINSA_8equal_toIiEEEEPmJS6_EEE10hipError_tPvRmT3_T4_T5_T6_T7_T9_mT8_P12ihipStream_tbDpT10_ENKUlT_T0_E_clISt17integral_constantIbLb0EES17_EEDaS12_S13_EUlS12_E_NS1_11comp_targetILNS1_3genE3ELNS1_11target_archE908ELNS1_3gpuE7ELNS1_3repE0EEENS1_30default_config_static_selectorELNS0_4arch9wavefront6targetE1EEEvT1_,comdat
	.protected	_ZN7rocprim17ROCPRIM_400000_NS6detail17trampoline_kernelINS0_14default_configENS1_25partition_config_selectorILNS1_17partition_subalgoE8EiNS0_10empty_typeEbEEZZNS1_14partition_implILS5_8ELb0ES3_jN6thrust23THRUST_200600_302600_NS10device_ptrIiEEPS6_PKS6_NS0_5tupleIJSC_S6_EEENSG_IJSD_SD_EEENS0_18inequality_wrapperINSA_8equal_toIiEEEEPmJS6_EEE10hipError_tPvRmT3_T4_T5_T6_T7_T9_mT8_P12ihipStream_tbDpT10_ENKUlT_T0_E_clISt17integral_constantIbLb0EES17_EEDaS12_S13_EUlS12_E_NS1_11comp_targetILNS1_3genE3ELNS1_11target_archE908ELNS1_3gpuE7ELNS1_3repE0EEENS1_30default_config_static_selectorELNS0_4arch9wavefront6targetE1EEEvT1_ ; -- Begin function _ZN7rocprim17ROCPRIM_400000_NS6detail17trampoline_kernelINS0_14default_configENS1_25partition_config_selectorILNS1_17partition_subalgoE8EiNS0_10empty_typeEbEEZZNS1_14partition_implILS5_8ELb0ES3_jN6thrust23THRUST_200600_302600_NS10device_ptrIiEEPS6_PKS6_NS0_5tupleIJSC_S6_EEENSG_IJSD_SD_EEENS0_18inequality_wrapperINSA_8equal_toIiEEEEPmJS6_EEE10hipError_tPvRmT3_T4_T5_T6_T7_T9_mT8_P12ihipStream_tbDpT10_ENKUlT_T0_E_clISt17integral_constantIbLb0EES17_EEDaS12_S13_EUlS12_E_NS1_11comp_targetILNS1_3genE3ELNS1_11target_archE908ELNS1_3gpuE7ELNS1_3repE0EEENS1_30default_config_static_selectorELNS0_4arch9wavefront6targetE1EEEvT1_
	.globl	_ZN7rocprim17ROCPRIM_400000_NS6detail17trampoline_kernelINS0_14default_configENS1_25partition_config_selectorILNS1_17partition_subalgoE8EiNS0_10empty_typeEbEEZZNS1_14partition_implILS5_8ELb0ES3_jN6thrust23THRUST_200600_302600_NS10device_ptrIiEEPS6_PKS6_NS0_5tupleIJSC_S6_EEENSG_IJSD_SD_EEENS0_18inequality_wrapperINSA_8equal_toIiEEEEPmJS6_EEE10hipError_tPvRmT3_T4_T5_T6_T7_T9_mT8_P12ihipStream_tbDpT10_ENKUlT_T0_E_clISt17integral_constantIbLb0EES17_EEDaS12_S13_EUlS12_E_NS1_11comp_targetILNS1_3genE3ELNS1_11target_archE908ELNS1_3gpuE7ELNS1_3repE0EEENS1_30default_config_static_selectorELNS0_4arch9wavefront6targetE1EEEvT1_
	.p2align	8
	.type	_ZN7rocprim17ROCPRIM_400000_NS6detail17trampoline_kernelINS0_14default_configENS1_25partition_config_selectorILNS1_17partition_subalgoE8EiNS0_10empty_typeEbEEZZNS1_14partition_implILS5_8ELb0ES3_jN6thrust23THRUST_200600_302600_NS10device_ptrIiEEPS6_PKS6_NS0_5tupleIJSC_S6_EEENSG_IJSD_SD_EEENS0_18inequality_wrapperINSA_8equal_toIiEEEEPmJS6_EEE10hipError_tPvRmT3_T4_T5_T6_T7_T9_mT8_P12ihipStream_tbDpT10_ENKUlT_T0_E_clISt17integral_constantIbLb0EES17_EEDaS12_S13_EUlS12_E_NS1_11comp_targetILNS1_3genE3ELNS1_11target_archE908ELNS1_3gpuE7ELNS1_3repE0EEENS1_30default_config_static_selectorELNS0_4arch9wavefront6targetE1EEEvT1_,@function
_ZN7rocprim17ROCPRIM_400000_NS6detail17trampoline_kernelINS0_14default_configENS1_25partition_config_selectorILNS1_17partition_subalgoE8EiNS0_10empty_typeEbEEZZNS1_14partition_implILS5_8ELb0ES3_jN6thrust23THRUST_200600_302600_NS10device_ptrIiEEPS6_PKS6_NS0_5tupleIJSC_S6_EEENSG_IJSD_SD_EEENS0_18inequality_wrapperINSA_8equal_toIiEEEEPmJS6_EEE10hipError_tPvRmT3_T4_T5_T6_T7_T9_mT8_P12ihipStream_tbDpT10_ENKUlT_T0_E_clISt17integral_constantIbLb0EES17_EEDaS12_S13_EUlS12_E_NS1_11comp_targetILNS1_3genE3ELNS1_11target_archE908ELNS1_3gpuE7ELNS1_3repE0EEENS1_30default_config_static_selectorELNS0_4arch9wavefront6targetE1EEEvT1_: ; @_ZN7rocprim17ROCPRIM_400000_NS6detail17trampoline_kernelINS0_14default_configENS1_25partition_config_selectorILNS1_17partition_subalgoE8EiNS0_10empty_typeEbEEZZNS1_14partition_implILS5_8ELb0ES3_jN6thrust23THRUST_200600_302600_NS10device_ptrIiEEPS6_PKS6_NS0_5tupleIJSC_S6_EEENSG_IJSD_SD_EEENS0_18inequality_wrapperINSA_8equal_toIiEEEEPmJS6_EEE10hipError_tPvRmT3_T4_T5_T6_T7_T9_mT8_P12ihipStream_tbDpT10_ENKUlT_T0_E_clISt17integral_constantIbLb0EES17_EEDaS12_S13_EUlS12_E_NS1_11comp_targetILNS1_3genE3ELNS1_11target_archE908ELNS1_3gpuE7ELNS1_3repE0EEENS1_30default_config_static_selectorELNS0_4arch9wavefront6targetE1EEEvT1_
; %bb.0:
	.section	.rodata,"a",@progbits
	.p2align	6, 0x0
	.amdhsa_kernel _ZN7rocprim17ROCPRIM_400000_NS6detail17trampoline_kernelINS0_14default_configENS1_25partition_config_selectorILNS1_17partition_subalgoE8EiNS0_10empty_typeEbEEZZNS1_14partition_implILS5_8ELb0ES3_jN6thrust23THRUST_200600_302600_NS10device_ptrIiEEPS6_PKS6_NS0_5tupleIJSC_S6_EEENSG_IJSD_SD_EEENS0_18inequality_wrapperINSA_8equal_toIiEEEEPmJS6_EEE10hipError_tPvRmT3_T4_T5_T6_T7_T9_mT8_P12ihipStream_tbDpT10_ENKUlT_T0_E_clISt17integral_constantIbLb0EES17_EEDaS12_S13_EUlS12_E_NS1_11comp_targetILNS1_3genE3ELNS1_11target_archE908ELNS1_3gpuE7ELNS1_3repE0EEENS1_30default_config_static_selectorELNS0_4arch9wavefront6targetE1EEEvT1_
		.amdhsa_group_segment_fixed_size 0
		.amdhsa_private_segment_fixed_size 0
		.amdhsa_kernarg_size 112
		.amdhsa_user_sgpr_count 6
		.amdhsa_user_sgpr_private_segment_buffer 1
		.amdhsa_user_sgpr_dispatch_ptr 0
		.amdhsa_user_sgpr_queue_ptr 0
		.amdhsa_user_sgpr_kernarg_segment_ptr 1
		.amdhsa_user_sgpr_dispatch_id 0
		.amdhsa_user_sgpr_flat_scratch_init 0
		.amdhsa_user_sgpr_private_segment_size 0
		.amdhsa_uses_dynamic_stack 0
		.amdhsa_system_sgpr_private_segment_wavefront_offset 0
		.amdhsa_system_sgpr_workgroup_id_x 1
		.amdhsa_system_sgpr_workgroup_id_y 0
		.amdhsa_system_sgpr_workgroup_id_z 0
		.amdhsa_system_sgpr_workgroup_info 0
		.amdhsa_system_vgpr_workitem_id 0
		.amdhsa_next_free_vgpr 1
		.amdhsa_next_free_sgpr 0
		.amdhsa_reserve_vcc 0
		.amdhsa_reserve_flat_scratch 0
		.amdhsa_float_round_mode_32 0
		.amdhsa_float_round_mode_16_64 0
		.amdhsa_float_denorm_mode_32 3
		.amdhsa_float_denorm_mode_16_64 3
		.amdhsa_dx10_clamp 1
		.amdhsa_ieee_mode 1
		.amdhsa_fp16_overflow 0
		.amdhsa_exception_fp_ieee_invalid_op 0
		.amdhsa_exception_fp_denorm_src 0
		.amdhsa_exception_fp_ieee_div_zero 0
		.amdhsa_exception_fp_ieee_overflow 0
		.amdhsa_exception_fp_ieee_underflow 0
		.amdhsa_exception_fp_ieee_inexact 0
		.amdhsa_exception_int_div_zero 0
	.end_amdhsa_kernel
	.section	.text._ZN7rocprim17ROCPRIM_400000_NS6detail17trampoline_kernelINS0_14default_configENS1_25partition_config_selectorILNS1_17partition_subalgoE8EiNS0_10empty_typeEbEEZZNS1_14partition_implILS5_8ELb0ES3_jN6thrust23THRUST_200600_302600_NS10device_ptrIiEEPS6_PKS6_NS0_5tupleIJSC_S6_EEENSG_IJSD_SD_EEENS0_18inequality_wrapperINSA_8equal_toIiEEEEPmJS6_EEE10hipError_tPvRmT3_T4_T5_T6_T7_T9_mT8_P12ihipStream_tbDpT10_ENKUlT_T0_E_clISt17integral_constantIbLb0EES17_EEDaS12_S13_EUlS12_E_NS1_11comp_targetILNS1_3genE3ELNS1_11target_archE908ELNS1_3gpuE7ELNS1_3repE0EEENS1_30default_config_static_selectorELNS0_4arch9wavefront6targetE1EEEvT1_,"axG",@progbits,_ZN7rocprim17ROCPRIM_400000_NS6detail17trampoline_kernelINS0_14default_configENS1_25partition_config_selectorILNS1_17partition_subalgoE8EiNS0_10empty_typeEbEEZZNS1_14partition_implILS5_8ELb0ES3_jN6thrust23THRUST_200600_302600_NS10device_ptrIiEEPS6_PKS6_NS0_5tupleIJSC_S6_EEENSG_IJSD_SD_EEENS0_18inequality_wrapperINSA_8equal_toIiEEEEPmJS6_EEE10hipError_tPvRmT3_T4_T5_T6_T7_T9_mT8_P12ihipStream_tbDpT10_ENKUlT_T0_E_clISt17integral_constantIbLb0EES17_EEDaS12_S13_EUlS12_E_NS1_11comp_targetILNS1_3genE3ELNS1_11target_archE908ELNS1_3gpuE7ELNS1_3repE0EEENS1_30default_config_static_selectorELNS0_4arch9wavefront6targetE1EEEvT1_,comdat
.Lfunc_end1034:
	.size	_ZN7rocprim17ROCPRIM_400000_NS6detail17trampoline_kernelINS0_14default_configENS1_25partition_config_selectorILNS1_17partition_subalgoE8EiNS0_10empty_typeEbEEZZNS1_14partition_implILS5_8ELb0ES3_jN6thrust23THRUST_200600_302600_NS10device_ptrIiEEPS6_PKS6_NS0_5tupleIJSC_S6_EEENSG_IJSD_SD_EEENS0_18inequality_wrapperINSA_8equal_toIiEEEEPmJS6_EEE10hipError_tPvRmT3_T4_T5_T6_T7_T9_mT8_P12ihipStream_tbDpT10_ENKUlT_T0_E_clISt17integral_constantIbLb0EES17_EEDaS12_S13_EUlS12_E_NS1_11comp_targetILNS1_3genE3ELNS1_11target_archE908ELNS1_3gpuE7ELNS1_3repE0EEENS1_30default_config_static_selectorELNS0_4arch9wavefront6targetE1EEEvT1_, .Lfunc_end1034-_ZN7rocprim17ROCPRIM_400000_NS6detail17trampoline_kernelINS0_14default_configENS1_25partition_config_selectorILNS1_17partition_subalgoE8EiNS0_10empty_typeEbEEZZNS1_14partition_implILS5_8ELb0ES3_jN6thrust23THRUST_200600_302600_NS10device_ptrIiEEPS6_PKS6_NS0_5tupleIJSC_S6_EEENSG_IJSD_SD_EEENS0_18inequality_wrapperINSA_8equal_toIiEEEEPmJS6_EEE10hipError_tPvRmT3_T4_T5_T6_T7_T9_mT8_P12ihipStream_tbDpT10_ENKUlT_T0_E_clISt17integral_constantIbLb0EES17_EEDaS12_S13_EUlS12_E_NS1_11comp_targetILNS1_3genE3ELNS1_11target_archE908ELNS1_3gpuE7ELNS1_3repE0EEENS1_30default_config_static_selectorELNS0_4arch9wavefront6targetE1EEEvT1_
                                        ; -- End function
	.set _ZN7rocprim17ROCPRIM_400000_NS6detail17trampoline_kernelINS0_14default_configENS1_25partition_config_selectorILNS1_17partition_subalgoE8EiNS0_10empty_typeEbEEZZNS1_14partition_implILS5_8ELb0ES3_jN6thrust23THRUST_200600_302600_NS10device_ptrIiEEPS6_PKS6_NS0_5tupleIJSC_S6_EEENSG_IJSD_SD_EEENS0_18inequality_wrapperINSA_8equal_toIiEEEEPmJS6_EEE10hipError_tPvRmT3_T4_T5_T6_T7_T9_mT8_P12ihipStream_tbDpT10_ENKUlT_T0_E_clISt17integral_constantIbLb0EES17_EEDaS12_S13_EUlS12_E_NS1_11comp_targetILNS1_3genE3ELNS1_11target_archE908ELNS1_3gpuE7ELNS1_3repE0EEENS1_30default_config_static_selectorELNS0_4arch9wavefront6targetE1EEEvT1_.num_vgpr, 0
	.set _ZN7rocprim17ROCPRIM_400000_NS6detail17trampoline_kernelINS0_14default_configENS1_25partition_config_selectorILNS1_17partition_subalgoE8EiNS0_10empty_typeEbEEZZNS1_14partition_implILS5_8ELb0ES3_jN6thrust23THRUST_200600_302600_NS10device_ptrIiEEPS6_PKS6_NS0_5tupleIJSC_S6_EEENSG_IJSD_SD_EEENS0_18inequality_wrapperINSA_8equal_toIiEEEEPmJS6_EEE10hipError_tPvRmT3_T4_T5_T6_T7_T9_mT8_P12ihipStream_tbDpT10_ENKUlT_T0_E_clISt17integral_constantIbLb0EES17_EEDaS12_S13_EUlS12_E_NS1_11comp_targetILNS1_3genE3ELNS1_11target_archE908ELNS1_3gpuE7ELNS1_3repE0EEENS1_30default_config_static_selectorELNS0_4arch9wavefront6targetE1EEEvT1_.num_agpr, 0
	.set _ZN7rocprim17ROCPRIM_400000_NS6detail17trampoline_kernelINS0_14default_configENS1_25partition_config_selectorILNS1_17partition_subalgoE8EiNS0_10empty_typeEbEEZZNS1_14partition_implILS5_8ELb0ES3_jN6thrust23THRUST_200600_302600_NS10device_ptrIiEEPS6_PKS6_NS0_5tupleIJSC_S6_EEENSG_IJSD_SD_EEENS0_18inequality_wrapperINSA_8equal_toIiEEEEPmJS6_EEE10hipError_tPvRmT3_T4_T5_T6_T7_T9_mT8_P12ihipStream_tbDpT10_ENKUlT_T0_E_clISt17integral_constantIbLb0EES17_EEDaS12_S13_EUlS12_E_NS1_11comp_targetILNS1_3genE3ELNS1_11target_archE908ELNS1_3gpuE7ELNS1_3repE0EEENS1_30default_config_static_selectorELNS0_4arch9wavefront6targetE1EEEvT1_.numbered_sgpr, 0
	.set _ZN7rocprim17ROCPRIM_400000_NS6detail17trampoline_kernelINS0_14default_configENS1_25partition_config_selectorILNS1_17partition_subalgoE8EiNS0_10empty_typeEbEEZZNS1_14partition_implILS5_8ELb0ES3_jN6thrust23THRUST_200600_302600_NS10device_ptrIiEEPS6_PKS6_NS0_5tupleIJSC_S6_EEENSG_IJSD_SD_EEENS0_18inequality_wrapperINSA_8equal_toIiEEEEPmJS6_EEE10hipError_tPvRmT3_T4_T5_T6_T7_T9_mT8_P12ihipStream_tbDpT10_ENKUlT_T0_E_clISt17integral_constantIbLb0EES17_EEDaS12_S13_EUlS12_E_NS1_11comp_targetILNS1_3genE3ELNS1_11target_archE908ELNS1_3gpuE7ELNS1_3repE0EEENS1_30default_config_static_selectorELNS0_4arch9wavefront6targetE1EEEvT1_.num_named_barrier, 0
	.set _ZN7rocprim17ROCPRIM_400000_NS6detail17trampoline_kernelINS0_14default_configENS1_25partition_config_selectorILNS1_17partition_subalgoE8EiNS0_10empty_typeEbEEZZNS1_14partition_implILS5_8ELb0ES3_jN6thrust23THRUST_200600_302600_NS10device_ptrIiEEPS6_PKS6_NS0_5tupleIJSC_S6_EEENSG_IJSD_SD_EEENS0_18inequality_wrapperINSA_8equal_toIiEEEEPmJS6_EEE10hipError_tPvRmT3_T4_T5_T6_T7_T9_mT8_P12ihipStream_tbDpT10_ENKUlT_T0_E_clISt17integral_constantIbLb0EES17_EEDaS12_S13_EUlS12_E_NS1_11comp_targetILNS1_3genE3ELNS1_11target_archE908ELNS1_3gpuE7ELNS1_3repE0EEENS1_30default_config_static_selectorELNS0_4arch9wavefront6targetE1EEEvT1_.private_seg_size, 0
	.set _ZN7rocprim17ROCPRIM_400000_NS6detail17trampoline_kernelINS0_14default_configENS1_25partition_config_selectorILNS1_17partition_subalgoE8EiNS0_10empty_typeEbEEZZNS1_14partition_implILS5_8ELb0ES3_jN6thrust23THRUST_200600_302600_NS10device_ptrIiEEPS6_PKS6_NS0_5tupleIJSC_S6_EEENSG_IJSD_SD_EEENS0_18inequality_wrapperINSA_8equal_toIiEEEEPmJS6_EEE10hipError_tPvRmT3_T4_T5_T6_T7_T9_mT8_P12ihipStream_tbDpT10_ENKUlT_T0_E_clISt17integral_constantIbLb0EES17_EEDaS12_S13_EUlS12_E_NS1_11comp_targetILNS1_3genE3ELNS1_11target_archE908ELNS1_3gpuE7ELNS1_3repE0EEENS1_30default_config_static_selectorELNS0_4arch9wavefront6targetE1EEEvT1_.uses_vcc, 0
	.set _ZN7rocprim17ROCPRIM_400000_NS6detail17trampoline_kernelINS0_14default_configENS1_25partition_config_selectorILNS1_17partition_subalgoE8EiNS0_10empty_typeEbEEZZNS1_14partition_implILS5_8ELb0ES3_jN6thrust23THRUST_200600_302600_NS10device_ptrIiEEPS6_PKS6_NS0_5tupleIJSC_S6_EEENSG_IJSD_SD_EEENS0_18inequality_wrapperINSA_8equal_toIiEEEEPmJS6_EEE10hipError_tPvRmT3_T4_T5_T6_T7_T9_mT8_P12ihipStream_tbDpT10_ENKUlT_T0_E_clISt17integral_constantIbLb0EES17_EEDaS12_S13_EUlS12_E_NS1_11comp_targetILNS1_3genE3ELNS1_11target_archE908ELNS1_3gpuE7ELNS1_3repE0EEENS1_30default_config_static_selectorELNS0_4arch9wavefront6targetE1EEEvT1_.uses_flat_scratch, 0
	.set _ZN7rocprim17ROCPRIM_400000_NS6detail17trampoline_kernelINS0_14default_configENS1_25partition_config_selectorILNS1_17partition_subalgoE8EiNS0_10empty_typeEbEEZZNS1_14partition_implILS5_8ELb0ES3_jN6thrust23THRUST_200600_302600_NS10device_ptrIiEEPS6_PKS6_NS0_5tupleIJSC_S6_EEENSG_IJSD_SD_EEENS0_18inequality_wrapperINSA_8equal_toIiEEEEPmJS6_EEE10hipError_tPvRmT3_T4_T5_T6_T7_T9_mT8_P12ihipStream_tbDpT10_ENKUlT_T0_E_clISt17integral_constantIbLb0EES17_EEDaS12_S13_EUlS12_E_NS1_11comp_targetILNS1_3genE3ELNS1_11target_archE908ELNS1_3gpuE7ELNS1_3repE0EEENS1_30default_config_static_selectorELNS0_4arch9wavefront6targetE1EEEvT1_.has_dyn_sized_stack, 0
	.set _ZN7rocprim17ROCPRIM_400000_NS6detail17trampoline_kernelINS0_14default_configENS1_25partition_config_selectorILNS1_17partition_subalgoE8EiNS0_10empty_typeEbEEZZNS1_14partition_implILS5_8ELb0ES3_jN6thrust23THRUST_200600_302600_NS10device_ptrIiEEPS6_PKS6_NS0_5tupleIJSC_S6_EEENSG_IJSD_SD_EEENS0_18inequality_wrapperINSA_8equal_toIiEEEEPmJS6_EEE10hipError_tPvRmT3_T4_T5_T6_T7_T9_mT8_P12ihipStream_tbDpT10_ENKUlT_T0_E_clISt17integral_constantIbLb0EES17_EEDaS12_S13_EUlS12_E_NS1_11comp_targetILNS1_3genE3ELNS1_11target_archE908ELNS1_3gpuE7ELNS1_3repE0EEENS1_30default_config_static_selectorELNS0_4arch9wavefront6targetE1EEEvT1_.has_recursion, 0
	.set _ZN7rocprim17ROCPRIM_400000_NS6detail17trampoline_kernelINS0_14default_configENS1_25partition_config_selectorILNS1_17partition_subalgoE8EiNS0_10empty_typeEbEEZZNS1_14partition_implILS5_8ELb0ES3_jN6thrust23THRUST_200600_302600_NS10device_ptrIiEEPS6_PKS6_NS0_5tupleIJSC_S6_EEENSG_IJSD_SD_EEENS0_18inequality_wrapperINSA_8equal_toIiEEEEPmJS6_EEE10hipError_tPvRmT3_T4_T5_T6_T7_T9_mT8_P12ihipStream_tbDpT10_ENKUlT_T0_E_clISt17integral_constantIbLb0EES17_EEDaS12_S13_EUlS12_E_NS1_11comp_targetILNS1_3genE3ELNS1_11target_archE908ELNS1_3gpuE7ELNS1_3repE0EEENS1_30default_config_static_selectorELNS0_4arch9wavefront6targetE1EEEvT1_.has_indirect_call, 0
	.section	.AMDGPU.csdata,"",@progbits
; Kernel info:
; codeLenInByte = 0
; TotalNumSgprs: 4
; NumVgprs: 0
; ScratchSize: 0
; MemoryBound: 0
; FloatMode: 240
; IeeeMode: 1
; LDSByteSize: 0 bytes/workgroup (compile time only)
; SGPRBlocks: 0
; VGPRBlocks: 0
; NumSGPRsForWavesPerEU: 4
; NumVGPRsForWavesPerEU: 1
; Occupancy: 10
; WaveLimiterHint : 0
; COMPUTE_PGM_RSRC2:SCRATCH_EN: 0
; COMPUTE_PGM_RSRC2:USER_SGPR: 6
; COMPUTE_PGM_RSRC2:TRAP_HANDLER: 0
; COMPUTE_PGM_RSRC2:TGID_X_EN: 1
; COMPUTE_PGM_RSRC2:TGID_Y_EN: 0
; COMPUTE_PGM_RSRC2:TGID_Z_EN: 0
; COMPUTE_PGM_RSRC2:TIDIG_COMP_CNT: 0
	.section	.text._ZN7rocprim17ROCPRIM_400000_NS6detail17trampoline_kernelINS0_14default_configENS1_25partition_config_selectorILNS1_17partition_subalgoE8EiNS0_10empty_typeEbEEZZNS1_14partition_implILS5_8ELb0ES3_jN6thrust23THRUST_200600_302600_NS10device_ptrIiEEPS6_PKS6_NS0_5tupleIJSC_S6_EEENSG_IJSD_SD_EEENS0_18inequality_wrapperINSA_8equal_toIiEEEEPmJS6_EEE10hipError_tPvRmT3_T4_T5_T6_T7_T9_mT8_P12ihipStream_tbDpT10_ENKUlT_T0_E_clISt17integral_constantIbLb0EES17_EEDaS12_S13_EUlS12_E_NS1_11comp_targetILNS1_3genE2ELNS1_11target_archE906ELNS1_3gpuE6ELNS1_3repE0EEENS1_30default_config_static_selectorELNS0_4arch9wavefront6targetE1EEEvT1_,"axG",@progbits,_ZN7rocprim17ROCPRIM_400000_NS6detail17trampoline_kernelINS0_14default_configENS1_25partition_config_selectorILNS1_17partition_subalgoE8EiNS0_10empty_typeEbEEZZNS1_14partition_implILS5_8ELb0ES3_jN6thrust23THRUST_200600_302600_NS10device_ptrIiEEPS6_PKS6_NS0_5tupleIJSC_S6_EEENSG_IJSD_SD_EEENS0_18inequality_wrapperINSA_8equal_toIiEEEEPmJS6_EEE10hipError_tPvRmT3_T4_T5_T6_T7_T9_mT8_P12ihipStream_tbDpT10_ENKUlT_T0_E_clISt17integral_constantIbLb0EES17_EEDaS12_S13_EUlS12_E_NS1_11comp_targetILNS1_3genE2ELNS1_11target_archE906ELNS1_3gpuE6ELNS1_3repE0EEENS1_30default_config_static_selectorELNS0_4arch9wavefront6targetE1EEEvT1_,comdat
	.protected	_ZN7rocprim17ROCPRIM_400000_NS6detail17trampoline_kernelINS0_14default_configENS1_25partition_config_selectorILNS1_17partition_subalgoE8EiNS0_10empty_typeEbEEZZNS1_14partition_implILS5_8ELb0ES3_jN6thrust23THRUST_200600_302600_NS10device_ptrIiEEPS6_PKS6_NS0_5tupleIJSC_S6_EEENSG_IJSD_SD_EEENS0_18inequality_wrapperINSA_8equal_toIiEEEEPmJS6_EEE10hipError_tPvRmT3_T4_T5_T6_T7_T9_mT8_P12ihipStream_tbDpT10_ENKUlT_T0_E_clISt17integral_constantIbLb0EES17_EEDaS12_S13_EUlS12_E_NS1_11comp_targetILNS1_3genE2ELNS1_11target_archE906ELNS1_3gpuE6ELNS1_3repE0EEENS1_30default_config_static_selectorELNS0_4arch9wavefront6targetE1EEEvT1_ ; -- Begin function _ZN7rocprim17ROCPRIM_400000_NS6detail17trampoline_kernelINS0_14default_configENS1_25partition_config_selectorILNS1_17partition_subalgoE8EiNS0_10empty_typeEbEEZZNS1_14partition_implILS5_8ELb0ES3_jN6thrust23THRUST_200600_302600_NS10device_ptrIiEEPS6_PKS6_NS0_5tupleIJSC_S6_EEENSG_IJSD_SD_EEENS0_18inequality_wrapperINSA_8equal_toIiEEEEPmJS6_EEE10hipError_tPvRmT3_T4_T5_T6_T7_T9_mT8_P12ihipStream_tbDpT10_ENKUlT_T0_E_clISt17integral_constantIbLb0EES17_EEDaS12_S13_EUlS12_E_NS1_11comp_targetILNS1_3genE2ELNS1_11target_archE906ELNS1_3gpuE6ELNS1_3repE0EEENS1_30default_config_static_selectorELNS0_4arch9wavefront6targetE1EEEvT1_
	.globl	_ZN7rocprim17ROCPRIM_400000_NS6detail17trampoline_kernelINS0_14default_configENS1_25partition_config_selectorILNS1_17partition_subalgoE8EiNS0_10empty_typeEbEEZZNS1_14partition_implILS5_8ELb0ES3_jN6thrust23THRUST_200600_302600_NS10device_ptrIiEEPS6_PKS6_NS0_5tupleIJSC_S6_EEENSG_IJSD_SD_EEENS0_18inequality_wrapperINSA_8equal_toIiEEEEPmJS6_EEE10hipError_tPvRmT3_T4_T5_T6_T7_T9_mT8_P12ihipStream_tbDpT10_ENKUlT_T0_E_clISt17integral_constantIbLb0EES17_EEDaS12_S13_EUlS12_E_NS1_11comp_targetILNS1_3genE2ELNS1_11target_archE906ELNS1_3gpuE6ELNS1_3repE0EEENS1_30default_config_static_selectorELNS0_4arch9wavefront6targetE1EEEvT1_
	.p2align	8
	.type	_ZN7rocprim17ROCPRIM_400000_NS6detail17trampoline_kernelINS0_14default_configENS1_25partition_config_selectorILNS1_17partition_subalgoE8EiNS0_10empty_typeEbEEZZNS1_14partition_implILS5_8ELb0ES3_jN6thrust23THRUST_200600_302600_NS10device_ptrIiEEPS6_PKS6_NS0_5tupleIJSC_S6_EEENSG_IJSD_SD_EEENS0_18inequality_wrapperINSA_8equal_toIiEEEEPmJS6_EEE10hipError_tPvRmT3_T4_T5_T6_T7_T9_mT8_P12ihipStream_tbDpT10_ENKUlT_T0_E_clISt17integral_constantIbLb0EES17_EEDaS12_S13_EUlS12_E_NS1_11comp_targetILNS1_3genE2ELNS1_11target_archE906ELNS1_3gpuE6ELNS1_3repE0EEENS1_30default_config_static_selectorELNS0_4arch9wavefront6targetE1EEEvT1_,@function
_ZN7rocprim17ROCPRIM_400000_NS6detail17trampoline_kernelINS0_14default_configENS1_25partition_config_selectorILNS1_17partition_subalgoE8EiNS0_10empty_typeEbEEZZNS1_14partition_implILS5_8ELb0ES3_jN6thrust23THRUST_200600_302600_NS10device_ptrIiEEPS6_PKS6_NS0_5tupleIJSC_S6_EEENSG_IJSD_SD_EEENS0_18inequality_wrapperINSA_8equal_toIiEEEEPmJS6_EEE10hipError_tPvRmT3_T4_T5_T6_T7_T9_mT8_P12ihipStream_tbDpT10_ENKUlT_T0_E_clISt17integral_constantIbLb0EES17_EEDaS12_S13_EUlS12_E_NS1_11comp_targetILNS1_3genE2ELNS1_11target_archE906ELNS1_3gpuE6ELNS1_3repE0EEENS1_30default_config_static_selectorELNS0_4arch9wavefront6targetE1EEEvT1_: ; @_ZN7rocprim17ROCPRIM_400000_NS6detail17trampoline_kernelINS0_14default_configENS1_25partition_config_selectorILNS1_17partition_subalgoE8EiNS0_10empty_typeEbEEZZNS1_14partition_implILS5_8ELb0ES3_jN6thrust23THRUST_200600_302600_NS10device_ptrIiEEPS6_PKS6_NS0_5tupleIJSC_S6_EEENSG_IJSD_SD_EEENS0_18inequality_wrapperINSA_8equal_toIiEEEEPmJS6_EEE10hipError_tPvRmT3_T4_T5_T6_T7_T9_mT8_P12ihipStream_tbDpT10_ENKUlT_T0_E_clISt17integral_constantIbLb0EES17_EEDaS12_S13_EUlS12_E_NS1_11comp_targetILNS1_3genE2ELNS1_11target_archE906ELNS1_3gpuE6ELNS1_3repE0EEENS1_30default_config_static_selectorELNS0_4arch9wavefront6targetE1EEEvT1_
; %bb.0:
	s_load_dwordx4 s[0:3], s[4:5], 0x8
	s_load_dwordx4 s[36:39], s[4:5], 0x40
	s_load_dwordx2 s[8:9], s[4:5], 0x50
	s_load_dword s12, s[4:5], 0x68
	v_lshrrev_b32_e32 v18, 3, v0
	s_waitcnt lgkmcnt(0)
	s_lshl_b64 s[10:11], s[2:3], 2
	s_add_u32 s13, s0, s10
	s_addc_u32 s14, s1, s11
	s_add_i32 s15, s12, -1
	s_lshl_b32 s0, s15, 12
	s_lshl_b32 s10, s6, 12
	s_add_i32 s7, s2, s0
	s_lshl_b32 s0, s12, 12
	s_add_u32 s0, s2, s0
	s_addc_u32 s1, s3, 0
	v_mov_b32_e32 v2, s1
	v_mov_b32_e32 v1, s0
	v_cmp_le_u64_e32 vcc, s[8:9], v[1:2]
	s_cmp_eq_u32 s6, s15
	s_load_dwordx2 s[38:39], s[38:39], 0x0
	s_cselect_b64 s[40:41], -1, 0
	s_mov_b32 s11, 0
	s_and_b64 s[44:45], s[40:41], vcc
	s_xor_b64 s[42:43], s[44:45], -1
	s_lshl_b64 s[10:11], s[10:11], 2
	s_add_u32 s9, s13, s10
	s_mov_b64 s[0:1], -1
	s_addc_u32 s10, s14, s11
	s_and_b64 vcc, exec, s[42:43]
	s_cbranch_vccz .LBB1035_2
; %bb.1:
	v_lshlrev_b32_e32 v5, 2, v0
	v_mov_b32_e32 v2, s10
	v_add_co_u32_e32 v1, vcc, s9, v5
	v_addc_co_u32_e32 v2, vcc, 0, v2, vcc
	v_add_co_u32_e32 v3, vcc, 0x1000, v1
	v_addc_co_u32_e32 v4, vcc, 0, v2, vcc
	flat_load_dword v6, v[1:2]
	flat_load_dword v7, v[1:2] offset:1024
	flat_load_dword v8, v[1:2] offset:2048
	;; [unrolled: 1-line block ×3, first 2 shown]
	flat_load_dword v10, v[3:4]
	flat_load_dword v11, v[3:4] offset:1024
	flat_load_dword v12, v[3:4] offset:2048
	;; [unrolled: 1-line block ×3, first 2 shown]
	v_add_co_u32_e32 v3, vcc, 0x2000, v1
	v_addc_co_u32_e32 v4, vcc, 0, v2, vcc
	flat_load_dword v14, v[3:4]
	flat_load_dword v15, v[3:4] offset:1024
	flat_load_dword v16, v[3:4] offset:2048
	flat_load_dword v17, v[3:4] offset:3072
	v_add_co_u32_e32 v1, vcc, 0x3000, v1
	v_addc_co_u32_e32 v2, vcc, 0, v2, vcc
	flat_load_dword v3, v[1:2]
	flat_load_dword v4, v[1:2] offset:1024
	flat_load_dword v19, v[1:2] offset:2048
	;; [unrolled: 1-line block ×3, first 2 shown]
	v_or_b32_e32 v2, 0x100, v0
	v_or_b32_e32 v21, 0x200, v0
	;; [unrolled: 1-line block ×9, first 2 shown]
	v_and_b32_e32 v1, 28, v18
	v_lshrrev_b32_e32 v2, 3, v2
	v_lshrrev_b32_e32 v21, 3, v21
	v_lshrrev_b32_e32 v22, 3, v22
	v_lshrrev_b32_e32 v23, 3, v23
	v_lshrrev_b32_e32 v24, 3, v24
	v_lshrrev_b32_e32 v25, 3, v25
	v_lshrrev_b32_e32 v26, 3, v26
	v_lshrrev_b32_e32 v27, 3, v27
	v_lshrrev_b32_e32 v28, 3, v28
	v_or_b32_e32 v29, 0xa00, v0
	v_add_u32_e32 v1, v1, v5
	v_and_b32_e32 v2, 60, v2
	v_and_b32_e32 v21, 0x5c, v21
	;; [unrolled: 1-line block ×9, first 2 shown]
	v_add_u32_e32 v2, v2, v5
	v_add_u32_e32 v21, v21, v5
	;; [unrolled: 1-line block ×9, first 2 shown]
	s_mov_b64 s[0:1], 0
	s_waitcnt vmcnt(0) lgkmcnt(0)
	ds_write_b32 v1, v6
	ds_write_b32 v2, v7 offset:1024
	ds_write_b32 v21, v8 offset:2048
	;; [unrolled: 1-line block ×9, first 2 shown]
	v_lshrrev_b32_e32 v1, 3, v29
	v_and_b32_e32 v1, 0x15c, v1
	v_add_u32_e32 v1, v1, v5
	ds_write_b32 v1, v16 offset:10240
	v_or_b32_e32 v1, 0xb00, v0
	v_lshrrev_b32_e32 v1, 3, v1
	v_and_b32_e32 v1, 0x17c, v1
	v_add_u32_e32 v1, v1, v5
	ds_write_b32 v1, v17 offset:11264
	v_or_b32_e32 v1, 0xc00, v0
	;; [unrolled: 5-line block ×5, first 2 shown]
	v_lshrrev_b32_e32 v1, 3, v1
	v_and_b32_e32 v1, 0x1fc, v1
	v_add_u32_e32 v1, v1, v5
	ds_write_b32 v1, v20 offset:15360
	s_waitcnt lgkmcnt(0)
	s_barrier
.LBB1035_2:
	s_andn2_b64 vcc, exec, s[0:1]
	s_sub_i32 s7, s8, s7
	s_cbranch_vccnz .LBB1035_36
; %bb.3:
	v_mov_b32_e32 v1, 0
	v_cmp_gt_u32_e32 vcc, s7, v0
	v_mov_b32_e32 v2, v1
	v_mov_b32_e32 v3, v1
	;; [unrolled: 1-line block ×15, first 2 shown]
	s_and_saveexec_b64 s[0:1], vcc
	s_cbranch_execz .LBB1035_5
; %bb.4:
	v_lshlrev_b32_e32 v2, 2, v0
	v_mov_b32_e32 v3, s10
	v_add_co_u32_e32 v2, vcc, s9, v2
	v_addc_co_u32_e32 v3, vcc, 0, v3, vcc
	flat_load_dword v2, v[2:3]
	v_mov_b32_e32 v3, v1
	v_mov_b32_e32 v4, v1
	;; [unrolled: 1-line block ×15, first 2 shown]
	s_waitcnt vmcnt(0) lgkmcnt(0)
	v_mov_b32_e32 v1, v2
	v_mov_b32_e32 v2, v3
	;; [unrolled: 1-line block ×16, first 2 shown]
.LBB1035_5:
	s_or_b64 exec, exec, s[0:1]
	v_or_b32_e32 v17, 0x100, v0
	v_cmp_gt_u32_e32 vcc, s7, v17
	s_and_saveexec_b64 s[0:1], vcc
	s_cbranch_execz .LBB1035_7
; %bb.6:
	v_lshlrev_b32_e32 v2, 2, v0
	v_mov_b32_e32 v20, s10
	v_add_co_u32_e32 v19, vcc, s9, v2
	v_addc_co_u32_e32 v20, vcc, 0, v20, vcc
	flat_load_dword v2, v[19:20] offset:1024
.LBB1035_7:
	s_or_b64 exec, exec, s[0:1]
	v_or_b32_e32 v19, 0x200, v0
	v_cmp_gt_u32_e32 vcc, s7, v19
	s_and_saveexec_b64 s[0:1], vcc
	s_cbranch_execz .LBB1035_9
; %bb.8:
	v_lshlrev_b32_e32 v3, 2, v0
	v_mov_b32_e32 v21, s10
	v_add_co_u32_e32 v20, vcc, s9, v3
	v_addc_co_u32_e32 v21, vcc, 0, v21, vcc
	flat_load_dword v3, v[20:21] offset:2048
.LBB1035_9:
	;; [unrolled: 12-line block ×3, first 2 shown]
	s_or_b64 exec, exec, s[0:1]
	v_or_b32_e32 v21, 0x400, v0
	v_cmp_gt_u32_e32 vcc, s7, v21
	s_and_saveexec_b64 s[0:1], vcc
	s_cbranch_execz .LBB1035_13
; %bb.12:
	v_lshlrev_b32_e32 v5, 2, v21
	v_mov_b32_e32 v23, s10
	v_add_co_u32_e32 v22, vcc, s9, v5
	v_addc_co_u32_e32 v23, vcc, 0, v23, vcc
	flat_load_dword v5, v[22:23]
.LBB1035_13:
	s_or_b64 exec, exec, s[0:1]
	v_or_b32_e32 v22, 0x500, v0
	v_cmp_gt_u32_e32 vcc, s7, v22
	s_and_saveexec_b64 s[0:1], vcc
	s_cbranch_execz .LBB1035_15
; %bb.14:
	v_lshlrev_b32_e32 v6, 2, v22
	v_mov_b32_e32 v24, s10
	v_add_co_u32_e32 v23, vcc, s9, v6
	v_addc_co_u32_e32 v24, vcc, 0, v24, vcc
	flat_load_dword v6, v[23:24]
.LBB1035_15:
	;; [unrolled: 12-line block ×12, first 2 shown]
	s_or_b64 exec, exec, s[0:1]
	v_and_b32_e32 v18, 28, v18
	v_lshlrev_b32_e32 v33, 2, v0
	v_add_u32_e32 v18, v18, v33
	ds_write_b32 v18, v1
	v_lshrrev_b32_e32 v1, 3, v17
	v_and_b32_e32 v1, 60, v1
	v_add_u32_e32 v1, v1, v33
	s_waitcnt vmcnt(0) lgkmcnt(0)
	ds_write_b32 v1, v2 offset:1024
	v_lshrrev_b32_e32 v1, 3, v19
	v_and_b32_e32 v1, 0x7c, v1
	v_add_u32_e32 v1, v1, v33
	ds_write_b32 v1, v3 offset:2048
	v_lshrrev_b32_e32 v1, 3, v20
	v_and_b32_e32 v1, 0x7c, v1
	v_add_u32_e32 v1, v1, v33
	;; [unrolled: 4-line block ×14, first 2 shown]
	ds_write_b32 v1, v16 offset:15360
	s_waitcnt lgkmcnt(0)
	s_barrier
.LBB1035_36:
	v_lshlrev_b32_e32 v1, 1, v0
	v_and_b32_e32 v1, 0x1fc, v1
	v_lshl_add_u32 v1, v0, 6, v1
	s_waitcnt lgkmcnt(0)
	ds_read2_b32 v[15:16], v1 offset1:1
	ds_read2_b32 v[13:14], v1 offset0:2 offset1:3
	ds_read2_b32 v[11:12], v1 offset0:4 offset1:5
	ds_read2_b32 v[9:10], v1 offset0:6 offset1:7
	ds_read2_b32 v[7:8], v1 offset0:8 offset1:9
	ds_read2_b32 v[5:6], v1 offset0:10 offset1:11
	ds_read2_b32 v[3:4], v1 offset0:12 offset1:13
	ds_read2_b32 v[1:2], v1 offset0:14 offset1:15
	s_cmp_lg_u32 s6, 0
	s_cselect_b64 s[46:47], -1, 0
	s_cmp_lg_u64 s[2:3], 0
	s_cselect_b64 s[0:1], -1, 0
	s_or_b64 s[0:1], s[46:47], s[0:1]
	v_lshlrev_b32_e32 v17, 4, v0
	s_mov_b64 s[50:51], 0
	s_and_b64 vcc, exec, s[0:1]
	s_waitcnt lgkmcnt(0)
	s_barrier
	s_cbranch_vccz .LBB1035_41
; %bb.37:
	v_mov_b32_e32 v19, s10
	v_add_co_u32_e64 v18, vcc, -4, s9
	v_addc_co_u32_e32 v19, vcc, -1, v19, vcc
	flat_load_dword v18, v[18:19]
	v_lshlrev_b32_e32 v19, 2, v0
	s_and_b64 vcc, exec, s[42:43]
	ds_write_b32 v19, v2
	s_cbranch_vccz .LBB1035_42
; %bb.38:
	v_cmp_ne_u32_e32 vcc, 0, v0
	s_waitcnt vmcnt(0) lgkmcnt(0)
	v_mov_b32_e32 v20, v18
	s_barrier
	s_and_saveexec_b64 s[0:1], vcc
; %bb.39:
	v_add_u32_e32 v20, -4, v19
	ds_read_b32 v20, v20
; %bb.40:
	s_or_b64 exec, exec, s[0:1]
	v_cmp_ne_u32_e32 vcc, v1, v2
	v_cndmask_b32_e64 v51, 0, 1, vcc
	v_cmp_ne_u32_e32 vcc, v4, v1
	v_cndmask_b32_e64 v52, 0, 1, vcc
	;; [unrolled: 2-line block ×15, first 2 shown]
	s_waitcnt lgkmcnt(0)
	v_cmp_ne_u32_e64 s[48:49], v20, v15
	s_branch .LBB1035_46
.LBB1035_41:
                                        ; implicit-def: $sgpr48_sgpr49
                                        ; implicit-def: $vgpr51
                                        ; implicit-def: $vgpr52
                                        ; implicit-def: $vgpr53
                                        ; implicit-def: $vgpr54
                                        ; implicit-def: $vgpr55
                                        ; implicit-def: $vgpr56
                                        ; implicit-def: $vgpr57
                                        ; implicit-def: $vgpr58
                                        ; implicit-def: $vgpr59
                                        ; implicit-def: $vgpr65
                                        ; implicit-def: $vgpr64
                                        ; implicit-def: $vgpr63
                                        ; implicit-def: $vgpr62
                                        ; implicit-def: $vgpr61
                                        ; implicit-def: $vgpr60
	s_branch .LBB1035_47
.LBB1035_42:
                                        ; implicit-def: $sgpr48_sgpr49
                                        ; implicit-def: $vgpr51
                                        ; implicit-def: $vgpr52
                                        ; implicit-def: $vgpr53
                                        ; implicit-def: $vgpr54
                                        ; implicit-def: $vgpr55
                                        ; implicit-def: $vgpr56
                                        ; implicit-def: $vgpr57
                                        ; implicit-def: $vgpr58
                                        ; implicit-def: $vgpr59
                                        ; implicit-def: $vgpr65
                                        ; implicit-def: $vgpr64
                                        ; implicit-def: $vgpr63
                                        ; implicit-def: $vgpr62
                                        ; implicit-def: $vgpr61
                                        ; implicit-def: $vgpr60
	s_cbranch_execz .LBB1035_46
; %bb.43:
	v_cmp_ne_u32_e32 vcc, 0, v0
	s_waitcnt vmcnt(0) lgkmcnt(0)
	s_barrier
	s_and_saveexec_b64 s[0:1], vcc
; %bb.44:
	v_add_u32_e32 v18, -4, v19
	ds_read_b32 v18, v18
; %bb.45:
	s_or_b64 exec, exec, s[0:1]
	v_or_b32_e32 v19, 15, v17
	v_cmp_gt_u32_e32 vcc, s7, v19
	v_cmp_ne_u32_e64 s[0:1], v1, v2
	s_and_b64 s[0:1], vcc, s[0:1]
	v_or_b32_e32 v19, 14, v17
	v_cndmask_b32_e64 v51, 0, 1, s[0:1]
	v_cmp_gt_u32_e32 vcc, s7, v19
	v_cmp_ne_u32_e64 s[0:1], v4, v1
	s_and_b64 s[0:1], vcc, s[0:1]
	v_or_b32_e32 v19, 13, v17
	v_cndmask_b32_e64 v52, 0, 1, s[0:1]
	;; [unrolled: 5-line block ×14, first 2 shown]
	v_cmp_gt_u32_e32 vcc, s7, v19
	v_cmp_ne_u32_e64 s[0:1], v15, v16
	s_and_b64 s[0:1], vcc, s[0:1]
	v_cndmask_b32_e64 v65, 0, 1, s[0:1]
	v_cmp_gt_u32_e32 vcc, s7, v17
	s_waitcnt lgkmcnt(0)
	v_cmp_ne_u32_e64 s[0:1], v18, v15
	s_and_b64 s[48:49], vcc, s[0:1]
.LBB1035_46:
	s_mov_b64 s[50:51], -1
	s_cbranch_execnz .LBB1035_55
.LBB1035_47:
	s_waitcnt vmcnt(0) lgkmcnt(0)
	v_lshlrev_b32_e32 v18, 2, v0
	s_and_b64 vcc, exec, s[42:43]
	v_cmp_ne_u32_e64 s[0:1], v1, v2
	v_cmp_ne_u32_e64 s[2:3], v4, v1
	;; [unrolled: 1-line block ×15, first 2 shown]
	ds_write_b32 v18, v2
	s_cbranch_vccz .LBB1035_51
; %bb.48:
	v_cmp_ne_u32_e32 vcc, 0, v0
	s_waitcnt lgkmcnt(0)
	s_barrier
                                        ; implicit-def: $sgpr48_sgpr49
	s_and_saveexec_b64 s[52:53], vcc
	s_xor_b64 s[52:53], exec, s[52:53]
	s_cbranch_execz .LBB1035_50
; %bb.49:
	v_add_u32_e32 v19, -4, v18
	ds_read_b32 v19, v19
	s_or_b64 s[50:51], s[50:51], exec
	s_waitcnt lgkmcnt(0)
	v_cmp_ne_u32_e64 s[48:49], v19, v15
.LBB1035_50:
	s_or_b64 exec, exec, s[52:53]
	v_cndmask_b32_e64 v51, 0, 1, s[0:1]
	v_cndmask_b32_e64 v52, 0, 1, s[2:3]
	;; [unrolled: 1-line block ×15, first 2 shown]
	s_branch .LBB1035_55
.LBB1035_51:
                                        ; implicit-def: $sgpr48_sgpr49
                                        ; implicit-def: $vgpr51
                                        ; implicit-def: $vgpr52
                                        ; implicit-def: $vgpr53
                                        ; implicit-def: $vgpr54
                                        ; implicit-def: $vgpr55
                                        ; implicit-def: $vgpr56
                                        ; implicit-def: $vgpr57
                                        ; implicit-def: $vgpr58
                                        ; implicit-def: $vgpr59
                                        ; implicit-def: $vgpr65
                                        ; implicit-def: $vgpr64
                                        ; implicit-def: $vgpr63
                                        ; implicit-def: $vgpr62
                                        ; implicit-def: $vgpr61
                                        ; implicit-def: $vgpr60
	s_cbranch_execz .LBB1035_55
; %bb.52:
	v_or_b32_e32 v19, 15, v17
	v_cmp_gt_u32_e32 vcc, s7, v19
	v_cmp_ne_u32_e64 s[0:1], v1, v2
	v_or_b32_e32 v19, 14, v17
	s_and_b64 s[2:3], vcc, s[0:1]
	v_cmp_gt_u32_e32 vcc, s7, v19
	v_cmp_ne_u32_e64 s[0:1], v4, v1
	v_or_b32_e32 v19, 13, v17
	s_and_b64 s[8:9], vcc, s[0:1]
	;; [unrolled: 4-line block ×14, first 2 shown]
	v_cmp_gt_u32_e32 vcc, s7, v19
	v_cmp_ne_u32_e64 s[0:1], v15, v16
	s_and_b64 s[52:53], vcc, s[0:1]
	v_cmp_ne_u32_e32 vcc, 0, v0
	s_waitcnt lgkmcnt(0)
	s_barrier
                                        ; implicit-def: $sgpr48_sgpr49
	s_and_saveexec_b64 s[54:55], vcc
	s_cbranch_execz .LBB1035_54
; %bb.53:
	v_add_u32_e32 v18, -4, v18
	ds_read_b32 v18, v18
	v_cmp_gt_u32_e32 vcc, s7, v17
	s_or_b64 s[50:51], s[50:51], exec
	s_waitcnt lgkmcnt(0)
	v_cmp_ne_u32_e64 s[0:1], v18, v15
	s_and_b64 s[48:49], vcc, s[0:1]
.LBB1035_54:
	s_or_b64 exec, exec, s[54:55]
	v_cndmask_b32_e64 v51, 0, 1, s[2:3]
	v_cndmask_b32_e64 v52, 0, 1, s[8:9]
	;; [unrolled: 1-line block ×15, first 2 shown]
.LBB1035_55:
	v_mov_b32_e32 v28, 1
	s_and_saveexec_b64 s[0:1], s[50:51]
; %bb.56:
	v_cndmask_b32_e64 v28, 0, 1, s[48:49]
; %bb.57:
	s_or_b64 exec, exec, s[0:1]
	s_load_dwordx2 s[22:23], s[4:5], 0x60
	s_andn2_b64 vcc, exec, s[44:45]
	s_cbranch_vccnz .LBB1035_59
; %bb.58:
	v_cmp_gt_u32_e32 vcc, s7, v17
	s_waitcnt vmcnt(0) lgkmcnt(0)
	v_or_b32_e32 v18, 1, v17
	v_cndmask_b32_e32 v28, 0, v28, vcc
	v_cmp_gt_u32_e32 vcc, s7, v18
	v_or_b32_e32 v18, 2, v17
	v_cndmask_b32_e32 v65, 0, v65, vcc
	v_cmp_gt_u32_e32 vcc, s7, v18
	;; [unrolled: 3-line block ×15, first 2 shown]
	v_cndmask_b32_e32 v51, 0, v51, vcc
.LBB1035_59:
	v_and_b32_e32 v37, 0xff, v63
	v_and_b32_e32 v39, 0xff, v62
	s_waitcnt vmcnt(0) lgkmcnt(0)
	v_add_u32_sdwa v18, v61, v60 dst_sel:DWORD dst_unused:UNUSED_PAD src0_sel:BYTE_0 src1_sel:BYTE_0
	v_and_b32_e32 v33, 0xff, v65
	v_and_b32_e32 v35, 0xff, v64
	v_add3_u32 v18, v18, v39, v37
	v_and_b32_e32 v31, 0xffff, v28
	v_and_b32_e32 v27, 0xff, v59
	v_add3_u32 v18, v18, v35, v33
	;; [unrolled: 3-line block ×6, first 2 shown]
	v_add3_u32 v44, v18, v40, v17
	v_mbcnt_lo_u32_b32 v17, -1, 0
	v_mbcnt_hi_u32_b32 v41, -1, v17
	v_and_b32_e32 v17, 15, v41
	v_cmp_eq_u32_e64 s[14:15], 0, v17
	v_cmp_lt_u32_e64 s[12:13], 1, v17
	v_cmp_lt_u32_e64 s[10:11], 3, v17
	;; [unrolled: 1-line block ×3, first 2 shown]
	v_and_b32_e32 v17, 16, v41
	v_cmp_eq_u32_e64 s[18:19], 0, v17
	v_or_b32_e32 v17, 63, v0
	v_cmp_lt_u32_e64 s[0:1], 31, v41
	v_lshrrev_b32_e32 v42, 6, v0
	v_cmp_eq_u32_e64 s[2:3], v0, v17
	s_and_b64 vcc, exec, s[46:47]
	s_barrier
	s_cbranch_vccz .LBB1035_81
; %bb.60:
	v_mov_b32_dpp v17, v44 row_shr:1 row_mask:0xf bank_mask:0xf
	v_cndmask_b32_e64 v17, v17, 0, s[14:15]
	v_add_u32_e32 v17, v17, v44
	s_nop 1
	v_mov_b32_dpp v18, v17 row_shr:2 row_mask:0xf bank_mask:0xf
	v_cndmask_b32_e64 v18, 0, v18, s[12:13]
	v_add_u32_e32 v17, v17, v18
	s_nop 1
	v_mov_b32_dpp v18, v17 row_shr:4 row_mask:0xf bank_mask:0xf
	v_cndmask_b32_e64 v18, 0, v18, s[10:11]
	v_add_u32_e32 v17, v17, v18
	s_nop 1
	v_mov_b32_dpp v18, v17 row_shr:8 row_mask:0xf bank_mask:0xf
	v_cndmask_b32_e64 v18, 0, v18, s[8:9]
	v_add_u32_e32 v17, v17, v18
	s_nop 1
	v_mov_b32_dpp v18, v17 row_bcast:15 row_mask:0xf bank_mask:0xf
	v_cndmask_b32_e64 v18, v18, 0, s[18:19]
	v_add_u32_e32 v17, v17, v18
	s_nop 1
	v_mov_b32_dpp v18, v17 row_bcast:31 row_mask:0xf bank_mask:0xf
	v_cndmask_b32_e64 v18, 0, v18, s[0:1]
	v_add_u32_e32 v17, v17, v18
	s_and_saveexec_b64 s[16:17], s[2:3]
; %bb.61:
	v_lshlrev_b32_e32 v18, 2, v42
	ds_write_b32 v18, v17
; %bb.62:
	s_or_b64 exec, exec, s[16:17]
	v_cmp_gt_u32_e32 vcc, 4, v0
	s_waitcnt lgkmcnt(0)
	s_barrier
	s_and_saveexec_b64 s[16:17], vcc
	s_cbranch_execz .LBB1035_64
; %bb.63:
	v_lshlrev_b32_e32 v18, 2, v0
	ds_read_b32 v19, v18
	v_and_b32_e32 v20, 3, v41
	v_cmp_ne_u32_e32 vcc, 0, v20
	s_waitcnt lgkmcnt(0)
	v_mov_b32_dpp v21, v19 row_shr:1 row_mask:0xf bank_mask:0xf
	v_cndmask_b32_e32 v21, 0, v21, vcc
	v_add_u32_e32 v19, v21, v19
	v_cmp_lt_u32_e32 vcc, 1, v20
	s_nop 0
	v_mov_b32_dpp v21, v19 row_shr:2 row_mask:0xf bank_mask:0xf
	v_cndmask_b32_e32 v20, 0, v21, vcc
	v_add_u32_e32 v19, v19, v20
	ds_write_b32 v18, v19
.LBB1035_64:
	s_or_b64 exec, exec, s[16:17]
	v_cmp_gt_u32_e32 vcc, 64, v0
	v_cmp_lt_u32_e64 s[16:17], 63, v0
	s_waitcnt lgkmcnt(0)
	s_barrier
                                        ; implicit-def: $vgpr43
	s_and_saveexec_b64 s[20:21], s[16:17]
	s_cbranch_execz .LBB1035_66
; %bb.65:
	v_lshl_add_u32 v18, v42, 2, -4
	ds_read_b32 v43, v18
	s_waitcnt lgkmcnt(0)
	v_add_u32_e32 v17, v43, v17
.LBB1035_66:
	s_or_b64 exec, exec, s[20:21]
	v_subrev_co_u32_e64 v18, s[16:17], 1, v41
	v_and_b32_e32 v19, 64, v41
	v_cmp_lt_i32_e64 s[20:21], v18, v19
	v_cndmask_b32_e64 v18, v18, v41, s[20:21]
	v_lshlrev_b32_e32 v18, 2, v18
	ds_bpermute_b32 v45, v18, v17
	s_and_saveexec_b64 s[20:21], vcc
	s_cbranch_execz .LBB1035_86
; %bb.67:
	v_mov_b32_e32 v23, 0
	ds_read_b32 v17, v23 offset:12
	s_and_saveexec_b64 s[24:25], s[16:17]
	s_cbranch_execz .LBB1035_69
; %bb.68:
	s_add_i32 s26, s6, 64
	s_mov_b32 s27, 0
	s_lshl_b64 s[26:27], s[26:27], 3
	s_add_u32 s26, s22, s26
	v_mov_b32_e32 v18, 1
	s_addc_u32 s27, s23, s27
	s_waitcnt lgkmcnt(0)
	global_store_dwordx2 v23, v[17:18], s[26:27]
.LBB1035_69:
	s_or_b64 exec, exec, s[24:25]
	v_xad_u32 v19, v41, -1, s6
	v_add_u32_e32 v22, 64, v19
	v_lshlrev_b64 v[20:21], 3, v[22:23]
	v_mov_b32_e32 v18, s23
	v_add_co_u32_e32 v24, vcc, s22, v20
	v_addc_co_u32_e32 v25, vcc, v18, v21, vcc
	global_load_dwordx2 v[21:22], v[24:25], off glc
	s_waitcnt vmcnt(0)
	v_cmp_eq_u16_sdwa s[26:27], v22, v23 src0_sel:BYTE_0 src1_sel:DWORD
	s_and_saveexec_b64 s[24:25], s[26:27]
	s_cbranch_execz .LBB1035_73
; %bb.70:
	s_mov_b64 s[26:27], 0
	v_mov_b32_e32 v18, 0
.LBB1035_71:                            ; =>This Inner Loop Header: Depth=1
	global_load_dwordx2 v[21:22], v[24:25], off glc
	s_waitcnt vmcnt(0)
	v_cmp_ne_u16_sdwa s[28:29], v22, v18 src0_sel:BYTE_0 src1_sel:DWORD
	s_or_b64 s[26:27], s[28:29], s[26:27]
	s_andn2_b64 exec, exec, s[26:27]
	s_cbranch_execnz .LBB1035_71
; %bb.72:
	s_or_b64 exec, exec, s[26:27]
.LBB1035_73:
	s_or_b64 exec, exec, s[24:25]
	v_and_b32_e32 v47, 63, v41
	v_mov_b32_e32 v46, 2
	v_lshlrev_b64 v[23:24], v41, -1
	v_cmp_ne_u32_e32 vcc, 63, v47
	v_cmp_eq_u16_sdwa s[24:25], v22, v46 src0_sel:BYTE_0 src1_sel:DWORD
	v_addc_co_u32_e32 v25, vcc, 0, v41, vcc
	v_and_b32_e32 v18, s25, v24
	v_lshlrev_b32_e32 v48, 2, v25
	v_or_b32_e32 v18, 0x80000000, v18
	ds_bpermute_b32 v25, v48, v21
	v_and_b32_e32 v20, s24, v23
	v_ffbl_b32_e32 v18, v18
	v_add_u32_e32 v18, 32, v18
	v_ffbl_b32_e32 v20, v20
	v_min_u32_e32 v18, v20, v18
	v_cmp_lt_u32_e32 vcc, v47, v18
	s_waitcnt lgkmcnt(0)
	v_cndmask_b32_e32 v20, 0, v25, vcc
	v_cmp_gt_u32_e32 vcc, 62, v47
	v_add_u32_e32 v20, v20, v21
	v_cndmask_b32_e64 v21, 0, 2, vcc
	v_add_lshl_u32 v49, v21, v41, 2
	ds_bpermute_b32 v21, v49, v20
	v_add_u32_e32 v50, 2, v47
	v_cmp_le_u32_e32 vcc, v50, v18
	v_add_u32_e32 v67, 4, v47
	v_add_u32_e32 v69, 8, v47
	s_waitcnt lgkmcnt(0)
	v_cndmask_b32_e32 v21, 0, v21, vcc
	v_cmp_gt_u32_e32 vcc, 60, v47
	v_add_u32_e32 v20, v20, v21
	v_cndmask_b32_e64 v21, 0, 4, vcc
	v_add_lshl_u32 v66, v21, v41, 2
	ds_bpermute_b32 v21, v66, v20
	v_cmp_le_u32_e32 vcc, v67, v18
	v_add_u32_e32 v71, 16, v47
	v_add_u32_e32 v73, 32, v47
	s_waitcnt lgkmcnt(0)
	v_cndmask_b32_e32 v21, 0, v21, vcc
	v_cmp_gt_u32_e32 vcc, 56, v47
	v_add_u32_e32 v20, v20, v21
	v_cndmask_b32_e64 v21, 0, 8, vcc
	v_add_lshl_u32 v68, v21, v41, 2
	ds_bpermute_b32 v21, v68, v20
	v_cmp_le_u32_e32 vcc, v69, v18
	s_waitcnt lgkmcnt(0)
	v_cndmask_b32_e32 v21, 0, v21, vcc
	v_cmp_gt_u32_e32 vcc, 48, v47
	v_add_u32_e32 v20, v20, v21
	v_cndmask_b32_e64 v21, 0, 16, vcc
	v_add_lshl_u32 v70, v21, v41, 2
	ds_bpermute_b32 v21, v70, v20
	v_cmp_le_u32_e32 vcc, v71, v18
	s_waitcnt lgkmcnt(0)
	v_cndmask_b32_e32 v21, 0, v21, vcc
	v_add_u32_e32 v20, v20, v21
	v_mov_b32_e32 v21, 0x80
	v_lshl_or_b32 v72, v41, 2, v21
	ds_bpermute_b32 v21, v72, v20
	v_cmp_le_u32_e32 vcc, v73, v18
	s_waitcnt lgkmcnt(0)
	v_cndmask_b32_e32 v18, 0, v21, vcc
	v_add_u32_e32 v21, v20, v18
	v_mov_b32_e32 v20, 0
	s_branch .LBB1035_76
.LBB1035_74:                            ;   in Loop: Header=BB1035_76 Depth=1
	s_or_b64 exec, exec, s[24:25]
	v_cmp_eq_u16_sdwa s[24:25], v22, v46 src0_sel:BYTE_0 src1_sel:DWORD
	v_and_b32_e32 v25, s25, v24
	v_or_b32_e32 v25, 0x80000000, v25
	ds_bpermute_b32 v74, v48, v21
	v_and_b32_e32 v26, s24, v23
	v_ffbl_b32_e32 v25, v25
	v_add_u32_e32 v25, 32, v25
	v_ffbl_b32_e32 v26, v26
	v_min_u32_e32 v25, v26, v25
	v_cmp_lt_u32_e32 vcc, v47, v25
	s_waitcnt lgkmcnt(0)
	v_cndmask_b32_e32 v26, 0, v74, vcc
	v_add_u32_e32 v21, v26, v21
	ds_bpermute_b32 v26, v49, v21
	v_cmp_le_u32_e32 vcc, v50, v25
	v_subrev_u32_e32 v19, 64, v19
	s_mov_b64 s[24:25], 0
	s_waitcnt lgkmcnt(0)
	v_cndmask_b32_e32 v26, 0, v26, vcc
	v_add_u32_e32 v21, v21, v26
	ds_bpermute_b32 v26, v66, v21
	v_cmp_le_u32_e32 vcc, v67, v25
	s_waitcnt lgkmcnt(0)
	v_cndmask_b32_e32 v26, 0, v26, vcc
	v_add_u32_e32 v21, v21, v26
	ds_bpermute_b32 v26, v68, v21
	v_cmp_le_u32_e32 vcc, v69, v25
	;; [unrolled: 5-line block ×4, first 2 shown]
	s_waitcnt lgkmcnt(0)
	v_cndmask_b32_e32 v25, 0, v26, vcc
	v_add3_u32 v21, v25, v18, v21
.LBB1035_75:                            ;   in Loop: Header=BB1035_76 Depth=1
	s_and_b64 vcc, exec, s[24:25]
	s_cbranch_vccnz .LBB1035_82
.LBB1035_76:                            ; =>This Loop Header: Depth=1
                                        ;     Child Loop BB1035_79 Depth 2
	v_cmp_ne_u16_sdwa s[24:25], v22, v46 src0_sel:BYTE_0 src1_sel:DWORD
	v_mov_b32_e32 v18, v21
	s_cmp_lg_u64 s[24:25], exec
	s_mov_b64 s[24:25], -1
                                        ; implicit-def: $vgpr21
                                        ; implicit-def: $vgpr22
	s_cbranch_scc1 .LBB1035_75
; %bb.77:                               ;   in Loop: Header=BB1035_76 Depth=1
	v_lshlrev_b64 v[21:22], 3, v[19:20]
	v_mov_b32_e32 v26, s23
	v_add_co_u32_e32 v25, vcc, s22, v21
	v_addc_co_u32_e32 v26, vcc, v26, v22, vcc
	global_load_dwordx2 v[21:22], v[25:26], off glc
	s_waitcnt vmcnt(0)
	v_cmp_eq_u16_sdwa s[26:27], v22, v20 src0_sel:BYTE_0 src1_sel:DWORD
	s_and_saveexec_b64 s[24:25], s[26:27]
	s_cbranch_execz .LBB1035_74
; %bb.78:                               ;   in Loop: Header=BB1035_76 Depth=1
	s_mov_b64 s[26:27], 0
.LBB1035_79:                            ;   Parent Loop BB1035_76 Depth=1
                                        ; =>  This Inner Loop Header: Depth=2
	global_load_dwordx2 v[21:22], v[25:26], off glc
	s_waitcnt vmcnt(0)
	v_cmp_ne_u16_sdwa s[28:29], v22, v20 src0_sel:BYTE_0 src1_sel:DWORD
	s_or_b64 s[26:27], s[28:29], s[26:27]
	s_andn2_b64 exec, exec, s[26:27]
	s_cbranch_execnz .LBB1035_79
; %bb.80:                               ;   in Loop: Header=BB1035_76 Depth=1
	s_or_b64 exec, exec, s[26:27]
	s_branch .LBB1035_74
.LBB1035_81:
                                        ; implicit-def: $vgpr18
                                        ; implicit-def: $vgpr43
	s_load_dwordx2 s[4:5], s[4:5], 0x28
	s_cbranch_execnz .LBB1035_87
	s_branch .LBB1035_96
.LBB1035_82:
	s_and_saveexec_b64 s[24:25], s[16:17]
	s_cbranch_execz .LBB1035_84
; %bb.83:
	s_add_i32 s6, s6, 64
	s_mov_b32 s7, 0
	s_lshl_b64 s[6:7], s[6:7], 3
	s_add_u32 s6, s22, s6
	v_add_u32_e32 v19, v18, v17
	v_mov_b32_e32 v20, 2
	s_addc_u32 s7, s23, s7
	v_mov_b32_e32 v21, 0
	global_store_dwordx2 v21, v[19:20], s[6:7]
	ds_write_b64 v21, v[17:18] offset:16896
.LBB1035_84:
	s_or_b64 exec, exec, s[24:25]
	v_cmp_eq_u32_e32 vcc, 0, v0
	s_and_b64 exec, exec, vcc
; %bb.85:
	v_mov_b32_e32 v17, 0
	ds_write_b32 v17, v18 offset:12
.LBB1035_86:
	s_or_b64 exec, exec, s[20:21]
	v_mov_b32_e32 v17, 0
	s_waitcnt vmcnt(0) lgkmcnt(0)
	s_barrier
	ds_read_b32 v20, v17 offset:12
	s_waitcnt lgkmcnt(0)
	s_barrier
	ds_read_b64 v[17:18], v17 offset:16896
	v_cndmask_b32_e64 v19, v45, v43, s[16:17]
	v_cmp_ne_u32_e32 vcc, 0, v0
	v_cndmask_b32_e32 v19, 0, v19, vcc
	v_add_u32_e32 v43, v20, v19
	s_load_dwordx2 s[4:5], s[4:5], 0x28
	s_branch .LBB1035_96
.LBB1035_87:
	s_waitcnt lgkmcnt(0)
	v_mov_b32_dpp v17, v44 row_shr:1 row_mask:0xf bank_mask:0xf
	v_cndmask_b32_e64 v17, v17, 0, s[14:15]
	v_add_u32_e32 v17, v17, v44
	s_nop 1
	v_mov_b32_dpp v18, v17 row_shr:2 row_mask:0xf bank_mask:0xf
	v_cndmask_b32_e64 v18, 0, v18, s[12:13]
	v_add_u32_e32 v17, v17, v18
	s_nop 1
	v_mov_b32_dpp v18, v17 row_shr:4 row_mask:0xf bank_mask:0xf
	v_cndmask_b32_e64 v18, 0, v18, s[10:11]
	v_add_u32_e32 v17, v17, v18
	s_nop 1
	v_mov_b32_dpp v18, v17 row_shr:8 row_mask:0xf bank_mask:0xf
	v_cndmask_b32_e64 v18, 0, v18, s[8:9]
	v_add_u32_e32 v17, v17, v18
	s_nop 1
	v_mov_b32_dpp v18, v17 row_bcast:15 row_mask:0xf bank_mask:0xf
	v_cndmask_b32_e64 v18, v18, 0, s[18:19]
	v_add_u32_e32 v17, v17, v18
	s_nop 1
	v_mov_b32_dpp v18, v17 row_bcast:31 row_mask:0xf bank_mask:0xf
	v_cndmask_b32_e64 v18, 0, v18, s[0:1]
	v_add_u32_e32 v17, v17, v18
	s_and_saveexec_b64 s[0:1], s[2:3]
; %bb.88:
	v_lshlrev_b32_e32 v18, 2, v42
	ds_write_b32 v18, v17
; %bb.89:
	s_or_b64 exec, exec, s[0:1]
	v_cmp_gt_u32_e32 vcc, 4, v0
	s_waitcnt lgkmcnt(0)
	s_barrier
	s_and_saveexec_b64 s[0:1], vcc
	s_cbranch_execz .LBB1035_91
; %bb.90:
	v_lshlrev_b32_e32 v18, 2, v0
	ds_read_b32 v19, v18
	v_and_b32_e32 v20, 3, v41
	v_cmp_ne_u32_e32 vcc, 0, v20
	s_waitcnt lgkmcnt(0)
	v_mov_b32_dpp v21, v19 row_shr:1 row_mask:0xf bank_mask:0xf
	v_cndmask_b32_e32 v21, 0, v21, vcc
	v_add_u32_e32 v19, v21, v19
	v_cmp_lt_u32_e32 vcc, 1, v20
	s_nop 0
	v_mov_b32_dpp v21, v19 row_shr:2 row_mask:0xf bank_mask:0xf
	v_cndmask_b32_e32 v20, 0, v21, vcc
	v_add_u32_e32 v19, v19, v20
	ds_write_b32 v18, v19
.LBB1035_91:
	s_or_b64 exec, exec, s[0:1]
	v_cmp_lt_u32_e32 vcc, 63, v0
	v_mov_b32_e32 v18, 0
	v_mov_b32_e32 v19, 0
	s_waitcnt lgkmcnt(0)
	s_barrier
	s_and_saveexec_b64 s[0:1], vcc
; %bb.92:
	v_lshl_add_u32 v19, v42, 2, -4
	ds_read_b32 v19, v19
; %bb.93:
	s_or_b64 exec, exec, s[0:1]
	v_subrev_co_u32_e32 v20, vcc, 1, v41
	v_and_b32_e32 v21, 64, v41
	v_cmp_lt_i32_e64 s[0:1], v20, v21
	v_cndmask_b32_e64 v20, v20, v41, s[0:1]
	s_waitcnt lgkmcnt(0)
	v_add_u32_e32 v17, v19, v17
	v_lshlrev_b32_e32 v20, 2, v20
	ds_bpermute_b32 v20, v20, v17
	ds_read_b32 v17, v18 offset:12
	v_cmp_eq_u32_e64 s[0:1], 0, v0
	s_and_saveexec_b64 s[2:3], s[0:1]
	s_cbranch_execz .LBB1035_95
; %bb.94:
	v_mov_b32_e32 v21, 0
	v_mov_b32_e32 v18, 2
	s_waitcnt lgkmcnt(0)
	global_store_dwordx2 v21, v[17:18], s[22:23] offset:512
.LBB1035_95:
	s_or_b64 exec, exec, s[2:3]
	s_waitcnt lgkmcnt(1)
	v_cndmask_b32_e32 v18, v20, v19, vcc
	v_cndmask_b32_e64 v43, v18, 0, s[0:1]
	s_waitcnt vmcnt(0) lgkmcnt(0)
	s_barrier
	v_mov_b32_e32 v18, 0
.LBB1035_96:
	v_add_u32_e32 v49, v43, v31
	v_add_u32_e32 v47, v49, v33
	;; [unrolled: 1-line block ×5, first 2 shown]
	v_add_u32_sdwa v37, v39, v61 dst_sel:DWORD dst_unused:UNUSED_PAD src0_sel:DWORD src1_sel:BYTE_0
	v_add_u32_sdwa v35, v37, v60 dst_sel:DWORD dst_unused:UNUSED_PAD src0_sel:DWORD src1_sel:BYTE_0
	v_add_u32_e32 v33, v35, v27
	v_add_u32_e32 v31, v33, v29
	;; [unrolled: 1-line block ×6, first 2 shown]
	s_movk_i32 s2, 0x101
	v_add_u32_e32 v21, v23, v38
	s_waitcnt lgkmcnt(0)
	v_cmp_gt_u32_e32 vcc, s2, v17
	v_add_u32_e32 v19, v21, v40
	s_mov_b64 s[0:1], -1
	v_and_b32_e32 v66, 1, v28
	s_cbranch_vccnz .LBB1035_100
; %bb.97:
	s_and_b64 vcc, exec, s[0:1]
	s_cbranch_vccnz .LBB1035_133
.LBB1035_98:
	v_cmp_eq_u32_e32 vcc, 0, v0
	s_and_b64 s[0:1], vcc, s[40:41]
	s_and_saveexec_b64 s[2:3], s[0:1]
	s_cbranch_execnz .LBB1035_169
.LBB1035_99:
	s_endpgm
.LBB1035_100:
	v_add_u32_e32 v20, v18, v17
	s_lshl_b64 s[0:1], s[38:39], 2
	s_add_u32 s2, s4, s0
	v_cmp_lt_u32_e32 vcc, v43, v20
	s_addc_u32 s3, s5, s1
	s_or_b64 s[0:1], s[42:43], vcc
	v_cmp_eq_u32_e32 vcc, 1, v66
	s_and_b64 s[6:7], s[0:1], vcc
	s_and_saveexec_b64 s[0:1], s[6:7]
	s_cbranch_execz .LBB1035_102
; %bb.101:
	v_mov_b32_e32 v44, 0
	v_lshlrev_b64 v[67:68], 2, v[43:44]
	v_mov_b32_e32 v22, s3
	v_add_co_u32_e32 v67, vcc, s2, v67
	v_addc_co_u32_e32 v68, vcc, v22, v68, vcc
	global_store_dword v[67:68], v15, off
.LBB1035_102:
	s_or_b64 exec, exec, s[0:1]
	v_cmp_lt_u32_e32 vcc, v49, v20
	v_and_b32_e32 v22, 1, v65
	s_or_b64 s[0:1], s[42:43], vcc
	v_cmp_eq_u32_e32 vcc, 1, v22
	s_and_b64 s[6:7], s[0:1], vcc
	s_and_saveexec_b64 s[0:1], s[6:7]
	s_cbranch_execz .LBB1035_104
; %bb.103:
	v_mov_b32_e32 v50, 0
	v_lshlrev_b64 v[67:68], 2, v[49:50]
	v_mov_b32_e32 v22, s3
	v_add_co_u32_e32 v67, vcc, s2, v67
	v_addc_co_u32_e32 v68, vcc, v22, v68, vcc
	global_store_dword v[67:68], v16, off
.LBB1035_104:
	s_or_b64 exec, exec, s[0:1]
	v_cmp_lt_u32_e32 vcc, v47, v20
	v_and_b32_e32 v22, 1, v64
	;; [unrolled: 16-line block ×15, first 2 shown]
	s_or_b64 s[0:1], s[42:43], vcc
	v_cmp_eq_u32_e32 vcc, 1, v20
	s_and_b64 s[6:7], s[0:1], vcc
	s_and_saveexec_b64 s[0:1], s[6:7]
	s_cbranch_execz .LBB1035_132
; %bb.131:
	v_mov_b32_e32 v20, 0
	v_lshlrev_b64 v[67:68], 2, v[19:20]
	v_mov_b32_e32 v20, s3
	v_add_co_u32_e32 v67, vcc, s2, v67
	v_addc_co_u32_e32 v68, vcc, v20, v68, vcc
	global_store_dword v[67:68], v2, off
.LBB1035_132:
	s_or_b64 exec, exec, s[0:1]
	s_branch .LBB1035_98
.LBB1035_133:
	v_cmp_eq_u32_e32 vcc, 1, v66
	s_and_saveexec_b64 s[0:1], vcc
; %bb.134:
	v_sub_u32_e32 v20, v43, v18
	v_lshlrev_b32_e32 v20, 2, v20
	ds_write_b32 v20, v15
; %bb.135:
	s_or_b64 exec, exec, s[0:1]
	v_and_b32_e32 v15, 1, v65
	v_cmp_eq_u32_e32 vcc, 1, v15
	s_and_saveexec_b64 s[0:1], vcc
; %bb.136:
	v_sub_u32_e32 v15, v49, v18
	v_lshlrev_b32_e32 v15, 2, v15
	ds_write_b32 v15, v16
; %bb.137:
	s_or_b64 exec, exec, s[0:1]
	v_and_b32_e32 v15, 1, v64
	v_cmp_eq_u32_e32 vcc, 1, v15
	s_and_saveexec_b64 s[0:1], vcc
; %bb.138:
	v_sub_u32_e32 v15, v47, v18
	v_lshlrev_b32_e32 v15, 2, v15
	ds_write_b32 v15, v13
; %bb.139:
	s_or_b64 exec, exec, s[0:1]
	v_and_b32_e32 v13, 1, v63
	v_cmp_eq_u32_e32 vcc, 1, v13
	s_and_saveexec_b64 s[0:1], vcc
; %bb.140:
	v_sub_u32_e32 v13, v45, v18
	v_lshlrev_b32_e32 v13, 2, v13
	ds_write_b32 v13, v14
; %bb.141:
	s_or_b64 exec, exec, s[0:1]
	v_and_b32_e32 v13, 1, v62
	v_cmp_eq_u32_e32 vcc, 1, v13
	s_and_saveexec_b64 s[0:1], vcc
; %bb.142:
	v_sub_u32_e32 v13, v41, v18
	v_lshlrev_b32_e32 v13, 2, v13
	ds_write_b32 v13, v11
; %bb.143:
	s_or_b64 exec, exec, s[0:1]
	v_and_b32_e32 v11, 1, v61
	v_cmp_eq_u32_e32 vcc, 1, v11
	s_and_saveexec_b64 s[0:1], vcc
; %bb.144:
	v_sub_u32_e32 v11, v39, v18
	v_lshlrev_b32_e32 v11, 2, v11
	ds_write_b32 v11, v12
; %bb.145:
	s_or_b64 exec, exec, s[0:1]
	v_and_b32_e32 v11, 1, v60
	v_cmp_eq_u32_e32 vcc, 1, v11
	s_and_saveexec_b64 s[0:1], vcc
; %bb.146:
	v_sub_u32_e32 v11, v37, v18
	v_lshlrev_b32_e32 v11, 2, v11
	ds_write_b32 v11, v9
; %bb.147:
	s_or_b64 exec, exec, s[0:1]
	v_and_b32_e32 v9, 1, v59
	v_cmp_eq_u32_e32 vcc, 1, v9
	s_and_saveexec_b64 s[0:1], vcc
; %bb.148:
	v_sub_u32_e32 v9, v35, v18
	v_lshlrev_b32_e32 v9, 2, v9
	ds_write_b32 v9, v10
; %bb.149:
	s_or_b64 exec, exec, s[0:1]
	v_and_b32_e32 v9, 1, v58
	v_cmp_eq_u32_e32 vcc, 1, v9
	s_and_saveexec_b64 s[0:1], vcc
; %bb.150:
	v_sub_u32_e32 v9, v33, v18
	v_lshlrev_b32_e32 v9, 2, v9
	ds_write_b32 v9, v7
; %bb.151:
	s_or_b64 exec, exec, s[0:1]
	v_and_b32_e32 v7, 1, v57
	v_cmp_eq_u32_e32 vcc, 1, v7
	s_and_saveexec_b64 s[0:1], vcc
; %bb.152:
	v_sub_u32_e32 v7, v31, v18
	v_lshlrev_b32_e32 v7, 2, v7
	ds_write_b32 v7, v8
; %bb.153:
	s_or_b64 exec, exec, s[0:1]
	v_and_b32_e32 v7, 1, v56
	v_cmp_eq_u32_e32 vcc, 1, v7
	s_and_saveexec_b64 s[0:1], vcc
; %bb.154:
	v_sub_u32_e32 v7, v29, v18
	v_lshlrev_b32_e32 v7, 2, v7
	ds_write_b32 v7, v5
; %bb.155:
	s_or_b64 exec, exec, s[0:1]
	v_and_b32_e32 v5, 1, v55
	v_cmp_eq_u32_e32 vcc, 1, v5
	s_and_saveexec_b64 s[0:1], vcc
; %bb.156:
	v_sub_u32_e32 v5, v27, v18
	v_lshlrev_b32_e32 v5, 2, v5
	ds_write_b32 v5, v6
; %bb.157:
	s_or_b64 exec, exec, s[0:1]
	v_and_b32_e32 v5, 1, v54
	v_cmp_eq_u32_e32 vcc, 1, v5
	s_and_saveexec_b64 s[0:1], vcc
; %bb.158:
	v_sub_u32_e32 v5, v25, v18
	v_lshlrev_b32_e32 v5, 2, v5
	ds_write_b32 v5, v3
; %bb.159:
	s_or_b64 exec, exec, s[0:1]
	v_and_b32_e32 v3, 1, v53
	v_cmp_eq_u32_e32 vcc, 1, v3
	s_and_saveexec_b64 s[0:1], vcc
; %bb.160:
	v_sub_u32_e32 v3, v23, v18
	v_lshlrev_b32_e32 v3, 2, v3
	ds_write_b32 v3, v4
; %bb.161:
	s_or_b64 exec, exec, s[0:1]
	v_and_b32_e32 v3, 1, v52
	v_cmp_eq_u32_e32 vcc, 1, v3
	s_and_saveexec_b64 s[0:1], vcc
; %bb.162:
	v_sub_u32_e32 v3, v21, v18
	v_lshlrev_b32_e32 v3, 2, v3
	ds_write_b32 v3, v1
; %bb.163:
	s_or_b64 exec, exec, s[0:1]
	v_and_b32_e32 v1, 1, v51
	v_cmp_eq_u32_e32 vcc, 1, v1
	s_and_saveexec_b64 s[0:1], vcc
; %bb.164:
	v_sub_u32_e32 v1, v19, v18
	v_lshlrev_b32_e32 v1, 2, v1
	ds_write_b32 v1, v2
; %bb.165:
	s_or_b64 exec, exec, s[0:1]
	v_cmp_lt_u32_e32 vcc, v0, v17
	s_waitcnt vmcnt(0) lgkmcnt(0)
	s_barrier
	s_and_saveexec_b64 s[2:3], vcc
	s_cbranch_execz .LBB1035_168
; %bb.166:
	v_mov_b32_e32 v2, 0
	v_mov_b32_e32 v1, v18
	s_lshl_b64 s[0:1], s[38:39], 2
	s_add_u32 s0, s4, s0
	v_lshlrev_b64 v[3:4], 2, v[1:2]
	s_addc_u32 s1, s5, s1
	v_mov_b32_e32 v1, s1
	v_add_co_u32_e32 v3, vcc, s0, v3
	v_addc_co_u32_e32 v4, vcc, v1, v4, vcc
	v_lshlrev_b32_e32 v5, 2, v0
	s_mov_b64 s[4:5], 0
	v_mov_b32_e32 v1, v0
.LBB1035_167:                           ; =>This Inner Loop Header: Depth=1
	ds_read_b32 v8, v5
	v_lshlrev_b64 v[6:7], 2, v[1:2]
	v_add_u32_e32 v1, 0x100, v1
	v_cmp_ge_u32_e32 vcc, v1, v17
	v_add_co_u32_e64 v6, s[0:1], v3, v6
	v_add_u32_e32 v5, 0x400, v5
	v_addc_co_u32_e64 v7, s[0:1], v4, v7, s[0:1]
	s_or_b64 s[4:5], vcc, s[4:5]
	s_waitcnt lgkmcnt(0)
	global_store_dword v[6:7], v8, off
	s_andn2_b64 exec, exec, s[4:5]
	s_cbranch_execnz .LBB1035_167
.LBB1035_168:
	s_or_b64 exec, exec, s[2:3]
	v_cmp_eq_u32_e32 vcc, 0, v0
	s_and_b64 s[0:1], vcc, s[40:41]
	s_and_saveexec_b64 s[2:3], s[0:1]
	s_cbranch_execz .LBB1035_99
.LBB1035_169:
	v_mov_b32_e32 v0, s39
	v_add_co_u32_e32 v1, vcc, s38, v17
	v_addc_co_u32_e32 v3, vcc, 0, v0, vcc
	v_add_co_u32_e32 v0, vcc, v1, v18
	v_mov_b32_e32 v2, 0
	v_addc_co_u32_e32 v1, vcc, 0, v3, vcc
	global_store_dwordx2 v2, v[0:1], s[36:37]
	s_endpgm
	.section	.rodata,"a",@progbits
	.p2align	6, 0x0
	.amdhsa_kernel _ZN7rocprim17ROCPRIM_400000_NS6detail17trampoline_kernelINS0_14default_configENS1_25partition_config_selectorILNS1_17partition_subalgoE8EiNS0_10empty_typeEbEEZZNS1_14partition_implILS5_8ELb0ES3_jN6thrust23THRUST_200600_302600_NS10device_ptrIiEEPS6_PKS6_NS0_5tupleIJSC_S6_EEENSG_IJSD_SD_EEENS0_18inequality_wrapperINSA_8equal_toIiEEEEPmJS6_EEE10hipError_tPvRmT3_T4_T5_T6_T7_T9_mT8_P12ihipStream_tbDpT10_ENKUlT_T0_E_clISt17integral_constantIbLb0EES17_EEDaS12_S13_EUlS12_E_NS1_11comp_targetILNS1_3genE2ELNS1_11target_archE906ELNS1_3gpuE6ELNS1_3repE0EEENS1_30default_config_static_selectorELNS0_4arch9wavefront6targetE1EEEvT1_
		.amdhsa_group_segment_fixed_size 16904
		.amdhsa_private_segment_fixed_size 0
		.amdhsa_kernarg_size 112
		.amdhsa_user_sgpr_count 6
		.amdhsa_user_sgpr_private_segment_buffer 1
		.amdhsa_user_sgpr_dispatch_ptr 0
		.amdhsa_user_sgpr_queue_ptr 0
		.amdhsa_user_sgpr_kernarg_segment_ptr 1
		.amdhsa_user_sgpr_dispatch_id 0
		.amdhsa_user_sgpr_flat_scratch_init 0
		.amdhsa_user_sgpr_private_segment_size 0
		.amdhsa_uses_dynamic_stack 0
		.amdhsa_system_sgpr_private_segment_wavefront_offset 0
		.amdhsa_system_sgpr_workgroup_id_x 1
		.amdhsa_system_sgpr_workgroup_id_y 0
		.amdhsa_system_sgpr_workgroup_id_z 0
		.amdhsa_system_sgpr_workgroup_info 0
		.amdhsa_system_vgpr_workitem_id 0
		.amdhsa_next_free_vgpr 75
		.amdhsa_next_free_sgpr 98
		.amdhsa_reserve_vcc 1
		.amdhsa_reserve_flat_scratch 0
		.amdhsa_float_round_mode_32 0
		.amdhsa_float_round_mode_16_64 0
		.amdhsa_float_denorm_mode_32 3
		.amdhsa_float_denorm_mode_16_64 3
		.amdhsa_dx10_clamp 1
		.amdhsa_ieee_mode 1
		.amdhsa_fp16_overflow 0
		.amdhsa_exception_fp_ieee_invalid_op 0
		.amdhsa_exception_fp_denorm_src 0
		.amdhsa_exception_fp_ieee_div_zero 0
		.amdhsa_exception_fp_ieee_overflow 0
		.amdhsa_exception_fp_ieee_underflow 0
		.amdhsa_exception_fp_ieee_inexact 0
		.amdhsa_exception_int_div_zero 0
	.end_amdhsa_kernel
	.section	.text._ZN7rocprim17ROCPRIM_400000_NS6detail17trampoline_kernelINS0_14default_configENS1_25partition_config_selectorILNS1_17partition_subalgoE8EiNS0_10empty_typeEbEEZZNS1_14partition_implILS5_8ELb0ES3_jN6thrust23THRUST_200600_302600_NS10device_ptrIiEEPS6_PKS6_NS0_5tupleIJSC_S6_EEENSG_IJSD_SD_EEENS0_18inequality_wrapperINSA_8equal_toIiEEEEPmJS6_EEE10hipError_tPvRmT3_T4_T5_T6_T7_T9_mT8_P12ihipStream_tbDpT10_ENKUlT_T0_E_clISt17integral_constantIbLb0EES17_EEDaS12_S13_EUlS12_E_NS1_11comp_targetILNS1_3genE2ELNS1_11target_archE906ELNS1_3gpuE6ELNS1_3repE0EEENS1_30default_config_static_selectorELNS0_4arch9wavefront6targetE1EEEvT1_,"axG",@progbits,_ZN7rocprim17ROCPRIM_400000_NS6detail17trampoline_kernelINS0_14default_configENS1_25partition_config_selectorILNS1_17partition_subalgoE8EiNS0_10empty_typeEbEEZZNS1_14partition_implILS5_8ELb0ES3_jN6thrust23THRUST_200600_302600_NS10device_ptrIiEEPS6_PKS6_NS0_5tupleIJSC_S6_EEENSG_IJSD_SD_EEENS0_18inequality_wrapperINSA_8equal_toIiEEEEPmJS6_EEE10hipError_tPvRmT3_T4_T5_T6_T7_T9_mT8_P12ihipStream_tbDpT10_ENKUlT_T0_E_clISt17integral_constantIbLb0EES17_EEDaS12_S13_EUlS12_E_NS1_11comp_targetILNS1_3genE2ELNS1_11target_archE906ELNS1_3gpuE6ELNS1_3repE0EEENS1_30default_config_static_selectorELNS0_4arch9wavefront6targetE1EEEvT1_,comdat
.Lfunc_end1035:
	.size	_ZN7rocprim17ROCPRIM_400000_NS6detail17trampoline_kernelINS0_14default_configENS1_25partition_config_selectorILNS1_17partition_subalgoE8EiNS0_10empty_typeEbEEZZNS1_14partition_implILS5_8ELb0ES3_jN6thrust23THRUST_200600_302600_NS10device_ptrIiEEPS6_PKS6_NS0_5tupleIJSC_S6_EEENSG_IJSD_SD_EEENS0_18inequality_wrapperINSA_8equal_toIiEEEEPmJS6_EEE10hipError_tPvRmT3_T4_T5_T6_T7_T9_mT8_P12ihipStream_tbDpT10_ENKUlT_T0_E_clISt17integral_constantIbLb0EES17_EEDaS12_S13_EUlS12_E_NS1_11comp_targetILNS1_3genE2ELNS1_11target_archE906ELNS1_3gpuE6ELNS1_3repE0EEENS1_30default_config_static_selectorELNS0_4arch9wavefront6targetE1EEEvT1_, .Lfunc_end1035-_ZN7rocprim17ROCPRIM_400000_NS6detail17trampoline_kernelINS0_14default_configENS1_25partition_config_selectorILNS1_17partition_subalgoE8EiNS0_10empty_typeEbEEZZNS1_14partition_implILS5_8ELb0ES3_jN6thrust23THRUST_200600_302600_NS10device_ptrIiEEPS6_PKS6_NS0_5tupleIJSC_S6_EEENSG_IJSD_SD_EEENS0_18inequality_wrapperINSA_8equal_toIiEEEEPmJS6_EEE10hipError_tPvRmT3_T4_T5_T6_T7_T9_mT8_P12ihipStream_tbDpT10_ENKUlT_T0_E_clISt17integral_constantIbLb0EES17_EEDaS12_S13_EUlS12_E_NS1_11comp_targetILNS1_3genE2ELNS1_11target_archE906ELNS1_3gpuE6ELNS1_3repE0EEENS1_30default_config_static_selectorELNS0_4arch9wavefront6targetE1EEEvT1_
                                        ; -- End function
	.set _ZN7rocprim17ROCPRIM_400000_NS6detail17trampoline_kernelINS0_14default_configENS1_25partition_config_selectorILNS1_17partition_subalgoE8EiNS0_10empty_typeEbEEZZNS1_14partition_implILS5_8ELb0ES3_jN6thrust23THRUST_200600_302600_NS10device_ptrIiEEPS6_PKS6_NS0_5tupleIJSC_S6_EEENSG_IJSD_SD_EEENS0_18inequality_wrapperINSA_8equal_toIiEEEEPmJS6_EEE10hipError_tPvRmT3_T4_T5_T6_T7_T9_mT8_P12ihipStream_tbDpT10_ENKUlT_T0_E_clISt17integral_constantIbLb0EES17_EEDaS12_S13_EUlS12_E_NS1_11comp_targetILNS1_3genE2ELNS1_11target_archE906ELNS1_3gpuE6ELNS1_3repE0EEENS1_30default_config_static_selectorELNS0_4arch9wavefront6targetE1EEEvT1_.num_vgpr, 75
	.set _ZN7rocprim17ROCPRIM_400000_NS6detail17trampoline_kernelINS0_14default_configENS1_25partition_config_selectorILNS1_17partition_subalgoE8EiNS0_10empty_typeEbEEZZNS1_14partition_implILS5_8ELb0ES3_jN6thrust23THRUST_200600_302600_NS10device_ptrIiEEPS6_PKS6_NS0_5tupleIJSC_S6_EEENSG_IJSD_SD_EEENS0_18inequality_wrapperINSA_8equal_toIiEEEEPmJS6_EEE10hipError_tPvRmT3_T4_T5_T6_T7_T9_mT8_P12ihipStream_tbDpT10_ENKUlT_T0_E_clISt17integral_constantIbLb0EES17_EEDaS12_S13_EUlS12_E_NS1_11comp_targetILNS1_3genE2ELNS1_11target_archE906ELNS1_3gpuE6ELNS1_3repE0EEENS1_30default_config_static_selectorELNS0_4arch9wavefront6targetE1EEEvT1_.num_agpr, 0
	.set _ZN7rocprim17ROCPRIM_400000_NS6detail17trampoline_kernelINS0_14default_configENS1_25partition_config_selectorILNS1_17partition_subalgoE8EiNS0_10empty_typeEbEEZZNS1_14partition_implILS5_8ELb0ES3_jN6thrust23THRUST_200600_302600_NS10device_ptrIiEEPS6_PKS6_NS0_5tupleIJSC_S6_EEENSG_IJSD_SD_EEENS0_18inequality_wrapperINSA_8equal_toIiEEEEPmJS6_EEE10hipError_tPvRmT3_T4_T5_T6_T7_T9_mT8_P12ihipStream_tbDpT10_ENKUlT_T0_E_clISt17integral_constantIbLb0EES17_EEDaS12_S13_EUlS12_E_NS1_11comp_targetILNS1_3genE2ELNS1_11target_archE906ELNS1_3gpuE6ELNS1_3repE0EEENS1_30default_config_static_selectorELNS0_4arch9wavefront6targetE1EEEvT1_.numbered_sgpr, 56
	.set _ZN7rocprim17ROCPRIM_400000_NS6detail17trampoline_kernelINS0_14default_configENS1_25partition_config_selectorILNS1_17partition_subalgoE8EiNS0_10empty_typeEbEEZZNS1_14partition_implILS5_8ELb0ES3_jN6thrust23THRUST_200600_302600_NS10device_ptrIiEEPS6_PKS6_NS0_5tupleIJSC_S6_EEENSG_IJSD_SD_EEENS0_18inequality_wrapperINSA_8equal_toIiEEEEPmJS6_EEE10hipError_tPvRmT3_T4_T5_T6_T7_T9_mT8_P12ihipStream_tbDpT10_ENKUlT_T0_E_clISt17integral_constantIbLb0EES17_EEDaS12_S13_EUlS12_E_NS1_11comp_targetILNS1_3genE2ELNS1_11target_archE906ELNS1_3gpuE6ELNS1_3repE0EEENS1_30default_config_static_selectorELNS0_4arch9wavefront6targetE1EEEvT1_.num_named_barrier, 0
	.set _ZN7rocprim17ROCPRIM_400000_NS6detail17trampoline_kernelINS0_14default_configENS1_25partition_config_selectorILNS1_17partition_subalgoE8EiNS0_10empty_typeEbEEZZNS1_14partition_implILS5_8ELb0ES3_jN6thrust23THRUST_200600_302600_NS10device_ptrIiEEPS6_PKS6_NS0_5tupleIJSC_S6_EEENSG_IJSD_SD_EEENS0_18inequality_wrapperINSA_8equal_toIiEEEEPmJS6_EEE10hipError_tPvRmT3_T4_T5_T6_T7_T9_mT8_P12ihipStream_tbDpT10_ENKUlT_T0_E_clISt17integral_constantIbLb0EES17_EEDaS12_S13_EUlS12_E_NS1_11comp_targetILNS1_3genE2ELNS1_11target_archE906ELNS1_3gpuE6ELNS1_3repE0EEENS1_30default_config_static_selectorELNS0_4arch9wavefront6targetE1EEEvT1_.private_seg_size, 0
	.set _ZN7rocprim17ROCPRIM_400000_NS6detail17trampoline_kernelINS0_14default_configENS1_25partition_config_selectorILNS1_17partition_subalgoE8EiNS0_10empty_typeEbEEZZNS1_14partition_implILS5_8ELb0ES3_jN6thrust23THRUST_200600_302600_NS10device_ptrIiEEPS6_PKS6_NS0_5tupleIJSC_S6_EEENSG_IJSD_SD_EEENS0_18inequality_wrapperINSA_8equal_toIiEEEEPmJS6_EEE10hipError_tPvRmT3_T4_T5_T6_T7_T9_mT8_P12ihipStream_tbDpT10_ENKUlT_T0_E_clISt17integral_constantIbLb0EES17_EEDaS12_S13_EUlS12_E_NS1_11comp_targetILNS1_3genE2ELNS1_11target_archE906ELNS1_3gpuE6ELNS1_3repE0EEENS1_30default_config_static_selectorELNS0_4arch9wavefront6targetE1EEEvT1_.uses_vcc, 1
	.set _ZN7rocprim17ROCPRIM_400000_NS6detail17trampoline_kernelINS0_14default_configENS1_25partition_config_selectorILNS1_17partition_subalgoE8EiNS0_10empty_typeEbEEZZNS1_14partition_implILS5_8ELb0ES3_jN6thrust23THRUST_200600_302600_NS10device_ptrIiEEPS6_PKS6_NS0_5tupleIJSC_S6_EEENSG_IJSD_SD_EEENS0_18inequality_wrapperINSA_8equal_toIiEEEEPmJS6_EEE10hipError_tPvRmT3_T4_T5_T6_T7_T9_mT8_P12ihipStream_tbDpT10_ENKUlT_T0_E_clISt17integral_constantIbLb0EES17_EEDaS12_S13_EUlS12_E_NS1_11comp_targetILNS1_3genE2ELNS1_11target_archE906ELNS1_3gpuE6ELNS1_3repE0EEENS1_30default_config_static_selectorELNS0_4arch9wavefront6targetE1EEEvT1_.uses_flat_scratch, 0
	.set _ZN7rocprim17ROCPRIM_400000_NS6detail17trampoline_kernelINS0_14default_configENS1_25partition_config_selectorILNS1_17partition_subalgoE8EiNS0_10empty_typeEbEEZZNS1_14partition_implILS5_8ELb0ES3_jN6thrust23THRUST_200600_302600_NS10device_ptrIiEEPS6_PKS6_NS0_5tupleIJSC_S6_EEENSG_IJSD_SD_EEENS0_18inequality_wrapperINSA_8equal_toIiEEEEPmJS6_EEE10hipError_tPvRmT3_T4_T5_T6_T7_T9_mT8_P12ihipStream_tbDpT10_ENKUlT_T0_E_clISt17integral_constantIbLb0EES17_EEDaS12_S13_EUlS12_E_NS1_11comp_targetILNS1_3genE2ELNS1_11target_archE906ELNS1_3gpuE6ELNS1_3repE0EEENS1_30default_config_static_selectorELNS0_4arch9wavefront6targetE1EEEvT1_.has_dyn_sized_stack, 0
	.set _ZN7rocprim17ROCPRIM_400000_NS6detail17trampoline_kernelINS0_14default_configENS1_25partition_config_selectorILNS1_17partition_subalgoE8EiNS0_10empty_typeEbEEZZNS1_14partition_implILS5_8ELb0ES3_jN6thrust23THRUST_200600_302600_NS10device_ptrIiEEPS6_PKS6_NS0_5tupleIJSC_S6_EEENSG_IJSD_SD_EEENS0_18inequality_wrapperINSA_8equal_toIiEEEEPmJS6_EEE10hipError_tPvRmT3_T4_T5_T6_T7_T9_mT8_P12ihipStream_tbDpT10_ENKUlT_T0_E_clISt17integral_constantIbLb0EES17_EEDaS12_S13_EUlS12_E_NS1_11comp_targetILNS1_3genE2ELNS1_11target_archE906ELNS1_3gpuE6ELNS1_3repE0EEENS1_30default_config_static_selectorELNS0_4arch9wavefront6targetE1EEEvT1_.has_recursion, 0
	.set _ZN7rocprim17ROCPRIM_400000_NS6detail17trampoline_kernelINS0_14default_configENS1_25partition_config_selectorILNS1_17partition_subalgoE8EiNS0_10empty_typeEbEEZZNS1_14partition_implILS5_8ELb0ES3_jN6thrust23THRUST_200600_302600_NS10device_ptrIiEEPS6_PKS6_NS0_5tupleIJSC_S6_EEENSG_IJSD_SD_EEENS0_18inequality_wrapperINSA_8equal_toIiEEEEPmJS6_EEE10hipError_tPvRmT3_T4_T5_T6_T7_T9_mT8_P12ihipStream_tbDpT10_ENKUlT_T0_E_clISt17integral_constantIbLb0EES17_EEDaS12_S13_EUlS12_E_NS1_11comp_targetILNS1_3genE2ELNS1_11target_archE906ELNS1_3gpuE6ELNS1_3repE0EEENS1_30default_config_static_selectorELNS0_4arch9wavefront6targetE1EEEvT1_.has_indirect_call, 0
	.section	.AMDGPU.csdata,"",@progbits
; Kernel info:
; codeLenInByte = 8048
; TotalNumSgprs: 60
; NumVgprs: 75
; ScratchSize: 0
; MemoryBound: 0
; FloatMode: 240
; IeeeMode: 1
; LDSByteSize: 16904 bytes/workgroup (compile time only)
; SGPRBlocks: 12
; VGPRBlocks: 18
; NumSGPRsForWavesPerEU: 102
; NumVGPRsForWavesPerEU: 75
; Occupancy: 3
; WaveLimiterHint : 1
; COMPUTE_PGM_RSRC2:SCRATCH_EN: 0
; COMPUTE_PGM_RSRC2:USER_SGPR: 6
; COMPUTE_PGM_RSRC2:TRAP_HANDLER: 0
; COMPUTE_PGM_RSRC2:TGID_X_EN: 1
; COMPUTE_PGM_RSRC2:TGID_Y_EN: 0
; COMPUTE_PGM_RSRC2:TGID_Z_EN: 0
; COMPUTE_PGM_RSRC2:TIDIG_COMP_CNT: 0
	.section	.text._ZN7rocprim17ROCPRIM_400000_NS6detail17trampoline_kernelINS0_14default_configENS1_25partition_config_selectorILNS1_17partition_subalgoE8EiNS0_10empty_typeEbEEZZNS1_14partition_implILS5_8ELb0ES3_jN6thrust23THRUST_200600_302600_NS10device_ptrIiEEPS6_PKS6_NS0_5tupleIJSC_S6_EEENSG_IJSD_SD_EEENS0_18inequality_wrapperINSA_8equal_toIiEEEEPmJS6_EEE10hipError_tPvRmT3_T4_T5_T6_T7_T9_mT8_P12ihipStream_tbDpT10_ENKUlT_T0_E_clISt17integral_constantIbLb0EES17_EEDaS12_S13_EUlS12_E_NS1_11comp_targetILNS1_3genE10ELNS1_11target_archE1200ELNS1_3gpuE4ELNS1_3repE0EEENS1_30default_config_static_selectorELNS0_4arch9wavefront6targetE1EEEvT1_,"axG",@progbits,_ZN7rocprim17ROCPRIM_400000_NS6detail17trampoline_kernelINS0_14default_configENS1_25partition_config_selectorILNS1_17partition_subalgoE8EiNS0_10empty_typeEbEEZZNS1_14partition_implILS5_8ELb0ES3_jN6thrust23THRUST_200600_302600_NS10device_ptrIiEEPS6_PKS6_NS0_5tupleIJSC_S6_EEENSG_IJSD_SD_EEENS0_18inequality_wrapperINSA_8equal_toIiEEEEPmJS6_EEE10hipError_tPvRmT3_T4_T5_T6_T7_T9_mT8_P12ihipStream_tbDpT10_ENKUlT_T0_E_clISt17integral_constantIbLb0EES17_EEDaS12_S13_EUlS12_E_NS1_11comp_targetILNS1_3genE10ELNS1_11target_archE1200ELNS1_3gpuE4ELNS1_3repE0EEENS1_30default_config_static_selectorELNS0_4arch9wavefront6targetE1EEEvT1_,comdat
	.protected	_ZN7rocprim17ROCPRIM_400000_NS6detail17trampoline_kernelINS0_14default_configENS1_25partition_config_selectorILNS1_17partition_subalgoE8EiNS0_10empty_typeEbEEZZNS1_14partition_implILS5_8ELb0ES3_jN6thrust23THRUST_200600_302600_NS10device_ptrIiEEPS6_PKS6_NS0_5tupleIJSC_S6_EEENSG_IJSD_SD_EEENS0_18inequality_wrapperINSA_8equal_toIiEEEEPmJS6_EEE10hipError_tPvRmT3_T4_T5_T6_T7_T9_mT8_P12ihipStream_tbDpT10_ENKUlT_T0_E_clISt17integral_constantIbLb0EES17_EEDaS12_S13_EUlS12_E_NS1_11comp_targetILNS1_3genE10ELNS1_11target_archE1200ELNS1_3gpuE4ELNS1_3repE0EEENS1_30default_config_static_selectorELNS0_4arch9wavefront6targetE1EEEvT1_ ; -- Begin function _ZN7rocprim17ROCPRIM_400000_NS6detail17trampoline_kernelINS0_14default_configENS1_25partition_config_selectorILNS1_17partition_subalgoE8EiNS0_10empty_typeEbEEZZNS1_14partition_implILS5_8ELb0ES3_jN6thrust23THRUST_200600_302600_NS10device_ptrIiEEPS6_PKS6_NS0_5tupleIJSC_S6_EEENSG_IJSD_SD_EEENS0_18inequality_wrapperINSA_8equal_toIiEEEEPmJS6_EEE10hipError_tPvRmT3_T4_T5_T6_T7_T9_mT8_P12ihipStream_tbDpT10_ENKUlT_T0_E_clISt17integral_constantIbLb0EES17_EEDaS12_S13_EUlS12_E_NS1_11comp_targetILNS1_3genE10ELNS1_11target_archE1200ELNS1_3gpuE4ELNS1_3repE0EEENS1_30default_config_static_selectorELNS0_4arch9wavefront6targetE1EEEvT1_
	.globl	_ZN7rocprim17ROCPRIM_400000_NS6detail17trampoline_kernelINS0_14default_configENS1_25partition_config_selectorILNS1_17partition_subalgoE8EiNS0_10empty_typeEbEEZZNS1_14partition_implILS5_8ELb0ES3_jN6thrust23THRUST_200600_302600_NS10device_ptrIiEEPS6_PKS6_NS0_5tupleIJSC_S6_EEENSG_IJSD_SD_EEENS0_18inequality_wrapperINSA_8equal_toIiEEEEPmJS6_EEE10hipError_tPvRmT3_T4_T5_T6_T7_T9_mT8_P12ihipStream_tbDpT10_ENKUlT_T0_E_clISt17integral_constantIbLb0EES17_EEDaS12_S13_EUlS12_E_NS1_11comp_targetILNS1_3genE10ELNS1_11target_archE1200ELNS1_3gpuE4ELNS1_3repE0EEENS1_30default_config_static_selectorELNS0_4arch9wavefront6targetE1EEEvT1_
	.p2align	8
	.type	_ZN7rocprim17ROCPRIM_400000_NS6detail17trampoline_kernelINS0_14default_configENS1_25partition_config_selectorILNS1_17partition_subalgoE8EiNS0_10empty_typeEbEEZZNS1_14partition_implILS5_8ELb0ES3_jN6thrust23THRUST_200600_302600_NS10device_ptrIiEEPS6_PKS6_NS0_5tupleIJSC_S6_EEENSG_IJSD_SD_EEENS0_18inequality_wrapperINSA_8equal_toIiEEEEPmJS6_EEE10hipError_tPvRmT3_T4_T5_T6_T7_T9_mT8_P12ihipStream_tbDpT10_ENKUlT_T0_E_clISt17integral_constantIbLb0EES17_EEDaS12_S13_EUlS12_E_NS1_11comp_targetILNS1_3genE10ELNS1_11target_archE1200ELNS1_3gpuE4ELNS1_3repE0EEENS1_30default_config_static_selectorELNS0_4arch9wavefront6targetE1EEEvT1_,@function
_ZN7rocprim17ROCPRIM_400000_NS6detail17trampoline_kernelINS0_14default_configENS1_25partition_config_selectorILNS1_17partition_subalgoE8EiNS0_10empty_typeEbEEZZNS1_14partition_implILS5_8ELb0ES3_jN6thrust23THRUST_200600_302600_NS10device_ptrIiEEPS6_PKS6_NS0_5tupleIJSC_S6_EEENSG_IJSD_SD_EEENS0_18inequality_wrapperINSA_8equal_toIiEEEEPmJS6_EEE10hipError_tPvRmT3_T4_T5_T6_T7_T9_mT8_P12ihipStream_tbDpT10_ENKUlT_T0_E_clISt17integral_constantIbLb0EES17_EEDaS12_S13_EUlS12_E_NS1_11comp_targetILNS1_3genE10ELNS1_11target_archE1200ELNS1_3gpuE4ELNS1_3repE0EEENS1_30default_config_static_selectorELNS0_4arch9wavefront6targetE1EEEvT1_: ; @_ZN7rocprim17ROCPRIM_400000_NS6detail17trampoline_kernelINS0_14default_configENS1_25partition_config_selectorILNS1_17partition_subalgoE8EiNS0_10empty_typeEbEEZZNS1_14partition_implILS5_8ELb0ES3_jN6thrust23THRUST_200600_302600_NS10device_ptrIiEEPS6_PKS6_NS0_5tupleIJSC_S6_EEENSG_IJSD_SD_EEENS0_18inequality_wrapperINSA_8equal_toIiEEEEPmJS6_EEE10hipError_tPvRmT3_T4_T5_T6_T7_T9_mT8_P12ihipStream_tbDpT10_ENKUlT_T0_E_clISt17integral_constantIbLb0EES17_EEDaS12_S13_EUlS12_E_NS1_11comp_targetILNS1_3genE10ELNS1_11target_archE1200ELNS1_3gpuE4ELNS1_3repE0EEENS1_30default_config_static_selectorELNS0_4arch9wavefront6targetE1EEEvT1_
; %bb.0:
	.section	.rodata,"a",@progbits
	.p2align	6, 0x0
	.amdhsa_kernel _ZN7rocprim17ROCPRIM_400000_NS6detail17trampoline_kernelINS0_14default_configENS1_25partition_config_selectorILNS1_17partition_subalgoE8EiNS0_10empty_typeEbEEZZNS1_14partition_implILS5_8ELb0ES3_jN6thrust23THRUST_200600_302600_NS10device_ptrIiEEPS6_PKS6_NS0_5tupleIJSC_S6_EEENSG_IJSD_SD_EEENS0_18inequality_wrapperINSA_8equal_toIiEEEEPmJS6_EEE10hipError_tPvRmT3_T4_T5_T6_T7_T9_mT8_P12ihipStream_tbDpT10_ENKUlT_T0_E_clISt17integral_constantIbLb0EES17_EEDaS12_S13_EUlS12_E_NS1_11comp_targetILNS1_3genE10ELNS1_11target_archE1200ELNS1_3gpuE4ELNS1_3repE0EEENS1_30default_config_static_selectorELNS0_4arch9wavefront6targetE1EEEvT1_
		.amdhsa_group_segment_fixed_size 0
		.amdhsa_private_segment_fixed_size 0
		.amdhsa_kernarg_size 112
		.amdhsa_user_sgpr_count 6
		.amdhsa_user_sgpr_private_segment_buffer 1
		.amdhsa_user_sgpr_dispatch_ptr 0
		.amdhsa_user_sgpr_queue_ptr 0
		.amdhsa_user_sgpr_kernarg_segment_ptr 1
		.amdhsa_user_sgpr_dispatch_id 0
		.amdhsa_user_sgpr_flat_scratch_init 0
		.amdhsa_user_sgpr_private_segment_size 0
		.amdhsa_uses_dynamic_stack 0
		.amdhsa_system_sgpr_private_segment_wavefront_offset 0
		.amdhsa_system_sgpr_workgroup_id_x 1
		.amdhsa_system_sgpr_workgroup_id_y 0
		.amdhsa_system_sgpr_workgroup_id_z 0
		.amdhsa_system_sgpr_workgroup_info 0
		.amdhsa_system_vgpr_workitem_id 0
		.amdhsa_next_free_vgpr 1
		.amdhsa_next_free_sgpr 0
		.amdhsa_reserve_vcc 0
		.amdhsa_reserve_flat_scratch 0
		.amdhsa_float_round_mode_32 0
		.amdhsa_float_round_mode_16_64 0
		.amdhsa_float_denorm_mode_32 3
		.amdhsa_float_denorm_mode_16_64 3
		.amdhsa_dx10_clamp 1
		.amdhsa_ieee_mode 1
		.amdhsa_fp16_overflow 0
		.amdhsa_exception_fp_ieee_invalid_op 0
		.amdhsa_exception_fp_denorm_src 0
		.amdhsa_exception_fp_ieee_div_zero 0
		.amdhsa_exception_fp_ieee_overflow 0
		.amdhsa_exception_fp_ieee_underflow 0
		.amdhsa_exception_fp_ieee_inexact 0
		.amdhsa_exception_int_div_zero 0
	.end_amdhsa_kernel
	.section	.text._ZN7rocprim17ROCPRIM_400000_NS6detail17trampoline_kernelINS0_14default_configENS1_25partition_config_selectorILNS1_17partition_subalgoE8EiNS0_10empty_typeEbEEZZNS1_14partition_implILS5_8ELb0ES3_jN6thrust23THRUST_200600_302600_NS10device_ptrIiEEPS6_PKS6_NS0_5tupleIJSC_S6_EEENSG_IJSD_SD_EEENS0_18inequality_wrapperINSA_8equal_toIiEEEEPmJS6_EEE10hipError_tPvRmT3_T4_T5_T6_T7_T9_mT8_P12ihipStream_tbDpT10_ENKUlT_T0_E_clISt17integral_constantIbLb0EES17_EEDaS12_S13_EUlS12_E_NS1_11comp_targetILNS1_3genE10ELNS1_11target_archE1200ELNS1_3gpuE4ELNS1_3repE0EEENS1_30default_config_static_selectorELNS0_4arch9wavefront6targetE1EEEvT1_,"axG",@progbits,_ZN7rocprim17ROCPRIM_400000_NS6detail17trampoline_kernelINS0_14default_configENS1_25partition_config_selectorILNS1_17partition_subalgoE8EiNS0_10empty_typeEbEEZZNS1_14partition_implILS5_8ELb0ES3_jN6thrust23THRUST_200600_302600_NS10device_ptrIiEEPS6_PKS6_NS0_5tupleIJSC_S6_EEENSG_IJSD_SD_EEENS0_18inequality_wrapperINSA_8equal_toIiEEEEPmJS6_EEE10hipError_tPvRmT3_T4_T5_T6_T7_T9_mT8_P12ihipStream_tbDpT10_ENKUlT_T0_E_clISt17integral_constantIbLb0EES17_EEDaS12_S13_EUlS12_E_NS1_11comp_targetILNS1_3genE10ELNS1_11target_archE1200ELNS1_3gpuE4ELNS1_3repE0EEENS1_30default_config_static_selectorELNS0_4arch9wavefront6targetE1EEEvT1_,comdat
.Lfunc_end1036:
	.size	_ZN7rocprim17ROCPRIM_400000_NS6detail17trampoline_kernelINS0_14default_configENS1_25partition_config_selectorILNS1_17partition_subalgoE8EiNS0_10empty_typeEbEEZZNS1_14partition_implILS5_8ELb0ES3_jN6thrust23THRUST_200600_302600_NS10device_ptrIiEEPS6_PKS6_NS0_5tupleIJSC_S6_EEENSG_IJSD_SD_EEENS0_18inequality_wrapperINSA_8equal_toIiEEEEPmJS6_EEE10hipError_tPvRmT3_T4_T5_T6_T7_T9_mT8_P12ihipStream_tbDpT10_ENKUlT_T0_E_clISt17integral_constantIbLb0EES17_EEDaS12_S13_EUlS12_E_NS1_11comp_targetILNS1_3genE10ELNS1_11target_archE1200ELNS1_3gpuE4ELNS1_3repE0EEENS1_30default_config_static_selectorELNS0_4arch9wavefront6targetE1EEEvT1_, .Lfunc_end1036-_ZN7rocprim17ROCPRIM_400000_NS6detail17trampoline_kernelINS0_14default_configENS1_25partition_config_selectorILNS1_17partition_subalgoE8EiNS0_10empty_typeEbEEZZNS1_14partition_implILS5_8ELb0ES3_jN6thrust23THRUST_200600_302600_NS10device_ptrIiEEPS6_PKS6_NS0_5tupleIJSC_S6_EEENSG_IJSD_SD_EEENS0_18inequality_wrapperINSA_8equal_toIiEEEEPmJS6_EEE10hipError_tPvRmT3_T4_T5_T6_T7_T9_mT8_P12ihipStream_tbDpT10_ENKUlT_T0_E_clISt17integral_constantIbLb0EES17_EEDaS12_S13_EUlS12_E_NS1_11comp_targetILNS1_3genE10ELNS1_11target_archE1200ELNS1_3gpuE4ELNS1_3repE0EEENS1_30default_config_static_selectorELNS0_4arch9wavefront6targetE1EEEvT1_
                                        ; -- End function
	.set _ZN7rocprim17ROCPRIM_400000_NS6detail17trampoline_kernelINS0_14default_configENS1_25partition_config_selectorILNS1_17partition_subalgoE8EiNS0_10empty_typeEbEEZZNS1_14partition_implILS5_8ELb0ES3_jN6thrust23THRUST_200600_302600_NS10device_ptrIiEEPS6_PKS6_NS0_5tupleIJSC_S6_EEENSG_IJSD_SD_EEENS0_18inequality_wrapperINSA_8equal_toIiEEEEPmJS6_EEE10hipError_tPvRmT3_T4_T5_T6_T7_T9_mT8_P12ihipStream_tbDpT10_ENKUlT_T0_E_clISt17integral_constantIbLb0EES17_EEDaS12_S13_EUlS12_E_NS1_11comp_targetILNS1_3genE10ELNS1_11target_archE1200ELNS1_3gpuE4ELNS1_3repE0EEENS1_30default_config_static_selectorELNS0_4arch9wavefront6targetE1EEEvT1_.num_vgpr, 0
	.set _ZN7rocprim17ROCPRIM_400000_NS6detail17trampoline_kernelINS0_14default_configENS1_25partition_config_selectorILNS1_17partition_subalgoE8EiNS0_10empty_typeEbEEZZNS1_14partition_implILS5_8ELb0ES3_jN6thrust23THRUST_200600_302600_NS10device_ptrIiEEPS6_PKS6_NS0_5tupleIJSC_S6_EEENSG_IJSD_SD_EEENS0_18inequality_wrapperINSA_8equal_toIiEEEEPmJS6_EEE10hipError_tPvRmT3_T4_T5_T6_T7_T9_mT8_P12ihipStream_tbDpT10_ENKUlT_T0_E_clISt17integral_constantIbLb0EES17_EEDaS12_S13_EUlS12_E_NS1_11comp_targetILNS1_3genE10ELNS1_11target_archE1200ELNS1_3gpuE4ELNS1_3repE0EEENS1_30default_config_static_selectorELNS0_4arch9wavefront6targetE1EEEvT1_.num_agpr, 0
	.set _ZN7rocprim17ROCPRIM_400000_NS6detail17trampoline_kernelINS0_14default_configENS1_25partition_config_selectorILNS1_17partition_subalgoE8EiNS0_10empty_typeEbEEZZNS1_14partition_implILS5_8ELb0ES3_jN6thrust23THRUST_200600_302600_NS10device_ptrIiEEPS6_PKS6_NS0_5tupleIJSC_S6_EEENSG_IJSD_SD_EEENS0_18inequality_wrapperINSA_8equal_toIiEEEEPmJS6_EEE10hipError_tPvRmT3_T4_T5_T6_T7_T9_mT8_P12ihipStream_tbDpT10_ENKUlT_T0_E_clISt17integral_constantIbLb0EES17_EEDaS12_S13_EUlS12_E_NS1_11comp_targetILNS1_3genE10ELNS1_11target_archE1200ELNS1_3gpuE4ELNS1_3repE0EEENS1_30default_config_static_selectorELNS0_4arch9wavefront6targetE1EEEvT1_.numbered_sgpr, 0
	.set _ZN7rocprim17ROCPRIM_400000_NS6detail17trampoline_kernelINS0_14default_configENS1_25partition_config_selectorILNS1_17partition_subalgoE8EiNS0_10empty_typeEbEEZZNS1_14partition_implILS5_8ELb0ES3_jN6thrust23THRUST_200600_302600_NS10device_ptrIiEEPS6_PKS6_NS0_5tupleIJSC_S6_EEENSG_IJSD_SD_EEENS0_18inequality_wrapperINSA_8equal_toIiEEEEPmJS6_EEE10hipError_tPvRmT3_T4_T5_T6_T7_T9_mT8_P12ihipStream_tbDpT10_ENKUlT_T0_E_clISt17integral_constantIbLb0EES17_EEDaS12_S13_EUlS12_E_NS1_11comp_targetILNS1_3genE10ELNS1_11target_archE1200ELNS1_3gpuE4ELNS1_3repE0EEENS1_30default_config_static_selectorELNS0_4arch9wavefront6targetE1EEEvT1_.num_named_barrier, 0
	.set _ZN7rocprim17ROCPRIM_400000_NS6detail17trampoline_kernelINS0_14default_configENS1_25partition_config_selectorILNS1_17partition_subalgoE8EiNS0_10empty_typeEbEEZZNS1_14partition_implILS5_8ELb0ES3_jN6thrust23THRUST_200600_302600_NS10device_ptrIiEEPS6_PKS6_NS0_5tupleIJSC_S6_EEENSG_IJSD_SD_EEENS0_18inequality_wrapperINSA_8equal_toIiEEEEPmJS6_EEE10hipError_tPvRmT3_T4_T5_T6_T7_T9_mT8_P12ihipStream_tbDpT10_ENKUlT_T0_E_clISt17integral_constantIbLb0EES17_EEDaS12_S13_EUlS12_E_NS1_11comp_targetILNS1_3genE10ELNS1_11target_archE1200ELNS1_3gpuE4ELNS1_3repE0EEENS1_30default_config_static_selectorELNS0_4arch9wavefront6targetE1EEEvT1_.private_seg_size, 0
	.set _ZN7rocprim17ROCPRIM_400000_NS6detail17trampoline_kernelINS0_14default_configENS1_25partition_config_selectorILNS1_17partition_subalgoE8EiNS0_10empty_typeEbEEZZNS1_14partition_implILS5_8ELb0ES3_jN6thrust23THRUST_200600_302600_NS10device_ptrIiEEPS6_PKS6_NS0_5tupleIJSC_S6_EEENSG_IJSD_SD_EEENS0_18inequality_wrapperINSA_8equal_toIiEEEEPmJS6_EEE10hipError_tPvRmT3_T4_T5_T6_T7_T9_mT8_P12ihipStream_tbDpT10_ENKUlT_T0_E_clISt17integral_constantIbLb0EES17_EEDaS12_S13_EUlS12_E_NS1_11comp_targetILNS1_3genE10ELNS1_11target_archE1200ELNS1_3gpuE4ELNS1_3repE0EEENS1_30default_config_static_selectorELNS0_4arch9wavefront6targetE1EEEvT1_.uses_vcc, 0
	.set _ZN7rocprim17ROCPRIM_400000_NS6detail17trampoline_kernelINS0_14default_configENS1_25partition_config_selectorILNS1_17partition_subalgoE8EiNS0_10empty_typeEbEEZZNS1_14partition_implILS5_8ELb0ES3_jN6thrust23THRUST_200600_302600_NS10device_ptrIiEEPS6_PKS6_NS0_5tupleIJSC_S6_EEENSG_IJSD_SD_EEENS0_18inequality_wrapperINSA_8equal_toIiEEEEPmJS6_EEE10hipError_tPvRmT3_T4_T5_T6_T7_T9_mT8_P12ihipStream_tbDpT10_ENKUlT_T0_E_clISt17integral_constantIbLb0EES17_EEDaS12_S13_EUlS12_E_NS1_11comp_targetILNS1_3genE10ELNS1_11target_archE1200ELNS1_3gpuE4ELNS1_3repE0EEENS1_30default_config_static_selectorELNS0_4arch9wavefront6targetE1EEEvT1_.uses_flat_scratch, 0
	.set _ZN7rocprim17ROCPRIM_400000_NS6detail17trampoline_kernelINS0_14default_configENS1_25partition_config_selectorILNS1_17partition_subalgoE8EiNS0_10empty_typeEbEEZZNS1_14partition_implILS5_8ELb0ES3_jN6thrust23THRUST_200600_302600_NS10device_ptrIiEEPS6_PKS6_NS0_5tupleIJSC_S6_EEENSG_IJSD_SD_EEENS0_18inequality_wrapperINSA_8equal_toIiEEEEPmJS6_EEE10hipError_tPvRmT3_T4_T5_T6_T7_T9_mT8_P12ihipStream_tbDpT10_ENKUlT_T0_E_clISt17integral_constantIbLb0EES17_EEDaS12_S13_EUlS12_E_NS1_11comp_targetILNS1_3genE10ELNS1_11target_archE1200ELNS1_3gpuE4ELNS1_3repE0EEENS1_30default_config_static_selectorELNS0_4arch9wavefront6targetE1EEEvT1_.has_dyn_sized_stack, 0
	.set _ZN7rocprim17ROCPRIM_400000_NS6detail17trampoline_kernelINS0_14default_configENS1_25partition_config_selectorILNS1_17partition_subalgoE8EiNS0_10empty_typeEbEEZZNS1_14partition_implILS5_8ELb0ES3_jN6thrust23THRUST_200600_302600_NS10device_ptrIiEEPS6_PKS6_NS0_5tupleIJSC_S6_EEENSG_IJSD_SD_EEENS0_18inequality_wrapperINSA_8equal_toIiEEEEPmJS6_EEE10hipError_tPvRmT3_T4_T5_T6_T7_T9_mT8_P12ihipStream_tbDpT10_ENKUlT_T0_E_clISt17integral_constantIbLb0EES17_EEDaS12_S13_EUlS12_E_NS1_11comp_targetILNS1_3genE10ELNS1_11target_archE1200ELNS1_3gpuE4ELNS1_3repE0EEENS1_30default_config_static_selectorELNS0_4arch9wavefront6targetE1EEEvT1_.has_recursion, 0
	.set _ZN7rocprim17ROCPRIM_400000_NS6detail17trampoline_kernelINS0_14default_configENS1_25partition_config_selectorILNS1_17partition_subalgoE8EiNS0_10empty_typeEbEEZZNS1_14partition_implILS5_8ELb0ES3_jN6thrust23THRUST_200600_302600_NS10device_ptrIiEEPS6_PKS6_NS0_5tupleIJSC_S6_EEENSG_IJSD_SD_EEENS0_18inequality_wrapperINSA_8equal_toIiEEEEPmJS6_EEE10hipError_tPvRmT3_T4_T5_T6_T7_T9_mT8_P12ihipStream_tbDpT10_ENKUlT_T0_E_clISt17integral_constantIbLb0EES17_EEDaS12_S13_EUlS12_E_NS1_11comp_targetILNS1_3genE10ELNS1_11target_archE1200ELNS1_3gpuE4ELNS1_3repE0EEENS1_30default_config_static_selectorELNS0_4arch9wavefront6targetE1EEEvT1_.has_indirect_call, 0
	.section	.AMDGPU.csdata,"",@progbits
; Kernel info:
; codeLenInByte = 0
; TotalNumSgprs: 4
; NumVgprs: 0
; ScratchSize: 0
; MemoryBound: 0
; FloatMode: 240
; IeeeMode: 1
; LDSByteSize: 0 bytes/workgroup (compile time only)
; SGPRBlocks: 0
; VGPRBlocks: 0
; NumSGPRsForWavesPerEU: 4
; NumVGPRsForWavesPerEU: 1
; Occupancy: 10
; WaveLimiterHint : 0
; COMPUTE_PGM_RSRC2:SCRATCH_EN: 0
; COMPUTE_PGM_RSRC2:USER_SGPR: 6
; COMPUTE_PGM_RSRC2:TRAP_HANDLER: 0
; COMPUTE_PGM_RSRC2:TGID_X_EN: 1
; COMPUTE_PGM_RSRC2:TGID_Y_EN: 0
; COMPUTE_PGM_RSRC2:TGID_Z_EN: 0
; COMPUTE_PGM_RSRC2:TIDIG_COMP_CNT: 0
	.section	.text._ZN7rocprim17ROCPRIM_400000_NS6detail17trampoline_kernelINS0_14default_configENS1_25partition_config_selectorILNS1_17partition_subalgoE8EiNS0_10empty_typeEbEEZZNS1_14partition_implILS5_8ELb0ES3_jN6thrust23THRUST_200600_302600_NS10device_ptrIiEEPS6_PKS6_NS0_5tupleIJSC_S6_EEENSG_IJSD_SD_EEENS0_18inequality_wrapperINSA_8equal_toIiEEEEPmJS6_EEE10hipError_tPvRmT3_T4_T5_T6_T7_T9_mT8_P12ihipStream_tbDpT10_ENKUlT_T0_E_clISt17integral_constantIbLb0EES17_EEDaS12_S13_EUlS12_E_NS1_11comp_targetILNS1_3genE9ELNS1_11target_archE1100ELNS1_3gpuE3ELNS1_3repE0EEENS1_30default_config_static_selectorELNS0_4arch9wavefront6targetE1EEEvT1_,"axG",@progbits,_ZN7rocprim17ROCPRIM_400000_NS6detail17trampoline_kernelINS0_14default_configENS1_25partition_config_selectorILNS1_17partition_subalgoE8EiNS0_10empty_typeEbEEZZNS1_14partition_implILS5_8ELb0ES3_jN6thrust23THRUST_200600_302600_NS10device_ptrIiEEPS6_PKS6_NS0_5tupleIJSC_S6_EEENSG_IJSD_SD_EEENS0_18inequality_wrapperINSA_8equal_toIiEEEEPmJS6_EEE10hipError_tPvRmT3_T4_T5_T6_T7_T9_mT8_P12ihipStream_tbDpT10_ENKUlT_T0_E_clISt17integral_constantIbLb0EES17_EEDaS12_S13_EUlS12_E_NS1_11comp_targetILNS1_3genE9ELNS1_11target_archE1100ELNS1_3gpuE3ELNS1_3repE0EEENS1_30default_config_static_selectorELNS0_4arch9wavefront6targetE1EEEvT1_,comdat
	.protected	_ZN7rocprim17ROCPRIM_400000_NS6detail17trampoline_kernelINS0_14default_configENS1_25partition_config_selectorILNS1_17partition_subalgoE8EiNS0_10empty_typeEbEEZZNS1_14partition_implILS5_8ELb0ES3_jN6thrust23THRUST_200600_302600_NS10device_ptrIiEEPS6_PKS6_NS0_5tupleIJSC_S6_EEENSG_IJSD_SD_EEENS0_18inequality_wrapperINSA_8equal_toIiEEEEPmJS6_EEE10hipError_tPvRmT3_T4_T5_T6_T7_T9_mT8_P12ihipStream_tbDpT10_ENKUlT_T0_E_clISt17integral_constantIbLb0EES17_EEDaS12_S13_EUlS12_E_NS1_11comp_targetILNS1_3genE9ELNS1_11target_archE1100ELNS1_3gpuE3ELNS1_3repE0EEENS1_30default_config_static_selectorELNS0_4arch9wavefront6targetE1EEEvT1_ ; -- Begin function _ZN7rocprim17ROCPRIM_400000_NS6detail17trampoline_kernelINS0_14default_configENS1_25partition_config_selectorILNS1_17partition_subalgoE8EiNS0_10empty_typeEbEEZZNS1_14partition_implILS5_8ELb0ES3_jN6thrust23THRUST_200600_302600_NS10device_ptrIiEEPS6_PKS6_NS0_5tupleIJSC_S6_EEENSG_IJSD_SD_EEENS0_18inequality_wrapperINSA_8equal_toIiEEEEPmJS6_EEE10hipError_tPvRmT3_T4_T5_T6_T7_T9_mT8_P12ihipStream_tbDpT10_ENKUlT_T0_E_clISt17integral_constantIbLb0EES17_EEDaS12_S13_EUlS12_E_NS1_11comp_targetILNS1_3genE9ELNS1_11target_archE1100ELNS1_3gpuE3ELNS1_3repE0EEENS1_30default_config_static_selectorELNS0_4arch9wavefront6targetE1EEEvT1_
	.globl	_ZN7rocprim17ROCPRIM_400000_NS6detail17trampoline_kernelINS0_14default_configENS1_25partition_config_selectorILNS1_17partition_subalgoE8EiNS0_10empty_typeEbEEZZNS1_14partition_implILS5_8ELb0ES3_jN6thrust23THRUST_200600_302600_NS10device_ptrIiEEPS6_PKS6_NS0_5tupleIJSC_S6_EEENSG_IJSD_SD_EEENS0_18inequality_wrapperINSA_8equal_toIiEEEEPmJS6_EEE10hipError_tPvRmT3_T4_T5_T6_T7_T9_mT8_P12ihipStream_tbDpT10_ENKUlT_T0_E_clISt17integral_constantIbLb0EES17_EEDaS12_S13_EUlS12_E_NS1_11comp_targetILNS1_3genE9ELNS1_11target_archE1100ELNS1_3gpuE3ELNS1_3repE0EEENS1_30default_config_static_selectorELNS0_4arch9wavefront6targetE1EEEvT1_
	.p2align	8
	.type	_ZN7rocprim17ROCPRIM_400000_NS6detail17trampoline_kernelINS0_14default_configENS1_25partition_config_selectorILNS1_17partition_subalgoE8EiNS0_10empty_typeEbEEZZNS1_14partition_implILS5_8ELb0ES3_jN6thrust23THRUST_200600_302600_NS10device_ptrIiEEPS6_PKS6_NS0_5tupleIJSC_S6_EEENSG_IJSD_SD_EEENS0_18inequality_wrapperINSA_8equal_toIiEEEEPmJS6_EEE10hipError_tPvRmT3_T4_T5_T6_T7_T9_mT8_P12ihipStream_tbDpT10_ENKUlT_T0_E_clISt17integral_constantIbLb0EES17_EEDaS12_S13_EUlS12_E_NS1_11comp_targetILNS1_3genE9ELNS1_11target_archE1100ELNS1_3gpuE3ELNS1_3repE0EEENS1_30default_config_static_selectorELNS0_4arch9wavefront6targetE1EEEvT1_,@function
_ZN7rocprim17ROCPRIM_400000_NS6detail17trampoline_kernelINS0_14default_configENS1_25partition_config_selectorILNS1_17partition_subalgoE8EiNS0_10empty_typeEbEEZZNS1_14partition_implILS5_8ELb0ES3_jN6thrust23THRUST_200600_302600_NS10device_ptrIiEEPS6_PKS6_NS0_5tupleIJSC_S6_EEENSG_IJSD_SD_EEENS0_18inequality_wrapperINSA_8equal_toIiEEEEPmJS6_EEE10hipError_tPvRmT3_T4_T5_T6_T7_T9_mT8_P12ihipStream_tbDpT10_ENKUlT_T0_E_clISt17integral_constantIbLb0EES17_EEDaS12_S13_EUlS12_E_NS1_11comp_targetILNS1_3genE9ELNS1_11target_archE1100ELNS1_3gpuE3ELNS1_3repE0EEENS1_30default_config_static_selectorELNS0_4arch9wavefront6targetE1EEEvT1_: ; @_ZN7rocprim17ROCPRIM_400000_NS6detail17trampoline_kernelINS0_14default_configENS1_25partition_config_selectorILNS1_17partition_subalgoE8EiNS0_10empty_typeEbEEZZNS1_14partition_implILS5_8ELb0ES3_jN6thrust23THRUST_200600_302600_NS10device_ptrIiEEPS6_PKS6_NS0_5tupleIJSC_S6_EEENSG_IJSD_SD_EEENS0_18inequality_wrapperINSA_8equal_toIiEEEEPmJS6_EEE10hipError_tPvRmT3_T4_T5_T6_T7_T9_mT8_P12ihipStream_tbDpT10_ENKUlT_T0_E_clISt17integral_constantIbLb0EES17_EEDaS12_S13_EUlS12_E_NS1_11comp_targetILNS1_3genE9ELNS1_11target_archE1100ELNS1_3gpuE3ELNS1_3repE0EEENS1_30default_config_static_selectorELNS0_4arch9wavefront6targetE1EEEvT1_
; %bb.0:
	.section	.rodata,"a",@progbits
	.p2align	6, 0x0
	.amdhsa_kernel _ZN7rocprim17ROCPRIM_400000_NS6detail17trampoline_kernelINS0_14default_configENS1_25partition_config_selectorILNS1_17partition_subalgoE8EiNS0_10empty_typeEbEEZZNS1_14partition_implILS5_8ELb0ES3_jN6thrust23THRUST_200600_302600_NS10device_ptrIiEEPS6_PKS6_NS0_5tupleIJSC_S6_EEENSG_IJSD_SD_EEENS0_18inequality_wrapperINSA_8equal_toIiEEEEPmJS6_EEE10hipError_tPvRmT3_T4_T5_T6_T7_T9_mT8_P12ihipStream_tbDpT10_ENKUlT_T0_E_clISt17integral_constantIbLb0EES17_EEDaS12_S13_EUlS12_E_NS1_11comp_targetILNS1_3genE9ELNS1_11target_archE1100ELNS1_3gpuE3ELNS1_3repE0EEENS1_30default_config_static_selectorELNS0_4arch9wavefront6targetE1EEEvT1_
		.amdhsa_group_segment_fixed_size 0
		.amdhsa_private_segment_fixed_size 0
		.amdhsa_kernarg_size 112
		.amdhsa_user_sgpr_count 6
		.amdhsa_user_sgpr_private_segment_buffer 1
		.amdhsa_user_sgpr_dispatch_ptr 0
		.amdhsa_user_sgpr_queue_ptr 0
		.amdhsa_user_sgpr_kernarg_segment_ptr 1
		.amdhsa_user_sgpr_dispatch_id 0
		.amdhsa_user_sgpr_flat_scratch_init 0
		.amdhsa_user_sgpr_private_segment_size 0
		.amdhsa_uses_dynamic_stack 0
		.amdhsa_system_sgpr_private_segment_wavefront_offset 0
		.amdhsa_system_sgpr_workgroup_id_x 1
		.amdhsa_system_sgpr_workgroup_id_y 0
		.amdhsa_system_sgpr_workgroup_id_z 0
		.amdhsa_system_sgpr_workgroup_info 0
		.amdhsa_system_vgpr_workitem_id 0
		.amdhsa_next_free_vgpr 1
		.amdhsa_next_free_sgpr 0
		.amdhsa_reserve_vcc 0
		.amdhsa_reserve_flat_scratch 0
		.amdhsa_float_round_mode_32 0
		.amdhsa_float_round_mode_16_64 0
		.amdhsa_float_denorm_mode_32 3
		.amdhsa_float_denorm_mode_16_64 3
		.amdhsa_dx10_clamp 1
		.amdhsa_ieee_mode 1
		.amdhsa_fp16_overflow 0
		.amdhsa_exception_fp_ieee_invalid_op 0
		.amdhsa_exception_fp_denorm_src 0
		.amdhsa_exception_fp_ieee_div_zero 0
		.amdhsa_exception_fp_ieee_overflow 0
		.amdhsa_exception_fp_ieee_underflow 0
		.amdhsa_exception_fp_ieee_inexact 0
		.amdhsa_exception_int_div_zero 0
	.end_amdhsa_kernel
	.section	.text._ZN7rocprim17ROCPRIM_400000_NS6detail17trampoline_kernelINS0_14default_configENS1_25partition_config_selectorILNS1_17partition_subalgoE8EiNS0_10empty_typeEbEEZZNS1_14partition_implILS5_8ELb0ES3_jN6thrust23THRUST_200600_302600_NS10device_ptrIiEEPS6_PKS6_NS0_5tupleIJSC_S6_EEENSG_IJSD_SD_EEENS0_18inequality_wrapperINSA_8equal_toIiEEEEPmJS6_EEE10hipError_tPvRmT3_T4_T5_T6_T7_T9_mT8_P12ihipStream_tbDpT10_ENKUlT_T0_E_clISt17integral_constantIbLb0EES17_EEDaS12_S13_EUlS12_E_NS1_11comp_targetILNS1_3genE9ELNS1_11target_archE1100ELNS1_3gpuE3ELNS1_3repE0EEENS1_30default_config_static_selectorELNS0_4arch9wavefront6targetE1EEEvT1_,"axG",@progbits,_ZN7rocprim17ROCPRIM_400000_NS6detail17trampoline_kernelINS0_14default_configENS1_25partition_config_selectorILNS1_17partition_subalgoE8EiNS0_10empty_typeEbEEZZNS1_14partition_implILS5_8ELb0ES3_jN6thrust23THRUST_200600_302600_NS10device_ptrIiEEPS6_PKS6_NS0_5tupleIJSC_S6_EEENSG_IJSD_SD_EEENS0_18inequality_wrapperINSA_8equal_toIiEEEEPmJS6_EEE10hipError_tPvRmT3_T4_T5_T6_T7_T9_mT8_P12ihipStream_tbDpT10_ENKUlT_T0_E_clISt17integral_constantIbLb0EES17_EEDaS12_S13_EUlS12_E_NS1_11comp_targetILNS1_3genE9ELNS1_11target_archE1100ELNS1_3gpuE3ELNS1_3repE0EEENS1_30default_config_static_selectorELNS0_4arch9wavefront6targetE1EEEvT1_,comdat
.Lfunc_end1037:
	.size	_ZN7rocprim17ROCPRIM_400000_NS6detail17trampoline_kernelINS0_14default_configENS1_25partition_config_selectorILNS1_17partition_subalgoE8EiNS0_10empty_typeEbEEZZNS1_14partition_implILS5_8ELb0ES3_jN6thrust23THRUST_200600_302600_NS10device_ptrIiEEPS6_PKS6_NS0_5tupleIJSC_S6_EEENSG_IJSD_SD_EEENS0_18inequality_wrapperINSA_8equal_toIiEEEEPmJS6_EEE10hipError_tPvRmT3_T4_T5_T6_T7_T9_mT8_P12ihipStream_tbDpT10_ENKUlT_T0_E_clISt17integral_constantIbLb0EES17_EEDaS12_S13_EUlS12_E_NS1_11comp_targetILNS1_3genE9ELNS1_11target_archE1100ELNS1_3gpuE3ELNS1_3repE0EEENS1_30default_config_static_selectorELNS0_4arch9wavefront6targetE1EEEvT1_, .Lfunc_end1037-_ZN7rocprim17ROCPRIM_400000_NS6detail17trampoline_kernelINS0_14default_configENS1_25partition_config_selectorILNS1_17partition_subalgoE8EiNS0_10empty_typeEbEEZZNS1_14partition_implILS5_8ELb0ES3_jN6thrust23THRUST_200600_302600_NS10device_ptrIiEEPS6_PKS6_NS0_5tupleIJSC_S6_EEENSG_IJSD_SD_EEENS0_18inequality_wrapperINSA_8equal_toIiEEEEPmJS6_EEE10hipError_tPvRmT3_T4_T5_T6_T7_T9_mT8_P12ihipStream_tbDpT10_ENKUlT_T0_E_clISt17integral_constantIbLb0EES17_EEDaS12_S13_EUlS12_E_NS1_11comp_targetILNS1_3genE9ELNS1_11target_archE1100ELNS1_3gpuE3ELNS1_3repE0EEENS1_30default_config_static_selectorELNS0_4arch9wavefront6targetE1EEEvT1_
                                        ; -- End function
	.set _ZN7rocprim17ROCPRIM_400000_NS6detail17trampoline_kernelINS0_14default_configENS1_25partition_config_selectorILNS1_17partition_subalgoE8EiNS0_10empty_typeEbEEZZNS1_14partition_implILS5_8ELb0ES3_jN6thrust23THRUST_200600_302600_NS10device_ptrIiEEPS6_PKS6_NS0_5tupleIJSC_S6_EEENSG_IJSD_SD_EEENS0_18inequality_wrapperINSA_8equal_toIiEEEEPmJS6_EEE10hipError_tPvRmT3_T4_T5_T6_T7_T9_mT8_P12ihipStream_tbDpT10_ENKUlT_T0_E_clISt17integral_constantIbLb0EES17_EEDaS12_S13_EUlS12_E_NS1_11comp_targetILNS1_3genE9ELNS1_11target_archE1100ELNS1_3gpuE3ELNS1_3repE0EEENS1_30default_config_static_selectorELNS0_4arch9wavefront6targetE1EEEvT1_.num_vgpr, 0
	.set _ZN7rocprim17ROCPRIM_400000_NS6detail17trampoline_kernelINS0_14default_configENS1_25partition_config_selectorILNS1_17partition_subalgoE8EiNS0_10empty_typeEbEEZZNS1_14partition_implILS5_8ELb0ES3_jN6thrust23THRUST_200600_302600_NS10device_ptrIiEEPS6_PKS6_NS0_5tupleIJSC_S6_EEENSG_IJSD_SD_EEENS0_18inequality_wrapperINSA_8equal_toIiEEEEPmJS6_EEE10hipError_tPvRmT3_T4_T5_T6_T7_T9_mT8_P12ihipStream_tbDpT10_ENKUlT_T0_E_clISt17integral_constantIbLb0EES17_EEDaS12_S13_EUlS12_E_NS1_11comp_targetILNS1_3genE9ELNS1_11target_archE1100ELNS1_3gpuE3ELNS1_3repE0EEENS1_30default_config_static_selectorELNS0_4arch9wavefront6targetE1EEEvT1_.num_agpr, 0
	.set _ZN7rocprim17ROCPRIM_400000_NS6detail17trampoline_kernelINS0_14default_configENS1_25partition_config_selectorILNS1_17partition_subalgoE8EiNS0_10empty_typeEbEEZZNS1_14partition_implILS5_8ELb0ES3_jN6thrust23THRUST_200600_302600_NS10device_ptrIiEEPS6_PKS6_NS0_5tupleIJSC_S6_EEENSG_IJSD_SD_EEENS0_18inequality_wrapperINSA_8equal_toIiEEEEPmJS6_EEE10hipError_tPvRmT3_T4_T5_T6_T7_T9_mT8_P12ihipStream_tbDpT10_ENKUlT_T0_E_clISt17integral_constantIbLb0EES17_EEDaS12_S13_EUlS12_E_NS1_11comp_targetILNS1_3genE9ELNS1_11target_archE1100ELNS1_3gpuE3ELNS1_3repE0EEENS1_30default_config_static_selectorELNS0_4arch9wavefront6targetE1EEEvT1_.numbered_sgpr, 0
	.set _ZN7rocprim17ROCPRIM_400000_NS6detail17trampoline_kernelINS0_14default_configENS1_25partition_config_selectorILNS1_17partition_subalgoE8EiNS0_10empty_typeEbEEZZNS1_14partition_implILS5_8ELb0ES3_jN6thrust23THRUST_200600_302600_NS10device_ptrIiEEPS6_PKS6_NS0_5tupleIJSC_S6_EEENSG_IJSD_SD_EEENS0_18inequality_wrapperINSA_8equal_toIiEEEEPmJS6_EEE10hipError_tPvRmT3_T4_T5_T6_T7_T9_mT8_P12ihipStream_tbDpT10_ENKUlT_T0_E_clISt17integral_constantIbLb0EES17_EEDaS12_S13_EUlS12_E_NS1_11comp_targetILNS1_3genE9ELNS1_11target_archE1100ELNS1_3gpuE3ELNS1_3repE0EEENS1_30default_config_static_selectorELNS0_4arch9wavefront6targetE1EEEvT1_.num_named_barrier, 0
	.set _ZN7rocprim17ROCPRIM_400000_NS6detail17trampoline_kernelINS0_14default_configENS1_25partition_config_selectorILNS1_17partition_subalgoE8EiNS0_10empty_typeEbEEZZNS1_14partition_implILS5_8ELb0ES3_jN6thrust23THRUST_200600_302600_NS10device_ptrIiEEPS6_PKS6_NS0_5tupleIJSC_S6_EEENSG_IJSD_SD_EEENS0_18inequality_wrapperINSA_8equal_toIiEEEEPmJS6_EEE10hipError_tPvRmT3_T4_T5_T6_T7_T9_mT8_P12ihipStream_tbDpT10_ENKUlT_T0_E_clISt17integral_constantIbLb0EES17_EEDaS12_S13_EUlS12_E_NS1_11comp_targetILNS1_3genE9ELNS1_11target_archE1100ELNS1_3gpuE3ELNS1_3repE0EEENS1_30default_config_static_selectorELNS0_4arch9wavefront6targetE1EEEvT1_.private_seg_size, 0
	.set _ZN7rocprim17ROCPRIM_400000_NS6detail17trampoline_kernelINS0_14default_configENS1_25partition_config_selectorILNS1_17partition_subalgoE8EiNS0_10empty_typeEbEEZZNS1_14partition_implILS5_8ELb0ES3_jN6thrust23THRUST_200600_302600_NS10device_ptrIiEEPS6_PKS6_NS0_5tupleIJSC_S6_EEENSG_IJSD_SD_EEENS0_18inequality_wrapperINSA_8equal_toIiEEEEPmJS6_EEE10hipError_tPvRmT3_T4_T5_T6_T7_T9_mT8_P12ihipStream_tbDpT10_ENKUlT_T0_E_clISt17integral_constantIbLb0EES17_EEDaS12_S13_EUlS12_E_NS1_11comp_targetILNS1_3genE9ELNS1_11target_archE1100ELNS1_3gpuE3ELNS1_3repE0EEENS1_30default_config_static_selectorELNS0_4arch9wavefront6targetE1EEEvT1_.uses_vcc, 0
	.set _ZN7rocprim17ROCPRIM_400000_NS6detail17trampoline_kernelINS0_14default_configENS1_25partition_config_selectorILNS1_17partition_subalgoE8EiNS0_10empty_typeEbEEZZNS1_14partition_implILS5_8ELb0ES3_jN6thrust23THRUST_200600_302600_NS10device_ptrIiEEPS6_PKS6_NS0_5tupleIJSC_S6_EEENSG_IJSD_SD_EEENS0_18inequality_wrapperINSA_8equal_toIiEEEEPmJS6_EEE10hipError_tPvRmT3_T4_T5_T6_T7_T9_mT8_P12ihipStream_tbDpT10_ENKUlT_T0_E_clISt17integral_constantIbLb0EES17_EEDaS12_S13_EUlS12_E_NS1_11comp_targetILNS1_3genE9ELNS1_11target_archE1100ELNS1_3gpuE3ELNS1_3repE0EEENS1_30default_config_static_selectorELNS0_4arch9wavefront6targetE1EEEvT1_.uses_flat_scratch, 0
	.set _ZN7rocprim17ROCPRIM_400000_NS6detail17trampoline_kernelINS0_14default_configENS1_25partition_config_selectorILNS1_17partition_subalgoE8EiNS0_10empty_typeEbEEZZNS1_14partition_implILS5_8ELb0ES3_jN6thrust23THRUST_200600_302600_NS10device_ptrIiEEPS6_PKS6_NS0_5tupleIJSC_S6_EEENSG_IJSD_SD_EEENS0_18inequality_wrapperINSA_8equal_toIiEEEEPmJS6_EEE10hipError_tPvRmT3_T4_T5_T6_T7_T9_mT8_P12ihipStream_tbDpT10_ENKUlT_T0_E_clISt17integral_constantIbLb0EES17_EEDaS12_S13_EUlS12_E_NS1_11comp_targetILNS1_3genE9ELNS1_11target_archE1100ELNS1_3gpuE3ELNS1_3repE0EEENS1_30default_config_static_selectorELNS0_4arch9wavefront6targetE1EEEvT1_.has_dyn_sized_stack, 0
	.set _ZN7rocprim17ROCPRIM_400000_NS6detail17trampoline_kernelINS0_14default_configENS1_25partition_config_selectorILNS1_17partition_subalgoE8EiNS0_10empty_typeEbEEZZNS1_14partition_implILS5_8ELb0ES3_jN6thrust23THRUST_200600_302600_NS10device_ptrIiEEPS6_PKS6_NS0_5tupleIJSC_S6_EEENSG_IJSD_SD_EEENS0_18inequality_wrapperINSA_8equal_toIiEEEEPmJS6_EEE10hipError_tPvRmT3_T4_T5_T6_T7_T9_mT8_P12ihipStream_tbDpT10_ENKUlT_T0_E_clISt17integral_constantIbLb0EES17_EEDaS12_S13_EUlS12_E_NS1_11comp_targetILNS1_3genE9ELNS1_11target_archE1100ELNS1_3gpuE3ELNS1_3repE0EEENS1_30default_config_static_selectorELNS0_4arch9wavefront6targetE1EEEvT1_.has_recursion, 0
	.set _ZN7rocprim17ROCPRIM_400000_NS6detail17trampoline_kernelINS0_14default_configENS1_25partition_config_selectorILNS1_17partition_subalgoE8EiNS0_10empty_typeEbEEZZNS1_14partition_implILS5_8ELb0ES3_jN6thrust23THRUST_200600_302600_NS10device_ptrIiEEPS6_PKS6_NS0_5tupleIJSC_S6_EEENSG_IJSD_SD_EEENS0_18inequality_wrapperINSA_8equal_toIiEEEEPmJS6_EEE10hipError_tPvRmT3_T4_T5_T6_T7_T9_mT8_P12ihipStream_tbDpT10_ENKUlT_T0_E_clISt17integral_constantIbLb0EES17_EEDaS12_S13_EUlS12_E_NS1_11comp_targetILNS1_3genE9ELNS1_11target_archE1100ELNS1_3gpuE3ELNS1_3repE0EEENS1_30default_config_static_selectorELNS0_4arch9wavefront6targetE1EEEvT1_.has_indirect_call, 0
	.section	.AMDGPU.csdata,"",@progbits
; Kernel info:
; codeLenInByte = 0
; TotalNumSgprs: 4
; NumVgprs: 0
; ScratchSize: 0
; MemoryBound: 0
; FloatMode: 240
; IeeeMode: 1
; LDSByteSize: 0 bytes/workgroup (compile time only)
; SGPRBlocks: 0
; VGPRBlocks: 0
; NumSGPRsForWavesPerEU: 4
; NumVGPRsForWavesPerEU: 1
; Occupancy: 10
; WaveLimiterHint : 0
; COMPUTE_PGM_RSRC2:SCRATCH_EN: 0
; COMPUTE_PGM_RSRC2:USER_SGPR: 6
; COMPUTE_PGM_RSRC2:TRAP_HANDLER: 0
; COMPUTE_PGM_RSRC2:TGID_X_EN: 1
; COMPUTE_PGM_RSRC2:TGID_Y_EN: 0
; COMPUTE_PGM_RSRC2:TGID_Z_EN: 0
; COMPUTE_PGM_RSRC2:TIDIG_COMP_CNT: 0
	.section	.text._ZN7rocprim17ROCPRIM_400000_NS6detail17trampoline_kernelINS0_14default_configENS1_25partition_config_selectorILNS1_17partition_subalgoE8EiNS0_10empty_typeEbEEZZNS1_14partition_implILS5_8ELb0ES3_jN6thrust23THRUST_200600_302600_NS10device_ptrIiEEPS6_PKS6_NS0_5tupleIJSC_S6_EEENSG_IJSD_SD_EEENS0_18inequality_wrapperINSA_8equal_toIiEEEEPmJS6_EEE10hipError_tPvRmT3_T4_T5_T6_T7_T9_mT8_P12ihipStream_tbDpT10_ENKUlT_T0_E_clISt17integral_constantIbLb0EES17_EEDaS12_S13_EUlS12_E_NS1_11comp_targetILNS1_3genE8ELNS1_11target_archE1030ELNS1_3gpuE2ELNS1_3repE0EEENS1_30default_config_static_selectorELNS0_4arch9wavefront6targetE1EEEvT1_,"axG",@progbits,_ZN7rocprim17ROCPRIM_400000_NS6detail17trampoline_kernelINS0_14default_configENS1_25partition_config_selectorILNS1_17partition_subalgoE8EiNS0_10empty_typeEbEEZZNS1_14partition_implILS5_8ELb0ES3_jN6thrust23THRUST_200600_302600_NS10device_ptrIiEEPS6_PKS6_NS0_5tupleIJSC_S6_EEENSG_IJSD_SD_EEENS0_18inequality_wrapperINSA_8equal_toIiEEEEPmJS6_EEE10hipError_tPvRmT3_T4_T5_T6_T7_T9_mT8_P12ihipStream_tbDpT10_ENKUlT_T0_E_clISt17integral_constantIbLb0EES17_EEDaS12_S13_EUlS12_E_NS1_11comp_targetILNS1_3genE8ELNS1_11target_archE1030ELNS1_3gpuE2ELNS1_3repE0EEENS1_30default_config_static_selectorELNS0_4arch9wavefront6targetE1EEEvT1_,comdat
	.protected	_ZN7rocprim17ROCPRIM_400000_NS6detail17trampoline_kernelINS0_14default_configENS1_25partition_config_selectorILNS1_17partition_subalgoE8EiNS0_10empty_typeEbEEZZNS1_14partition_implILS5_8ELb0ES3_jN6thrust23THRUST_200600_302600_NS10device_ptrIiEEPS6_PKS6_NS0_5tupleIJSC_S6_EEENSG_IJSD_SD_EEENS0_18inequality_wrapperINSA_8equal_toIiEEEEPmJS6_EEE10hipError_tPvRmT3_T4_T5_T6_T7_T9_mT8_P12ihipStream_tbDpT10_ENKUlT_T0_E_clISt17integral_constantIbLb0EES17_EEDaS12_S13_EUlS12_E_NS1_11comp_targetILNS1_3genE8ELNS1_11target_archE1030ELNS1_3gpuE2ELNS1_3repE0EEENS1_30default_config_static_selectorELNS0_4arch9wavefront6targetE1EEEvT1_ ; -- Begin function _ZN7rocprim17ROCPRIM_400000_NS6detail17trampoline_kernelINS0_14default_configENS1_25partition_config_selectorILNS1_17partition_subalgoE8EiNS0_10empty_typeEbEEZZNS1_14partition_implILS5_8ELb0ES3_jN6thrust23THRUST_200600_302600_NS10device_ptrIiEEPS6_PKS6_NS0_5tupleIJSC_S6_EEENSG_IJSD_SD_EEENS0_18inequality_wrapperINSA_8equal_toIiEEEEPmJS6_EEE10hipError_tPvRmT3_T4_T5_T6_T7_T9_mT8_P12ihipStream_tbDpT10_ENKUlT_T0_E_clISt17integral_constantIbLb0EES17_EEDaS12_S13_EUlS12_E_NS1_11comp_targetILNS1_3genE8ELNS1_11target_archE1030ELNS1_3gpuE2ELNS1_3repE0EEENS1_30default_config_static_selectorELNS0_4arch9wavefront6targetE1EEEvT1_
	.globl	_ZN7rocprim17ROCPRIM_400000_NS6detail17trampoline_kernelINS0_14default_configENS1_25partition_config_selectorILNS1_17partition_subalgoE8EiNS0_10empty_typeEbEEZZNS1_14partition_implILS5_8ELb0ES3_jN6thrust23THRUST_200600_302600_NS10device_ptrIiEEPS6_PKS6_NS0_5tupleIJSC_S6_EEENSG_IJSD_SD_EEENS0_18inequality_wrapperINSA_8equal_toIiEEEEPmJS6_EEE10hipError_tPvRmT3_T4_T5_T6_T7_T9_mT8_P12ihipStream_tbDpT10_ENKUlT_T0_E_clISt17integral_constantIbLb0EES17_EEDaS12_S13_EUlS12_E_NS1_11comp_targetILNS1_3genE8ELNS1_11target_archE1030ELNS1_3gpuE2ELNS1_3repE0EEENS1_30default_config_static_selectorELNS0_4arch9wavefront6targetE1EEEvT1_
	.p2align	8
	.type	_ZN7rocprim17ROCPRIM_400000_NS6detail17trampoline_kernelINS0_14default_configENS1_25partition_config_selectorILNS1_17partition_subalgoE8EiNS0_10empty_typeEbEEZZNS1_14partition_implILS5_8ELb0ES3_jN6thrust23THRUST_200600_302600_NS10device_ptrIiEEPS6_PKS6_NS0_5tupleIJSC_S6_EEENSG_IJSD_SD_EEENS0_18inequality_wrapperINSA_8equal_toIiEEEEPmJS6_EEE10hipError_tPvRmT3_T4_T5_T6_T7_T9_mT8_P12ihipStream_tbDpT10_ENKUlT_T0_E_clISt17integral_constantIbLb0EES17_EEDaS12_S13_EUlS12_E_NS1_11comp_targetILNS1_3genE8ELNS1_11target_archE1030ELNS1_3gpuE2ELNS1_3repE0EEENS1_30default_config_static_selectorELNS0_4arch9wavefront6targetE1EEEvT1_,@function
_ZN7rocprim17ROCPRIM_400000_NS6detail17trampoline_kernelINS0_14default_configENS1_25partition_config_selectorILNS1_17partition_subalgoE8EiNS0_10empty_typeEbEEZZNS1_14partition_implILS5_8ELb0ES3_jN6thrust23THRUST_200600_302600_NS10device_ptrIiEEPS6_PKS6_NS0_5tupleIJSC_S6_EEENSG_IJSD_SD_EEENS0_18inequality_wrapperINSA_8equal_toIiEEEEPmJS6_EEE10hipError_tPvRmT3_T4_T5_T6_T7_T9_mT8_P12ihipStream_tbDpT10_ENKUlT_T0_E_clISt17integral_constantIbLb0EES17_EEDaS12_S13_EUlS12_E_NS1_11comp_targetILNS1_3genE8ELNS1_11target_archE1030ELNS1_3gpuE2ELNS1_3repE0EEENS1_30default_config_static_selectorELNS0_4arch9wavefront6targetE1EEEvT1_: ; @_ZN7rocprim17ROCPRIM_400000_NS6detail17trampoline_kernelINS0_14default_configENS1_25partition_config_selectorILNS1_17partition_subalgoE8EiNS0_10empty_typeEbEEZZNS1_14partition_implILS5_8ELb0ES3_jN6thrust23THRUST_200600_302600_NS10device_ptrIiEEPS6_PKS6_NS0_5tupleIJSC_S6_EEENSG_IJSD_SD_EEENS0_18inequality_wrapperINSA_8equal_toIiEEEEPmJS6_EEE10hipError_tPvRmT3_T4_T5_T6_T7_T9_mT8_P12ihipStream_tbDpT10_ENKUlT_T0_E_clISt17integral_constantIbLb0EES17_EEDaS12_S13_EUlS12_E_NS1_11comp_targetILNS1_3genE8ELNS1_11target_archE1030ELNS1_3gpuE2ELNS1_3repE0EEENS1_30default_config_static_selectorELNS0_4arch9wavefront6targetE1EEEvT1_
; %bb.0:
	.section	.rodata,"a",@progbits
	.p2align	6, 0x0
	.amdhsa_kernel _ZN7rocprim17ROCPRIM_400000_NS6detail17trampoline_kernelINS0_14default_configENS1_25partition_config_selectorILNS1_17partition_subalgoE8EiNS0_10empty_typeEbEEZZNS1_14partition_implILS5_8ELb0ES3_jN6thrust23THRUST_200600_302600_NS10device_ptrIiEEPS6_PKS6_NS0_5tupleIJSC_S6_EEENSG_IJSD_SD_EEENS0_18inequality_wrapperINSA_8equal_toIiEEEEPmJS6_EEE10hipError_tPvRmT3_T4_T5_T6_T7_T9_mT8_P12ihipStream_tbDpT10_ENKUlT_T0_E_clISt17integral_constantIbLb0EES17_EEDaS12_S13_EUlS12_E_NS1_11comp_targetILNS1_3genE8ELNS1_11target_archE1030ELNS1_3gpuE2ELNS1_3repE0EEENS1_30default_config_static_selectorELNS0_4arch9wavefront6targetE1EEEvT1_
		.amdhsa_group_segment_fixed_size 0
		.amdhsa_private_segment_fixed_size 0
		.amdhsa_kernarg_size 112
		.amdhsa_user_sgpr_count 6
		.amdhsa_user_sgpr_private_segment_buffer 1
		.amdhsa_user_sgpr_dispatch_ptr 0
		.amdhsa_user_sgpr_queue_ptr 0
		.amdhsa_user_sgpr_kernarg_segment_ptr 1
		.amdhsa_user_sgpr_dispatch_id 0
		.amdhsa_user_sgpr_flat_scratch_init 0
		.amdhsa_user_sgpr_private_segment_size 0
		.amdhsa_uses_dynamic_stack 0
		.amdhsa_system_sgpr_private_segment_wavefront_offset 0
		.amdhsa_system_sgpr_workgroup_id_x 1
		.amdhsa_system_sgpr_workgroup_id_y 0
		.amdhsa_system_sgpr_workgroup_id_z 0
		.amdhsa_system_sgpr_workgroup_info 0
		.amdhsa_system_vgpr_workitem_id 0
		.amdhsa_next_free_vgpr 1
		.amdhsa_next_free_sgpr 0
		.amdhsa_reserve_vcc 0
		.amdhsa_reserve_flat_scratch 0
		.amdhsa_float_round_mode_32 0
		.amdhsa_float_round_mode_16_64 0
		.amdhsa_float_denorm_mode_32 3
		.amdhsa_float_denorm_mode_16_64 3
		.amdhsa_dx10_clamp 1
		.amdhsa_ieee_mode 1
		.amdhsa_fp16_overflow 0
		.amdhsa_exception_fp_ieee_invalid_op 0
		.amdhsa_exception_fp_denorm_src 0
		.amdhsa_exception_fp_ieee_div_zero 0
		.amdhsa_exception_fp_ieee_overflow 0
		.amdhsa_exception_fp_ieee_underflow 0
		.amdhsa_exception_fp_ieee_inexact 0
		.amdhsa_exception_int_div_zero 0
	.end_amdhsa_kernel
	.section	.text._ZN7rocprim17ROCPRIM_400000_NS6detail17trampoline_kernelINS0_14default_configENS1_25partition_config_selectorILNS1_17partition_subalgoE8EiNS0_10empty_typeEbEEZZNS1_14partition_implILS5_8ELb0ES3_jN6thrust23THRUST_200600_302600_NS10device_ptrIiEEPS6_PKS6_NS0_5tupleIJSC_S6_EEENSG_IJSD_SD_EEENS0_18inequality_wrapperINSA_8equal_toIiEEEEPmJS6_EEE10hipError_tPvRmT3_T4_T5_T6_T7_T9_mT8_P12ihipStream_tbDpT10_ENKUlT_T0_E_clISt17integral_constantIbLb0EES17_EEDaS12_S13_EUlS12_E_NS1_11comp_targetILNS1_3genE8ELNS1_11target_archE1030ELNS1_3gpuE2ELNS1_3repE0EEENS1_30default_config_static_selectorELNS0_4arch9wavefront6targetE1EEEvT1_,"axG",@progbits,_ZN7rocprim17ROCPRIM_400000_NS6detail17trampoline_kernelINS0_14default_configENS1_25partition_config_selectorILNS1_17partition_subalgoE8EiNS0_10empty_typeEbEEZZNS1_14partition_implILS5_8ELb0ES3_jN6thrust23THRUST_200600_302600_NS10device_ptrIiEEPS6_PKS6_NS0_5tupleIJSC_S6_EEENSG_IJSD_SD_EEENS0_18inequality_wrapperINSA_8equal_toIiEEEEPmJS6_EEE10hipError_tPvRmT3_T4_T5_T6_T7_T9_mT8_P12ihipStream_tbDpT10_ENKUlT_T0_E_clISt17integral_constantIbLb0EES17_EEDaS12_S13_EUlS12_E_NS1_11comp_targetILNS1_3genE8ELNS1_11target_archE1030ELNS1_3gpuE2ELNS1_3repE0EEENS1_30default_config_static_selectorELNS0_4arch9wavefront6targetE1EEEvT1_,comdat
.Lfunc_end1038:
	.size	_ZN7rocprim17ROCPRIM_400000_NS6detail17trampoline_kernelINS0_14default_configENS1_25partition_config_selectorILNS1_17partition_subalgoE8EiNS0_10empty_typeEbEEZZNS1_14partition_implILS5_8ELb0ES3_jN6thrust23THRUST_200600_302600_NS10device_ptrIiEEPS6_PKS6_NS0_5tupleIJSC_S6_EEENSG_IJSD_SD_EEENS0_18inequality_wrapperINSA_8equal_toIiEEEEPmJS6_EEE10hipError_tPvRmT3_T4_T5_T6_T7_T9_mT8_P12ihipStream_tbDpT10_ENKUlT_T0_E_clISt17integral_constantIbLb0EES17_EEDaS12_S13_EUlS12_E_NS1_11comp_targetILNS1_3genE8ELNS1_11target_archE1030ELNS1_3gpuE2ELNS1_3repE0EEENS1_30default_config_static_selectorELNS0_4arch9wavefront6targetE1EEEvT1_, .Lfunc_end1038-_ZN7rocprim17ROCPRIM_400000_NS6detail17trampoline_kernelINS0_14default_configENS1_25partition_config_selectorILNS1_17partition_subalgoE8EiNS0_10empty_typeEbEEZZNS1_14partition_implILS5_8ELb0ES3_jN6thrust23THRUST_200600_302600_NS10device_ptrIiEEPS6_PKS6_NS0_5tupleIJSC_S6_EEENSG_IJSD_SD_EEENS0_18inequality_wrapperINSA_8equal_toIiEEEEPmJS6_EEE10hipError_tPvRmT3_T4_T5_T6_T7_T9_mT8_P12ihipStream_tbDpT10_ENKUlT_T0_E_clISt17integral_constantIbLb0EES17_EEDaS12_S13_EUlS12_E_NS1_11comp_targetILNS1_3genE8ELNS1_11target_archE1030ELNS1_3gpuE2ELNS1_3repE0EEENS1_30default_config_static_selectorELNS0_4arch9wavefront6targetE1EEEvT1_
                                        ; -- End function
	.set _ZN7rocprim17ROCPRIM_400000_NS6detail17trampoline_kernelINS0_14default_configENS1_25partition_config_selectorILNS1_17partition_subalgoE8EiNS0_10empty_typeEbEEZZNS1_14partition_implILS5_8ELb0ES3_jN6thrust23THRUST_200600_302600_NS10device_ptrIiEEPS6_PKS6_NS0_5tupleIJSC_S6_EEENSG_IJSD_SD_EEENS0_18inequality_wrapperINSA_8equal_toIiEEEEPmJS6_EEE10hipError_tPvRmT3_T4_T5_T6_T7_T9_mT8_P12ihipStream_tbDpT10_ENKUlT_T0_E_clISt17integral_constantIbLb0EES17_EEDaS12_S13_EUlS12_E_NS1_11comp_targetILNS1_3genE8ELNS1_11target_archE1030ELNS1_3gpuE2ELNS1_3repE0EEENS1_30default_config_static_selectorELNS0_4arch9wavefront6targetE1EEEvT1_.num_vgpr, 0
	.set _ZN7rocprim17ROCPRIM_400000_NS6detail17trampoline_kernelINS0_14default_configENS1_25partition_config_selectorILNS1_17partition_subalgoE8EiNS0_10empty_typeEbEEZZNS1_14partition_implILS5_8ELb0ES3_jN6thrust23THRUST_200600_302600_NS10device_ptrIiEEPS6_PKS6_NS0_5tupleIJSC_S6_EEENSG_IJSD_SD_EEENS0_18inequality_wrapperINSA_8equal_toIiEEEEPmJS6_EEE10hipError_tPvRmT3_T4_T5_T6_T7_T9_mT8_P12ihipStream_tbDpT10_ENKUlT_T0_E_clISt17integral_constantIbLb0EES17_EEDaS12_S13_EUlS12_E_NS1_11comp_targetILNS1_3genE8ELNS1_11target_archE1030ELNS1_3gpuE2ELNS1_3repE0EEENS1_30default_config_static_selectorELNS0_4arch9wavefront6targetE1EEEvT1_.num_agpr, 0
	.set _ZN7rocprim17ROCPRIM_400000_NS6detail17trampoline_kernelINS0_14default_configENS1_25partition_config_selectorILNS1_17partition_subalgoE8EiNS0_10empty_typeEbEEZZNS1_14partition_implILS5_8ELb0ES3_jN6thrust23THRUST_200600_302600_NS10device_ptrIiEEPS6_PKS6_NS0_5tupleIJSC_S6_EEENSG_IJSD_SD_EEENS0_18inequality_wrapperINSA_8equal_toIiEEEEPmJS6_EEE10hipError_tPvRmT3_T4_T5_T6_T7_T9_mT8_P12ihipStream_tbDpT10_ENKUlT_T0_E_clISt17integral_constantIbLb0EES17_EEDaS12_S13_EUlS12_E_NS1_11comp_targetILNS1_3genE8ELNS1_11target_archE1030ELNS1_3gpuE2ELNS1_3repE0EEENS1_30default_config_static_selectorELNS0_4arch9wavefront6targetE1EEEvT1_.numbered_sgpr, 0
	.set _ZN7rocprim17ROCPRIM_400000_NS6detail17trampoline_kernelINS0_14default_configENS1_25partition_config_selectorILNS1_17partition_subalgoE8EiNS0_10empty_typeEbEEZZNS1_14partition_implILS5_8ELb0ES3_jN6thrust23THRUST_200600_302600_NS10device_ptrIiEEPS6_PKS6_NS0_5tupleIJSC_S6_EEENSG_IJSD_SD_EEENS0_18inequality_wrapperINSA_8equal_toIiEEEEPmJS6_EEE10hipError_tPvRmT3_T4_T5_T6_T7_T9_mT8_P12ihipStream_tbDpT10_ENKUlT_T0_E_clISt17integral_constantIbLb0EES17_EEDaS12_S13_EUlS12_E_NS1_11comp_targetILNS1_3genE8ELNS1_11target_archE1030ELNS1_3gpuE2ELNS1_3repE0EEENS1_30default_config_static_selectorELNS0_4arch9wavefront6targetE1EEEvT1_.num_named_barrier, 0
	.set _ZN7rocprim17ROCPRIM_400000_NS6detail17trampoline_kernelINS0_14default_configENS1_25partition_config_selectorILNS1_17partition_subalgoE8EiNS0_10empty_typeEbEEZZNS1_14partition_implILS5_8ELb0ES3_jN6thrust23THRUST_200600_302600_NS10device_ptrIiEEPS6_PKS6_NS0_5tupleIJSC_S6_EEENSG_IJSD_SD_EEENS0_18inequality_wrapperINSA_8equal_toIiEEEEPmJS6_EEE10hipError_tPvRmT3_T4_T5_T6_T7_T9_mT8_P12ihipStream_tbDpT10_ENKUlT_T0_E_clISt17integral_constantIbLb0EES17_EEDaS12_S13_EUlS12_E_NS1_11comp_targetILNS1_3genE8ELNS1_11target_archE1030ELNS1_3gpuE2ELNS1_3repE0EEENS1_30default_config_static_selectorELNS0_4arch9wavefront6targetE1EEEvT1_.private_seg_size, 0
	.set _ZN7rocprim17ROCPRIM_400000_NS6detail17trampoline_kernelINS0_14default_configENS1_25partition_config_selectorILNS1_17partition_subalgoE8EiNS0_10empty_typeEbEEZZNS1_14partition_implILS5_8ELb0ES3_jN6thrust23THRUST_200600_302600_NS10device_ptrIiEEPS6_PKS6_NS0_5tupleIJSC_S6_EEENSG_IJSD_SD_EEENS0_18inequality_wrapperINSA_8equal_toIiEEEEPmJS6_EEE10hipError_tPvRmT3_T4_T5_T6_T7_T9_mT8_P12ihipStream_tbDpT10_ENKUlT_T0_E_clISt17integral_constantIbLb0EES17_EEDaS12_S13_EUlS12_E_NS1_11comp_targetILNS1_3genE8ELNS1_11target_archE1030ELNS1_3gpuE2ELNS1_3repE0EEENS1_30default_config_static_selectorELNS0_4arch9wavefront6targetE1EEEvT1_.uses_vcc, 0
	.set _ZN7rocprim17ROCPRIM_400000_NS6detail17trampoline_kernelINS0_14default_configENS1_25partition_config_selectorILNS1_17partition_subalgoE8EiNS0_10empty_typeEbEEZZNS1_14partition_implILS5_8ELb0ES3_jN6thrust23THRUST_200600_302600_NS10device_ptrIiEEPS6_PKS6_NS0_5tupleIJSC_S6_EEENSG_IJSD_SD_EEENS0_18inequality_wrapperINSA_8equal_toIiEEEEPmJS6_EEE10hipError_tPvRmT3_T4_T5_T6_T7_T9_mT8_P12ihipStream_tbDpT10_ENKUlT_T0_E_clISt17integral_constantIbLb0EES17_EEDaS12_S13_EUlS12_E_NS1_11comp_targetILNS1_3genE8ELNS1_11target_archE1030ELNS1_3gpuE2ELNS1_3repE0EEENS1_30default_config_static_selectorELNS0_4arch9wavefront6targetE1EEEvT1_.uses_flat_scratch, 0
	.set _ZN7rocprim17ROCPRIM_400000_NS6detail17trampoline_kernelINS0_14default_configENS1_25partition_config_selectorILNS1_17partition_subalgoE8EiNS0_10empty_typeEbEEZZNS1_14partition_implILS5_8ELb0ES3_jN6thrust23THRUST_200600_302600_NS10device_ptrIiEEPS6_PKS6_NS0_5tupleIJSC_S6_EEENSG_IJSD_SD_EEENS0_18inequality_wrapperINSA_8equal_toIiEEEEPmJS6_EEE10hipError_tPvRmT3_T4_T5_T6_T7_T9_mT8_P12ihipStream_tbDpT10_ENKUlT_T0_E_clISt17integral_constantIbLb0EES17_EEDaS12_S13_EUlS12_E_NS1_11comp_targetILNS1_3genE8ELNS1_11target_archE1030ELNS1_3gpuE2ELNS1_3repE0EEENS1_30default_config_static_selectorELNS0_4arch9wavefront6targetE1EEEvT1_.has_dyn_sized_stack, 0
	.set _ZN7rocprim17ROCPRIM_400000_NS6detail17trampoline_kernelINS0_14default_configENS1_25partition_config_selectorILNS1_17partition_subalgoE8EiNS0_10empty_typeEbEEZZNS1_14partition_implILS5_8ELb0ES3_jN6thrust23THRUST_200600_302600_NS10device_ptrIiEEPS6_PKS6_NS0_5tupleIJSC_S6_EEENSG_IJSD_SD_EEENS0_18inequality_wrapperINSA_8equal_toIiEEEEPmJS6_EEE10hipError_tPvRmT3_T4_T5_T6_T7_T9_mT8_P12ihipStream_tbDpT10_ENKUlT_T0_E_clISt17integral_constantIbLb0EES17_EEDaS12_S13_EUlS12_E_NS1_11comp_targetILNS1_3genE8ELNS1_11target_archE1030ELNS1_3gpuE2ELNS1_3repE0EEENS1_30default_config_static_selectorELNS0_4arch9wavefront6targetE1EEEvT1_.has_recursion, 0
	.set _ZN7rocprim17ROCPRIM_400000_NS6detail17trampoline_kernelINS0_14default_configENS1_25partition_config_selectorILNS1_17partition_subalgoE8EiNS0_10empty_typeEbEEZZNS1_14partition_implILS5_8ELb0ES3_jN6thrust23THRUST_200600_302600_NS10device_ptrIiEEPS6_PKS6_NS0_5tupleIJSC_S6_EEENSG_IJSD_SD_EEENS0_18inequality_wrapperINSA_8equal_toIiEEEEPmJS6_EEE10hipError_tPvRmT3_T4_T5_T6_T7_T9_mT8_P12ihipStream_tbDpT10_ENKUlT_T0_E_clISt17integral_constantIbLb0EES17_EEDaS12_S13_EUlS12_E_NS1_11comp_targetILNS1_3genE8ELNS1_11target_archE1030ELNS1_3gpuE2ELNS1_3repE0EEENS1_30default_config_static_selectorELNS0_4arch9wavefront6targetE1EEEvT1_.has_indirect_call, 0
	.section	.AMDGPU.csdata,"",@progbits
; Kernel info:
; codeLenInByte = 0
; TotalNumSgprs: 4
; NumVgprs: 0
; ScratchSize: 0
; MemoryBound: 0
; FloatMode: 240
; IeeeMode: 1
; LDSByteSize: 0 bytes/workgroup (compile time only)
; SGPRBlocks: 0
; VGPRBlocks: 0
; NumSGPRsForWavesPerEU: 4
; NumVGPRsForWavesPerEU: 1
; Occupancy: 10
; WaveLimiterHint : 0
; COMPUTE_PGM_RSRC2:SCRATCH_EN: 0
; COMPUTE_PGM_RSRC2:USER_SGPR: 6
; COMPUTE_PGM_RSRC2:TRAP_HANDLER: 0
; COMPUTE_PGM_RSRC2:TGID_X_EN: 1
; COMPUTE_PGM_RSRC2:TGID_Y_EN: 0
; COMPUTE_PGM_RSRC2:TGID_Z_EN: 0
; COMPUTE_PGM_RSRC2:TIDIG_COMP_CNT: 0
	.section	.text._ZN7rocprim17ROCPRIM_400000_NS6detail17trampoline_kernelINS0_14default_configENS1_25partition_config_selectorILNS1_17partition_subalgoE8EiNS0_10empty_typeEbEEZZNS1_14partition_implILS5_8ELb0ES3_jN6thrust23THRUST_200600_302600_NS10device_ptrIiEEPS6_PKS6_NS0_5tupleIJSC_S6_EEENSG_IJSD_SD_EEENS0_18inequality_wrapperINSA_8equal_toIiEEEEPmJS6_EEE10hipError_tPvRmT3_T4_T5_T6_T7_T9_mT8_P12ihipStream_tbDpT10_ENKUlT_T0_E_clISt17integral_constantIbLb1EES17_EEDaS12_S13_EUlS12_E_NS1_11comp_targetILNS1_3genE0ELNS1_11target_archE4294967295ELNS1_3gpuE0ELNS1_3repE0EEENS1_30default_config_static_selectorELNS0_4arch9wavefront6targetE1EEEvT1_,"axG",@progbits,_ZN7rocprim17ROCPRIM_400000_NS6detail17trampoline_kernelINS0_14default_configENS1_25partition_config_selectorILNS1_17partition_subalgoE8EiNS0_10empty_typeEbEEZZNS1_14partition_implILS5_8ELb0ES3_jN6thrust23THRUST_200600_302600_NS10device_ptrIiEEPS6_PKS6_NS0_5tupleIJSC_S6_EEENSG_IJSD_SD_EEENS0_18inequality_wrapperINSA_8equal_toIiEEEEPmJS6_EEE10hipError_tPvRmT3_T4_T5_T6_T7_T9_mT8_P12ihipStream_tbDpT10_ENKUlT_T0_E_clISt17integral_constantIbLb1EES17_EEDaS12_S13_EUlS12_E_NS1_11comp_targetILNS1_3genE0ELNS1_11target_archE4294967295ELNS1_3gpuE0ELNS1_3repE0EEENS1_30default_config_static_selectorELNS0_4arch9wavefront6targetE1EEEvT1_,comdat
	.protected	_ZN7rocprim17ROCPRIM_400000_NS6detail17trampoline_kernelINS0_14default_configENS1_25partition_config_selectorILNS1_17partition_subalgoE8EiNS0_10empty_typeEbEEZZNS1_14partition_implILS5_8ELb0ES3_jN6thrust23THRUST_200600_302600_NS10device_ptrIiEEPS6_PKS6_NS0_5tupleIJSC_S6_EEENSG_IJSD_SD_EEENS0_18inequality_wrapperINSA_8equal_toIiEEEEPmJS6_EEE10hipError_tPvRmT3_T4_T5_T6_T7_T9_mT8_P12ihipStream_tbDpT10_ENKUlT_T0_E_clISt17integral_constantIbLb1EES17_EEDaS12_S13_EUlS12_E_NS1_11comp_targetILNS1_3genE0ELNS1_11target_archE4294967295ELNS1_3gpuE0ELNS1_3repE0EEENS1_30default_config_static_selectorELNS0_4arch9wavefront6targetE1EEEvT1_ ; -- Begin function _ZN7rocprim17ROCPRIM_400000_NS6detail17trampoline_kernelINS0_14default_configENS1_25partition_config_selectorILNS1_17partition_subalgoE8EiNS0_10empty_typeEbEEZZNS1_14partition_implILS5_8ELb0ES3_jN6thrust23THRUST_200600_302600_NS10device_ptrIiEEPS6_PKS6_NS0_5tupleIJSC_S6_EEENSG_IJSD_SD_EEENS0_18inequality_wrapperINSA_8equal_toIiEEEEPmJS6_EEE10hipError_tPvRmT3_T4_T5_T6_T7_T9_mT8_P12ihipStream_tbDpT10_ENKUlT_T0_E_clISt17integral_constantIbLb1EES17_EEDaS12_S13_EUlS12_E_NS1_11comp_targetILNS1_3genE0ELNS1_11target_archE4294967295ELNS1_3gpuE0ELNS1_3repE0EEENS1_30default_config_static_selectorELNS0_4arch9wavefront6targetE1EEEvT1_
	.globl	_ZN7rocprim17ROCPRIM_400000_NS6detail17trampoline_kernelINS0_14default_configENS1_25partition_config_selectorILNS1_17partition_subalgoE8EiNS0_10empty_typeEbEEZZNS1_14partition_implILS5_8ELb0ES3_jN6thrust23THRUST_200600_302600_NS10device_ptrIiEEPS6_PKS6_NS0_5tupleIJSC_S6_EEENSG_IJSD_SD_EEENS0_18inequality_wrapperINSA_8equal_toIiEEEEPmJS6_EEE10hipError_tPvRmT3_T4_T5_T6_T7_T9_mT8_P12ihipStream_tbDpT10_ENKUlT_T0_E_clISt17integral_constantIbLb1EES17_EEDaS12_S13_EUlS12_E_NS1_11comp_targetILNS1_3genE0ELNS1_11target_archE4294967295ELNS1_3gpuE0ELNS1_3repE0EEENS1_30default_config_static_selectorELNS0_4arch9wavefront6targetE1EEEvT1_
	.p2align	8
	.type	_ZN7rocprim17ROCPRIM_400000_NS6detail17trampoline_kernelINS0_14default_configENS1_25partition_config_selectorILNS1_17partition_subalgoE8EiNS0_10empty_typeEbEEZZNS1_14partition_implILS5_8ELb0ES3_jN6thrust23THRUST_200600_302600_NS10device_ptrIiEEPS6_PKS6_NS0_5tupleIJSC_S6_EEENSG_IJSD_SD_EEENS0_18inequality_wrapperINSA_8equal_toIiEEEEPmJS6_EEE10hipError_tPvRmT3_T4_T5_T6_T7_T9_mT8_P12ihipStream_tbDpT10_ENKUlT_T0_E_clISt17integral_constantIbLb1EES17_EEDaS12_S13_EUlS12_E_NS1_11comp_targetILNS1_3genE0ELNS1_11target_archE4294967295ELNS1_3gpuE0ELNS1_3repE0EEENS1_30default_config_static_selectorELNS0_4arch9wavefront6targetE1EEEvT1_,@function
_ZN7rocprim17ROCPRIM_400000_NS6detail17trampoline_kernelINS0_14default_configENS1_25partition_config_selectorILNS1_17partition_subalgoE8EiNS0_10empty_typeEbEEZZNS1_14partition_implILS5_8ELb0ES3_jN6thrust23THRUST_200600_302600_NS10device_ptrIiEEPS6_PKS6_NS0_5tupleIJSC_S6_EEENSG_IJSD_SD_EEENS0_18inequality_wrapperINSA_8equal_toIiEEEEPmJS6_EEE10hipError_tPvRmT3_T4_T5_T6_T7_T9_mT8_P12ihipStream_tbDpT10_ENKUlT_T0_E_clISt17integral_constantIbLb1EES17_EEDaS12_S13_EUlS12_E_NS1_11comp_targetILNS1_3genE0ELNS1_11target_archE4294967295ELNS1_3gpuE0ELNS1_3repE0EEENS1_30default_config_static_selectorELNS0_4arch9wavefront6targetE1EEEvT1_: ; @_ZN7rocprim17ROCPRIM_400000_NS6detail17trampoline_kernelINS0_14default_configENS1_25partition_config_selectorILNS1_17partition_subalgoE8EiNS0_10empty_typeEbEEZZNS1_14partition_implILS5_8ELb0ES3_jN6thrust23THRUST_200600_302600_NS10device_ptrIiEEPS6_PKS6_NS0_5tupleIJSC_S6_EEENSG_IJSD_SD_EEENS0_18inequality_wrapperINSA_8equal_toIiEEEEPmJS6_EEE10hipError_tPvRmT3_T4_T5_T6_T7_T9_mT8_P12ihipStream_tbDpT10_ENKUlT_T0_E_clISt17integral_constantIbLb1EES17_EEDaS12_S13_EUlS12_E_NS1_11comp_targetILNS1_3genE0ELNS1_11target_archE4294967295ELNS1_3gpuE0ELNS1_3repE0EEENS1_30default_config_static_selectorELNS0_4arch9wavefront6targetE1EEEvT1_
; %bb.0:
	.section	.rodata,"a",@progbits
	.p2align	6, 0x0
	.amdhsa_kernel _ZN7rocprim17ROCPRIM_400000_NS6detail17trampoline_kernelINS0_14default_configENS1_25partition_config_selectorILNS1_17partition_subalgoE8EiNS0_10empty_typeEbEEZZNS1_14partition_implILS5_8ELb0ES3_jN6thrust23THRUST_200600_302600_NS10device_ptrIiEEPS6_PKS6_NS0_5tupleIJSC_S6_EEENSG_IJSD_SD_EEENS0_18inequality_wrapperINSA_8equal_toIiEEEEPmJS6_EEE10hipError_tPvRmT3_T4_T5_T6_T7_T9_mT8_P12ihipStream_tbDpT10_ENKUlT_T0_E_clISt17integral_constantIbLb1EES17_EEDaS12_S13_EUlS12_E_NS1_11comp_targetILNS1_3genE0ELNS1_11target_archE4294967295ELNS1_3gpuE0ELNS1_3repE0EEENS1_30default_config_static_selectorELNS0_4arch9wavefront6targetE1EEEvT1_
		.amdhsa_group_segment_fixed_size 0
		.amdhsa_private_segment_fixed_size 0
		.amdhsa_kernarg_size 128
		.amdhsa_user_sgpr_count 6
		.amdhsa_user_sgpr_private_segment_buffer 1
		.amdhsa_user_sgpr_dispatch_ptr 0
		.amdhsa_user_sgpr_queue_ptr 0
		.amdhsa_user_sgpr_kernarg_segment_ptr 1
		.amdhsa_user_sgpr_dispatch_id 0
		.amdhsa_user_sgpr_flat_scratch_init 0
		.amdhsa_user_sgpr_private_segment_size 0
		.amdhsa_uses_dynamic_stack 0
		.amdhsa_system_sgpr_private_segment_wavefront_offset 0
		.amdhsa_system_sgpr_workgroup_id_x 1
		.amdhsa_system_sgpr_workgroup_id_y 0
		.amdhsa_system_sgpr_workgroup_id_z 0
		.amdhsa_system_sgpr_workgroup_info 0
		.amdhsa_system_vgpr_workitem_id 0
		.amdhsa_next_free_vgpr 1
		.amdhsa_next_free_sgpr 0
		.amdhsa_reserve_vcc 0
		.amdhsa_reserve_flat_scratch 0
		.amdhsa_float_round_mode_32 0
		.amdhsa_float_round_mode_16_64 0
		.amdhsa_float_denorm_mode_32 3
		.amdhsa_float_denorm_mode_16_64 3
		.amdhsa_dx10_clamp 1
		.amdhsa_ieee_mode 1
		.amdhsa_fp16_overflow 0
		.amdhsa_exception_fp_ieee_invalid_op 0
		.amdhsa_exception_fp_denorm_src 0
		.amdhsa_exception_fp_ieee_div_zero 0
		.amdhsa_exception_fp_ieee_overflow 0
		.amdhsa_exception_fp_ieee_underflow 0
		.amdhsa_exception_fp_ieee_inexact 0
		.amdhsa_exception_int_div_zero 0
	.end_amdhsa_kernel
	.section	.text._ZN7rocprim17ROCPRIM_400000_NS6detail17trampoline_kernelINS0_14default_configENS1_25partition_config_selectorILNS1_17partition_subalgoE8EiNS0_10empty_typeEbEEZZNS1_14partition_implILS5_8ELb0ES3_jN6thrust23THRUST_200600_302600_NS10device_ptrIiEEPS6_PKS6_NS0_5tupleIJSC_S6_EEENSG_IJSD_SD_EEENS0_18inequality_wrapperINSA_8equal_toIiEEEEPmJS6_EEE10hipError_tPvRmT3_T4_T5_T6_T7_T9_mT8_P12ihipStream_tbDpT10_ENKUlT_T0_E_clISt17integral_constantIbLb1EES17_EEDaS12_S13_EUlS12_E_NS1_11comp_targetILNS1_3genE0ELNS1_11target_archE4294967295ELNS1_3gpuE0ELNS1_3repE0EEENS1_30default_config_static_selectorELNS0_4arch9wavefront6targetE1EEEvT1_,"axG",@progbits,_ZN7rocprim17ROCPRIM_400000_NS6detail17trampoline_kernelINS0_14default_configENS1_25partition_config_selectorILNS1_17partition_subalgoE8EiNS0_10empty_typeEbEEZZNS1_14partition_implILS5_8ELb0ES3_jN6thrust23THRUST_200600_302600_NS10device_ptrIiEEPS6_PKS6_NS0_5tupleIJSC_S6_EEENSG_IJSD_SD_EEENS0_18inequality_wrapperINSA_8equal_toIiEEEEPmJS6_EEE10hipError_tPvRmT3_T4_T5_T6_T7_T9_mT8_P12ihipStream_tbDpT10_ENKUlT_T0_E_clISt17integral_constantIbLb1EES17_EEDaS12_S13_EUlS12_E_NS1_11comp_targetILNS1_3genE0ELNS1_11target_archE4294967295ELNS1_3gpuE0ELNS1_3repE0EEENS1_30default_config_static_selectorELNS0_4arch9wavefront6targetE1EEEvT1_,comdat
.Lfunc_end1039:
	.size	_ZN7rocprim17ROCPRIM_400000_NS6detail17trampoline_kernelINS0_14default_configENS1_25partition_config_selectorILNS1_17partition_subalgoE8EiNS0_10empty_typeEbEEZZNS1_14partition_implILS5_8ELb0ES3_jN6thrust23THRUST_200600_302600_NS10device_ptrIiEEPS6_PKS6_NS0_5tupleIJSC_S6_EEENSG_IJSD_SD_EEENS0_18inequality_wrapperINSA_8equal_toIiEEEEPmJS6_EEE10hipError_tPvRmT3_T4_T5_T6_T7_T9_mT8_P12ihipStream_tbDpT10_ENKUlT_T0_E_clISt17integral_constantIbLb1EES17_EEDaS12_S13_EUlS12_E_NS1_11comp_targetILNS1_3genE0ELNS1_11target_archE4294967295ELNS1_3gpuE0ELNS1_3repE0EEENS1_30default_config_static_selectorELNS0_4arch9wavefront6targetE1EEEvT1_, .Lfunc_end1039-_ZN7rocprim17ROCPRIM_400000_NS6detail17trampoline_kernelINS0_14default_configENS1_25partition_config_selectorILNS1_17partition_subalgoE8EiNS0_10empty_typeEbEEZZNS1_14partition_implILS5_8ELb0ES3_jN6thrust23THRUST_200600_302600_NS10device_ptrIiEEPS6_PKS6_NS0_5tupleIJSC_S6_EEENSG_IJSD_SD_EEENS0_18inequality_wrapperINSA_8equal_toIiEEEEPmJS6_EEE10hipError_tPvRmT3_T4_T5_T6_T7_T9_mT8_P12ihipStream_tbDpT10_ENKUlT_T0_E_clISt17integral_constantIbLb1EES17_EEDaS12_S13_EUlS12_E_NS1_11comp_targetILNS1_3genE0ELNS1_11target_archE4294967295ELNS1_3gpuE0ELNS1_3repE0EEENS1_30default_config_static_selectorELNS0_4arch9wavefront6targetE1EEEvT1_
                                        ; -- End function
	.set _ZN7rocprim17ROCPRIM_400000_NS6detail17trampoline_kernelINS0_14default_configENS1_25partition_config_selectorILNS1_17partition_subalgoE8EiNS0_10empty_typeEbEEZZNS1_14partition_implILS5_8ELb0ES3_jN6thrust23THRUST_200600_302600_NS10device_ptrIiEEPS6_PKS6_NS0_5tupleIJSC_S6_EEENSG_IJSD_SD_EEENS0_18inequality_wrapperINSA_8equal_toIiEEEEPmJS6_EEE10hipError_tPvRmT3_T4_T5_T6_T7_T9_mT8_P12ihipStream_tbDpT10_ENKUlT_T0_E_clISt17integral_constantIbLb1EES17_EEDaS12_S13_EUlS12_E_NS1_11comp_targetILNS1_3genE0ELNS1_11target_archE4294967295ELNS1_3gpuE0ELNS1_3repE0EEENS1_30default_config_static_selectorELNS0_4arch9wavefront6targetE1EEEvT1_.num_vgpr, 0
	.set _ZN7rocprim17ROCPRIM_400000_NS6detail17trampoline_kernelINS0_14default_configENS1_25partition_config_selectorILNS1_17partition_subalgoE8EiNS0_10empty_typeEbEEZZNS1_14partition_implILS5_8ELb0ES3_jN6thrust23THRUST_200600_302600_NS10device_ptrIiEEPS6_PKS6_NS0_5tupleIJSC_S6_EEENSG_IJSD_SD_EEENS0_18inequality_wrapperINSA_8equal_toIiEEEEPmJS6_EEE10hipError_tPvRmT3_T4_T5_T6_T7_T9_mT8_P12ihipStream_tbDpT10_ENKUlT_T0_E_clISt17integral_constantIbLb1EES17_EEDaS12_S13_EUlS12_E_NS1_11comp_targetILNS1_3genE0ELNS1_11target_archE4294967295ELNS1_3gpuE0ELNS1_3repE0EEENS1_30default_config_static_selectorELNS0_4arch9wavefront6targetE1EEEvT1_.num_agpr, 0
	.set _ZN7rocprim17ROCPRIM_400000_NS6detail17trampoline_kernelINS0_14default_configENS1_25partition_config_selectorILNS1_17partition_subalgoE8EiNS0_10empty_typeEbEEZZNS1_14partition_implILS5_8ELb0ES3_jN6thrust23THRUST_200600_302600_NS10device_ptrIiEEPS6_PKS6_NS0_5tupleIJSC_S6_EEENSG_IJSD_SD_EEENS0_18inequality_wrapperINSA_8equal_toIiEEEEPmJS6_EEE10hipError_tPvRmT3_T4_T5_T6_T7_T9_mT8_P12ihipStream_tbDpT10_ENKUlT_T0_E_clISt17integral_constantIbLb1EES17_EEDaS12_S13_EUlS12_E_NS1_11comp_targetILNS1_3genE0ELNS1_11target_archE4294967295ELNS1_3gpuE0ELNS1_3repE0EEENS1_30default_config_static_selectorELNS0_4arch9wavefront6targetE1EEEvT1_.numbered_sgpr, 0
	.set _ZN7rocprim17ROCPRIM_400000_NS6detail17trampoline_kernelINS0_14default_configENS1_25partition_config_selectorILNS1_17partition_subalgoE8EiNS0_10empty_typeEbEEZZNS1_14partition_implILS5_8ELb0ES3_jN6thrust23THRUST_200600_302600_NS10device_ptrIiEEPS6_PKS6_NS0_5tupleIJSC_S6_EEENSG_IJSD_SD_EEENS0_18inequality_wrapperINSA_8equal_toIiEEEEPmJS6_EEE10hipError_tPvRmT3_T4_T5_T6_T7_T9_mT8_P12ihipStream_tbDpT10_ENKUlT_T0_E_clISt17integral_constantIbLb1EES17_EEDaS12_S13_EUlS12_E_NS1_11comp_targetILNS1_3genE0ELNS1_11target_archE4294967295ELNS1_3gpuE0ELNS1_3repE0EEENS1_30default_config_static_selectorELNS0_4arch9wavefront6targetE1EEEvT1_.num_named_barrier, 0
	.set _ZN7rocprim17ROCPRIM_400000_NS6detail17trampoline_kernelINS0_14default_configENS1_25partition_config_selectorILNS1_17partition_subalgoE8EiNS0_10empty_typeEbEEZZNS1_14partition_implILS5_8ELb0ES3_jN6thrust23THRUST_200600_302600_NS10device_ptrIiEEPS6_PKS6_NS0_5tupleIJSC_S6_EEENSG_IJSD_SD_EEENS0_18inequality_wrapperINSA_8equal_toIiEEEEPmJS6_EEE10hipError_tPvRmT3_T4_T5_T6_T7_T9_mT8_P12ihipStream_tbDpT10_ENKUlT_T0_E_clISt17integral_constantIbLb1EES17_EEDaS12_S13_EUlS12_E_NS1_11comp_targetILNS1_3genE0ELNS1_11target_archE4294967295ELNS1_3gpuE0ELNS1_3repE0EEENS1_30default_config_static_selectorELNS0_4arch9wavefront6targetE1EEEvT1_.private_seg_size, 0
	.set _ZN7rocprim17ROCPRIM_400000_NS6detail17trampoline_kernelINS0_14default_configENS1_25partition_config_selectorILNS1_17partition_subalgoE8EiNS0_10empty_typeEbEEZZNS1_14partition_implILS5_8ELb0ES3_jN6thrust23THRUST_200600_302600_NS10device_ptrIiEEPS6_PKS6_NS0_5tupleIJSC_S6_EEENSG_IJSD_SD_EEENS0_18inequality_wrapperINSA_8equal_toIiEEEEPmJS6_EEE10hipError_tPvRmT3_T4_T5_T6_T7_T9_mT8_P12ihipStream_tbDpT10_ENKUlT_T0_E_clISt17integral_constantIbLb1EES17_EEDaS12_S13_EUlS12_E_NS1_11comp_targetILNS1_3genE0ELNS1_11target_archE4294967295ELNS1_3gpuE0ELNS1_3repE0EEENS1_30default_config_static_selectorELNS0_4arch9wavefront6targetE1EEEvT1_.uses_vcc, 0
	.set _ZN7rocprim17ROCPRIM_400000_NS6detail17trampoline_kernelINS0_14default_configENS1_25partition_config_selectorILNS1_17partition_subalgoE8EiNS0_10empty_typeEbEEZZNS1_14partition_implILS5_8ELb0ES3_jN6thrust23THRUST_200600_302600_NS10device_ptrIiEEPS6_PKS6_NS0_5tupleIJSC_S6_EEENSG_IJSD_SD_EEENS0_18inequality_wrapperINSA_8equal_toIiEEEEPmJS6_EEE10hipError_tPvRmT3_T4_T5_T6_T7_T9_mT8_P12ihipStream_tbDpT10_ENKUlT_T0_E_clISt17integral_constantIbLb1EES17_EEDaS12_S13_EUlS12_E_NS1_11comp_targetILNS1_3genE0ELNS1_11target_archE4294967295ELNS1_3gpuE0ELNS1_3repE0EEENS1_30default_config_static_selectorELNS0_4arch9wavefront6targetE1EEEvT1_.uses_flat_scratch, 0
	.set _ZN7rocprim17ROCPRIM_400000_NS6detail17trampoline_kernelINS0_14default_configENS1_25partition_config_selectorILNS1_17partition_subalgoE8EiNS0_10empty_typeEbEEZZNS1_14partition_implILS5_8ELb0ES3_jN6thrust23THRUST_200600_302600_NS10device_ptrIiEEPS6_PKS6_NS0_5tupleIJSC_S6_EEENSG_IJSD_SD_EEENS0_18inequality_wrapperINSA_8equal_toIiEEEEPmJS6_EEE10hipError_tPvRmT3_T4_T5_T6_T7_T9_mT8_P12ihipStream_tbDpT10_ENKUlT_T0_E_clISt17integral_constantIbLb1EES17_EEDaS12_S13_EUlS12_E_NS1_11comp_targetILNS1_3genE0ELNS1_11target_archE4294967295ELNS1_3gpuE0ELNS1_3repE0EEENS1_30default_config_static_selectorELNS0_4arch9wavefront6targetE1EEEvT1_.has_dyn_sized_stack, 0
	.set _ZN7rocprim17ROCPRIM_400000_NS6detail17trampoline_kernelINS0_14default_configENS1_25partition_config_selectorILNS1_17partition_subalgoE8EiNS0_10empty_typeEbEEZZNS1_14partition_implILS5_8ELb0ES3_jN6thrust23THRUST_200600_302600_NS10device_ptrIiEEPS6_PKS6_NS0_5tupleIJSC_S6_EEENSG_IJSD_SD_EEENS0_18inequality_wrapperINSA_8equal_toIiEEEEPmJS6_EEE10hipError_tPvRmT3_T4_T5_T6_T7_T9_mT8_P12ihipStream_tbDpT10_ENKUlT_T0_E_clISt17integral_constantIbLb1EES17_EEDaS12_S13_EUlS12_E_NS1_11comp_targetILNS1_3genE0ELNS1_11target_archE4294967295ELNS1_3gpuE0ELNS1_3repE0EEENS1_30default_config_static_selectorELNS0_4arch9wavefront6targetE1EEEvT1_.has_recursion, 0
	.set _ZN7rocprim17ROCPRIM_400000_NS6detail17trampoline_kernelINS0_14default_configENS1_25partition_config_selectorILNS1_17partition_subalgoE8EiNS0_10empty_typeEbEEZZNS1_14partition_implILS5_8ELb0ES3_jN6thrust23THRUST_200600_302600_NS10device_ptrIiEEPS6_PKS6_NS0_5tupleIJSC_S6_EEENSG_IJSD_SD_EEENS0_18inequality_wrapperINSA_8equal_toIiEEEEPmJS6_EEE10hipError_tPvRmT3_T4_T5_T6_T7_T9_mT8_P12ihipStream_tbDpT10_ENKUlT_T0_E_clISt17integral_constantIbLb1EES17_EEDaS12_S13_EUlS12_E_NS1_11comp_targetILNS1_3genE0ELNS1_11target_archE4294967295ELNS1_3gpuE0ELNS1_3repE0EEENS1_30default_config_static_selectorELNS0_4arch9wavefront6targetE1EEEvT1_.has_indirect_call, 0
	.section	.AMDGPU.csdata,"",@progbits
; Kernel info:
; codeLenInByte = 0
; TotalNumSgprs: 4
; NumVgprs: 0
; ScratchSize: 0
; MemoryBound: 0
; FloatMode: 240
; IeeeMode: 1
; LDSByteSize: 0 bytes/workgroup (compile time only)
; SGPRBlocks: 0
; VGPRBlocks: 0
; NumSGPRsForWavesPerEU: 4
; NumVGPRsForWavesPerEU: 1
; Occupancy: 10
; WaveLimiterHint : 0
; COMPUTE_PGM_RSRC2:SCRATCH_EN: 0
; COMPUTE_PGM_RSRC2:USER_SGPR: 6
; COMPUTE_PGM_RSRC2:TRAP_HANDLER: 0
; COMPUTE_PGM_RSRC2:TGID_X_EN: 1
; COMPUTE_PGM_RSRC2:TGID_Y_EN: 0
; COMPUTE_PGM_RSRC2:TGID_Z_EN: 0
; COMPUTE_PGM_RSRC2:TIDIG_COMP_CNT: 0
	.section	.text._ZN7rocprim17ROCPRIM_400000_NS6detail17trampoline_kernelINS0_14default_configENS1_25partition_config_selectorILNS1_17partition_subalgoE8EiNS0_10empty_typeEbEEZZNS1_14partition_implILS5_8ELb0ES3_jN6thrust23THRUST_200600_302600_NS10device_ptrIiEEPS6_PKS6_NS0_5tupleIJSC_S6_EEENSG_IJSD_SD_EEENS0_18inequality_wrapperINSA_8equal_toIiEEEEPmJS6_EEE10hipError_tPvRmT3_T4_T5_T6_T7_T9_mT8_P12ihipStream_tbDpT10_ENKUlT_T0_E_clISt17integral_constantIbLb1EES17_EEDaS12_S13_EUlS12_E_NS1_11comp_targetILNS1_3genE5ELNS1_11target_archE942ELNS1_3gpuE9ELNS1_3repE0EEENS1_30default_config_static_selectorELNS0_4arch9wavefront6targetE1EEEvT1_,"axG",@progbits,_ZN7rocprim17ROCPRIM_400000_NS6detail17trampoline_kernelINS0_14default_configENS1_25partition_config_selectorILNS1_17partition_subalgoE8EiNS0_10empty_typeEbEEZZNS1_14partition_implILS5_8ELb0ES3_jN6thrust23THRUST_200600_302600_NS10device_ptrIiEEPS6_PKS6_NS0_5tupleIJSC_S6_EEENSG_IJSD_SD_EEENS0_18inequality_wrapperINSA_8equal_toIiEEEEPmJS6_EEE10hipError_tPvRmT3_T4_T5_T6_T7_T9_mT8_P12ihipStream_tbDpT10_ENKUlT_T0_E_clISt17integral_constantIbLb1EES17_EEDaS12_S13_EUlS12_E_NS1_11comp_targetILNS1_3genE5ELNS1_11target_archE942ELNS1_3gpuE9ELNS1_3repE0EEENS1_30default_config_static_selectorELNS0_4arch9wavefront6targetE1EEEvT1_,comdat
	.protected	_ZN7rocprim17ROCPRIM_400000_NS6detail17trampoline_kernelINS0_14default_configENS1_25partition_config_selectorILNS1_17partition_subalgoE8EiNS0_10empty_typeEbEEZZNS1_14partition_implILS5_8ELb0ES3_jN6thrust23THRUST_200600_302600_NS10device_ptrIiEEPS6_PKS6_NS0_5tupleIJSC_S6_EEENSG_IJSD_SD_EEENS0_18inequality_wrapperINSA_8equal_toIiEEEEPmJS6_EEE10hipError_tPvRmT3_T4_T5_T6_T7_T9_mT8_P12ihipStream_tbDpT10_ENKUlT_T0_E_clISt17integral_constantIbLb1EES17_EEDaS12_S13_EUlS12_E_NS1_11comp_targetILNS1_3genE5ELNS1_11target_archE942ELNS1_3gpuE9ELNS1_3repE0EEENS1_30default_config_static_selectorELNS0_4arch9wavefront6targetE1EEEvT1_ ; -- Begin function _ZN7rocprim17ROCPRIM_400000_NS6detail17trampoline_kernelINS0_14default_configENS1_25partition_config_selectorILNS1_17partition_subalgoE8EiNS0_10empty_typeEbEEZZNS1_14partition_implILS5_8ELb0ES3_jN6thrust23THRUST_200600_302600_NS10device_ptrIiEEPS6_PKS6_NS0_5tupleIJSC_S6_EEENSG_IJSD_SD_EEENS0_18inequality_wrapperINSA_8equal_toIiEEEEPmJS6_EEE10hipError_tPvRmT3_T4_T5_T6_T7_T9_mT8_P12ihipStream_tbDpT10_ENKUlT_T0_E_clISt17integral_constantIbLb1EES17_EEDaS12_S13_EUlS12_E_NS1_11comp_targetILNS1_3genE5ELNS1_11target_archE942ELNS1_3gpuE9ELNS1_3repE0EEENS1_30default_config_static_selectorELNS0_4arch9wavefront6targetE1EEEvT1_
	.globl	_ZN7rocprim17ROCPRIM_400000_NS6detail17trampoline_kernelINS0_14default_configENS1_25partition_config_selectorILNS1_17partition_subalgoE8EiNS0_10empty_typeEbEEZZNS1_14partition_implILS5_8ELb0ES3_jN6thrust23THRUST_200600_302600_NS10device_ptrIiEEPS6_PKS6_NS0_5tupleIJSC_S6_EEENSG_IJSD_SD_EEENS0_18inequality_wrapperINSA_8equal_toIiEEEEPmJS6_EEE10hipError_tPvRmT3_T4_T5_T6_T7_T9_mT8_P12ihipStream_tbDpT10_ENKUlT_T0_E_clISt17integral_constantIbLb1EES17_EEDaS12_S13_EUlS12_E_NS1_11comp_targetILNS1_3genE5ELNS1_11target_archE942ELNS1_3gpuE9ELNS1_3repE0EEENS1_30default_config_static_selectorELNS0_4arch9wavefront6targetE1EEEvT1_
	.p2align	8
	.type	_ZN7rocprim17ROCPRIM_400000_NS6detail17trampoline_kernelINS0_14default_configENS1_25partition_config_selectorILNS1_17partition_subalgoE8EiNS0_10empty_typeEbEEZZNS1_14partition_implILS5_8ELb0ES3_jN6thrust23THRUST_200600_302600_NS10device_ptrIiEEPS6_PKS6_NS0_5tupleIJSC_S6_EEENSG_IJSD_SD_EEENS0_18inequality_wrapperINSA_8equal_toIiEEEEPmJS6_EEE10hipError_tPvRmT3_T4_T5_T6_T7_T9_mT8_P12ihipStream_tbDpT10_ENKUlT_T0_E_clISt17integral_constantIbLb1EES17_EEDaS12_S13_EUlS12_E_NS1_11comp_targetILNS1_3genE5ELNS1_11target_archE942ELNS1_3gpuE9ELNS1_3repE0EEENS1_30default_config_static_selectorELNS0_4arch9wavefront6targetE1EEEvT1_,@function
_ZN7rocprim17ROCPRIM_400000_NS6detail17trampoline_kernelINS0_14default_configENS1_25partition_config_selectorILNS1_17partition_subalgoE8EiNS0_10empty_typeEbEEZZNS1_14partition_implILS5_8ELb0ES3_jN6thrust23THRUST_200600_302600_NS10device_ptrIiEEPS6_PKS6_NS0_5tupleIJSC_S6_EEENSG_IJSD_SD_EEENS0_18inequality_wrapperINSA_8equal_toIiEEEEPmJS6_EEE10hipError_tPvRmT3_T4_T5_T6_T7_T9_mT8_P12ihipStream_tbDpT10_ENKUlT_T0_E_clISt17integral_constantIbLb1EES17_EEDaS12_S13_EUlS12_E_NS1_11comp_targetILNS1_3genE5ELNS1_11target_archE942ELNS1_3gpuE9ELNS1_3repE0EEENS1_30default_config_static_selectorELNS0_4arch9wavefront6targetE1EEEvT1_: ; @_ZN7rocprim17ROCPRIM_400000_NS6detail17trampoline_kernelINS0_14default_configENS1_25partition_config_selectorILNS1_17partition_subalgoE8EiNS0_10empty_typeEbEEZZNS1_14partition_implILS5_8ELb0ES3_jN6thrust23THRUST_200600_302600_NS10device_ptrIiEEPS6_PKS6_NS0_5tupleIJSC_S6_EEENSG_IJSD_SD_EEENS0_18inequality_wrapperINSA_8equal_toIiEEEEPmJS6_EEE10hipError_tPvRmT3_T4_T5_T6_T7_T9_mT8_P12ihipStream_tbDpT10_ENKUlT_T0_E_clISt17integral_constantIbLb1EES17_EEDaS12_S13_EUlS12_E_NS1_11comp_targetILNS1_3genE5ELNS1_11target_archE942ELNS1_3gpuE9ELNS1_3repE0EEENS1_30default_config_static_selectorELNS0_4arch9wavefront6targetE1EEEvT1_
; %bb.0:
	.section	.rodata,"a",@progbits
	.p2align	6, 0x0
	.amdhsa_kernel _ZN7rocprim17ROCPRIM_400000_NS6detail17trampoline_kernelINS0_14default_configENS1_25partition_config_selectorILNS1_17partition_subalgoE8EiNS0_10empty_typeEbEEZZNS1_14partition_implILS5_8ELb0ES3_jN6thrust23THRUST_200600_302600_NS10device_ptrIiEEPS6_PKS6_NS0_5tupleIJSC_S6_EEENSG_IJSD_SD_EEENS0_18inequality_wrapperINSA_8equal_toIiEEEEPmJS6_EEE10hipError_tPvRmT3_T4_T5_T6_T7_T9_mT8_P12ihipStream_tbDpT10_ENKUlT_T0_E_clISt17integral_constantIbLb1EES17_EEDaS12_S13_EUlS12_E_NS1_11comp_targetILNS1_3genE5ELNS1_11target_archE942ELNS1_3gpuE9ELNS1_3repE0EEENS1_30default_config_static_selectorELNS0_4arch9wavefront6targetE1EEEvT1_
		.amdhsa_group_segment_fixed_size 0
		.amdhsa_private_segment_fixed_size 0
		.amdhsa_kernarg_size 128
		.amdhsa_user_sgpr_count 6
		.amdhsa_user_sgpr_private_segment_buffer 1
		.amdhsa_user_sgpr_dispatch_ptr 0
		.amdhsa_user_sgpr_queue_ptr 0
		.amdhsa_user_sgpr_kernarg_segment_ptr 1
		.amdhsa_user_sgpr_dispatch_id 0
		.amdhsa_user_sgpr_flat_scratch_init 0
		.amdhsa_user_sgpr_private_segment_size 0
		.amdhsa_uses_dynamic_stack 0
		.amdhsa_system_sgpr_private_segment_wavefront_offset 0
		.amdhsa_system_sgpr_workgroup_id_x 1
		.amdhsa_system_sgpr_workgroup_id_y 0
		.amdhsa_system_sgpr_workgroup_id_z 0
		.amdhsa_system_sgpr_workgroup_info 0
		.amdhsa_system_vgpr_workitem_id 0
		.amdhsa_next_free_vgpr 1
		.amdhsa_next_free_sgpr 0
		.amdhsa_reserve_vcc 0
		.amdhsa_reserve_flat_scratch 0
		.amdhsa_float_round_mode_32 0
		.amdhsa_float_round_mode_16_64 0
		.amdhsa_float_denorm_mode_32 3
		.amdhsa_float_denorm_mode_16_64 3
		.amdhsa_dx10_clamp 1
		.amdhsa_ieee_mode 1
		.amdhsa_fp16_overflow 0
		.amdhsa_exception_fp_ieee_invalid_op 0
		.amdhsa_exception_fp_denorm_src 0
		.amdhsa_exception_fp_ieee_div_zero 0
		.amdhsa_exception_fp_ieee_overflow 0
		.amdhsa_exception_fp_ieee_underflow 0
		.amdhsa_exception_fp_ieee_inexact 0
		.amdhsa_exception_int_div_zero 0
	.end_amdhsa_kernel
	.section	.text._ZN7rocprim17ROCPRIM_400000_NS6detail17trampoline_kernelINS0_14default_configENS1_25partition_config_selectorILNS1_17partition_subalgoE8EiNS0_10empty_typeEbEEZZNS1_14partition_implILS5_8ELb0ES3_jN6thrust23THRUST_200600_302600_NS10device_ptrIiEEPS6_PKS6_NS0_5tupleIJSC_S6_EEENSG_IJSD_SD_EEENS0_18inequality_wrapperINSA_8equal_toIiEEEEPmJS6_EEE10hipError_tPvRmT3_T4_T5_T6_T7_T9_mT8_P12ihipStream_tbDpT10_ENKUlT_T0_E_clISt17integral_constantIbLb1EES17_EEDaS12_S13_EUlS12_E_NS1_11comp_targetILNS1_3genE5ELNS1_11target_archE942ELNS1_3gpuE9ELNS1_3repE0EEENS1_30default_config_static_selectorELNS0_4arch9wavefront6targetE1EEEvT1_,"axG",@progbits,_ZN7rocprim17ROCPRIM_400000_NS6detail17trampoline_kernelINS0_14default_configENS1_25partition_config_selectorILNS1_17partition_subalgoE8EiNS0_10empty_typeEbEEZZNS1_14partition_implILS5_8ELb0ES3_jN6thrust23THRUST_200600_302600_NS10device_ptrIiEEPS6_PKS6_NS0_5tupleIJSC_S6_EEENSG_IJSD_SD_EEENS0_18inequality_wrapperINSA_8equal_toIiEEEEPmJS6_EEE10hipError_tPvRmT3_T4_T5_T6_T7_T9_mT8_P12ihipStream_tbDpT10_ENKUlT_T0_E_clISt17integral_constantIbLb1EES17_EEDaS12_S13_EUlS12_E_NS1_11comp_targetILNS1_3genE5ELNS1_11target_archE942ELNS1_3gpuE9ELNS1_3repE0EEENS1_30default_config_static_selectorELNS0_4arch9wavefront6targetE1EEEvT1_,comdat
.Lfunc_end1040:
	.size	_ZN7rocprim17ROCPRIM_400000_NS6detail17trampoline_kernelINS0_14default_configENS1_25partition_config_selectorILNS1_17partition_subalgoE8EiNS0_10empty_typeEbEEZZNS1_14partition_implILS5_8ELb0ES3_jN6thrust23THRUST_200600_302600_NS10device_ptrIiEEPS6_PKS6_NS0_5tupleIJSC_S6_EEENSG_IJSD_SD_EEENS0_18inequality_wrapperINSA_8equal_toIiEEEEPmJS6_EEE10hipError_tPvRmT3_T4_T5_T6_T7_T9_mT8_P12ihipStream_tbDpT10_ENKUlT_T0_E_clISt17integral_constantIbLb1EES17_EEDaS12_S13_EUlS12_E_NS1_11comp_targetILNS1_3genE5ELNS1_11target_archE942ELNS1_3gpuE9ELNS1_3repE0EEENS1_30default_config_static_selectorELNS0_4arch9wavefront6targetE1EEEvT1_, .Lfunc_end1040-_ZN7rocprim17ROCPRIM_400000_NS6detail17trampoline_kernelINS0_14default_configENS1_25partition_config_selectorILNS1_17partition_subalgoE8EiNS0_10empty_typeEbEEZZNS1_14partition_implILS5_8ELb0ES3_jN6thrust23THRUST_200600_302600_NS10device_ptrIiEEPS6_PKS6_NS0_5tupleIJSC_S6_EEENSG_IJSD_SD_EEENS0_18inequality_wrapperINSA_8equal_toIiEEEEPmJS6_EEE10hipError_tPvRmT3_T4_T5_T6_T7_T9_mT8_P12ihipStream_tbDpT10_ENKUlT_T0_E_clISt17integral_constantIbLb1EES17_EEDaS12_S13_EUlS12_E_NS1_11comp_targetILNS1_3genE5ELNS1_11target_archE942ELNS1_3gpuE9ELNS1_3repE0EEENS1_30default_config_static_selectorELNS0_4arch9wavefront6targetE1EEEvT1_
                                        ; -- End function
	.set _ZN7rocprim17ROCPRIM_400000_NS6detail17trampoline_kernelINS0_14default_configENS1_25partition_config_selectorILNS1_17partition_subalgoE8EiNS0_10empty_typeEbEEZZNS1_14partition_implILS5_8ELb0ES3_jN6thrust23THRUST_200600_302600_NS10device_ptrIiEEPS6_PKS6_NS0_5tupleIJSC_S6_EEENSG_IJSD_SD_EEENS0_18inequality_wrapperINSA_8equal_toIiEEEEPmJS6_EEE10hipError_tPvRmT3_T4_T5_T6_T7_T9_mT8_P12ihipStream_tbDpT10_ENKUlT_T0_E_clISt17integral_constantIbLb1EES17_EEDaS12_S13_EUlS12_E_NS1_11comp_targetILNS1_3genE5ELNS1_11target_archE942ELNS1_3gpuE9ELNS1_3repE0EEENS1_30default_config_static_selectorELNS0_4arch9wavefront6targetE1EEEvT1_.num_vgpr, 0
	.set _ZN7rocprim17ROCPRIM_400000_NS6detail17trampoline_kernelINS0_14default_configENS1_25partition_config_selectorILNS1_17partition_subalgoE8EiNS0_10empty_typeEbEEZZNS1_14partition_implILS5_8ELb0ES3_jN6thrust23THRUST_200600_302600_NS10device_ptrIiEEPS6_PKS6_NS0_5tupleIJSC_S6_EEENSG_IJSD_SD_EEENS0_18inequality_wrapperINSA_8equal_toIiEEEEPmJS6_EEE10hipError_tPvRmT3_T4_T5_T6_T7_T9_mT8_P12ihipStream_tbDpT10_ENKUlT_T0_E_clISt17integral_constantIbLb1EES17_EEDaS12_S13_EUlS12_E_NS1_11comp_targetILNS1_3genE5ELNS1_11target_archE942ELNS1_3gpuE9ELNS1_3repE0EEENS1_30default_config_static_selectorELNS0_4arch9wavefront6targetE1EEEvT1_.num_agpr, 0
	.set _ZN7rocprim17ROCPRIM_400000_NS6detail17trampoline_kernelINS0_14default_configENS1_25partition_config_selectorILNS1_17partition_subalgoE8EiNS0_10empty_typeEbEEZZNS1_14partition_implILS5_8ELb0ES3_jN6thrust23THRUST_200600_302600_NS10device_ptrIiEEPS6_PKS6_NS0_5tupleIJSC_S6_EEENSG_IJSD_SD_EEENS0_18inequality_wrapperINSA_8equal_toIiEEEEPmJS6_EEE10hipError_tPvRmT3_T4_T5_T6_T7_T9_mT8_P12ihipStream_tbDpT10_ENKUlT_T0_E_clISt17integral_constantIbLb1EES17_EEDaS12_S13_EUlS12_E_NS1_11comp_targetILNS1_3genE5ELNS1_11target_archE942ELNS1_3gpuE9ELNS1_3repE0EEENS1_30default_config_static_selectorELNS0_4arch9wavefront6targetE1EEEvT1_.numbered_sgpr, 0
	.set _ZN7rocprim17ROCPRIM_400000_NS6detail17trampoline_kernelINS0_14default_configENS1_25partition_config_selectorILNS1_17partition_subalgoE8EiNS0_10empty_typeEbEEZZNS1_14partition_implILS5_8ELb0ES3_jN6thrust23THRUST_200600_302600_NS10device_ptrIiEEPS6_PKS6_NS0_5tupleIJSC_S6_EEENSG_IJSD_SD_EEENS0_18inequality_wrapperINSA_8equal_toIiEEEEPmJS6_EEE10hipError_tPvRmT3_T4_T5_T6_T7_T9_mT8_P12ihipStream_tbDpT10_ENKUlT_T0_E_clISt17integral_constantIbLb1EES17_EEDaS12_S13_EUlS12_E_NS1_11comp_targetILNS1_3genE5ELNS1_11target_archE942ELNS1_3gpuE9ELNS1_3repE0EEENS1_30default_config_static_selectorELNS0_4arch9wavefront6targetE1EEEvT1_.num_named_barrier, 0
	.set _ZN7rocprim17ROCPRIM_400000_NS6detail17trampoline_kernelINS0_14default_configENS1_25partition_config_selectorILNS1_17partition_subalgoE8EiNS0_10empty_typeEbEEZZNS1_14partition_implILS5_8ELb0ES3_jN6thrust23THRUST_200600_302600_NS10device_ptrIiEEPS6_PKS6_NS0_5tupleIJSC_S6_EEENSG_IJSD_SD_EEENS0_18inequality_wrapperINSA_8equal_toIiEEEEPmJS6_EEE10hipError_tPvRmT3_T4_T5_T6_T7_T9_mT8_P12ihipStream_tbDpT10_ENKUlT_T0_E_clISt17integral_constantIbLb1EES17_EEDaS12_S13_EUlS12_E_NS1_11comp_targetILNS1_3genE5ELNS1_11target_archE942ELNS1_3gpuE9ELNS1_3repE0EEENS1_30default_config_static_selectorELNS0_4arch9wavefront6targetE1EEEvT1_.private_seg_size, 0
	.set _ZN7rocprim17ROCPRIM_400000_NS6detail17trampoline_kernelINS0_14default_configENS1_25partition_config_selectorILNS1_17partition_subalgoE8EiNS0_10empty_typeEbEEZZNS1_14partition_implILS5_8ELb0ES3_jN6thrust23THRUST_200600_302600_NS10device_ptrIiEEPS6_PKS6_NS0_5tupleIJSC_S6_EEENSG_IJSD_SD_EEENS0_18inequality_wrapperINSA_8equal_toIiEEEEPmJS6_EEE10hipError_tPvRmT3_T4_T5_T6_T7_T9_mT8_P12ihipStream_tbDpT10_ENKUlT_T0_E_clISt17integral_constantIbLb1EES17_EEDaS12_S13_EUlS12_E_NS1_11comp_targetILNS1_3genE5ELNS1_11target_archE942ELNS1_3gpuE9ELNS1_3repE0EEENS1_30default_config_static_selectorELNS0_4arch9wavefront6targetE1EEEvT1_.uses_vcc, 0
	.set _ZN7rocprim17ROCPRIM_400000_NS6detail17trampoline_kernelINS0_14default_configENS1_25partition_config_selectorILNS1_17partition_subalgoE8EiNS0_10empty_typeEbEEZZNS1_14partition_implILS5_8ELb0ES3_jN6thrust23THRUST_200600_302600_NS10device_ptrIiEEPS6_PKS6_NS0_5tupleIJSC_S6_EEENSG_IJSD_SD_EEENS0_18inequality_wrapperINSA_8equal_toIiEEEEPmJS6_EEE10hipError_tPvRmT3_T4_T5_T6_T7_T9_mT8_P12ihipStream_tbDpT10_ENKUlT_T0_E_clISt17integral_constantIbLb1EES17_EEDaS12_S13_EUlS12_E_NS1_11comp_targetILNS1_3genE5ELNS1_11target_archE942ELNS1_3gpuE9ELNS1_3repE0EEENS1_30default_config_static_selectorELNS0_4arch9wavefront6targetE1EEEvT1_.uses_flat_scratch, 0
	.set _ZN7rocprim17ROCPRIM_400000_NS6detail17trampoline_kernelINS0_14default_configENS1_25partition_config_selectorILNS1_17partition_subalgoE8EiNS0_10empty_typeEbEEZZNS1_14partition_implILS5_8ELb0ES3_jN6thrust23THRUST_200600_302600_NS10device_ptrIiEEPS6_PKS6_NS0_5tupleIJSC_S6_EEENSG_IJSD_SD_EEENS0_18inequality_wrapperINSA_8equal_toIiEEEEPmJS6_EEE10hipError_tPvRmT3_T4_T5_T6_T7_T9_mT8_P12ihipStream_tbDpT10_ENKUlT_T0_E_clISt17integral_constantIbLb1EES17_EEDaS12_S13_EUlS12_E_NS1_11comp_targetILNS1_3genE5ELNS1_11target_archE942ELNS1_3gpuE9ELNS1_3repE0EEENS1_30default_config_static_selectorELNS0_4arch9wavefront6targetE1EEEvT1_.has_dyn_sized_stack, 0
	.set _ZN7rocprim17ROCPRIM_400000_NS6detail17trampoline_kernelINS0_14default_configENS1_25partition_config_selectorILNS1_17partition_subalgoE8EiNS0_10empty_typeEbEEZZNS1_14partition_implILS5_8ELb0ES3_jN6thrust23THRUST_200600_302600_NS10device_ptrIiEEPS6_PKS6_NS0_5tupleIJSC_S6_EEENSG_IJSD_SD_EEENS0_18inequality_wrapperINSA_8equal_toIiEEEEPmJS6_EEE10hipError_tPvRmT3_T4_T5_T6_T7_T9_mT8_P12ihipStream_tbDpT10_ENKUlT_T0_E_clISt17integral_constantIbLb1EES17_EEDaS12_S13_EUlS12_E_NS1_11comp_targetILNS1_3genE5ELNS1_11target_archE942ELNS1_3gpuE9ELNS1_3repE0EEENS1_30default_config_static_selectorELNS0_4arch9wavefront6targetE1EEEvT1_.has_recursion, 0
	.set _ZN7rocprim17ROCPRIM_400000_NS6detail17trampoline_kernelINS0_14default_configENS1_25partition_config_selectorILNS1_17partition_subalgoE8EiNS0_10empty_typeEbEEZZNS1_14partition_implILS5_8ELb0ES3_jN6thrust23THRUST_200600_302600_NS10device_ptrIiEEPS6_PKS6_NS0_5tupleIJSC_S6_EEENSG_IJSD_SD_EEENS0_18inequality_wrapperINSA_8equal_toIiEEEEPmJS6_EEE10hipError_tPvRmT3_T4_T5_T6_T7_T9_mT8_P12ihipStream_tbDpT10_ENKUlT_T0_E_clISt17integral_constantIbLb1EES17_EEDaS12_S13_EUlS12_E_NS1_11comp_targetILNS1_3genE5ELNS1_11target_archE942ELNS1_3gpuE9ELNS1_3repE0EEENS1_30default_config_static_selectorELNS0_4arch9wavefront6targetE1EEEvT1_.has_indirect_call, 0
	.section	.AMDGPU.csdata,"",@progbits
; Kernel info:
; codeLenInByte = 0
; TotalNumSgprs: 4
; NumVgprs: 0
; ScratchSize: 0
; MemoryBound: 0
; FloatMode: 240
; IeeeMode: 1
; LDSByteSize: 0 bytes/workgroup (compile time only)
; SGPRBlocks: 0
; VGPRBlocks: 0
; NumSGPRsForWavesPerEU: 4
; NumVGPRsForWavesPerEU: 1
; Occupancy: 10
; WaveLimiterHint : 0
; COMPUTE_PGM_RSRC2:SCRATCH_EN: 0
; COMPUTE_PGM_RSRC2:USER_SGPR: 6
; COMPUTE_PGM_RSRC2:TRAP_HANDLER: 0
; COMPUTE_PGM_RSRC2:TGID_X_EN: 1
; COMPUTE_PGM_RSRC2:TGID_Y_EN: 0
; COMPUTE_PGM_RSRC2:TGID_Z_EN: 0
; COMPUTE_PGM_RSRC2:TIDIG_COMP_CNT: 0
	.section	.text._ZN7rocprim17ROCPRIM_400000_NS6detail17trampoline_kernelINS0_14default_configENS1_25partition_config_selectorILNS1_17partition_subalgoE8EiNS0_10empty_typeEbEEZZNS1_14partition_implILS5_8ELb0ES3_jN6thrust23THRUST_200600_302600_NS10device_ptrIiEEPS6_PKS6_NS0_5tupleIJSC_S6_EEENSG_IJSD_SD_EEENS0_18inequality_wrapperINSA_8equal_toIiEEEEPmJS6_EEE10hipError_tPvRmT3_T4_T5_T6_T7_T9_mT8_P12ihipStream_tbDpT10_ENKUlT_T0_E_clISt17integral_constantIbLb1EES17_EEDaS12_S13_EUlS12_E_NS1_11comp_targetILNS1_3genE4ELNS1_11target_archE910ELNS1_3gpuE8ELNS1_3repE0EEENS1_30default_config_static_selectorELNS0_4arch9wavefront6targetE1EEEvT1_,"axG",@progbits,_ZN7rocprim17ROCPRIM_400000_NS6detail17trampoline_kernelINS0_14default_configENS1_25partition_config_selectorILNS1_17partition_subalgoE8EiNS0_10empty_typeEbEEZZNS1_14partition_implILS5_8ELb0ES3_jN6thrust23THRUST_200600_302600_NS10device_ptrIiEEPS6_PKS6_NS0_5tupleIJSC_S6_EEENSG_IJSD_SD_EEENS0_18inequality_wrapperINSA_8equal_toIiEEEEPmJS6_EEE10hipError_tPvRmT3_T4_T5_T6_T7_T9_mT8_P12ihipStream_tbDpT10_ENKUlT_T0_E_clISt17integral_constantIbLb1EES17_EEDaS12_S13_EUlS12_E_NS1_11comp_targetILNS1_3genE4ELNS1_11target_archE910ELNS1_3gpuE8ELNS1_3repE0EEENS1_30default_config_static_selectorELNS0_4arch9wavefront6targetE1EEEvT1_,comdat
	.protected	_ZN7rocprim17ROCPRIM_400000_NS6detail17trampoline_kernelINS0_14default_configENS1_25partition_config_selectorILNS1_17partition_subalgoE8EiNS0_10empty_typeEbEEZZNS1_14partition_implILS5_8ELb0ES3_jN6thrust23THRUST_200600_302600_NS10device_ptrIiEEPS6_PKS6_NS0_5tupleIJSC_S6_EEENSG_IJSD_SD_EEENS0_18inequality_wrapperINSA_8equal_toIiEEEEPmJS6_EEE10hipError_tPvRmT3_T4_T5_T6_T7_T9_mT8_P12ihipStream_tbDpT10_ENKUlT_T0_E_clISt17integral_constantIbLb1EES17_EEDaS12_S13_EUlS12_E_NS1_11comp_targetILNS1_3genE4ELNS1_11target_archE910ELNS1_3gpuE8ELNS1_3repE0EEENS1_30default_config_static_selectorELNS0_4arch9wavefront6targetE1EEEvT1_ ; -- Begin function _ZN7rocprim17ROCPRIM_400000_NS6detail17trampoline_kernelINS0_14default_configENS1_25partition_config_selectorILNS1_17partition_subalgoE8EiNS0_10empty_typeEbEEZZNS1_14partition_implILS5_8ELb0ES3_jN6thrust23THRUST_200600_302600_NS10device_ptrIiEEPS6_PKS6_NS0_5tupleIJSC_S6_EEENSG_IJSD_SD_EEENS0_18inequality_wrapperINSA_8equal_toIiEEEEPmJS6_EEE10hipError_tPvRmT3_T4_T5_T6_T7_T9_mT8_P12ihipStream_tbDpT10_ENKUlT_T0_E_clISt17integral_constantIbLb1EES17_EEDaS12_S13_EUlS12_E_NS1_11comp_targetILNS1_3genE4ELNS1_11target_archE910ELNS1_3gpuE8ELNS1_3repE0EEENS1_30default_config_static_selectorELNS0_4arch9wavefront6targetE1EEEvT1_
	.globl	_ZN7rocprim17ROCPRIM_400000_NS6detail17trampoline_kernelINS0_14default_configENS1_25partition_config_selectorILNS1_17partition_subalgoE8EiNS0_10empty_typeEbEEZZNS1_14partition_implILS5_8ELb0ES3_jN6thrust23THRUST_200600_302600_NS10device_ptrIiEEPS6_PKS6_NS0_5tupleIJSC_S6_EEENSG_IJSD_SD_EEENS0_18inequality_wrapperINSA_8equal_toIiEEEEPmJS6_EEE10hipError_tPvRmT3_T4_T5_T6_T7_T9_mT8_P12ihipStream_tbDpT10_ENKUlT_T0_E_clISt17integral_constantIbLb1EES17_EEDaS12_S13_EUlS12_E_NS1_11comp_targetILNS1_3genE4ELNS1_11target_archE910ELNS1_3gpuE8ELNS1_3repE0EEENS1_30default_config_static_selectorELNS0_4arch9wavefront6targetE1EEEvT1_
	.p2align	8
	.type	_ZN7rocprim17ROCPRIM_400000_NS6detail17trampoline_kernelINS0_14default_configENS1_25partition_config_selectorILNS1_17partition_subalgoE8EiNS0_10empty_typeEbEEZZNS1_14partition_implILS5_8ELb0ES3_jN6thrust23THRUST_200600_302600_NS10device_ptrIiEEPS6_PKS6_NS0_5tupleIJSC_S6_EEENSG_IJSD_SD_EEENS0_18inequality_wrapperINSA_8equal_toIiEEEEPmJS6_EEE10hipError_tPvRmT3_T4_T5_T6_T7_T9_mT8_P12ihipStream_tbDpT10_ENKUlT_T0_E_clISt17integral_constantIbLb1EES17_EEDaS12_S13_EUlS12_E_NS1_11comp_targetILNS1_3genE4ELNS1_11target_archE910ELNS1_3gpuE8ELNS1_3repE0EEENS1_30default_config_static_selectorELNS0_4arch9wavefront6targetE1EEEvT1_,@function
_ZN7rocprim17ROCPRIM_400000_NS6detail17trampoline_kernelINS0_14default_configENS1_25partition_config_selectorILNS1_17partition_subalgoE8EiNS0_10empty_typeEbEEZZNS1_14partition_implILS5_8ELb0ES3_jN6thrust23THRUST_200600_302600_NS10device_ptrIiEEPS6_PKS6_NS0_5tupleIJSC_S6_EEENSG_IJSD_SD_EEENS0_18inequality_wrapperINSA_8equal_toIiEEEEPmJS6_EEE10hipError_tPvRmT3_T4_T5_T6_T7_T9_mT8_P12ihipStream_tbDpT10_ENKUlT_T0_E_clISt17integral_constantIbLb1EES17_EEDaS12_S13_EUlS12_E_NS1_11comp_targetILNS1_3genE4ELNS1_11target_archE910ELNS1_3gpuE8ELNS1_3repE0EEENS1_30default_config_static_selectorELNS0_4arch9wavefront6targetE1EEEvT1_: ; @_ZN7rocprim17ROCPRIM_400000_NS6detail17trampoline_kernelINS0_14default_configENS1_25partition_config_selectorILNS1_17partition_subalgoE8EiNS0_10empty_typeEbEEZZNS1_14partition_implILS5_8ELb0ES3_jN6thrust23THRUST_200600_302600_NS10device_ptrIiEEPS6_PKS6_NS0_5tupleIJSC_S6_EEENSG_IJSD_SD_EEENS0_18inequality_wrapperINSA_8equal_toIiEEEEPmJS6_EEE10hipError_tPvRmT3_T4_T5_T6_T7_T9_mT8_P12ihipStream_tbDpT10_ENKUlT_T0_E_clISt17integral_constantIbLb1EES17_EEDaS12_S13_EUlS12_E_NS1_11comp_targetILNS1_3genE4ELNS1_11target_archE910ELNS1_3gpuE8ELNS1_3repE0EEENS1_30default_config_static_selectorELNS0_4arch9wavefront6targetE1EEEvT1_
; %bb.0:
	.section	.rodata,"a",@progbits
	.p2align	6, 0x0
	.amdhsa_kernel _ZN7rocprim17ROCPRIM_400000_NS6detail17trampoline_kernelINS0_14default_configENS1_25partition_config_selectorILNS1_17partition_subalgoE8EiNS0_10empty_typeEbEEZZNS1_14partition_implILS5_8ELb0ES3_jN6thrust23THRUST_200600_302600_NS10device_ptrIiEEPS6_PKS6_NS0_5tupleIJSC_S6_EEENSG_IJSD_SD_EEENS0_18inequality_wrapperINSA_8equal_toIiEEEEPmJS6_EEE10hipError_tPvRmT3_T4_T5_T6_T7_T9_mT8_P12ihipStream_tbDpT10_ENKUlT_T0_E_clISt17integral_constantIbLb1EES17_EEDaS12_S13_EUlS12_E_NS1_11comp_targetILNS1_3genE4ELNS1_11target_archE910ELNS1_3gpuE8ELNS1_3repE0EEENS1_30default_config_static_selectorELNS0_4arch9wavefront6targetE1EEEvT1_
		.amdhsa_group_segment_fixed_size 0
		.amdhsa_private_segment_fixed_size 0
		.amdhsa_kernarg_size 128
		.amdhsa_user_sgpr_count 6
		.amdhsa_user_sgpr_private_segment_buffer 1
		.amdhsa_user_sgpr_dispatch_ptr 0
		.amdhsa_user_sgpr_queue_ptr 0
		.amdhsa_user_sgpr_kernarg_segment_ptr 1
		.amdhsa_user_sgpr_dispatch_id 0
		.amdhsa_user_sgpr_flat_scratch_init 0
		.amdhsa_user_sgpr_private_segment_size 0
		.amdhsa_uses_dynamic_stack 0
		.amdhsa_system_sgpr_private_segment_wavefront_offset 0
		.amdhsa_system_sgpr_workgroup_id_x 1
		.amdhsa_system_sgpr_workgroup_id_y 0
		.amdhsa_system_sgpr_workgroup_id_z 0
		.amdhsa_system_sgpr_workgroup_info 0
		.amdhsa_system_vgpr_workitem_id 0
		.amdhsa_next_free_vgpr 1
		.amdhsa_next_free_sgpr 0
		.amdhsa_reserve_vcc 0
		.amdhsa_reserve_flat_scratch 0
		.amdhsa_float_round_mode_32 0
		.amdhsa_float_round_mode_16_64 0
		.amdhsa_float_denorm_mode_32 3
		.amdhsa_float_denorm_mode_16_64 3
		.amdhsa_dx10_clamp 1
		.amdhsa_ieee_mode 1
		.amdhsa_fp16_overflow 0
		.amdhsa_exception_fp_ieee_invalid_op 0
		.amdhsa_exception_fp_denorm_src 0
		.amdhsa_exception_fp_ieee_div_zero 0
		.amdhsa_exception_fp_ieee_overflow 0
		.amdhsa_exception_fp_ieee_underflow 0
		.amdhsa_exception_fp_ieee_inexact 0
		.amdhsa_exception_int_div_zero 0
	.end_amdhsa_kernel
	.section	.text._ZN7rocprim17ROCPRIM_400000_NS6detail17trampoline_kernelINS0_14default_configENS1_25partition_config_selectorILNS1_17partition_subalgoE8EiNS0_10empty_typeEbEEZZNS1_14partition_implILS5_8ELb0ES3_jN6thrust23THRUST_200600_302600_NS10device_ptrIiEEPS6_PKS6_NS0_5tupleIJSC_S6_EEENSG_IJSD_SD_EEENS0_18inequality_wrapperINSA_8equal_toIiEEEEPmJS6_EEE10hipError_tPvRmT3_T4_T5_T6_T7_T9_mT8_P12ihipStream_tbDpT10_ENKUlT_T0_E_clISt17integral_constantIbLb1EES17_EEDaS12_S13_EUlS12_E_NS1_11comp_targetILNS1_3genE4ELNS1_11target_archE910ELNS1_3gpuE8ELNS1_3repE0EEENS1_30default_config_static_selectorELNS0_4arch9wavefront6targetE1EEEvT1_,"axG",@progbits,_ZN7rocprim17ROCPRIM_400000_NS6detail17trampoline_kernelINS0_14default_configENS1_25partition_config_selectorILNS1_17partition_subalgoE8EiNS0_10empty_typeEbEEZZNS1_14partition_implILS5_8ELb0ES3_jN6thrust23THRUST_200600_302600_NS10device_ptrIiEEPS6_PKS6_NS0_5tupleIJSC_S6_EEENSG_IJSD_SD_EEENS0_18inequality_wrapperINSA_8equal_toIiEEEEPmJS6_EEE10hipError_tPvRmT3_T4_T5_T6_T7_T9_mT8_P12ihipStream_tbDpT10_ENKUlT_T0_E_clISt17integral_constantIbLb1EES17_EEDaS12_S13_EUlS12_E_NS1_11comp_targetILNS1_3genE4ELNS1_11target_archE910ELNS1_3gpuE8ELNS1_3repE0EEENS1_30default_config_static_selectorELNS0_4arch9wavefront6targetE1EEEvT1_,comdat
.Lfunc_end1041:
	.size	_ZN7rocprim17ROCPRIM_400000_NS6detail17trampoline_kernelINS0_14default_configENS1_25partition_config_selectorILNS1_17partition_subalgoE8EiNS0_10empty_typeEbEEZZNS1_14partition_implILS5_8ELb0ES3_jN6thrust23THRUST_200600_302600_NS10device_ptrIiEEPS6_PKS6_NS0_5tupleIJSC_S6_EEENSG_IJSD_SD_EEENS0_18inequality_wrapperINSA_8equal_toIiEEEEPmJS6_EEE10hipError_tPvRmT3_T4_T5_T6_T7_T9_mT8_P12ihipStream_tbDpT10_ENKUlT_T0_E_clISt17integral_constantIbLb1EES17_EEDaS12_S13_EUlS12_E_NS1_11comp_targetILNS1_3genE4ELNS1_11target_archE910ELNS1_3gpuE8ELNS1_3repE0EEENS1_30default_config_static_selectorELNS0_4arch9wavefront6targetE1EEEvT1_, .Lfunc_end1041-_ZN7rocprim17ROCPRIM_400000_NS6detail17trampoline_kernelINS0_14default_configENS1_25partition_config_selectorILNS1_17partition_subalgoE8EiNS0_10empty_typeEbEEZZNS1_14partition_implILS5_8ELb0ES3_jN6thrust23THRUST_200600_302600_NS10device_ptrIiEEPS6_PKS6_NS0_5tupleIJSC_S6_EEENSG_IJSD_SD_EEENS0_18inequality_wrapperINSA_8equal_toIiEEEEPmJS6_EEE10hipError_tPvRmT3_T4_T5_T6_T7_T9_mT8_P12ihipStream_tbDpT10_ENKUlT_T0_E_clISt17integral_constantIbLb1EES17_EEDaS12_S13_EUlS12_E_NS1_11comp_targetILNS1_3genE4ELNS1_11target_archE910ELNS1_3gpuE8ELNS1_3repE0EEENS1_30default_config_static_selectorELNS0_4arch9wavefront6targetE1EEEvT1_
                                        ; -- End function
	.set _ZN7rocprim17ROCPRIM_400000_NS6detail17trampoline_kernelINS0_14default_configENS1_25partition_config_selectorILNS1_17partition_subalgoE8EiNS0_10empty_typeEbEEZZNS1_14partition_implILS5_8ELb0ES3_jN6thrust23THRUST_200600_302600_NS10device_ptrIiEEPS6_PKS6_NS0_5tupleIJSC_S6_EEENSG_IJSD_SD_EEENS0_18inequality_wrapperINSA_8equal_toIiEEEEPmJS6_EEE10hipError_tPvRmT3_T4_T5_T6_T7_T9_mT8_P12ihipStream_tbDpT10_ENKUlT_T0_E_clISt17integral_constantIbLb1EES17_EEDaS12_S13_EUlS12_E_NS1_11comp_targetILNS1_3genE4ELNS1_11target_archE910ELNS1_3gpuE8ELNS1_3repE0EEENS1_30default_config_static_selectorELNS0_4arch9wavefront6targetE1EEEvT1_.num_vgpr, 0
	.set _ZN7rocprim17ROCPRIM_400000_NS6detail17trampoline_kernelINS0_14default_configENS1_25partition_config_selectorILNS1_17partition_subalgoE8EiNS0_10empty_typeEbEEZZNS1_14partition_implILS5_8ELb0ES3_jN6thrust23THRUST_200600_302600_NS10device_ptrIiEEPS6_PKS6_NS0_5tupleIJSC_S6_EEENSG_IJSD_SD_EEENS0_18inequality_wrapperINSA_8equal_toIiEEEEPmJS6_EEE10hipError_tPvRmT3_T4_T5_T6_T7_T9_mT8_P12ihipStream_tbDpT10_ENKUlT_T0_E_clISt17integral_constantIbLb1EES17_EEDaS12_S13_EUlS12_E_NS1_11comp_targetILNS1_3genE4ELNS1_11target_archE910ELNS1_3gpuE8ELNS1_3repE0EEENS1_30default_config_static_selectorELNS0_4arch9wavefront6targetE1EEEvT1_.num_agpr, 0
	.set _ZN7rocprim17ROCPRIM_400000_NS6detail17trampoline_kernelINS0_14default_configENS1_25partition_config_selectorILNS1_17partition_subalgoE8EiNS0_10empty_typeEbEEZZNS1_14partition_implILS5_8ELb0ES3_jN6thrust23THRUST_200600_302600_NS10device_ptrIiEEPS6_PKS6_NS0_5tupleIJSC_S6_EEENSG_IJSD_SD_EEENS0_18inequality_wrapperINSA_8equal_toIiEEEEPmJS6_EEE10hipError_tPvRmT3_T4_T5_T6_T7_T9_mT8_P12ihipStream_tbDpT10_ENKUlT_T0_E_clISt17integral_constantIbLb1EES17_EEDaS12_S13_EUlS12_E_NS1_11comp_targetILNS1_3genE4ELNS1_11target_archE910ELNS1_3gpuE8ELNS1_3repE0EEENS1_30default_config_static_selectorELNS0_4arch9wavefront6targetE1EEEvT1_.numbered_sgpr, 0
	.set _ZN7rocprim17ROCPRIM_400000_NS6detail17trampoline_kernelINS0_14default_configENS1_25partition_config_selectorILNS1_17partition_subalgoE8EiNS0_10empty_typeEbEEZZNS1_14partition_implILS5_8ELb0ES3_jN6thrust23THRUST_200600_302600_NS10device_ptrIiEEPS6_PKS6_NS0_5tupleIJSC_S6_EEENSG_IJSD_SD_EEENS0_18inequality_wrapperINSA_8equal_toIiEEEEPmJS6_EEE10hipError_tPvRmT3_T4_T5_T6_T7_T9_mT8_P12ihipStream_tbDpT10_ENKUlT_T0_E_clISt17integral_constantIbLb1EES17_EEDaS12_S13_EUlS12_E_NS1_11comp_targetILNS1_3genE4ELNS1_11target_archE910ELNS1_3gpuE8ELNS1_3repE0EEENS1_30default_config_static_selectorELNS0_4arch9wavefront6targetE1EEEvT1_.num_named_barrier, 0
	.set _ZN7rocprim17ROCPRIM_400000_NS6detail17trampoline_kernelINS0_14default_configENS1_25partition_config_selectorILNS1_17partition_subalgoE8EiNS0_10empty_typeEbEEZZNS1_14partition_implILS5_8ELb0ES3_jN6thrust23THRUST_200600_302600_NS10device_ptrIiEEPS6_PKS6_NS0_5tupleIJSC_S6_EEENSG_IJSD_SD_EEENS0_18inequality_wrapperINSA_8equal_toIiEEEEPmJS6_EEE10hipError_tPvRmT3_T4_T5_T6_T7_T9_mT8_P12ihipStream_tbDpT10_ENKUlT_T0_E_clISt17integral_constantIbLb1EES17_EEDaS12_S13_EUlS12_E_NS1_11comp_targetILNS1_3genE4ELNS1_11target_archE910ELNS1_3gpuE8ELNS1_3repE0EEENS1_30default_config_static_selectorELNS0_4arch9wavefront6targetE1EEEvT1_.private_seg_size, 0
	.set _ZN7rocprim17ROCPRIM_400000_NS6detail17trampoline_kernelINS0_14default_configENS1_25partition_config_selectorILNS1_17partition_subalgoE8EiNS0_10empty_typeEbEEZZNS1_14partition_implILS5_8ELb0ES3_jN6thrust23THRUST_200600_302600_NS10device_ptrIiEEPS6_PKS6_NS0_5tupleIJSC_S6_EEENSG_IJSD_SD_EEENS0_18inequality_wrapperINSA_8equal_toIiEEEEPmJS6_EEE10hipError_tPvRmT3_T4_T5_T6_T7_T9_mT8_P12ihipStream_tbDpT10_ENKUlT_T0_E_clISt17integral_constantIbLb1EES17_EEDaS12_S13_EUlS12_E_NS1_11comp_targetILNS1_3genE4ELNS1_11target_archE910ELNS1_3gpuE8ELNS1_3repE0EEENS1_30default_config_static_selectorELNS0_4arch9wavefront6targetE1EEEvT1_.uses_vcc, 0
	.set _ZN7rocprim17ROCPRIM_400000_NS6detail17trampoline_kernelINS0_14default_configENS1_25partition_config_selectorILNS1_17partition_subalgoE8EiNS0_10empty_typeEbEEZZNS1_14partition_implILS5_8ELb0ES3_jN6thrust23THRUST_200600_302600_NS10device_ptrIiEEPS6_PKS6_NS0_5tupleIJSC_S6_EEENSG_IJSD_SD_EEENS0_18inequality_wrapperINSA_8equal_toIiEEEEPmJS6_EEE10hipError_tPvRmT3_T4_T5_T6_T7_T9_mT8_P12ihipStream_tbDpT10_ENKUlT_T0_E_clISt17integral_constantIbLb1EES17_EEDaS12_S13_EUlS12_E_NS1_11comp_targetILNS1_3genE4ELNS1_11target_archE910ELNS1_3gpuE8ELNS1_3repE0EEENS1_30default_config_static_selectorELNS0_4arch9wavefront6targetE1EEEvT1_.uses_flat_scratch, 0
	.set _ZN7rocprim17ROCPRIM_400000_NS6detail17trampoline_kernelINS0_14default_configENS1_25partition_config_selectorILNS1_17partition_subalgoE8EiNS0_10empty_typeEbEEZZNS1_14partition_implILS5_8ELb0ES3_jN6thrust23THRUST_200600_302600_NS10device_ptrIiEEPS6_PKS6_NS0_5tupleIJSC_S6_EEENSG_IJSD_SD_EEENS0_18inequality_wrapperINSA_8equal_toIiEEEEPmJS6_EEE10hipError_tPvRmT3_T4_T5_T6_T7_T9_mT8_P12ihipStream_tbDpT10_ENKUlT_T0_E_clISt17integral_constantIbLb1EES17_EEDaS12_S13_EUlS12_E_NS1_11comp_targetILNS1_3genE4ELNS1_11target_archE910ELNS1_3gpuE8ELNS1_3repE0EEENS1_30default_config_static_selectorELNS0_4arch9wavefront6targetE1EEEvT1_.has_dyn_sized_stack, 0
	.set _ZN7rocprim17ROCPRIM_400000_NS6detail17trampoline_kernelINS0_14default_configENS1_25partition_config_selectorILNS1_17partition_subalgoE8EiNS0_10empty_typeEbEEZZNS1_14partition_implILS5_8ELb0ES3_jN6thrust23THRUST_200600_302600_NS10device_ptrIiEEPS6_PKS6_NS0_5tupleIJSC_S6_EEENSG_IJSD_SD_EEENS0_18inequality_wrapperINSA_8equal_toIiEEEEPmJS6_EEE10hipError_tPvRmT3_T4_T5_T6_T7_T9_mT8_P12ihipStream_tbDpT10_ENKUlT_T0_E_clISt17integral_constantIbLb1EES17_EEDaS12_S13_EUlS12_E_NS1_11comp_targetILNS1_3genE4ELNS1_11target_archE910ELNS1_3gpuE8ELNS1_3repE0EEENS1_30default_config_static_selectorELNS0_4arch9wavefront6targetE1EEEvT1_.has_recursion, 0
	.set _ZN7rocprim17ROCPRIM_400000_NS6detail17trampoline_kernelINS0_14default_configENS1_25partition_config_selectorILNS1_17partition_subalgoE8EiNS0_10empty_typeEbEEZZNS1_14partition_implILS5_8ELb0ES3_jN6thrust23THRUST_200600_302600_NS10device_ptrIiEEPS6_PKS6_NS0_5tupleIJSC_S6_EEENSG_IJSD_SD_EEENS0_18inequality_wrapperINSA_8equal_toIiEEEEPmJS6_EEE10hipError_tPvRmT3_T4_T5_T6_T7_T9_mT8_P12ihipStream_tbDpT10_ENKUlT_T0_E_clISt17integral_constantIbLb1EES17_EEDaS12_S13_EUlS12_E_NS1_11comp_targetILNS1_3genE4ELNS1_11target_archE910ELNS1_3gpuE8ELNS1_3repE0EEENS1_30default_config_static_selectorELNS0_4arch9wavefront6targetE1EEEvT1_.has_indirect_call, 0
	.section	.AMDGPU.csdata,"",@progbits
; Kernel info:
; codeLenInByte = 0
; TotalNumSgprs: 4
; NumVgprs: 0
; ScratchSize: 0
; MemoryBound: 0
; FloatMode: 240
; IeeeMode: 1
; LDSByteSize: 0 bytes/workgroup (compile time only)
; SGPRBlocks: 0
; VGPRBlocks: 0
; NumSGPRsForWavesPerEU: 4
; NumVGPRsForWavesPerEU: 1
; Occupancy: 10
; WaveLimiterHint : 0
; COMPUTE_PGM_RSRC2:SCRATCH_EN: 0
; COMPUTE_PGM_RSRC2:USER_SGPR: 6
; COMPUTE_PGM_RSRC2:TRAP_HANDLER: 0
; COMPUTE_PGM_RSRC2:TGID_X_EN: 1
; COMPUTE_PGM_RSRC2:TGID_Y_EN: 0
; COMPUTE_PGM_RSRC2:TGID_Z_EN: 0
; COMPUTE_PGM_RSRC2:TIDIG_COMP_CNT: 0
	.section	.text._ZN7rocprim17ROCPRIM_400000_NS6detail17trampoline_kernelINS0_14default_configENS1_25partition_config_selectorILNS1_17partition_subalgoE8EiNS0_10empty_typeEbEEZZNS1_14partition_implILS5_8ELb0ES3_jN6thrust23THRUST_200600_302600_NS10device_ptrIiEEPS6_PKS6_NS0_5tupleIJSC_S6_EEENSG_IJSD_SD_EEENS0_18inequality_wrapperINSA_8equal_toIiEEEEPmJS6_EEE10hipError_tPvRmT3_T4_T5_T6_T7_T9_mT8_P12ihipStream_tbDpT10_ENKUlT_T0_E_clISt17integral_constantIbLb1EES17_EEDaS12_S13_EUlS12_E_NS1_11comp_targetILNS1_3genE3ELNS1_11target_archE908ELNS1_3gpuE7ELNS1_3repE0EEENS1_30default_config_static_selectorELNS0_4arch9wavefront6targetE1EEEvT1_,"axG",@progbits,_ZN7rocprim17ROCPRIM_400000_NS6detail17trampoline_kernelINS0_14default_configENS1_25partition_config_selectorILNS1_17partition_subalgoE8EiNS0_10empty_typeEbEEZZNS1_14partition_implILS5_8ELb0ES3_jN6thrust23THRUST_200600_302600_NS10device_ptrIiEEPS6_PKS6_NS0_5tupleIJSC_S6_EEENSG_IJSD_SD_EEENS0_18inequality_wrapperINSA_8equal_toIiEEEEPmJS6_EEE10hipError_tPvRmT3_T4_T5_T6_T7_T9_mT8_P12ihipStream_tbDpT10_ENKUlT_T0_E_clISt17integral_constantIbLb1EES17_EEDaS12_S13_EUlS12_E_NS1_11comp_targetILNS1_3genE3ELNS1_11target_archE908ELNS1_3gpuE7ELNS1_3repE0EEENS1_30default_config_static_selectorELNS0_4arch9wavefront6targetE1EEEvT1_,comdat
	.protected	_ZN7rocprim17ROCPRIM_400000_NS6detail17trampoline_kernelINS0_14default_configENS1_25partition_config_selectorILNS1_17partition_subalgoE8EiNS0_10empty_typeEbEEZZNS1_14partition_implILS5_8ELb0ES3_jN6thrust23THRUST_200600_302600_NS10device_ptrIiEEPS6_PKS6_NS0_5tupleIJSC_S6_EEENSG_IJSD_SD_EEENS0_18inequality_wrapperINSA_8equal_toIiEEEEPmJS6_EEE10hipError_tPvRmT3_T4_T5_T6_T7_T9_mT8_P12ihipStream_tbDpT10_ENKUlT_T0_E_clISt17integral_constantIbLb1EES17_EEDaS12_S13_EUlS12_E_NS1_11comp_targetILNS1_3genE3ELNS1_11target_archE908ELNS1_3gpuE7ELNS1_3repE0EEENS1_30default_config_static_selectorELNS0_4arch9wavefront6targetE1EEEvT1_ ; -- Begin function _ZN7rocprim17ROCPRIM_400000_NS6detail17trampoline_kernelINS0_14default_configENS1_25partition_config_selectorILNS1_17partition_subalgoE8EiNS0_10empty_typeEbEEZZNS1_14partition_implILS5_8ELb0ES3_jN6thrust23THRUST_200600_302600_NS10device_ptrIiEEPS6_PKS6_NS0_5tupleIJSC_S6_EEENSG_IJSD_SD_EEENS0_18inequality_wrapperINSA_8equal_toIiEEEEPmJS6_EEE10hipError_tPvRmT3_T4_T5_T6_T7_T9_mT8_P12ihipStream_tbDpT10_ENKUlT_T0_E_clISt17integral_constantIbLb1EES17_EEDaS12_S13_EUlS12_E_NS1_11comp_targetILNS1_3genE3ELNS1_11target_archE908ELNS1_3gpuE7ELNS1_3repE0EEENS1_30default_config_static_selectorELNS0_4arch9wavefront6targetE1EEEvT1_
	.globl	_ZN7rocprim17ROCPRIM_400000_NS6detail17trampoline_kernelINS0_14default_configENS1_25partition_config_selectorILNS1_17partition_subalgoE8EiNS0_10empty_typeEbEEZZNS1_14partition_implILS5_8ELb0ES3_jN6thrust23THRUST_200600_302600_NS10device_ptrIiEEPS6_PKS6_NS0_5tupleIJSC_S6_EEENSG_IJSD_SD_EEENS0_18inequality_wrapperINSA_8equal_toIiEEEEPmJS6_EEE10hipError_tPvRmT3_T4_T5_T6_T7_T9_mT8_P12ihipStream_tbDpT10_ENKUlT_T0_E_clISt17integral_constantIbLb1EES17_EEDaS12_S13_EUlS12_E_NS1_11comp_targetILNS1_3genE3ELNS1_11target_archE908ELNS1_3gpuE7ELNS1_3repE0EEENS1_30default_config_static_selectorELNS0_4arch9wavefront6targetE1EEEvT1_
	.p2align	8
	.type	_ZN7rocprim17ROCPRIM_400000_NS6detail17trampoline_kernelINS0_14default_configENS1_25partition_config_selectorILNS1_17partition_subalgoE8EiNS0_10empty_typeEbEEZZNS1_14partition_implILS5_8ELb0ES3_jN6thrust23THRUST_200600_302600_NS10device_ptrIiEEPS6_PKS6_NS0_5tupleIJSC_S6_EEENSG_IJSD_SD_EEENS0_18inequality_wrapperINSA_8equal_toIiEEEEPmJS6_EEE10hipError_tPvRmT3_T4_T5_T6_T7_T9_mT8_P12ihipStream_tbDpT10_ENKUlT_T0_E_clISt17integral_constantIbLb1EES17_EEDaS12_S13_EUlS12_E_NS1_11comp_targetILNS1_3genE3ELNS1_11target_archE908ELNS1_3gpuE7ELNS1_3repE0EEENS1_30default_config_static_selectorELNS0_4arch9wavefront6targetE1EEEvT1_,@function
_ZN7rocprim17ROCPRIM_400000_NS6detail17trampoline_kernelINS0_14default_configENS1_25partition_config_selectorILNS1_17partition_subalgoE8EiNS0_10empty_typeEbEEZZNS1_14partition_implILS5_8ELb0ES3_jN6thrust23THRUST_200600_302600_NS10device_ptrIiEEPS6_PKS6_NS0_5tupleIJSC_S6_EEENSG_IJSD_SD_EEENS0_18inequality_wrapperINSA_8equal_toIiEEEEPmJS6_EEE10hipError_tPvRmT3_T4_T5_T6_T7_T9_mT8_P12ihipStream_tbDpT10_ENKUlT_T0_E_clISt17integral_constantIbLb1EES17_EEDaS12_S13_EUlS12_E_NS1_11comp_targetILNS1_3genE3ELNS1_11target_archE908ELNS1_3gpuE7ELNS1_3repE0EEENS1_30default_config_static_selectorELNS0_4arch9wavefront6targetE1EEEvT1_: ; @_ZN7rocprim17ROCPRIM_400000_NS6detail17trampoline_kernelINS0_14default_configENS1_25partition_config_selectorILNS1_17partition_subalgoE8EiNS0_10empty_typeEbEEZZNS1_14partition_implILS5_8ELb0ES3_jN6thrust23THRUST_200600_302600_NS10device_ptrIiEEPS6_PKS6_NS0_5tupleIJSC_S6_EEENSG_IJSD_SD_EEENS0_18inequality_wrapperINSA_8equal_toIiEEEEPmJS6_EEE10hipError_tPvRmT3_T4_T5_T6_T7_T9_mT8_P12ihipStream_tbDpT10_ENKUlT_T0_E_clISt17integral_constantIbLb1EES17_EEDaS12_S13_EUlS12_E_NS1_11comp_targetILNS1_3genE3ELNS1_11target_archE908ELNS1_3gpuE7ELNS1_3repE0EEENS1_30default_config_static_selectorELNS0_4arch9wavefront6targetE1EEEvT1_
; %bb.0:
	.section	.rodata,"a",@progbits
	.p2align	6, 0x0
	.amdhsa_kernel _ZN7rocprim17ROCPRIM_400000_NS6detail17trampoline_kernelINS0_14default_configENS1_25partition_config_selectorILNS1_17partition_subalgoE8EiNS0_10empty_typeEbEEZZNS1_14partition_implILS5_8ELb0ES3_jN6thrust23THRUST_200600_302600_NS10device_ptrIiEEPS6_PKS6_NS0_5tupleIJSC_S6_EEENSG_IJSD_SD_EEENS0_18inequality_wrapperINSA_8equal_toIiEEEEPmJS6_EEE10hipError_tPvRmT3_T4_T5_T6_T7_T9_mT8_P12ihipStream_tbDpT10_ENKUlT_T0_E_clISt17integral_constantIbLb1EES17_EEDaS12_S13_EUlS12_E_NS1_11comp_targetILNS1_3genE3ELNS1_11target_archE908ELNS1_3gpuE7ELNS1_3repE0EEENS1_30default_config_static_selectorELNS0_4arch9wavefront6targetE1EEEvT1_
		.amdhsa_group_segment_fixed_size 0
		.amdhsa_private_segment_fixed_size 0
		.amdhsa_kernarg_size 128
		.amdhsa_user_sgpr_count 6
		.amdhsa_user_sgpr_private_segment_buffer 1
		.amdhsa_user_sgpr_dispatch_ptr 0
		.amdhsa_user_sgpr_queue_ptr 0
		.amdhsa_user_sgpr_kernarg_segment_ptr 1
		.amdhsa_user_sgpr_dispatch_id 0
		.amdhsa_user_sgpr_flat_scratch_init 0
		.amdhsa_user_sgpr_private_segment_size 0
		.amdhsa_uses_dynamic_stack 0
		.amdhsa_system_sgpr_private_segment_wavefront_offset 0
		.amdhsa_system_sgpr_workgroup_id_x 1
		.amdhsa_system_sgpr_workgroup_id_y 0
		.amdhsa_system_sgpr_workgroup_id_z 0
		.amdhsa_system_sgpr_workgroup_info 0
		.amdhsa_system_vgpr_workitem_id 0
		.amdhsa_next_free_vgpr 1
		.amdhsa_next_free_sgpr 0
		.amdhsa_reserve_vcc 0
		.amdhsa_reserve_flat_scratch 0
		.amdhsa_float_round_mode_32 0
		.amdhsa_float_round_mode_16_64 0
		.amdhsa_float_denorm_mode_32 3
		.amdhsa_float_denorm_mode_16_64 3
		.amdhsa_dx10_clamp 1
		.amdhsa_ieee_mode 1
		.amdhsa_fp16_overflow 0
		.amdhsa_exception_fp_ieee_invalid_op 0
		.amdhsa_exception_fp_denorm_src 0
		.amdhsa_exception_fp_ieee_div_zero 0
		.amdhsa_exception_fp_ieee_overflow 0
		.amdhsa_exception_fp_ieee_underflow 0
		.amdhsa_exception_fp_ieee_inexact 0
		.amdhsa_exception_int_div_zero 0
	.end_amdhsa_kernel
	.section	.text._ZN7rocprim17ROCPRIM_400000_NS6detail17trampoline_kernelINS0_14default_configENS1_25partition_config_selectorILNS1_17partition_subalgoE8EiNS0_10empty_typeEbEEZZNS1_14partition_implILS5_8ELb0ES3_jN6thrust23THRUST_200600_302600_NS10device_ptrIiEEPS6_PKS6_NS0_5tupleIJSC_S6_EEENSG_IJSD_SD_EEENS0_18inequality_wrapperINSA_8equal_toIiEEEEPmJS6_EEE10hipError_tPvRmT3_T4_T5_T6_T7_T9_mT8_P12ihipStream_tbDpT10_ENKUlT_T0_E_clISt17integral_constantIbLb1EES17_EEDaS12_S13_EUlS12_E_NS1_11comp_targetILNS1_3genE3ELNS1_11target_archE908ELNS1_3gpuE7ELNS1_3repE0EEENS1_30default_config_static_selectorELNS0_4arch9wavefront6targetE1EEEvT1_,"axG",@progbits,_ZN7rocprim17ROCPRIM_400000_NS6detail17trampoline_kernelINS0_14default_configENS1_25partition_config_selectorILNS1_17partition_subalgoE8EiNS0_10empty_typeEbEEZZNS1_14partition_implILS5_8ELb0ES3_jN6thrust23THRUST_200600_302600_NS10device_ptrIiEEPS6_PKS6_NS0_5tupleIJSC_S6_EEENSG_IJSD_SD_EEENS0_18inequality_wrapperINSA_8equal_toIiEEEEPmJS6_EEE10hipError_tPvRmT3_T4_T5_T6_T7_T9_mT8_P12ihipStream_tbDpT10_ENKUlT_T0_E_clISt17integral_constantIbLb1EES17_EEDaS12_S13_EUlS12_E_NS1_11comp_targetILNS1_3genE3ELNS1_11target_archE908ELNS1_3gpuE7ELNS1_3repE0EEENS1_30default_config_static_selectorELNS0_4arch9wavefront6targetE1EEEvT1_,comdat
.Lfunc_end1042:
	.size	_ZN7rocprim17ROCPRIM_400000_NS6detail17trampoline_kernelINS0_14default_configENS1_25partition_config_selectorILNS1_17partition_subalgoE8EiNS0_10empty_typeEbEEZZNS1_14partition_implILS5_8ELb0ES3_jN6thrust23THRUST_200600_302600_NS10device_ptrIiEEPS6_PKS6_NS0_5tupleIJSC_S6_EEENSG_IJSD_SD_EEENS0_18inequality_wrapperINSA_8equal_toIiEEEEPmJS6_EEE10hipError_tPvRmT3_T4_T5_T6_T7_T9_mT8_P12ihipStream_tbDpT10_ENKUlT_T0_E_clISt17integral_constantIbLb1EES17_EEDaS12_S13_EUlS12_E_NS1_11comp_targetILNS1_3genE3ELNS1_11target_archE908ELNS1_3gpuE7ELNS1_3repE0EEENS1_30default_config_static_selectorELNS0_4arch9wavefront6targetE1EEEvT1_, .Lfunc_end1042-_ZN7rocprim17ROCPRIM_400000_NS6detail17trampoline_kernelINS0_14default_configENS1_25partition_config_selectorILNS1_17partition_subalgoE8EiNS0_10empty_typeEbEEZZNS1_14partition_implILS5_8ELb0ES3_jN6thrust23THRUST_200600_302600_NS10device_ptrIiEEPS6_PKS6_NS0_5tupleIJSC_S6_EEENSG_IJSD_SD_EEENS0_18inequality_wrapperINSA_8equal_toIiEEEEPmJS6_EEE10hipError_tPvRmT3_T4_T5_T6_T7_T9_mT8_P12ihipStream_tbDpT10_ENKUlT_T0_E_clISt17integral_constantIbLb1EES17_EEDaS12_S13_EUlS12_E_NS1_11comp_targetILNS1_3genE3ELNS1_11target_archE908ELNS1_3gpuE7ELNS1_3repE0EEENS1_30default_config_static_selectorELNS0_4arch9wavefront6targetE1EEEvT1_
                                        ; -- End function
	.set _ZN7rocprim17ROCPRIM_400000_NS6detail17trampoline_kernelINS0_14default_configENS1_25partition_config_selectorILNS1_17partition_subalgoE8EiNS0_10empty_typeEbEEZZNS1_14partition_implILS5_8ELb0ES3_jN6thrust23THRUST_200600_302600_NS10device_ptrIiEEPS6_PKS6_NS0_5tupleIJSC_S6_EEENSG_IJSD_SD_EEENS0_18inequality_wrapperINSA_8equal_toIiEEEEPmJS6_EEE10hipError_tPvRmT3_T4_T5_T6_T7_T9_mT8_P12ihipStream_tbDpT10_ENKUlT_T0_E_clISt17integral_constantIbLb1EES17_EEDaS12_S13_EUlS12_E_NS1_11comp_targetILNS1_3genE3ELNS1_11target_archE908ELNS1_3gpuE7ELNS1_3repE0EEENS1_30default_config_static_selectorELNS0_4arch9wavefront6targetE1EEEvT1_.num_vgpr, 0
	.set _ZN7rocprim17ROCPRIM_400000_NS6detail17trampoline_kernelINS0_14default_configENS1_25partition_config_selectorILNS1_17partition_subalgoE8EiNS0_10empty_typeEbEEZZNS1_14partition_implILS5_8ELb0ES3_jN6thrust23THRUST_200600_302600_NS10device_ptrIiEEPS6_PKS6_NS0_5tupleIJSC_S6_EEENSG_IJSD_SD_EEENS0_18inequality_wrapperINSA_8equal_toIiEEEEPmJS6_EEE10hipError_tPvRmT3_T4_T5_T6_T7_T9_mT8_P12ihipStream_tbDpT10_ENKUlT_T0_E_clISt17integral_constantIbLb1EES17_EEDaS12_S13_EUlS12_E_NS1_11comp_targetILNS1_3genE3ELNS1_11target_archE908ELNS1_3gpuE7ELNS1_3repE0EEENS1_30default_config_static_selectorELNS0_4arch9wavefront6targetE1EEEvT1_.num_agpr, 0
	.set _ZN7rocprim17ROCPRIM_400000_NS6detail17trampoline_kernelINS0_14default_configENS1_25partition_config_selectorILNS1_17partition_subalgoE8EiNS0_10empty_typeEbEEZZNS1_14partition_implILS5_8ELb0ES3_jN6thrust23THRUST_200600_302600_NS10device_ptrIiEEPS6_PKS6_NS0_5tupleIJSC_S6_EEENSG_IJSD_SD_EEENS0_18inequality_wrapperINSA_8equal_toIiEEEEPmJS6_EEE10hipError_tPvRmT3_T4_T5_T6_T7_T9_mT8_P12ihipStream_tbDpT10_ENKUlT_T0_E_clISt17integral_constantIbLb1EES17_EEDaS12_S13_EUlS12_E_NS1_11comp_targetILNS1_3genE3ELNS1_11target_archE908ELNS1_3gpuE7ELNS1_3repE0EEENS1_30default_config_static_selectorELNS0_4arch9wavefront6targetE1EEEvT1_.numbered_sgpr, 0
	.set _ZN7rocprim17ROCPRIM_400000_NS6detail17trampoline_kernelINS0_14default_configENS1_25partition_config_selectorILNS1_17partition_subalgoE8EiNS0_10empty_typeEbEEZZNS1_14partition_implILS5_8ELb0ES3_jN6thrust23THRUST_200600_302600_NS10device_ptrIiEEPS6_PKS6_NS0_5tupleIJSC_S6_EEENSG_IJSD_SD_EEENS0_18inequality_wrapperINSA_8equal_toIiEEEEPmJS6_EEE10hipError_tPvRmT3_T4_T5_T6_T7_T9_mT8_P12ihipStream_tbDpT10_ENKUlT_T0_E_clISt17integral_constantIbLb1EES17_EEDaS12_S13_EUlS12_E_NS1_11comp_targetILNS1_3genE3ELNS1_11target_archE908ELNS1_3gpuE7ELNS1_3repE0EEENS1_30default_config_static_selectorELNS0_4arch9wavefront6targetE1EEEvT1_.num_named_barrier, 0
	.set _ZN7rocprim17ROCPRIM_400000_NS6detail17trampoline_kernelINS0_14default_configENS1_25partition_config_selectorILNS1_17partition_subalgoE8EiNS0_10empty_typeEbEEZZNS1_14partition_implILS5_8ELb0ES3_jN6thrust23THRUST_200600_302600_NS10device_ptrIiEEPS6_PKS6_NS0_5tupleIJSC_S6_EEENSG_IJSD_SD_EEENS0_18inequality_wrapperINSA_8equal_toIiEEEEPmJS6_EEE10hipError_tPvRmT3_T4_T5_T6_T7_T9_mT8_P12ihipStream_tbDpT10_ENKUlT_T0_E_clISt17integral_constantIbLb1EES17_EEDaS12_S13_EUlS12_E_NS1_11comp_targetILNS1_3genE3ELNS1_11target_archE908ELNS1_3gpuE7ELNS1_3repE0EEENS1_30default_config_static_selectorELNS0_4arch9wavefront6targetE1EEEvT1_.private_seg_size, 0
	.set _ZN7rocprim17ROCPRIM_400000_NS6detail17trampoline_kernelINS0_14default_configENS1_25partition_config_selectorILNS1_17partition_subalgoE8EiNS0_10empty_typeEbEEZZNS1_14partition_implILS5_8ELb0ES3_jN6thrust23THRUST_200600_302600_NS10device_ptrIiEEPS6_PKS6_NS0_5tupleIJSC_S6_EEENSG_IJSD_SD_EEENS0_18inequality_wrapperINSA_8equal_toIiEEEEPmJS6_EEE10hipError_tPvRmT3_T4_T5_T6_T7_T9_mT8_P12ihipStream_tbDpT10_ENKUlT_T0_E_clISt17integral_constantIbLb1EES17_EEDaS12_S13_EUlS12_E_NS1_11comp_targetILNS1_3genE3ELNS1_11target_archE908ELNS1_3gpuE7ELNS1_3repE0EEENS1_30default_config_static_selectorELNS0_4arch9wavefront6targetE1EEEvT1_.uses_vcc, 0
	.set _ZN7rocprim17ROCPRIM_400000_NS6detail17trampoline_kernelINS0_14default_configENS1_25partition_config_selectorILNS1_17partition_subalgoE8EiNS0_10empty_typeEbEEZZNS1_14partition_implILS5_8ELb0ES3_jN6thrust23THRUST_200600_302600_NS10device_ptrIiEEPS6_PKS6_NS0_5tupleIJSC_S6_EEENSG_IJSD_SD_EEENS0_18inequality_wrapperINSA_8equal_toIiEEEEPmJS6_EEE10hipError_tPvRmT3_T4_T5_T6_T7_T9_mT8_P12ihipStream_tbDpT10_ENKUlT_T0_E_clISt17integral_constantIbLb1EES17_EEDaS12_S13_EUlS12_E_NS1_11comp_targetILNS1_3genE3ELNS1_11target_archE908ELNS1_3gpuE7ELNS1_3repE0EEENS1_30default_config_static_selectorELNS0_4arch9wavefront6targetE1EEEvT1_.uses_flat_scratch, 0
	.set _ZN7rocprim17ROCPRIM_400000_NS6detail17trampoline_kernelINS0_14default_configENS1_25partition_config_selectorILNS1_17partition_subalgoE8EiNS0_10empty_typeEbEEZZNS1_14partition_implILS5_8ELb0ES3_jN6thrust23THRUST_200600_302600_NS10device_ptrIiEEPS6_PKS6_NS0_5tupleIJSC_S6_EEENSG_IJSD_SD_EEENS0_18inequality_wrapperINSA_8equal_toIiEEEEPmJS6_EEE10hipError_tPvRmT3_T4_T5_T6_T7_T9_mT8_P12ihipStream_tbDpT10_ENKUlT_T0_E_clISt17integral_constantIbLb1EES17_EEDaS12_S13_EUlS12_E_NS1_11comp_targetILNS1_3genE3ELNS1_11target_archE908ELNS1_3gpuE7ELNS1_3repE0EEENS1_30default_config_static_selectorELNS0_4arch9wavefront6targetE1EEEvT1_.has_dyn_sized_stack, 0
	.set _ZN7rocprim17ROCPRIM_400000_NS6detail17trampoline_kernelINS0_14default_configENS1_25partition_config_selectorILNS1_17partition_subalgoE8EiNS0_10empty_typeEbEEZZNS1_14partition_implILS5_8ELb0ES3_jN6thrust23THRUST_200600_302600_NS10device_ptrIiEEPS6_PKS6_NS0_5tupleIJSC_S6_EEENSG_IJSD_SD_EEENS0_18inequality_wrapperINSA_8equal_toIiEEEEPmJS6_EEE10hipError_tPvRmT3_T4_T5_T6_T7_T9_mT8_P12ihipStream_tbDpT10_ENKUlT_T0_E_clISt17integral_constantIbLb1EES17_EEDaS12_S13_EUlS12_E_NS1_11comp_targetILNS1_3genE3ELNS1_11target_archE908ELNS1_3gpuE7ELNS1_3repE0EEENS1_30default_config_static_selectorELNS0_4arch9wavefront6targetE1EEEvT1_.has_recursion, 0
	.set _ZN7rocprim17ROCPRIM_400000_NS6detail17trampoline_kernelINS0_14default_configENS1_25partition_config_selectorILNS1_17partition_subalgoE8EiNS0_10empty_typeEbEEZZNS1_14partition_implILS5_8ELb0ES3_jN6thrust23THRUST_200600_302600_NS10device_ptrIiEEPS6_PKS6_NS0_5tupleIJSC_S6_EEENSG_IJSD_SD_EEENS0_18inequality_wrapperINSA_8equal_toIiEEEEPmJS6_EEE10hipError_tPvRmT3_T4_T5_T6_T7_T9_mT8_P12ihipStream_tbDpT10_ENKUlT_T0_E_clISt17integral_constantIbLb1EES17_EEDaS12_S13_EUlS12_E_NS1_11comp_targetILNS1_3genE3ELNS1_11target_archE908ELNS1_3gpuE7ELNS1_3repE0EEENS1_30default_config_static_selectorELNS0_4arch9wavefront6targetE1EEEvT1_.has_indirect_call, 0
	.section	.AMDGPU.csdata,"",@progbits
; Kernel info:
; codeLenInByte = 0
; TotalNumSgprs: 4
; NumVgprs: 0
; ScratchSize: 0
; MemoryBound: 0
; FloatMode: 240
; IeeeMode: 1
; LDSByteSize: 0 bytes/workgroup (compile time only)
; SGPRBlocks: 0
; VGPRBlocks: 0
; NumSGPRsForWavesPerEU: 4
; NumVGPRsForWavesPerEU: 1
; Occupancy: 10
; WaveLimiterHint : 0
; COMPUTE_PGM_RSRC2:SCRATCH_EN: 0
; COMPUTE_PGM_RSRC2:USER_SGPR: 6
; COMPUTE_PGM_RSRC2:TRAP_HANDLER: 0
; COMPUTE_PGM_RSRC2:TGID_X_EN: 1
; COMPUTE_PGM_RSRC2:TGID_Y_EN: 0
; COMPUTE_PGM_RSRC2:TGID_Z_EN: 0
; COMPUTE_PGM_RSRC2:TIDIG_COMP_CNT: 0
	.section	.text._ZN7rocprim17ROCPRIM_400000_NS6detail17trampoline_kernelINS0_14default_configENS1_25partition_config_selectorILNS1_17partition_subalgoE8EiNS0_10empty_typeEbEEZZNS1_14partition_implILS5_8ELb0ES3_jN6thrust23THRUST_200600_302600_NS10device_ptrIiEEPS6_PKS6_NS0_5tupleIJSC_S6_EEENSG_IJSD_SD_EEENS0_18inequality_wrapperINSA_8equal_toIiEEEEPmJS6_EEE10hipError_tPvRmT3_T4_T5_T6_T7_T9_mT8_P12ihipStream_tbDpT10_ENKUlT_T0_E_clISt17integral_constantIbLb1EES17_EEDaS12_S13_EUlS12_E_NS1_11comp_targetILNS1_3genE2ELNS1_11target_archE906ELNS1_3gpuE6ELNS1_3repE0EEENS1_30default_config_static_selectorELNS0_4arch9wavefront6targetE1EEEvT1_,"axG",@progbits,_ZN7rocprim17ROCPRIM_400000_NS6detail17trampoline_kernelINS0_14default_configENS1_25partition_config_selectorILNS1_17partition_subalgoE8EiNS0_10empty_typeEbEEZZNS1_14partition_implILS5_8ELb0ES3_jN6thrust23THRUST_200600_302600_NS10device_ptrIiEEPS6_PKS6_NS0_5tupleIJSC_S6_EEENSG_IJSD_SD_EEENS0_18inequality_wrapperINSA_8equal_toIiEEEEPmJS6_EEE10hipError_tPvRmT3_T4_T5_T6_T7_T9_mT8_P12ihipStream_tbDpT10_ENKUlT_T0_E_clISt17integral_constantIbLb1EES17_EEDaS12_S13_EUlS12_E_NS1_11comp_targetILNS1_3genE2ELNS1_11target_archE906ELNS1_3gpuE6ELNS1_3repE0EEENS1_30default_config_static_selectorELNS0_4arch9wavefront6targetE1EEEvT1_,comdat
	.protected	_ZN7rocprim17ROCPRIM_400000_NS6detail17trampoline_kernelINS0_14default_configENS1_25partition_config_selectorILNS1_17partition_subalgoE8EiNS0_10empty_typeEbEEZZNS1_14partition_implILS5_8ELb0ES3_jN6thrust23THRUST_200600_302600_NS10device_ptrIiEEPS6_PKS6_NS0_5tupleIJSC_S6_EEENSG_IJSD_SD_EEENS0_18inequality_wrapperINSA_8equal_toIiEEEEPmJS6_EEE10hipError_tPvRmT3_T4_T5_T6_T7_T9_mT8_P12ihipStream_tbDpT10_ENKUlT_T0_E_clISt17integral_constantIbLb1EES17_EEDaS12_S13_EUlS12_E_NS1_11comp_targetILNS1_3genE2ELNS1_11target_archE906ELNS1_3gpuE6ELNS1_3repE0EEENS1_30default_config_static_selectorELNS0_4arch9wavefront6targetE1EEEvT1_ ; -- Begin function _ZN7rocprim17ROCPRIM_400000_NS6detail17trampoline_kernelINS0_14default_configENS1_25partition_config_selectorILNS1_17partition_subalgoE8EiNS0_10empty_typeEbEEZZNS1_14partition_implILS5_8ELb0ES3_jN6thrust23THRUST_200600_302600_NS10device_ptrIiEEPS6_PKS6_NS0_5tupleIJSC_S6_EEENSG_IJSD_SD_EEENS0_18inequality_wrapperINSA_8equal_toIiEEEEPmJS6_EEE10hipError_tPvRmT3_T4_T5_T6_T7_T9_mT8_P12ihipStream_tbDpT10_ENKUlT_T0_E_clISt17integral_constantIbLb1EES17_EEDaS12_S13_EUlS12_E_NS1_11comp_targetILNS1_3genE2ELNS1_11target_archE906ELNS1_3gpuE6ELNS1_3repE0EEENS1_30default_config_static_selectorELNS0_4arch9wavefront6targetE1EEEvT1_
	.globl	_ZN7rocprim17ROCPRIM_400000_NS6detail17trampoline_kernelINS0_14default_configENS1_25partition_config_selectorILNS1_17partition_subalgoE8EiNS0_10empty_typeEbEEZZNS1_14partition_implILS5_8ELb0ES3_jN6thrust23THRUST_200600_302600_NS10device_ptrIiEEPS6_PKS6_NS0_5tupleIJSC_S6_EEENSG_IJSD_SD_EEENS0_18inequality_wrapperINSA_8equal_toIiEEEEPmJS6_EEE10hipError_tPvRmT3_T4_T5_T6_T7_T9_mT8_P12ihipStream_tbDpT10_ENKUlT_T0_E_clISt17integral_constantIbLb1EES17_EEDaS12_S13_EUlS12_E_NS1_11comp_targetILNS1_3genE2ELNS1_11target_archE906ELNS1_3gpuE6ELNS1_3repE0EEENS1_30default_config_static_selectorELNS0_4arch9wavefront6targetE1EEEvT1_
	.p2align	8
	.type	_ZN7rocprim17ROCPRIM_400000_NS6detail17trampoline_kernelINS0_14default_configENS1_25partition_config_selectorILNS1_17partition_subalgoE8EiNS0_10empty_typeEbEEZZNS1_14partition_implILS5_8ELb0ES3_jN6thrust23THRUST_200600_302600_NS10device_ptrIiEEPS6_PKS6_NS0_5tupleIJSC_S6_EEENSG_IJSD_SD_EEENS0_18inequality_wrapperINSA_8equal_toIiEEEEPmJS6_EEE10hipError_tPvRmT3_T4_T5_T6_T7_T9_mT8_P12ihipStream_tbDpT10_ENKUlT_T0_E_clISt17integral_constantIbLb1EES17_EEDaS12_S13_EUlS12_E_NS1_11comp_targetILNS1_3genE2ELNS1_11target_archE906ELNS1_3gpuE6ELNS1_3repE0EEENS1_30default_config_static_selectorELNS0_4arch9wavefront6targetE1EEEvT1_,@function
_ZN7rocprim17ROCPRIM_400000_NS6detail17trampoline_kernelINS0_14default_configENS1_25partition_config_selectorILNS1_17partition_subalgoE8EiNS0_10empty_typeEbEEZZNS1_14partition_implILS5_8ELb0ES3_jN6thrust23THRUST_200600_302600_NS10device_ptrIiEEPS6_PKS6_NS0_5tupleIJSC_S6_EEENSG_IJSD_SD_EEENS0_18inequality_wrapperINSA_8equal_toIiEEEEPmJS6_EEE10hipError_tPvRmT3_T4_T5_T6_T7_T9_mT8_P12ihipStream_tbDpT10_ENKUlT_T0_E_clISt17integral_constantIbLb1EES17_EEDaS12_S13_EUlS12_E_NS1_11comp_targetILNS1_3genE2ELNS1_11target_archE906ELNS1_3gpuE6ELNS1_3repE0EEENS1_30default_config_static_selectorELNS0_4arch9wavefront6targetE1EEEvT1_: ; @_ZN7rocprim17ROCPRIM_400000_NS6detail17trampoline_kernelINS0_14default_configENS1_25partition_config_selectorILNS1_17partition_subalgoE8EiNS0_10empty_typeEbEEZZNS1_14partition_implILS5_8ELb0ES3_jN6thrust23THRUST_200600_302600_NS10device_ptrIiEEPS6_PKS6_NS0_5tupleIJSC_S6_EEENSG_IJSD_SD_EEENS0_18inequality_wrapperINSA_8equal_toIiEEEEPmJS6_EEE10hipError_tPvRmT3_T4_T5_T6_T7_T9_mT8_P12ihipStream_tbDpT10_ENKUlT_T0_E_clISt17integral_constantIbLb1EES17_EEDaS12_S13_EUlS12_E_NS1_11comp_targetILNS1_3genE2ELNS1_11target_archE906ELNS1_3gpuE6ELNS1_3repE0EEENS1_30default_config_static_selectorELNS0_4arch9wavefront6targetE1EEEvT1_
; %bb.0:
	s_endpgm
	.section	.rodata,"a",@progbits
	.p2align	6, 0x0
	.amdhsa_kernel _ZN7rocprim17ROCPRIM_400000_NS6detail17trampoline_kernelINS0_14default_configENS1_25partition_config_selectorILNS1_17partition_subalgoE8EiNS0_10empty_typeEbEEZZNS1_14partition_implILS5_8ELb0ES3_jN6thrust23THRUST_200600_302600_NS10device_ptrIiEEPS6_PKS6_NS0_5tupleIJSC_S6_EEENSG_IJSD_SD_EEENS0_18inequality_wrapperINSA_8equal_toIiEEEEPmJS6_EEE10hipError_tPvRmT3_T4_T5_T6_T7_T9_mT8_P12ihipStream_tbDpT10_ENKUlT_T0_E_clISt17integral_constantIbLb1EES17_EEDaS12_S13_EUlS12_E_NS1_11comp_targetILNS1_3genE2ELNS1_11target_archE906ELNS1_3gpuE6ELNS1_3repE0EEENS1_30default_config_static_selectorELNS0_4arch9wavefront6targetE1EEEvT1_
		.amdhsa_group_segment_fixed_size 0
		.amdhsa_private_segment_fixed_size 0
		.amdhsa_kernarg_size 128
		.amdhsa_user_sgpr_count 6
		.amdhsa_user_sgpr_private_segment_buffer 1
		.amdhsa_user_sgpr_dispatch_ptr 0
		.amdhsa_user_sgpr_queue_ptr 0
		.amdhsa_user_sgpr_kernarg_segment_ptr 1
		.amdhsa_user_sgpr_dispatch_id 0
		.amdhsa_user_sgpr_flat_scratch_init 0
		.amdhsa_user_sgpr_private_segment_size 0
		.amdhsa_uses_dynamic_stack 0
		.amdhsa_system_sgpr_private_segment_wavefront_offset 0
		.amdhsa_system_sgpr_workgroup_id_x 1
		.amdhsa_system_sgpr_workgroup_id_y 0
		.amdhsa_system_sgpr_workgroup_id_z 0
		.amdhsa_system_sgpr_workgroup_info 0
		.amdhsa_system_vgpr_workitem_id 0
		.amdhsa_next_free_vgpr 1
		.amdhsa_next_free_sgpr 0
		.amdhsa_reserve_vcc 0
		.amdhsa_reserve_flat_scratch 0
		.amdhsa_float_round_mode_32 0
		.amdhsa_float_round_mode_16_64 0
		.amdhsa_float_denorm_mode_32 3
		.amdhsa_float_denorm_mode_16_64 3
		.amdhsa_dx10_clamp 1
		.amdhsa_ieee_mode 1
		.amdhsa_fp16_overflow 0
		.amdhsa_exception_fp_ieee_invalid_op 0
		.amdhsa_exception_fp_denorm_src 0
		.amdhsa_exception_fp_ieee_div_zero 0
		.amdhsa_exception_fp_ieee_overflow 0
		.amdhsa_exception_fp_ieee_underflow 0
		.amdhsa_exception_fp_ieee_inexact 0
		.amdhsa_exception_int_div_zero 0
	.end_amdhsa_kernel
	.section	.text._ZN7rocprim17ROCPRIM_400000_NS6detail17trampoline_kernelINS0_14default_configENS1_25partition_config_selectorILNS1_17partition_subalgoE8EiNS0_10empty_typeEbEEZZNS1_14partition_implILS5_8ELb0ES3_jN6thrust23THRUST_200600_302600_NS10device_ptrIiEEPS6_PKS6_NS0_5tupleIJSC_S6_EEENSG_IJSD_SD_EEENS0_18inequality_wrapperINSA_8equal_toIiEEEEPmJS6_EEE10hipError_tPvRmT3_T4_T5_T6_T7_T9_mT8_P12ihipStream_tbDpT10_ENKUlT_T0_E_clISt17integral_constantIbLb1EES17_EEDaS12_S13_EUlS12_E_NS1_11comp_targetILNS1_3genE2ELNS1_11target_archE906ELNS1_3gpuE6ELNS1_3repE0EEENS1_30default_config_static_selectorELNS0_4arch9wavefront6targetE1EEEvT1_,"axG",@progbits,_ZN7rocprim17ROCPRIM_400000_NS6detail17trampoline_kernelINS0_14default_configENS1_25partition_config_selectorILNS1_17partition_subalgoE8EiNS0_10empty_typeEbEEZZNS1_14partition_implILS5_8ELb0ES3_jN6thrust23THRUST_200600_302600_NS10device_ptrIiEEPS6_PKS6_NS0_5tupleIJSC_S6_EEENSG_IJSD_SD_EEENS0_18inequality_wrapperINSA_8equal_toIiEEEEPmJS6_EEE10hipError_tPvRmT3_T4_T5_T6_T7_T9_mT8_P12ihipStream_tbDpT10_ENKUlT_T0_E_clISt17integral_constantIbLb1EES17_EEDaS12_S13_EUlS12_E_NS1_11comp_targetILNS1_3genE2ELNS1_11target_archE906ELNS1_3gpuE6ELNS1_3repE0EEENS1_30default_config_static_selectorELNS0_4arch9wavefront6targetE1EEEvT1_,comdat
.Lfunc_end1043:
	.size	_ZN7rocprim17ROCPRIM_400000_NS6detail17trampoline_kernelINS0_14default_configENS1_25partition_config_selectorILNS1_17partition_subalgoE8EiNS0_10empty_typeEbEEZZNS1_14partition_implILS5_8ELb0ES3_jN6thrust23THRUST_200600_302600_NS10device_ptrIiEEPS6_PKS6_NS0_5tupleIJSC_S6_EEENSG_IJSD_SD_EEENS0_18inequality_wrapperINSA_8equal_toIiEEEEPmJS6_EEE10hipError_tPvRmT3_T4_T5_T6_T7_T9_mT8_P12ihipStream_tbDpT10_ENKUlT_T0_E_clISt17integral_constantIbLb1EES17_EEDaS12_S13_EUlS12_E_NS1_11comp_targetILNS1_3genE2ELNS1_11target_archE906ELNS1_3gpuE6ELNS1_3repE0EEENS1_30default_config_static_selectorELNS0_4arch9wavefront6targetE1EEEvT1_, .Lfunc_end1043-_ZN7rocprim17ROCPRIM_400000_NS6detail17trampoline_kernelINS0_14default_configENS1_25partition_config_selectorILNS1_17partition_subalgoE8EiNS0_10empty_typeEbEEZZNS1_14partition_implILS5_8ELb0ES3_jN6thrust23THRUST_200600_302600_NS10device_ptrIiEEPS6_PKS6_NS0_5tupleIJSC_S6_EEENSG_IJSD_SD_EEENS0_18inequality_wrapperINSA_8equal_toIiEEEEPmJS6_EEE10hipError_tPvRmT3_T4_T5_T6_T7_T9_mT8_P12ihipStream_tbDpT10_ENKUlT_T0_E_clISt17integral_constantIbLb1EES17_EEDaS12_S13_EUlS12_E_NS1_11comp_targetILNS1_3genE2ELNS1_11target_archE906ELNS1_3gpuE6ELNS1_3repE0EEENS1_30default_config_static_selectorELNS0_4arch9wavefront6targetE1EEEvT1_
                                        ; -- End function
	.set _ZN7rocprim17ROCPRIM_400000_NS6detail17trampoline_kernelINS0_14default_configENS1_25partition_config_selectorILNS1_17partition_subalgoE8EiNS0_10empty_typeEbEEZZNS1_14partition_implILS5_8ELb0ES3_jN6thrust23THRUST_200600_302600_NS10device_ptrIiEEPS6_PKS6_NS0_5tupleIJSC_S6_EEENSG_IJSD_SD_EEENS0_18inequality_wrapperINSA_8equal_toIiEEEEPmJS6_EEE10hipError_tPvRmT3_T4_T5_T6_T7_T9_mT8_P12ihipStream_tbDpT10_ENKUlT_T0_E_clISt17integral_constantIbLb1EES17_EEDaS12_S13_EUlS12_E_NS1_11comp_targetILNS1_3genE2ELNS1_11target_archE906ELNS1_3gpuE6ELNS1_3repE0EEENS1_30default_config_static_selectorELNS0_4arch9wavefront6targetE1EEEvT1_.num_vgpr, 0
	.set _ZN7rocprim17ROCPRIM_400000_NS6detail17trampoline_kernelINS0_14default_configENS1_25partition_config_selectorILNS1_17partition_subalgoE8EiNS0_10empty_typeEbEEZZNS1_14partition_implILS5_8ELb0ES3_jN6thrust23THRUST_200600_302600_NS10device_ptrIiEEPS6_PKS6_NS0_5tupleIJSC_S6_EEENSG_IJSD_SD_EEENS0_18inequality_wrapperINSA_8equal_toIiEEEEPmJS6_EEE10hipError_tPvRmT3_T4_T5_T6_T7_T9_mT8_P12ihipStream_tbDpT10_ENKUlT_T0_E_clISt17integral_constantIbLb1EES17_EEDaS12_S13_EUlS12_E_NS1_11comp_targetILNS1_3genE2ELNS1_11target_archE906ELNS1_3gpuE6ELNS1_3repE0EEENS1_30default_config_static_selectorELNS0_4arch9wavefront6targetE1EEEvT1_.num_agpr, 0
	.set _ZN7rocprim17ROCPRIM_400000_NS6detail17trampoline_kernelINS0_14default_configENS1_25partition_config_selectorILNS1_17partition_subalgoE8EiNS0_10empty_typeEbEEZZNS1_14partition_implILS5_8ELb0ES3_jN6thrust23THRUST_200600_302600_NS10device_ptrIiEEPS6_PKS6_NS0_5tupleIJSC_S6_EEENSG_IJSD_SD_EEENS0_18inequality_wrapperINSA_8equal_toIiEEEEPmJS6_EEE10hipError_tPvRmT3_T4_T5_T6_T7_T9_mT8_P12ihipStream_tbDpT10_ENKUlT_T0_E_clISt17integral_constantIbLb1EES17_EEDaS12_S13_EUlS12_E_NS1_11comp_targetILNS1_3genE2ELNS1_11target_archE906ELNS1_3gpuE6ELNS1_3repE0EEENS1_30default_config_static_selectorELNS0_4arch9wavefront6targetE1EEEvT1_.numbered_sgpr, 0
	.set _ZN7rocprim17ROCPRIM_400000_NS6detail17trampoline_kernelINS0_14default_configENS1_25partition_config_selectorILNS1_17partition_subalgoE8EiNS0_10empty_typeEbEEZZNS1_14partition_implILS5_8ELb0ES3_jN6thrust23THRUST_200600_302600_NS10device_ptrIiEEPS6_PKS6_NS0_5tupleIJSC_S6_EEENSG_IJSD_SD_EEENS0_18inequality_wrapperINSA_8equal_toIiEEEEPmJS6_EEE10hipError_tPvRmT3_T4_T5_T6_T7_T9_mT8_P12ihipStream_tbDpT10_ENKUlT_T0_E_clISt17integral_constantIbLb1EES17_EEDaS12_S13_EUlS12_E_NS1_11comp_targetILNS1_3genE2ELNS1_11target_archE906ELNS1_3gpuE6ELNS1_3repE0EEENS1_30default_config_static_selectorELNS0_4arch9wavefront6targetE1EEEvT1_.num_named_barrier, 0
	.set _ZN7rocprim17ROCPRIM_400000_NS6detail17trampoline_kernelINS0_14default_configENS1_25partition_config_selectorILNS1_17partition_subalgoE8EiNS0_10empty_typeEbEEZZNS1_14partition_implILS5_8ELb0ES3_jN6thrust23THRUST_200600_302600_NS10device_ptrIiEEPS6_PKS6_NS0_5tupleIJSC_S6_EEENSG_IJSD_SD_EEENS0_18inequality_wrapperINSA_8equal_toIiEEEEPmJS6_EEE10hipError_tPvRmT3_T4_T5_T6_T7_T9_mT8_P12ihipStream_tbDpT10_ENKUlT_T0_E_clISt17integral_constantIbLb1EES17_EEDaS12_S13_EUlS12_E_NS1_11comp_targetILNS1_3genE2ELNS1_11target_archE906ELNS1_3gpuE6ELNS1_3repE0EEENS1_30default_config_static_selectorELNS0_4arch9wavefront6targetE1EEEvT1_.private_seg_size, 0
	.set _ZN7rocprim17ROCPRIM_400000_NS6detail17trampoline_kernelINS0_14default_configENS1_25partition_config_selectorILNS1_17partition_subalgoE8EiNS0_10empty_typeEbEEZZNS1_14partition_implILS5_8ELb0ES3_jN6thrust23THRUST_200600_302600_NS10device_ptrIiEEPS6_PKS6_NS0_5tupleIJSC_S6_EEENSG_IJSD_SD_EEENS0_18inequality_wrapperINSA_8equal_toIiEEEEPmJS6_EEE10hipError_tPvRmT3_T4_T5_T6_T7_T9_mT8_P12ihipStream_tbDpT10_ENKUlT_T0_E_clISt17integral_constantIbLb1EES17_EEDaS12_S13_EUlS12_E_NS1_11comp_targetILNS1_3genE2ELNS1_11target_archE906ELNS1_3gpuE6ELNS1_3repE0EEENS1_30default_config_static_selectorELNS0_4arch9wavefront6targetE1EEEvT1_.uses_vcc, 0
	.set _ZN7rocprim17ROCPRIM_400000_NS6detail17trampoline_kernelINS0_14default_configENS1_25partition_config_selectorILNS1_17partition_subalgoE8EiNS0_10empty_typeEbEEZZNS1_14partition_implILS5_8ELb0ES3_jN6thrust23THRUST_200600_302600_NS10device_ptrIiEEPS6_PKS6_NS0_5tupleIJSC_S6_EEENSG_IJSD_SD_EEENS0_18inequality_wrapperINSA_8equal_toIiEEEEPmJS6_EEE10hipError_tPvRmT3_T4_T5_T6_T7_T9_mT8_P12ihipStream_tbDpT10_ENKUlT_T0_E_clISt17integral_constantIbLb1EES17_EEDaS12_S13_EUlS12_E_NS1_11comp_targetILNS1_3genE2ELNS1_11target_archE906ELNS1_3gpuE6ELNS1_3repE0EEENS1_30default_config_static_selectorELNS0_4arch9wavefront6targetE1EEEvT1_.uses_flat_scratch, 0
	.set _ZN7rocprim17ROCPRIM_400000_NS6detail17trampoline_kernelINS0_14default_configENS1_25partition_config_selectorILNS1_17partition_subalgoE8EiNS0_10empty_typeEbEEZZNS1_14partition_implILS5_8ELb0ES3_jN6thrust23THRUST_200600_302600_NS10device_ptrIiEEPS6_PKS6_NS0_5tupleIJSC_S6_EEENSG_IJSD_SD_EEENS0_18inequality_wrapperINSA_8equal_toIiEEEEPmJS6_EEE10hipError_tPvRmT3_T4_T5_T6_T7_T9_mT8_P12ihipStream_tbDpT10_ENKUlT_T0_E_clISt17integral_constantIbLb1EES17_EEDaS12_S13_EUlS12_E_NS1_11comp_targetILNS1_3genE2ELNS1_11target_archE906ELNS1_3gpuE6ELNS1_3repE0EEENS1_30default_config_static_selectorELNS0_4arch9wavefront6targetE1EEEvT1_.has_dyn_sized_stack, 0
	.set _ZN7rocprim17ROCPRIM_400000_NS6detail17trampoline_kernelINS0_14default_configENS1_25partition_config_selectorILNS1_17partition_subalgoE8EiNS0_10empty_typeEbEEZZNS1_14partition_implILS5_8ELb0ES3_jN6thrust23THRUST_200600_302600_NS10device_ptrIiEEPS6_PKS6_NS0_5tupleIJSC_S6_EEENSG_IJSD_SD_EEENS0_18inequality_wrapperINSA_8equal_toIiEEEEPmJS6_EEE10hipError_tPvRmT3_T4_T5_T6_T7_T9_mT8_P12ihipStream_tbDpT10_ENKUlT_T0_E_clISt17integral_constantIbLb1EES17_EEDaS12_S13_EUlS12_E_NS1_11comp_targetILNS1_3genE2ELNS1_11target_archE906ELNS1_3gpuE6ELNS1_3repE0EEENS1_30default_config_static_selectorELNS0_4arch9wavefront6targetE1EEEvT1_.has_recursion, 0
	.set _ZN7rocprim17ROCPRIM_400000_NS6detail17trampoline_kernelINS0_14default_configENS1_25partition_config_selectorILNS1_17partition_subalgoE8EiNS0_10empty_typeEbEEZZNS1_14partition_implILS5_8ELb0ES3_jN6thrust23THRUST_200600_302600_NS10device_ptrIiEEPS6_PKS6_NS0_5tupleIJSC_S6_EEENSG_IJSD_SD_EEENS0_18inequality_wrapperINSA_8equal_toIiEEEEPmJS6_EEE10hipError_tPvRmT3_T4_T5_T6_T7_T9_mT8_P12ihipStream_tbDpT10_ENKUlT_T0_E_clISt17integral_constantIbLb1EES17_EEDaS12_S13_EUlS12_E_NS1_11comp_targetILNS1_3genE2ELNS1_11target_archE906ELNS1_3gpuE6ELNS1_3repE0EEENS1_30default_config_static_selectorELNS0_4arch9wavefront6targetE1EEEvT1_.has_indirect_call, 0
	.section	.AMDGPU.csdata,"",@progbits
; Kernel info:
; codeLenInByte = 4
; TotalNumSgprs: 4
; NumVgprs: 0
; ScratchSize: 0
; MemoryBound: 0
; FloatMode: 240
; IeeeMode: 1
; LDSByteSize: 0 bytes/workgroup (compile time only)
; SGPRBlocks: 0
; VGPRBlocks: 0
; NumSGPRsForWavesPerEU: 4
; NumVGPRsForWavesPerEU: 1
; Occupancy: 10
; WaveLimiterHint : 0
; COMPUTE_PGM_RSRC2:SCRATCH_EN: 0
; COMPUTE_PGM_RSRC2:USER_SGPR: 6
; COMPUTE_PGM_RSRC2:TRAP_HANDLER: 0
; COMPUTE_PGM_RSRC2:TGID_X_EN: 1
; COMPUTE_PGM_RSRC2:TGID_Y_EN: 0
; COMPUTE_PGM_RSRC2:TGID_Z_EN: 0
; COMPUTE_PGM_RSRC2:TIDIG_COMP_CNT: 0
	.section	.text._ZN7rocprim17ROCPRIM_400000_NS6detail17trampoline_kernelINS0_14default_configENS1_25partition_config_selectorILNS1_17partition_subalgoE8EiNS0_10empty_typeEbEEZZNS1_14partition_implILS5_8ELb0ES3_jN6thrust23THRUST_200600_302600_NS10device_ptrIiEEPS6_PKS6_NS0_5tupleIJSC_S6_EEENSG_IJSD_SD_EEENS0_18inequality_wrapperINSA_8equal_toIiEEEEPmJS6_EEE10hipError_tPvRmT3_T4_T5_T6_T7_T9_mT8_P12ihipStream_tbDpT10_ENKUlT_T0_E_clISt17integral_constantIbLb1EES17_EEDaS12_S13_EUlS12_E_NS1_11comp_targetILNS1_3genE10ELNS1_11target_archE1200ELNS1_3gpuE4ELNS1_3repE0EEENS1_30default_config_static_selectorELNS0_4arch9wavefront6targetE1EEEvT1_,"axG",@progbits,_ZN7rocprim17ROCPRIM_400000_NS6detail17trampoline_kernelINS0_14default_configENS1_25partition_config_selectorILNS1_17partition_subalgoE8EiNS0_10empty_typeEbEEZZNS1_14partition_implILS5_8ELb0ES3_jN6thrust23THRUST_200600_302600_NS10device_ptrIiEEPS6_PKS6_NS0_5tupleIJSC_S6_EEENSG_IJSD_SD_EEENS0_18inequality_wrapperINSA_8equal_toIiEEEEPmJS6_EEE10hipError_tPvRmT3_T4_T5_T6_T7_T9_mT8_P12ihipStream_tbDpT10_ENKUlT_T0_E_clISt17integral_constantIbLb1EES17_EEDaS12_S13_EUlS12_E_NS1_11comp_targetILNS1_3genE10ELNS1_11target_archE1200ELNS1_3gpuE4ELNS1_3repE0EEENS1_30default_config_static_selectorELNS0_4arch9wavefront6targetE1EEEvT1_,comdat
	.protected	_ZN7rocprim17ROCPRIM_400000_NS6detail17trampoline_kernelINS0_14default_configENS1_25partition_config_selectorILNS1_17partition_subalgoE8EiNS0_10empty_typeEbEEZZNS1_14partition_implILS5_8ELb0ES3_jN6thrust23THRUST_200600_302600_NS10device_ptrIiEEPS6_PKS6_NS0_5tupleIJSC_S6_EEENSG_IJSD_SD_EEENS0_18inequality_wrapperINSA_8equal_toIiEEEEPmJS6_EEE10hipError_tPvRmT3_T4_T5_T6_T7_T9_mT8_P12ihipStream_tbDpT10_ENKUlT_T0_E_clISt17integral_constantIbLb1EES17_EEDaS12_S13_EUlS12_E_NS1_11comp_targetILNS1_3genE10ELNS1_11target_archE1200ELNS1_3gpuE4ELNS1_3repE0EEENS1_30default_config_static_selectorELNS0_4arch9wavefront6targetE1EEEvT1_ ; -- Begin function _ZN7rocprim17ROCPRIM_400000_NS6detail17trampoline_kernelINS0_14default_configENS1_25partition_config_selectorILNS1_17partition_subalgoE8EiNS0_10empty_typeEbEEZZNS1_14partition_implILS5_8ELb0ES3_jN6thrust23THRUST_200600_302600_NS10device_ptrIiEEPS6_PKS6_NS0_5tupleIJSC_S6_EEENSG_IJSD_SD_EEENS0_18inequality_wrapperINSA_8equal_toIiEEEEPmJS6_EEE10hipError_tPvRmT3_T4_T5_T6_T7_T9_mT8_P12ihipStream_tbDpT10_ENKUlT_T0_E_clISt17integral_constantIbLb1EES17_EEDaS12_S13_EUlS12_E_NS1_11comp_targetILNS1_3genE10ELNS1_11target_archE1200ELNS1_3gpuE4ELNS1_3repE0EEENS1_30default_config_static_selectorELNS0_4arch9wavefront6targetE1EEEvT1_
	.globl	_ZN7rocprim17ROCPRIM_400000_NS6detail17trampoline_kernelINS0_14default_configENS1_25partition_config_selectorILNS1_17partition_subalgoE8EiNS0_10empty_typeEbEEZZNS1_14partition_implILS5_8ELb0ES3_jN6thrust23THRUST_200600_302600_NS10device_ptrIiEEPS6_PKS6_NS0_5tupleIJSC_S6_EEENSG_IJSD_SD_EEENS0_18inequality_wrapperINSA_8equal_toIiEEEEPmJS6_EEE10hipError_tPvRmT3_T4_T5_T6_T7_T9_mT8_P12ihipStream_tbDpT10_ENKUlT_T0_E_clISt17integral_constantIbLb1EES17_EEDaS12_S13_EUlS12_E_NS1_11comp_targetILNS1_3genE10ELNS1_11target_archE1200ELNS1_3gpuE4ELNS1_3repE0EEENS1_30default_config_static_selectorELNS0_4arch9wavefront6targetE1EEEvT1_
	.p2align	8
	.type	_ZN7rocprim17ROCPRIM_400000_NS6detail17trampoline_kernelINS0_14default_configENS1_25partition_config_selectorILNS1_17partition_subalgoE8EiNS0_10empty_typeEbEEZZNS1_14partition_implILS5_8ELb0ES3_jN6thrust23THRUST_200600_302600_NS10device_ptrIiEEPS6_PKS6_NS0_5tupleIJSC_S6_EEENSG_IJSD_SD_EEENS0_18inequality_wrapperINSA_8equal_toIiEEEEPmJS6_EEE10hipError_tPvRmT3_T4_T5_T6_T7_T9_mT8_P12ihipStream_tbDpT10_ENKUlT_T0_E_clISt17integral_constantIbLb1EES17_EEDaS12_S13_EUlS12_E_NS1_11comp_targetILNS1_3genE10ELNS1_11target_archE1200ELNS1_3gpuE4ELNS1_3repE0EEENS1_30default_config_static_selectorELNS0_4arch9wavefront6targetE1EEEvT1_,@function
_ZN7rocprim17ROCPRIM_400000_NS6detail17trampoline_kernelINS0_14default_configENS1_25partition_config_selectorILNS1_17partition_subalgoE8EiNS0_10empty_typeEbEEZZNS1_14partition_implILS5_8ELb0ES3_jN6thrust23THRUST_200600_302600_NS10device_ptrIiEEPS6_PKS6_NS0_5tupleIJSC_S6_EEENSG_IJSD_SD_EEENS0_18inequality_wrapperINSA_8equal_toIiEEEEPmJS6_EEE10hipError_tPvRmT3_T4_T5_T6_T7_T9_mT8_P12ihipStream_tbDpT10_ENKUlT_T0_E_clISt17integral_constantIbLb1EES17_EEDaS12_S13_EUlS12_E_NS1_11comp_targetILNS1_3genE10ELNS1_11target_archE1200ELNS1_3gpuE4ELNS1_3repE0EEENS1_30default_config_static_selectorELNS0_4arch9wavefront6targetE1EEEvT1_: ; @_ZN7rocprim17ROCPRIM_400000_NS6detail17trampoline_kernelINS0_14default_configENS1_25partition_config_selectorILNS1_17partition_subalgoE8EiNS0_10empty_typeEbEEZZNS1_14partition_implILS5_8ELb0ES3_jN6thrust23THRUST_200600_302600_NS10device_ptrIiEEPS6_PKS6_NS0_5tupleIJSC_S6_EEENSG_IJSD_SD_EEENS0_18inequality_wrapperINSA_8equal_toIiEEEEPmJS6_EEE10hipError_tPvRmT3_T4_T5_T6_T7_T9_mT8_P12ihipStream_tbDpT10_ENKUlT_T0_E_clISt17integral_constantIbLb1EES17_EEDaS12_S13_EUlS12_E_NS1_11comp_targetILNS1_3genE10ELNS1_11target_archE1200ELNS1_3gpuE4ELNS1_3repE0EEENS1_30default_config_static_selectorELNS0_4arch9wavefront6targetE1EEEvT1_
; %bb.0:
	.section	.rodata,"a",@progbits
	.p2align	6, 0x0
	.amdhsa_kernel _ZN7rocprim17ROCPRIM_400000_NS6detail17trampoline_kernelINS0_14default_configENS1_25partition_config_selectorILNS1_17partition_subalgoE8EiNS0_10empty_typeEbEEZZNS1_14partition_implILS5_8ELb0ES3_jN6thrust23THRUST_200600_302600_NS10device_ptrIiEEPS6_PKS6_NS0_5tupleIJSC_S6_EEENSG_IJSD_SD_EEENS0_18inequality_wrapperINSA_8equal_toIiEEEEPmJS6_EEE10hipError_tPvRmT3_T4_T5_T6_T7_T9_mT8_P12ihipStream_tbDpT10_ENKUlT_T0_E_clISt17integral_constantIbLb1EES17_EEDaS12_S13_EUlS12_E_NS1_11comp_targetILNS1_3genE10ELNS1_11target_archE1200ELNS1_3gpuE4ELNS1_3repE0EEENS1_30default_config_static_selectorELNS0_4arch9wavefront6targetE1EEEvT1_
		.amdhsa_group_segment_fixed_size 0
		.amdhsa_private_segment_fixed_size 0
		.amdhsa_kernarg_size 128
		.amdhsa_user_sgpr_count 6
		.amdhsa_user_sgpr_private_segment_buffer 1
		.amdhsa_user_sgpr_dispatch_ptr 0
		.amdhsa_user_sgpr_queue_ptr 0
		.amdhsa_user_sgpr_kernarg_segment_ptr 1
		.amdhsa_user_sgpr_dispatch_id 0
		.amdhsa_user_sgpr_flat_scratch_init 0
		.amdhsa_user_sgpr_private_segment_size 0
		.amdhsa_uses_dynamic_stack 0
		.amdhsa_system_sgpr_private_segment_wavefront_offset 0
		.amdhsa_system_sgpr_workgroup_id_x 1
		.amdhsa_system_sgpr_workgroup_id_y 0
		.amdhsa_system_sgpr_workgroup_id_z 0
		.amdhsa_system_sgpr_workgroup_info 0
		.amdhsa_system_vgpr_workitem_id 0
		.amdhsa_next_free_vgpr 1
		.amdhsa_next_free_sgpr 0
		.amdhsa_reserve_vcc 0
		.amdhsa_reserve_flat_scratch 0
		.amdhsa_float_round_mode_32 0
		.amdhsa_float_round_mode_16_64 0
		.amdhsa_float_denorm_mode_32 3
		.amdhsa_float_denorm_mode_16_64 3
		.amdhsa_dx10_clamp 1
		.amdhsa_ieee_mode 1
		.amdhsa_fp16_overflow 0
		.amdhsa_exception_fp_ieee_invalid_op 0
		.amdhsa_exception_fp_denorm_src 0
		.amdhsa_exception_fp_ieee_div_zero 0
		.amdhsa_exception_fp_ieee_overflow 0
		.amdhsa_exception_fp_ieee_underflow 0
		.amdhsa_exception_fp_ieee_inexact 0
		.amdhsa_exception_int_div_zero 0
	.end_amdhsa_kernel
	.section	.text._ZN7rocprim17ROCPRIM_400000_NS6detail17trampoline_kernelINS0_14default_configENS1_25partition_config_selectorILNS1_17partition_subalgoE8EiNS0_10empty_typeEbEEZZNS1_14partition_implILS5_8ELb0ES3_jN6thrust23THRUST_200600_302600_NS10device_ptrIiEEPS6_PKS6_NS0_5tupleIJSC_S6_EEENSG_IJSD_SD_EEENS0_18inequality_wrapperINSA_8equal_toIiEEEEPmJS6_EEE10hipError_tPvRmT3_T4_T5_T6_T7_T9_mT8_P12ihipStream_tbDpT10_ENKUlT_T0_E_clISt17integral_constantIbLb1EES17_EEDaS12_S13_EUlS12_E_NS1_11comp_targetILNS1_3genE10ELNS1_11target_archE1200ELNS1_3gpuE4ELNS1_3repE0EEENS1_30default_config_static_selectorELNS0_4arch9wavefront6targetE1EEEvT1_,"axG",@progbits,_ZN7rocprim17ROCPRIM_400000_NS6detail17trampoline_kernelINS0_14default_configENS1_25partition_config_selectorILNS1_17partition_subalgoE8EiNS0_10empty_typeEbEEZZNS1_14partition_implILS5_8ELb0ES3_jN6thrust23THRUST_200600_302600_NS10device_ptrIiEEPS6_PKS6_NS0_5tupleIJSC_S6_EEENSG_IJSD_SD_EEENS0_18inequality_wrapperINSA_8equal_toIiEEEEPmJS6_EEE10hipError_tPvRmT3_T4_T5_T6_T7_T9_mT8_P12ihipStream_tbDpT10_ENKUlT_T0_E_clISt17integral_constantIbLb1EES17_EEDaS12_S13_EUlS12_E_NS1_11comp_targetILNS1_3genE10ELNS1_11target_archE1200ELNS1_3gpuE4ELNS1_3repE0EEENS1_30default_config_static_selectorELNS0_4arch9wavefront6targetE1EEEvT1_,comdat
.Lfunc_end1044:
	.size	_ZN7rocprim17ROCPRIM_400000_NS6detail17trampoline_kernelINS0_14default_configENS1_25partition_config_selectorILNS1_17partition_subalgoE8EiNS0_10empty_typeEbEEZZNS1_14partition_implILS5_8ELb0ES3_jN6thrust23THRUST_200600_302600_NS10device_ptrIiEEPS6_PKS6_NS0_5tupleIJSC_S6_EEENSG_IJSD_SD_EEENS0_18inequality_wrapperINSA_8equal_toIiEEEEPmJS6_EEE10hipError_tPvRmT3_T4_T5_T6_T7_T9_mT8_P12ihipStream_tbDpT10_ENKUlT_T0_E_clISt17integral_constantIbLb1EES17_EEDaS12_S13_EUlS12_E_NS1_11comp_targetILNS1_3genE10ELNS1_11target_archE1200ELNS1_3gpuE4ELNS1_3repE0EEENS1_30default_config_static_selectorELNS0_4arch9wavefront6targetE1EEEvT1_, .Lfunc_end1044-_ZN7rocprim17ROCPRIM_400000_NS6detail17trampoline_kernelINS0_14default_configENS1_25partition_config_selectorILNS1_17partition_subalgoE8EiNS0_10empty_typeEbEEZZNS1_14partition_implILS5_8ELb0ES3_jN6thrust23THRUST_200600_302600_NS10device_ptrIiEEPS6_PKS6_NS0_5tupleIJSC_S6_EEENSG_IJSD_SD_EEENS0_18inequality_wrapperINSA_8equal_toIiEEEEPmJS6_EEE10hipError_tPvRmT3_T4_T5_T6_T7_T9_mT8_P12ihipStream_tbDpT10_ENKUlT_T0_E_clISt17integral_constantIbLb1EES17_EEDaS12_S13_EUlS12_E_NS1_11comp_targetILNS1_3genE10ELNS1_11target_archE1200ELNS1_3gpuE4ELNS1_3repE0EEENS1_30default_config_static_selectorELNS0_4arch9wavefront6targetE1EEEvT1_
                                        ; -- End function
	.set _ZN7rocprim17ROCPRIM_400000_NS6detail17trampoline_kernelINS0_14default_configENS1_25partition_config_selectorILNS1_17partition_subalgoE8EiNS0_10empty_typeEbEEZZNS1_14partition_implILS5_8ELb0ES3_jN6thrust23THRUST_200600_302600_NS10device_ptrIiEEPS6_PKS6_NS0_5tupleIJSC_S6_EEENSG_IJSD_SD_EEENS0_18inequality_wrapperINSA_8equal_toIiEEEEPmJS6_EEE10hipError_tPvRmT3_T4_T5_T6_T7_T9_mT8_P12ihipStream_tbDpT10_ENKUlT_T0_E_clISt17integral_constantIbLb1EES17_EEDaS12_S13_EUlS12_E_NS1_11comp_targetILNS1_3genE10ELNS1_11target_archE1200ELNS1_3gpuE4ELNS1_3repE0EEENS1_30default_config_static_selectorELNS0_4arch9wavefront6targetE1EEEvT1_.num_vgpr, 0
	.set _ZN7rocprim17ROCPRIM_400000_NS6detail17trampoline_kernelINS0_14default_configENS1_25partition_config_selectorILNS1_17partition_subalgoE8EiNS0_10empty_typeEbEEZZNS1_14partition_implILS5_8ELb0ES3_jN6thrust23THRUST_200600_302600_NS10device_ptrIiEEPS6_PKS6_NS0_5tupleIJSC_S6_EEENSG_IJSD_SD_EEENS0_18inequality_wrapperINSA_8equal_toIiEEEEPmJS6_EEE10hipError_tPvRmT3_T4_T5_T6_T7_T9_mT8_P12ihipStream_tbDpT10_ENKUlT_T0_E_clISt17integral_constantIbLb1EES17_EEDaS12_S13_EUlS12_E_NS1_11comp_targetILNS1_3genE10ELNS1_11target_archE1200ELNS1_3gpuE4ELNS1_3repE0EEENS1_30default_config_static_selectorELNS0_4arch9wavefront6targetE1EEEvT1_.num_agpr, 0
	.set _ZN7rocprim17ROCPRIM_400000_NS6detail17trampoline_kernelINS0_14default_configENS1_25partition_config_selectorILNS1_17partition_subalgoE8EiNS0_10empty_typeEbEEZZNS1_14partition_implILS5_8ELb0ES3_jN6thrust23THRUST_200600_302600_NS10device_ptrIiEEPS6_PKS6_NS0_5tupleIJSC_S6_EEENSG_IJSD_SD_EEENS0_18inequality_wrapperINSA_8equal_toIiEEEEPmJS6_EEE10hipError_tPvRmT3_T4_T5_T6_T7_T9_mT8_P12ihipStream_tbDpT10_ENKUlT_T0_E_clISt17integral_constantIbLb1EES17_EEDaS12_S13_EUlS12_E_NS1_11comp_targetILNS1_3genE10ELNS1_11target_archE1200ELNS1_3gpuE4ELNS1_3repE0EEENS1_30default_config_static_selectorELNS0_4arch9wavefront6targetE1EEEvT1_.numbered_sgpr, 0
	.set _ZN7rocprim17ROCPRIM_400000_NS6detail17trampoline_kernelINS0_14default_configENS1_25partition_config_selectorILNS1_17partition_subalgoE8EiNS0_10empty_typeEbEEZZNS1_14partition_implILS5_8ELb0ES3_jN6thrust23THRUST_200600_302600_NS10device_ptrIiEEPS6_PKS6_NS0_5tupleIJSC_S6_EEENSG_IJSD_SD_EEENS0_18inequality_wrapperINSA_8equal_toIiEEEEPmJS6_EEE10hipError_tPvRmT3_T4_T5_T6_T7_T9_mT8_P12ihipStream_tbDpT10_ENKUlT_T0_E_clISt17integral_constantIbLb1EES17_EEDaS12_S13_EUlS12_E_NS1_11comp_targetILNS1_3genE10ELNS1_11target_archE1200ELNS1_3gpuE4ELNS1_3repE0EEENS1_30default_config_static_selectorELNS0_4arch9wavefront6targetE1EEEvT1_.num_named_barrier, 0
	.set _ZN7rocprim17ROCPRIM_400000_NS6detail17trampoline_kernelINS0_14default_configENS1_25partition_config_selectorILNS1_17partition_subalgoE8EiNS0_10empty_typeEbEEZZNS1_14partition_implILS5_8ELb0ES3_jN6thrust23THRUST_200600_302600_NS10device_ptrIiEEPS6_PKS6_NS0_5tupleIJSC_S6_EEENSG_IJSD_SD_EEENS0_18inequality_wrapperINSA_8equal_toIiEEEEPmJS6_EEE10hipError_tPvRmT3_T4_T5_T6_T7_T9_mT8_P12ihipStream_tbDpT10_ENKUlT_T0_E_clISt17integral_constantIbLb1EES17_EEDaS12_S13_EUlS12_E_NS1_11comp_targetILNS1_3genE10ELNS1_11target_archE1200ELNS1_3gpuE4ELNS1_3repE0EEENS1_30default_config_static_selectorELNS0_4arch9wavefront6targetE1EEEvT1_.private_seg_size, 0
	.set _ZN7rocprim17ROCPRIM_400000_NS6detail17trampoline_kernelINS0_14default_configENS1_25partition_config_selectorILNS1_17partition_subalgoE8EiNS0_10empty_typeEbEEZZNS1_14partition_implILS5_8ELb0ES3_jN6thrust23THRUST_200600_302600_NS10device_ptrIiEEPS6_PKS6_NS0_5tupleIJSC_S6_EEENSG_IJSD_SD_EEENS0_18inequality_wrapperINSA_8equal_toIiEEEEPmJS6_EEE10hipError_tPvRmT3_T4_T5_T6_T7_T9_mT8_P12ihipStream_tbDpT10_ENKUlT_T0_E_clISt17integral_constantIbLb1EES17_EEDaS12_S13_EUlS12_E_NS1_11comp_targetILNS1_3genE10ELNS1_11target_archE1200ELNS1_3gpuE4ELNS1_3repE0EEENS1_30default_config_static_selectorELNS0_4arch9wavefront6targetE1EEEvT1_.uses_vcc, 0
	.set _ZN7rocprim17ROCPRIM_400000_NS6detail17trampoline_kernelINS0_14default_configENS1_25partition_config_selectorILNS1_17partition_subalgoE8EiNS0_10empty_typeEbEEZZNS1_14partition_implILS5_8ELb0ES3_jN6thrust23THRUST_200600_302600_NS10device_ptrIiEEPS6_PKS6_NS0_5tupleIJSC_S6_EEENSG_IJSD_SD_EEENS0_18inequality_wrapperINSA_8equal_toIiEEEEPmJS6_EEE10hipError_tPvRmT3_T4_T5_T6_T7_T9_mT8_P12ihipStream_tbDpT10_ENKUlT_T0_E_clISt17integral_constantIbLb1EES17_EEDaS12_S13_EUlS12_E_NS1_11comp_targetILNS1_3genE10ELNS1_11target_archE1200ELNS1_3gpuE4ELNS1_3repE0EEENS1_30default_config_static_selectorELNS0_4arch9wavefront6targetE1EEEvT1_.uses_flat_scratch, 0
	.set _ZN7rocprim17ROCPRIM_400000_NS6detail17trampoline_kernelINS0_14default_configENS1_25partition_config_selectorILNS1_17partition_subalgoE8EiNS0_10empty_typeEbEEZZNS1_14partition_implILS5_8ELb0ES3_jN6thrust23THRUST_200600_302600_NS10device_ptrIiEEPS6_PKS6_NS0_5tupleIJSC_S6_EEENSG_IJSD_SD_EEENS0_18inequality_wrapperINSA_8equal_toIiEEEEPmJS6_EEE10hipError_tPvRmT3_T4_T5_T6_T7_T9_mT8_P12ihipStream_tbDpT10_ENKUlT_T0_E_clISt17integral_constantIbLb1EES17_EEDaS12_S13_EUlS12_E_NS1_11comp_targetILNS1_3genE10ELNS1_11target_archE1200ELNS1_3gpuE4ELNS1_3repE0EEENS1_30default_config_static_selectorELNS0_4arch9wavefront6targetE1EEEvT1_.has_dyn_sized_stack, 0
	.set _ZN7rocprim17ROCPRIM_400000_NS6detail17trampoline_kernelINS0_14default_configENS1_25partition_config_selectorILNS1_17partition_subalgoE8EiNS0_10empty_typeEbEEZZNS1_14partition_implILS5_8ELb0ES3_jN6thrust23THRUST_200600_302600_NS10device_ptrIiEEPS6_PKS6_NS0_5tupleIJSC_S6_EEENSG_IJSD_SD_EEENS0_18inequality_wrapperINSA_8equal_toIiEEEEPmJS6_EEE10hipError_tPvRmT3_T4_T5_T6_T7_T9_mT8_P12ihipStream_tbDpT10_ENKUlT_T0_E_clISt17integral_constantIbLb1EES17_EEDaS12_S13_EUlS12_E_NS1_11comp_targetILNS1_3genE10ELNS1_11target_archE1200ELNS1_3gpuE4ELNS1_3repE0EEENS1_30default_config_static_selectorELNS0_4arch9wavefront6targetE1EEEvT1_.has_recursion, 0
	.set _ZN7rocprim17ROCPRIM_400000_NS6detail17trampoline_kernelINS0_14default_configENS1_25partition_config_selectorILNS1_17partition_subalgoE8EiNS0_10empty_typeEbEEZZNS1_14partition_implILS5_8ELb0ES3_jN6thrust23THRUST_200600_302600_NS10device_ptrIiEEPS6_PKS6_NS0_5tupleIJSC_S6_EEENSG_IJSD_SD_EEENS0_18inequality_wrapperINSA_8equal_toIiEEEEPmJS6_EEE10hipError_tPvRmT3_T4_T5_T6_T7_T9_mT8_P12ihipStream_tbDpT10_ENKUlT_T0_E_clISt17integral_constantIbLb1EES17_EEDaS12_S13_EUlS12_E_NS1_11comp_targetILNS1_3genE10ELNS1_11target_archE1200ELNS1_3gpuE4ELNS1_3repE0EEENS1_30default_config_static_selectorELNS0_4arch9wavefront6targetE1EEEvT1_.has_indirect_call, 0
	.section	.AMDGPU.csdata,"",@progbits
; Kernel info:
; codeLenInByte = 0
; TotalNumSgprs: 4
; NumVgprs: 0
; ScratchSize: 0
; MemoryBound: 0
; FloatMode: 240
; IeeeMode: 1
; LDSByteSize: 0 bytes/workgroup (compile time only)
; SGPRBlocks: 0
; VGPRBlocks: 0
; NumSGPRsForWavesPerEU: 4
; NumVGPRsForWavesPerEU: 1
; Occupancy: 10
; WaveLimiterHint : 0
; COMPUTE_PGM_RSRC2:SCRATCH_EN: 0
; COMPUTE_PGM_RSRC2:USER_SGPR: 6
; COMPUTE_PGM_RSRC2:TRAP_HANDLER: 0
; COMPUTE_PGM_RSRC2:TGID_X_EN: 1
; COMPUTE_PGM_RSRC2:TGID_Y_EN: 0
; COMPUTE_PGM_RSRC2:TGID_Z_EN: 0
; COMPUTE_PGM_RSRC2:TIDIG_COMP_CNT: 0
	.section	.text._ZN7rocprim17ROCPRIM_400000_NS6detail17trampoline_kernelINS0_14default_configENS1_25partition_config_selectorILNS1_17partition_subalgoE8EiNS0_10empty_typeEbEEZZNS1_14partition_implILS5_8ELb0ES3_jN6thrust23THRUST_200600_302600_NS10device_ptrIiEEPS6_PKS6_NS0_5tupleIJSC_S6_EEENSG_IJSD_SD_EEENS0_18inequality_wrapperINSA_8equal_toIiEEEEPmJS6_EEE10hipError_tPvRmT3_T4_T5_T6_T7_T9_mT8_P12ihipStream_tbDpT10_ENKUlT_T0_E_clISt17integral_constantIbLb1EES17_EEDaS12_S13_EUlS12_E_NS1_11comp_targetILNS1_3genE9ELNS1_11target_archE1100ELNS1_3gpuE3ELNS1_3repE0EEENS1_30default_config_static_selectorELNS0_4arch9wavefront6targetE1EEEvT1_,"axG",@progbits,_ZN7rocprim17ROCPRIM_400000_NS6detail17trampoline_kernelINS0_14default_configENS1_25partition_config_selectorILNS1_17partition_subalgoE8EiNS0_10empty_typeEbEEZZNS1_14partition_implILS5_8ELb0ES3_jN6thrust23THRUST_200600_302600_NS10device_ptrIiEEPS6_PKS6_NS0_5tupleIJSC_S6_EEENSG_IJSD_SD_EEENS0_18inequality_wrapperINSA_8equal_toIiEEEEPmJS6_EEE10hipError_tPvRmT3_T4_T5_T6_T7_T9_mT8_P12ihipStream_tbDpT10_ENKUlT_T0_E_clISt17integral_constantIbLb1EES17_EEDaS12_S13_EUlS12_E_NS1_11comp_targetILNS1_3genE9ELNS1_11target_archE1100ELNS1_3gpuE3ELNS1_3repE0EEENS1_30default_config_static_selectorELNS0_4arch9wavefront6targetE1EEEvT1_,comdat
	.protected	_ZN7rocprim17ROCPRIM_400000_NS6detail17trampoline_kernelINS0_14default_configENS1_25partition_config_selectorILNS1_17partition_subalgoE8EiNS0_10empty_typeEbEEZZNS1_14partition_implILS5_8ELb0ES3_jN6thrust23THRUST_200600_302600_NS10device_ptrIiEEPS6_PKS6_NS0_5tupleIJSC_S6_EEENSG_IJSD_SD_EEENS0_18inequality_wrapperINSA_8equal_toIiEEEEPmJS6_EEE10hipError_tPvRmT3_T4_T5_T6_T7_T9_mT8_P12ihipStream_tbDpT10_ENKUlT_T0_E_clISt17integral_constantIbLb1EES17_EEDaS12_S13_EUlS12_E_NS1_11comp_targetILNS1_3genE9ELNS1_11target_archE1100ELNS1_3gpuE3ELNS1_3repE0EEENS1_30default_config_static_selectorELNS0_4arch9wavefront6targetE1EEEvT1_ ; -- Begin function _ZN7rocprim17ROCPRIM_400000_NS6detail17trampoline_kernelINS0_14default_configENS1_25partition_config_selectorILNS1_17partition_subalgoE8EiNS0_10empty_typeEbEEZZNS1_14partition_implILS5_8ELb0ES3_jN6thrust23THRUST_200600_302600_NS10device_ptrIiEEPS6_PKS6_NS0_5tupleIJSC_S6_EEENSG_IJSD_SD_EEENS0_18inequality_wrapperINSA_8equal_toIiEEEEPmJS6_EEE10hipError_tPvRmT3_T4_T5_T6_T7_T9_mT8_P12ihipStream_tbDpT10_ENKUlT_T0_E_clISt17integral_constantIbLb1EES17_EEDaS12_S13_EUlS12_E_NS1_11comp_targetILNS1_3genE9ELNS1_11target_archE1100ELNS1_3gpuE3ELNS1_3repE0EEENS1_30default_config_static_selectorELNS0_4arch9wavefront6targetE1EEEvT1_
	.globl	_ZN7rocprim17ROCPRIM_400000_NS6detail17trampoline_kernelINS0_14default_configENS1_25partition_config_selectorILNS1_17partition_subalgoE8EiNS0_10empty_typeEbEEZZNS1_14partition_implILS5_8ELb0ES3_jN6thrust23THRUST_200600_302600_NS10device_ptrIiEEPS6_PKS6_NS0_5tupleIJSC_S6_EEENSG_IJSD_SD_EEENS0_18inequality_wrapperINSA_8equal_toIiEEEEPmJS6_EEE10hipError_tPvRmT3_T4_T5_T6_T7_T9_mT8_P12ihipStream_tbDpT10_ENKUlT_T0_E_clISt17integral_constantIbLb1EES17_EEDaS12_S13_EUlS12_E_NS1_11comp_targetILNS1_3genE9ELNS1_11target_archE1100ELNS1_3gpuE3ELNS1_3repE0EEENS1_30default_config_static_selectorELNS0_4arch9wavefront6targetE1EEEvT1_
	.p2align	8
	.type	_ZN7rocprim17ROCPRIM_400000_NS6detail17trampoline_kernelINS0_14default_configENS1_25partition_config_selectorILNS1_17partition_subalgoE8EiNS0_10empty_typeEbEEZZNS1_14partition_implILS5_8ELb0ES3_jN6thrust23THRUST_200600_302600_NS10device_ptrIiEEPS6_PKS6_NS0_5tupleIJSC_S6_EEENSG_IJSD_SD_EEENS0_18inequality_wrapperINSA_8equal_toIiEEEEPmJS6_EEE10hipError_tPvRmT3_T4_T5_T6_T7_T9_mT8_P12ihipStream_tbDpT10_ENKUlT_T0_E_clISt17integral_constantIbLb1EES17_EEDaS12_S13_EUlS12_E_NS1_11comp_targetILNS1_3genE9ELNS1_11target_archE1100ELNS1_3gpuE3ELNS1_3repE0EEENS1_30default_config_static_selectorELNS0_4arch9wavefront6targetE1EEEvT1_,@function
_ZN7rocprim17ROCPRIM_400000_NS6detail17trampoline_kernelINS0_14default_configENS1_25partition_config_selectorILNS1_17partition_subalgoE8EiNS0_10empty_typeEbEEZZNS1_14partition_implILS5_8ELb0ES3_jN6thrust23THRUST_200600_302600_NS10device_ptrIiEEPS6_PKS6_NS0_5tupleIJSC_S6_EEENSG_IJSD_SD_EEENS0_18inequality_wrapperINSA_8equal_toIiEEEEPmJS6_EEE10hipError_tPvRmT3_T4_T5_T6_T7_T9_mT8_P12ihipStream_tbDpT10_ENKUlT_T0_E_clISt17integral_constantIbLb1EES17_EEDaS12_S13_EUlS12_E_NS1_11comp_targetILNS1_3genE9ELNS1_11target_archE1100ELNS1_3gpuE3ELNS1_3repE0EEENS1_30default_config_static_selectorELNS0_4arch9wavefront6targetE1EEEvT1_: ; @_ZN7rocprim17ROCPRIM_400000_NS6detail17trampoline_kernelINS0_14default_configENS1_25partition_config_selectorILNS1_17partition_subalgoE8EiNS0_10empty_typeEbEEZZNS1_14partition_implILS5_8ELb0ES3_jN6thrust23THRUST_200600_302600_NS10device_ptrIiEEPS6_PKS6_NS0_5tupleIJSC_S6_EEENSG_IJSD_SD_EEENS0_18inequality_wrapperINSA_8equal_toIiEEEEPmJS6_EEE10hipError_tPvRmT3_T4_T5_T6_T7_T9_mT8_P12ihipStream_tbDpT10_ENKUlT_T0_E_clISt17integral_constantIbLb1EES17_EEDaS12_S13_EUlS12_E_NS1_11comp_targetILNS1_3genE9ELNS1_11target_archE1100ELNS1_3gpuE3ELNS1_3repE0EEENS1_30default_config_static_selectorELNS0_4arch9wavefront6targetE1EEEvT1_
; %bb.0:
	.section	.rodata,"a",@progbits
	.p2align	6, 0x0
	.amdhsa_kernel _ZN7rocprim17ROCPRIM_400000_NS6detail17trampoline_kernelINS0_14default_configENS1_25partition_config_selectorILNS1_17partition_subalgoE8EiNS0_10empty_typeEbEEZZNS1_14partition_implILS5_8ELb0ES3_jN6thrust23THRUST_200600_302600_NS10device_ptrIiEEPS6_PKS6_NS0_5tupleIJSC_S6_EEENSG_IJSD_SD_EEENS0_18inequality_wrapperINSA_8equal_toIiEEEEPmJS6_EEE10hipError_tPvRmT3_T4_T5_T6_T7_T9_mT8_P12ihipStream_tbDpT10_ENKUlT_T0_E_clISt17integral_constantIbLb1EES17_EEDaS12_S13_EUlS12_E_NS1_11comp_targetILNS1_3genE9ELNS1_11target_archE1100ELNS1_3gpuE3ELNS1_3repE0EEENS1_30default_config_static_selectorELNS0_4arch9wavefront6targetE1EEEvT1_
		.amdhsa_group_segment_fixed_size 0
		.amdhsa_private_segment_fixed_size 0
		.amdhsa_kernarg_size 128
		.amdhsa_user_sgpr_count 6
		.amdhsa_user_sgpr_private_segment_buffer 1
		.amdhsa_user_sgpr_dispatch_ptr 0
		.amdhsa_user_sgpr_queue_ptr 0
		.amdhsa_user_sgpr_kernarg_segment_ptr 1
		.amdhsa_user_sgpr_dispatch_id 0
		.amdhsa_user_sgpr_flat_scratch_init 0
		.amdhsa_user_sgpr_private_segment_size 0
		.amdhsa_uses_dynamic_stack 0
		.amdhsa_system_sgpr_private_segment_wavefront_offset 0
		.amdhsa_system_sgpr_workgroup_id_x 1
		.amdhsa_system_sgpr_workgroup_id_y 0
		.amdhsa_system_sgpr_workgroup_id_z 0
		.amdhsa_system_sgpr_workgroup_info 0
		.amdhsa_system_vgpr_workitem_id 0
		.amdhsa_next_free_vgpr 1
		.amdhsa_next_free_sgpr 0
		.amdhsa_reserve_vcc 0
		.amdhsa_reserve_flat_scratch 0
		.amdhsa_float_round_mode_32 0
		.amdhsa_float_round_mode_16_64 0
		.amdhsa_float_denorm_mode_32 3
		.amdhsa_float_denorm_mode_16_64 3
		.amdhsa_dx10_clamp 1
		.amdhsa_ieee_mode 1
		.amdhsa_fp16_overflow 0
		.amdhsa_exception_fp_ieee_invalid_op 0
		.amdhsa_exception_fp_denorm_src 0
		.amdhsa_exception_fp_ieee_div_zero 0
		.amdhsa_exception_fp_ieee_overflow 0
		.amdhsa_exception_fp_ieee_underflow 0
		.amdhsa_exception_fp_ieee_inexact 0
		.amdhsa_exception_int_div_zero 0
	.end_amdhsa_kernel
	.section	.text._ZN7rocprim17ROCPRIM_400000_NS6detail17trampoline_kernelINS0_14default_configENS1_25partition_config_selectorILNS1_17partition_subalgoE8EiNS0_10empty_typeEbEEZZNS1_14partition_implILS5_8ELb0ES3_jN6thrust23THRUST_200600_302600_NS10device_ptrIiEEPS6_PKS6_NS0_5tupleIJSC_S6_EEENSG_IJSD_SD_EEENS0_18inequality_wrapperINSA_8equal_toIiEEEEPmJS6_EEE10hipError_tPvRmT3_T4_T5_T6_T7_T9_mT8_P12ihipStream_tbDpT10_ENKUlT_T0_E_clISt17integral_constantIbLb1EES17_EEDaS12_S13_EUlS12_E_NS1_11comp_targetILNS1_3genE9ELNS1_11target_archE1100ELNS1_3gpuE3ELNS1_3repE0EEENS1_30default_config_static_selectorELNS0_4arch9wavefront6targetE1EEEvT1_,"axG",@progbits,_ZN7rocprim17ROCPRIM_400000_NS6detail17trampoline_kernelINS0_14default_configENS1_25partition_config_selectorILNS1_17partition_subalgoE8EiNS0_10empty_typeEbEEZZNS1_14partition_implILS5_8ELb0ES3_jN6thrust23THRUST_200600_302600_NS10device_ptrIiEEPS6_PKS6_NS0_5tupleIJSC_S6_EEENSG_IJSD_SD_EEENS0_18inequality_wrapperINSA_8equal_toIiEEEEPmJS6_EEE10hipError_tPvRmT3_T4_T5_T6_T7_T9_mT8_P12ihipStream_tbDpT10_ENKUlT_T0_E_clISt17integral_constantIbLb1EES17_EEDaS12_S13_EUlS12_E_NS1_11comp_targetILNS1_3genE9ELNS1_11target_archE1100ELNS1_3gpuE3ELNS1_3repE0EEENS1_30default_config_static_selectorELNS0_4arch9wavefront6targetE1EEEvT1_,comdat
.Lfunc_end1045:
	.size	_ZN7rocprim17ROCPRIM_400000_NS6detail17trampoline_kernelINS0_14default_configENS1_25partition_config_selectorILNS1_17partition_subalgoE8EiNS0_10empty_typeEbEEZZNS1_14partition_implILS5_8ELb0ES3_jN6thrust23THRUST_200600_302600_NS10device_ptrIiEEPS6_PKS6_NS0_5tupleIJSC_S6_EEENSG_IJSD_SD_EEENS0_18inequality_wrapperINSA_8equal_toIiEEEEPmJS6_EEE10hipError_tPvRmT3_T4_T5_T6_T7_T9_mT8_P12ihipStream_tbDpT10_ENKUlT_T0_E_clISt17integral_constantIbLb1EES17_EEDaS12_S13_EUlS12_E_NS1_11comp_targetILNS1_3genE9ELNS1_11target_archE1100ELNS1_3gpuE3ELNS1_3repE0EEENS1_30default_config_static_selectorELNS0_4arch9wavefront6targetE1EEEvT1_, .Lfunc_end1045-_ZN7rocprim17ROCPRIM_400000_NS6detail17trampoline_kernelINS0_14default_configENS1_25partition_config_selectorILNS1_17partition_subalgoE8EiNS0_10empty_typeEbEEZZNS1_14partition_implILS5_8ELb0ES3_jN6thrust23THRUST_200600_302600_NS10device_ptrIiEEPS6_PKS6_NS0_5tupleIJSC_S6_EEENSG_IJSD_SD_EEENS0_18inequality_wrapperINSA_8equal_toIiEEEEPmJS6_EEE10hipError_tPvRmT3_T4_T5_T6_T7_T9_mT8_P12ihipStream_tbDpT10_ENKUlT_T0_E_clISt17integral_constantIbLb1EES17_EEDaS12_S13_EUlS12_E_NS1_11comp_targetILNS1_3genE9ELNS1_11target_archE1100ELNS1_3gpuE3ELNS1_3repE0EEENS1_30default_config_static_selectorELNS0_4arch9wavefront6targetE1EEEvT1_
                                        ; -- End function
	.set _ZN7rocprim17ROCPRIM_400000_NS6detail17trampoline_kernelINS0_14default_configENS1_25partition_config_selectorILNS1_17partition_subalgoE8EiNS0_10empty_typeEbEEZZNS1_14partition_implILS5_8ELb0ES3_jN6thrust23THRUST_200600_302600_NS10device_ptrIiEEPS6_PKS6_NS0_5tupleIJSC_S6_EEENSG_IJSD_SD_EEENS0_18inequality_wrapperINSA_8equal_toIiEEEEPmJS6_EEE10hipError_tPvRmT3_T4_T5_T6_T7_T9_mT8_P12ihipStream_tbDpT10_ENKUlT_T0_E_clISt17integral_constantIbLb1EES17_EEDaS12_S13_EUlS12_E_NS1_11comp_targetILNS1_3genE9ELNS1_11target_archE1100ELNS1_3gpuE3ELNS1_3repE0EEENS1_30default_config_static_selectorELNS0_4arch9wavefront6targetE1EEEvT1_.num_vgpr, 0
	.set _ZN7rocprim17ROCPRIM_400000_NS6detail17trampoline_kernelINS0_14default_configENS1_25partition_config_selectorILNS1_17partition_subalgoE8EiNS0_10empty_typeEbEEZZNS1_14partition_implILS5_8ELb0ES3_jN6thrust23THRUST_200600_302600_NS10device_ptrIiEEPS6_PKS6_NS0_5tupleIJSC_S6_EEENSG_IJSD_SD_EEENS0_18inequality_wrapperINSA_8equal_toIiEEEEPmJS6_EEE10hipError_tPvRmT3_T4_T5_T6_T7_T9_mT8_P12ihipStream_tbDpT10_ENKUlT_T0_E_clISt17integral_constantIbLb1EES17_EEDaS12_S13_EUlS12_E_NS1_11comp_targetILNS1_3genE9ELNS1_11target_archE1100ELNS1_3gpuE3ELNS1_3repE0EEENS1_30default_config_static_selectorELNS0_4arch9wavefront6targetE1EEEvT1_.num_agpr, 0
	.set _ZN7rocprim17ROCPRIM_400000_NS6detail17trampoline_kernelINS0_14default_configENS1_25partition_config_selectorILNS1_17partition_subalgoE8EiNS0_10empty_typeEbEEZZNS1_14partition_implILS5_8ELb0ES3_jN6thrust23THRUST_200600_302600_NS10device_ptrIiEEPS6_PKS6_NS0_5tupleIJSC_S6_EEENSG_IJSD_SD_EEENS0_18inequality_wrapperINSA_8equal_toIiEEEEPmJS6_EEE10hipError_tPvRmT3_T4_T5_T6_T7_T9_mT8_P12ihipStream_tbDpT10_ENKUlT_T0_E_clISt17integral_constantIbLb1EES17_EEDaS12_S13_EUlS12_E_NS1_11comp_targetILNS1_3genE9ELNS1_11target_archE1100ELNS1_3gpuE3ELNS1_3repE0EEENS1_30default_config_static_selectorELNS0_4arch9wavefront6targetE1EEEvT1_.numbered_sgpr, 0
	.set _ZN7rocprim17ROCPRIM_400000_NS6detail17trampoline_kernelINS0_14default_configENS1_25partition_config_selectorILNS1_17partition_subalgoE8EiNS0_10empty_typeEbEEZZNS1_14partition_implILS5_8ELb0ES3_jN6thrust23THRUST_200600_302600_NS10device_ptrIiEEPS6_PKS6_NS0_5tupleIJSC_S6_EEENSG_IJSD_SD_EEENS0_18inequality_wrapperINSA_8equal_toIiEEEEPmJS6_EEE10hipError_tPvRmT3_T4_T5_T6_T7_T9_mT8_P12ihipStream_tbDpT10_ENKUlT_T0_E_clISt17integral_constantIbLb1EES17_EEDaS12_S13_EUlS12_E_NS1_11comp_targetILNS1_3genE9ELNS1_11target_archE1100ELNS1_3gpuE3ELNS1_3repE0EEENS1_30default_config_static_selectorELNS0_4arch9wavefront6targetE1EEEvT1_.num_named_barrier, 0
	.set _ZN7rocprim17ROCPRIM_400000_NS6detail17trampoline_kernelINS0_14default_configENS1_25partition_config_selectorILNS1_17partition_subalgoE8EiNS0_10empty_typeEbEEZZNS1_14partition_implILS5_8ELb0ES3_jN6thrust23THRUST_200600_302600_NS10device_ptrIiEEPS6_PKS6_NS0_5tupleIJSC_S6_EEENSG_IJSD_SD_EEENS0_18inequality_wrapperINSA_8equal_toIiEEEEPmJS6_EEE10hipError_tPvRmT3_T4_T5_T6_T7_T9_mT8_P12ihipStream_tbDpT10_ENKUlT_T0_E_clISt17integral_constantIbLb1EES17_EEDaS12_S13_EUlS12_E_NS1_11comp_targetILNS1_3genE9ELNS1_11target_archE1100ELNS1_3gpuE3ELNS1_3repE0EEENS1_30default_config_static_selectorELNS0_4arch9wavefront6targetE1EEEvT1_.private_seg_size, 0
	.set _ZN7rocprim17ROCPRIM_400000_NS6detail17trampoline_kernelINS0_14default_configENS1_25partition_config_selectorILNS1_17partition_subalgoE8EiNS0_10empty_typeEbEEZZNS1_14partition_implILS5_8ELb0ES3_jN6thrust23THRUST_200600_302600_NS10device_ptrIiEEPS6_PKS6_NS0_5tupleIJSC_S6_EEENSG_IJSD_SD_EEENS0_18inequality_wrapperINSA_8equal_toIiEEEEPmJS6_EEE10hipError_tPvRmT3_T4_T5_T6_T7_T9_mT8_P12ihipStream_tbDpT10_ENKUlT_T0_E_clISt17integral_constantIbLb1EES17_EEDaS12_S13_EUlS12_E_NS1_11comp_targetILNS1_3genE9ELNS1_11target_archE1100ELNS1_3gpuE3ELNS1_3repE0EEENS1_30default_config_static_selectorELNS0_4arch9wavefront6targetE1EEEvT1_.uses_vcc, 0
	.set _ZN7rocprim17ROCPRIM_400000_NS6detail17trampoline_kernelINS0_14default_configENS1_25partition_config_selectorILNS1_17partition_subalgoE8EiNS0_10empty_typeEbEEZZNS1_14partition_implILS5_8ELb0ES3_jN6thrust23THRUST_200600_302600_NS10device_ptrIiEEPS6_PKS6_NS0_5tupleIJSC_S6_EEENSG_IJSD_SD_EEENS0_18inequality_wrapperINSA_8equal_toIiEEEEPmJS6_EEE10hipError_tPvRmT3_T4_T5_T6_T7_T9_mT8_P12ihipStream_tbDpT10_ENKUlT_T0_E_clISt17integral_constantIbLb1EES17_EEDaS12_S13_EUlS12_E_NS1_11comp_targetILNS1_3genE9ELNS1_11target_archE1100ELNS1_3gpuE3ELNS1_3repE0EEENS1_30default_config_static_selectorELNS0_4arch9wavefront6targetE1EEEvT1_.uses_flat_scratch, 0
	.set _ZN7rocprim17ROCPRIM_400000_NS6detail17trampoline_kernelINS0_14default_configENS1_25partition_config_selectorILNS1_17partition_subalgoE8EiNS0_10empty_typeEbEEZZNS1_14partition_implILS5_8ELb0ES3_jN6thrust23THRUST_200600_302600_NS10device_ptrIiEEPS6_PKS6_NS0_5tupleIJSC_S6_EEENSG_IJSD_SD_EEENS0_18inequality_wrapperINSA_8equal_toIiEEEEPmJS6_EEE10hipError_tPvRmT3_T4_T5_T6_T7_T9_mT8_P12ihipStream_tbDpT10_ENKUlT_T0_E_clISt17integral_constantIbLb1EES17_EEDaS12_S13_EUlS12_E_NS1_11comp_targetILNS1_3genE9ELNS1_11target_archE1100ELNS1_3gpuE3ELNS1_3repE0EEENS1_30default_config_static_selectorELNS0_4arch9wavefront6targetE1EEEvT1_.has_dyn_sized_stack, 0
	.set _ZN7rocprim17ROCPRIM_400000_NS6detail17trampoline_kernelINS0_14default_configENS1_25partition_config_selectorILNS1_17partition_subalgoE8EiNS0_10empty_typeEbEEZZNS1_14partition_implILS5_8ELb0ES3_jN6thrust23THRUST_200600_302600_NS10device_ptrIiEEPS6_PKS6_NS0_5tupleIJSC_S6_EEENSG_IJSD_SD_EEENS0_18inequality_wrapperINSA_8equal_toIiEEEEPmJS6_EEE10hipError_tPvRmT3_T4_T5_T6_T7_T9_mT8_P12ihipStream_tbDpT10_ENKUlT_T0_E_clISt17integral_constantIbLb1EES17_EEDaS12_S13_EUlS12_E_NS1_11comp_targetILNS1_3genE9ELNS1_11target_archE1100ELNS1_3gpuE3ELNS1_3repE0EEENS1_30default_config_static_selectorELNS0_4arch9wavefront6targetE1EEEvT1_.has_recursion, 0
	.set _ZN7rocprim17ROCPRIM_400000_NS6detail17trampoline_kernelINS0_14default_configENS1_25partition_config_selectorILNS1_17partition_subalgoE8EiNS0_10empty_typeEbEEZZNS1_14partition_implILS5_8ELb0ES3_jN6thrust23THRUST_200600_302600_NS10device_ptrIiEEPS6_PKS6_NS0_5tupleIJSC_S6_EEENSG_IJSD_SD_EEENS0_18inequality_wrapperINSA_8equal_toIiEEEEPmJS6_EEE10hipError_tPvRmT3_T4_T5_T6_T7_T9_mT8_P12ihipStream_tbDpT10_ENKUlT_T0_E_clISt17integral_constantIbLb1EES17_EEDaS12_S13_EUlS12_E_NS1_11comp_targetILNS1_3genE9ELNS1_11target_archE1100ELNS1_3gpuE3ELNS1_3repE0EEENS1_30default_config_static_selectorELNS0_4arch9wavefront6targetE1EEEvT1_.has_indirect_call, 0
	.section	.AMDGPU.csdata,"",@progbits
; Kernel info:
; codeLenInByte = 0
; TotalNumSgprs: 4
; NumVgprs: 0
; ScratchSize: 0
; MemoryBound: 0
; FloatMode: 240
; IeeeMode: 1
; LDSByteSize: 0 bytes/workgroup (compile time only)
; SGPRBlocks: 0
; VGPRBlocks: 0
; NumSGPRsForWavesPerEU: 4
; NumVGPRsForWavesPerEU: 1
; Occupancy: 10
; WaveLimiterHint : 0
; COMPUTE_PGM_RSRC2:SCRATCH_EN: 0
; COMPUTE_PGM_RSRC2:USER_SGPR: 6
; COMPUTE_PGM_RSRC2:TRAP_HANDLER: 0
; COMPUTE_PGM_RSRC2:TGID_X_EN: 1
; COMPUTE_PGM_RSRC2:TGID_Y_EN: 0
; COMPUTE_PGM_RSRC2:TGID_Z_EN: 0
; COMPUTE_PGM_RSRC2:TIDIG_COMP_CNT: 0
	.section	.text._ZN7rocprim17ROCPRIM_400000_NS6detail17trampoline_kernelINS0_14default_configENS1_25partition_config_selectorILNS1_17partition_subalgoE8EiNS0_10empty_typeEbEEZZNS1_14partition_implILS5_8ELb0ES3_jN6thrust23THRUST_200600_302600_NS10device_ptrIiEEPS6_PKS6_NS0_5tupleIJSC_S6_EEENSG_IJSD_SD_EEENS0_18inequality_wrapperINSA_8equal_toIiEEEEPmJS6_EEE10hipError_tPvRmT3_T4_T5_T6_T7_T9_mT8_P12ihipStream_tbDpT10_ENKUlT_T0_E_clISt17integral_constantIbLb1EES17_EEDaS12_S13_EUlS12_E_NS1_11comp_targetILNS1_3genE8ELNS1_11target_archE1030ELNS1_3gpuE2ELNS1_3repE0EEENS1_30default_config_static_selectorELNS0_4arch9wavefront6targetE1EEEvT1_,"axG",@progbits,_ZN7rocprim17ROCPRIM_400000_NS6detail17trampoline_kernelINS0_14default_configENS1_25partition_config_selectorILNS1_17partition_subalgoE8EiNS0_10empty_typeEbEEZZNS1_14partition_implILS5_8ELb0ES3_jN6thrust23THRUST_200600_302600_NS10device_ptrIiEEPS6_PKS6_NS0_5tupleIJSC_S6_EEENSG_IJSD_SD_EEENS0_18inequality_wrapperINSA_8equal_toIiEEEEPmJS6_EEE10hipError_tPvRmT3_T4_T5_T6_T7_T9_mT8_P12ihipStream_tbDpT10_ENKUlT_T0_E_clISt17integral_constantIbLb1EES17_EEDaS12_S13_EUlS12_E_NS1_11comp_targetILNS1_3genE8ELNS1_11target_archE1030ELNS1_3gpuE2ELNS1_3repE0EEENS1_30default_config_static_selectorELNS0_4arch9wavefront6targetE1EEEvT1_,comdat
	.protected	_ZN7rocprim17ROCPRIM_400000_NS6detail17trampoline_kernelINS0_14default_configENS1_25partition_config_selectorILNS1_17partition_subalgoE8EiNS0_10empty_typeEbEEZZNS1_14partition_implILS5_8ELb0ES3_jN6thrust23THRUST_200600_302600_NS10device_ptrIiEEPS6_PKS6_NS0_5tupleIJSC_S6_EEENSG_IJSD_SD_EEENS0_18inequality_wrapperINSA_8equal_toIiEEEEPmJS6_EEE10hipError_tPvRmT3_T4_T5_T6_T7_T9_mT8_P12ihipStream_tbDpT10_ENKUlT_T0_E_clISt17integral_constantIbLb1EES17_EEDaS12_S13_EUlS12_E_NS1_11comp_targetILNS1_3genE8ELNS1_11target_archE1030ELNS1_3gpuE2ELNS1_3repE0EEENS1_30default_config_static_selectorELNS0_4arch9wavefront6targetE1EEEvT1_ ; -- Begin function _ZN7rocprim17ROCPRIM_400000_NS6detail17trampoline_kernelINS0_14default_configENS1_25partition_config_selectorILNS1_17partition_subalgoE8EiNS0_10empty_typeEbEEZZNS1_14partition_implILS5_8ELb0ES3_jN6thrust23THRUST_200600_302600_NS10device_ptrIiEEPS6_PKS6_NS0_5tupleIJSC_S6_EEENSG_IJSD_SD_EEENS0_18inequality_wrapperINSA_8equal_toIiEEEEPmJS6_EEE10hipError_tPvRmT3_T4_T5_T6_T7_T9_mT8_P12ihipStream_tbDpT10_ENKUlT_T0_E_clISt17integral_constantIbLb1EES17_EEDaS12_S13_EUlS12_E_NS1_11comp_targetILNS1_3genE8ELNS1_11target_archE1030ELNS1_3gpuE2ELNS1_3repE0EEENS1_30default_config_static_selectorELNS0_4arch9wavefront6targetE1EEEvT1_
	.globl	_ZN7rocprim17ROCPRIM_400000_NS6detail17trampoline_kernelINS0_14default_configENS1_25partition_config_selectorILNS1_17partition_subalgoE8EiNS0_10empty_typeEbEEZZNS1_14partition_implILS5_8ELb0ES3_jN6thrust23THRUST_200600_302600_NS10device_ptrIiEEPS6_PKS6_NS0_5tupleIJSC_S6_EEENSG_IJSD_SD_EEENS0_18inequality_wrapperINSA_8equal_toIiEEEEPmJS6_EEE10hipError_tPvRmT3_T4_T5_T6_T7_T9_mT8_P12ihipStream_tbDpT10_ENKUlT_T0_E_clISt17integral_constantIbLb1EES17_EEDaS12_S13_EUlS12_E_NS1_11comp_targetILNS1_3genE8ELNS1_11target_archE1030ELNS1_3gpuE2ELNS1_3repE0EEENS1_30default_config_static_selectorELNS0_4arch9wavefront6targetE1EEEvT1_
	.p2align	8
	.type	_ZN7rocprim17ROCPRIM_400000_NS6detail17trampoline_kernelINS0_14default_configENS1_25partition_config_selectorILNS1_17partition_subalgoE8EiNS0_10empty_typeEbEEZZNS1_14partition_implILS5_8ELb0ES3_jN6thrust23THRUST_200600_302600_NS10device_ptrIiEEPS6_PKS6_NS0_5tupleIJSC_S6_EEENSG_IJSD_SD_EEENS0_18inequality_wrapperINSA_8equal_toIiEEEEPmJS6_EEE10hipError_tPvRmT3_T4_T5_T6_T7_T9_mT8_P12ihipStream_tbDpT10_ENKUlT_T0_E_clISt17integral_constantIbLb1EES17_EEDaS12_S13_EUlS12_E_NS1_11comp_targetILNS1_3genE8ELNS1_11target_archE1030ELNS1_3gpuE2ELNS1_3repE0EEENS1_30default_config_static_selectorELNS0_4arch9wavefront6targetE1EEEvT1_,@function
_ZN7rocprim17ROCPRIM_400000_NS6detail17trampoline_kernelINS0_14default_configENS1_25partition_config_selectorILNS1_17partition_subalgoE8EiNS0_10empty_typeEbEEZZNS1_14partition_implILS5_8ELb0ES3_jN6thrust23THRUST_200600_302600_NS10device_ptrIiEEPS6_PKS6_NS0_5tupleIJSC_S6_EEENSG_IJSD_SD_EEENS0_18inequality_wrapperINSA_8equal_toIiEEEEPmJS6_EEE10hipError_tPvRmT3_T4_T5_T6_T7_T9_mT8_P12ihipStream_tbDpT10_ENKUlT_T0_E_clISt17integral_constantIbLb1EES17_EEDaS12_S13_EUlS12_E_NS1_11comp_targetILNS1_3genE8ELNS1_11target_archE1030ELNS1_3gpuE2ELNS1_3repE0EEENS1_30default_config_static_selectorELNS0_4arch9wavefront6targetE1EEEvT1_: ; @_ZN7rocprim17ROCPRIM_400000_NS6detail17trampoline_kernelINS0_14default_configENS1_25partition_config_selectorILNS1_17partition_subalgoE8EiNS0_10empty_typeEbEEZZNS1_14partition_implILS5_8ELb0ES3_jN6thrust23THRUST_200600_302600_NS10device_ptrIiEEPS6_PKS6_NS0_5tupleIJSC_S6_EEENSG_IJSD_SD_EEENS0_18inequality_wrapperINSA_8equal_toIiEEEEPmJS6_EEE10hipError_tPvRmT3_T4_T5_T6_T7_T9_mT8_P12ihipStream_tbDpT10_ENKUlT_T0_E_clISt17integral_constantIbLb1EES17_EEDaS12_S13_EUlS12_E_NS1_11comp_targetILNS1_3genE8ELNS1_11target_archE1030ELNS1_3gpuE2ELNS1_3repE0EEENS1_30default_config_static_selectorELNS0_4arch9wavefront6targetE1EEEvT1_
; %bb.0:
	.section	.rodata,"a",@progbits
	.p2align	6, 0x0
	.amdhsa_kernel _ZN7rocprim17ROCPRIM_400000_NS6detail17trampoline_kernelINS0_14default_configENS1_25partition_config_selectorILNS1_17partition_subalgoE8EiNS0_10empty_typeEbEEZZNS1_14partition_implILS5_8ELb0ES3_jN6thrust23THRUST_200600_302600_NS10device_ptrIiEEPS6_PKS6_NS0_5tupleIJSC_S6_EEENSG_IJSD_SD_EEENS0_18inequality_wrapperINSA_8equal_toIiEEEEPmJS6_EEE10hipError_tPvRmT3_T4_T5_T6_T7_T9_mT8_P12ihipStream_tbDpT10_ENKUlT_T0_E_clISt17integral_constantIbLb1EES17_EEDaS12_S13_EUlS12_E_NS1_11comp_targetILNS1_3genE8ELNS1_11target_archE1030ELNS1_3gpuE2ELNS1_3repE0EEENS1_30default_config_static_selectorELNS0_4arch9wavefront6targetE1EEEvT1_
		.amdhsa_group_segment_fixed_size 0
		.amdhsa_private_segment_fixed_size 0
		.amdhsa_kernarg_size 128
		.amdhsa_user_sgpr_count 6
		.amdhsa_user_sgpr_private_segment_buffer 1
		.amdhsa_user_sgpr_dispatch_ptr 0
		.amdhsa_user_sgpr_queue_ptr 0
		.amdhsa_user_sgpr_kernarg_segment_ptr 1
		.amdhsa_user_sgpr_dispatch_id 0
		.amdhsa_user_sgpr_flat_scratch_init 0
		.amdhsa_user_sgpr_private_segment_size 0
		.amdhsa_uses_dynamic_stack 0
		.amdhsa_system_sgpr_private_segment_wavefront_offset 0
		.amdhsa_system_sgpr_workgroup_id_x 1
		.amdhsa_system_sgpr_workgroup_id_y 0
		.amdhsa_system_sgpr_workgroup_id_z 0
		.amdhsa_system_sgpr_workgroup_info 0
		.amdhsa_system_vgpr_workitem_id 0
		.amdhsa_next_free_vgpr 1
		.amdhsa_next_free_sgpr 0
		.amdhsa_reserve_vcc 0
		.amdhsa_reserve_flat_scratch 0
		.amdhsa_float_round_mode_32 0
		.amdhsa_float_round_mode_16_64 0
		.amdhsa_float_denorm_mode_32 3
		.amdhsa_float_denorm_mode_16_64 3
		.amdhsa_dx10_clamp 1
		.amdhsa_ieee_mode 1
		.amdhsa_fp16_overflow 0
		.amdhsa_exception_fp_ieee_invalid_op 0
		.amdhsa_exception_fp_denorm_src 0
		.amdhsa_exception_fp_ieee_div_zero 0
		.amdhsa_exception_fp_ieee_overflow 0
		.amdhsa_exception_fp_ieee_underflow 0
		.amdhsa_exception_fp_ieee_inexact 0
		.amdhsa_exception_int_div_zero 0
	.end_amdhsa_kernel
	.section	.text._ZN7rocprim17ROCPRIM_400000_NS6detail17trampoline_kernelINS0_14default_configENS1_25partition_config_selectorILNS1_17partition_subalgoE8EiNS0_10empty_typeEbEEZZNS1_14partition_implILS5_8ELb0ES3_jN6thrust23THRUST_200600_302600_NS10device_ptrIiEEPS6_PKS6_NS0_5tupleIJSC_S6_EEENSG_IJSD_SD_EEENS0_18inequality_wrapperINSA_8equal_toIiEEEEPmJS6_EEE10hipError_tPvRmT3_T4_T5_T6_T7_T9_mT8_P12ihipStream_tbDpT10_ENKUlT_T0_E_clISt17integral_constantIbLb1EES17_EEDaS12_S13_EUlS12_E_NS1_11comp_targetILNS1_3genE8ELNS1_11target_archE1030ELNS1_3gpuE2ELNS1_3repE0EEENS1_30default_config_static_selectorELNS0_4arch9wavefront6targetE1EEEvT1_,"axG",@progbits,_ZN7rocprim17ROCPRIM_400000_NS6detail17trampoline_kernelINS0_14default_configENS1_25partition_config_selectorILNS1_17partition_subalgoE8EiNS0_10empty_typeEbEEZZNS1_14partition_implILS5_8ELb0ES3_jN6thrust23THRUST_200600_302600_NS10device_ptrIiEEPS6_PKS6_NS0_5tupleIJSC_S6_EEENSG_IJSD_SD_EEENS0_18inequality_wrapperINSA_8equal_toIiEEEEPmJS6_EEE10hipError_tPvRmT3_T4_T5_T6_T7_T9_mT8_P12ihipStream_tbDpT10_ENKUlT_T0_E_clISt17integral_constantIbLb1EES17_EEDaS12_S13_EUlS12_E_NS1_11comp_targetILNS1_3genE8ELNS1_11target_archE1030ELNS1_3gpuE2ELNS1_3repE0EEENS1_30default_config_static_selectorELNS0_4arch9wavefront6targetE1EEEvT1_,comdat
.Lfunc_end1046:
	.size	_ZN7rocprim17ROCPRIM_400000_NS6detail17trampoline_kernelINS0_14default_configENS1_25partition_config_selectorILNS1_17partition_subalgoE8EiNS0_10empty_typeEbEEZZNS1_14partition_implILS5_8ELb0ES3_jN6thrust23THRUST_200600_302600_NS10device_ptrIiEEPS6_PKS6_NS0_5tupleIJSC_S6_EEENSG_IJSD_SD_EEENS0_18inequality_wrapperINSA_8equal_toIiEEEEPmJS6_EEE10hipError_tPvRmT3_T4_T5_T6_T7_T9_mT8_P12ihipStream_tbDpT10_ENKUlT_T0_E_clISt17integral_constantIbLb1EES17_EEDaS12_S13_EUlS12_E_NS1_11comp_targetILNS1_3genE8ELNS1_11target_archE1030ELNS1_3gpuE2ELNS1_3repE0EEENS1_30default_config_static_selectorELNS0_4arch9wavefront6targetE1EEEvT1_, .Lfunc_end1046-_ZN7rocprim17ROCPRIM_400000_NS6detail17trampoline_kernelINS0_14default_configENS1_25partition_config_selectorILNS1_17partition_subalgoE8EiNS0_10empty_typeEbEEZZNS1_14partition_implILS5_8ELb0ES3_jN6thrust23THRUST_200600_302600_NS10device_ptrIiEEPS6_PKS6_NS0_5tupleIJSC_S6_EEENSG_IJSD_SD_EEENS0_18inequality_wrapperINSA_8equal_toIiEEEEPmJS6_EEE10hipError_tPvRmT3_T4_T5_T6_T7_T9_mT8_P12ihipStream_tbDpT10_ENKUlT_T0_E_clISt17integral_constantIbLb1EES17_EEDaS12_S13_EUlS12_E_NS1_11comp_targetILNS1_3genE8ELNS1_11target_archE1030ELNS1_3gpuE2ELNS1_3repE0EEENS1_30default_config_static_selectorELNS0_4arch9wavefront6targetE1EEEvT1_
                                        ; -- End function
	.set _ZN7rocprim17ROCPRIM_400000_NS6detail17trampoline_kernelINS0_14default_configENS1_25partition_config_selectorILNS1_17partition_subalgoE8EiNS0_10empty_typeEbEEZZNS1_14partition_implILS5_8ELb0ES3_jN6thrust23THRUST_200600_302600_NS10device_ptrIiEEPS6_PKS6_NS0_5tupleIJSC_S6_EEENSG_IJSD_SD_EEENS0_18inequality_wrapperINSA_8equal_toIiEEEEPmJS6_EEE10hipError_tPvRmT3_T4_T5_T6_T7_T9_mT8_P12ihipStream_tbDpT10_ENKUlT_T0_E_clISt17integral_constantIbLb1EES17_EEDaS12_S13_EUlS12_E_NS1_11comp_targetILNS1_3genE8ELNS1_11target_archE1030ELNS1_3gpuE2ELNS1_3repE0EEENS1_30default_config_static_selectorELNS0_4arch9wavefront6targetE1EEEvT1_.num_vgpr, 0
	.set _ZN7rocprim17ROCPRIM_400000_NS6detail17trampoline_kernelINS0_14default_configENS1_25partition_config_selectorILNS1_17partition_subalgoE8EiNS0_10empty_typeEbEEZZNS1_14partition_implILS5_8ELb0ES3_jN6thrust23THRUST_200600_302600_NS10device_ptrIiEEPS6_PKS6_NS0_5tupleIJSC_S6_EEENSG_IJSD_SD_EEENS0_18inequality_wrapperINSA_8equal_toIiEEEEPmJS6_EEE10hipError_tPvRmT3_T4_T5_T6_T7_T9_mT8_P12ihipStream_tbDpT10_ENKUlT_T0_E_clISt17integral_constantIbLb1EES17_EEDaS12_S13_EUlS12_E_NS1_11comp_targetILNS1_3genE8ELNS1_11target_archE1030ELNS1_3gpuE2ELNS1_3repE0EEENS1_30default_config_static_selectorELNS0_4arch9wavefront6targetE1EEEvT1_.num_agpr, 0
	.set _ZN7rocprim17ROCPRIM_400000_NS6detail17trampoline_kernelINS0_14default_configENS1_25partition_config_selectorILNS1_17partition_subalgoE8EiNS0_10empty_typeEbEEZZNS1_14partition_implILS5_8ELb0ES3_jN6thrust23THRUST_200600_302600_NS10device_ptrIiEEPS6_PKS6_NS0_5tupleIJSC_S6_EEENSG_IJSD_SD_EEENS0_18inequality_wrapperINSA_8equal_toIiEEEEPmJS6_EEE10hipError_tPvRmT3_T4_T5_T6_T7_T9_mT8_P12ihipStream_tbDpT10_ENKUlT_T0_E_clISt17integral_constantIbLb1EES17_EEDaS12_S13_EUlS12_E_NS1_11comp_targetILNS1_3genE8ELNS1_11target_archE1030ELNS1_3gpuE2ELNS1_3repE0EEENS1_30default_config_static_selectorELNS0_4arch9wavefront6targetE1EEEvT1_.numbered_sgpr, 0
	.set _ZN7rocprim17ROCPRIM_400000_NS6detail17trampoline_kernelINS0_14default_configENS1_25partition_config_selectorILNS1_17partition_subalgoE8EiNS0_10empty_typeEbEEZZNS1_14partition_implILS5_8ELb0ES3_jN6thrust23THRUST_200600_302600_NS10device_ptrIiEEPS6_PKS6_NS0_5tupleIJSC_S6_EEENSG_IJSD_SD_EEENS0_18inequality_wrapperINSA_8equal_toIiEEEEPmJS6_EEE10hipError_tPvRmT3_T4_T5_T6_T7_T9_mT8_P12ihipStream_tbDpT10_ENKUlT_T0_E_clISt17integral_constantIbLb1EES17_EEDaS12_S13_EUlS12_E_NS1_11comp_targetILNS1_3genE8ELNS1_11target_archE1030ELNS1_3gpuE2ELNS1_3repE0EEENS1_30default_config_static_selectorELNS0_4arch9wavefront6targetE1EEEvT1_.num_named_barrier, 0
	.set _ZN7rocprim17ROCPRIM_400000_NS6detail17trampoline_kernelINS0_14default_configENS1_25partition_config_selectorILNS1_17partition_subalgoE8EiNS0_10empty_typeEbEEZZNS1_14partition_implILS5_8ELb0ES3_jN6thrust23THRUST_200600_302600_NS10device_ptrIiEEPS6_PKS6_NS0_5tupleIJSC_S6_EEENSG_IJSD_SD_EEENS0_18inequality_wrapperINSA_8equal_toIiEEEEPmJS6_EEE10hipError_tPvRmT3_T4_T5_T6_T7_T9_mT8_P12ihipStream_tbDpT10_ENKUlT_T0_E_clISt17integral_constantIbLb1EES17_EEDaS12_S13_EUlS12_E_NS1_11comp_targetILNS1_3genE8ELNS1_11target_archE1030ELNS1_3gpuE2ELNS1_3repE0EEENS1_30default_config_static_selectorELNS0_4arch9wavefront6targetE1EEEvT1_.private_seg_size, 0
	.set _ZN7rocprim17ROCPRIM_400000_NS6detail17trampoline_kernelINS0_14default_configENS1_25partition_config_selectorILNS1_17partition_subalgoE8EiNS0_10empty_typeEbEEZZNS1_14partition_implILS5_8ELb0ES3_jN6thrust23THRUST_200600_302600_NS10device_ptrIiEEPS6_PKS6_NS0_5tupleIJSC_S6_EEENSG_IJSD_SD_EEENS0_18inequality_wrapperINSA_8equal_toIiEEEEPmJS6_EEE10hipError_tPvRmT3_T4_T5_T6_T7_T9_mT8_P12ihipStream_tbDpT10_ENKUlT_T0_E_clISt17integral_constantIbLb1EES17_EEDaS12_S13_EUlS12_E_NS1_11comp_targetILNS1_3genE8ELNS1_11target_archE1030ELNS1_3gpuE2ELNS1_3repE0EEENS1_30default_config_static_selectorELNS0_4arch9wavefront6targetE1EEEvT1_.uses_vcc, 0
	.set _ZN7rocprim17ROCPRIM_400000_NS6detail17trampoline_kernelINS0_14default_configENS1_25partition_config_selectorILNS1_17partition_subalgoE8EiNS0_10empty_typeEbEEZZNS1_14partition_implILS5_8ELb0ES3_jN6thrust23THRUST_200600_302600_NS10device_ptrIiEEPS6_PKS6_NS0_5tupleIJSC_S6_EEENSG_IJSD_SD_EEENS0_18inequality_wrapperINSA_8equal_toIiEEEEPmJS6_EEE10hipError_tPvRmT3_T4_T5_T6_T7_T9_mT8_P12ihipStream_tbDpT10_ENKUlT_T0_E_clISt17integral_constantIbLb1EES17_EEDaS12_S13_EUlS12_E_NS1_11comp_targetILNS1_3genE8ELNS1_11target_archE1030ELNS1_3gpuE2ELNS1_3repE0EEENS1_30default_config_static_selectorELNS0_4arch9wavefront6targetE1EEEvT1_.uses_flat_scratch, 0
	.set _ZN7rocprim17ROCPRIM_400000_NS6detail17trampoline_kernelINS0_14default_configENS1_25partition_config_selectorILNS1_17partition_subalgoE8EiNS0_10empty_typeEbEEZZNS1_14partition_implILS5_8ELb0ES3_jN6thrust23THRUST_200600_302600_NS10device_ptrIiEEPS6_PKS6_NS0_5tupleIJSC_S6_EEENSG_IJSD_SD_EEENS0_18inequality_wrapperINSA_8equal_toIiEEEEPmJS6_EEE10hipError_tPvRmT3_T4_T5_T6_T7_T9_mT8_P12ihipStream_tbDpT10_ENKUlT_T0_E_clISt17integral_constantIbLb1EES17_EEDaS12_S13_EUlS12_E_NS1_11comp_targetILNS1_3genE8ELNS1_11target_archE1030ELNS1_3gpuE2ELNS1_3repE0EEENS1_30default_config_static_selectorELNS0_4arch9wavefront6targetE1EEEvT1_.has_dyn_sized_stack, 0
	.set _ZN7rocprim17ROCPRIM_400000_NS6detail17trampoline_kernelINS0_14default_configENS1_25partition_config_selectorILNS1_17partition_subalgoE8EiNS0_10empty_typeEbEEZZNS1_14partition_implILS5_8ELb0ES3_jN6thrust23THRUST_200600_302600_NS10device_ptrIiEEPS6_PKS6_NS0_5tupleIJSC_S6_EEENSG_IJSD_SD_EEENS0_18inequality_wrapperINSA_8equal_toIiEEEEPmJS6_EEE10hipError_tPvRmT3_T4_T5_T6_T7_T9_mT8_P12ihipStream_tbDpT10_ENKUlT_T0_E_clISt17integral_constantIbLb1EES17_EEDaS12_S13_EUlS12_E_NS1_11comp_targetILNS1_3genE8ELNS1_11target_archE1030ELNS1_3gpuE2ELNS1_3repE0EEENS1_30default_config_static_selectorELNS0_4arch9wavefront6targetE1EEEvT1_.has_recursion, 0
	.set _ZN7rocprim17ROCPRIM_400000_NS6detail17trampoline_kernelINS0_14default_configENS1_25partition_config_selectorILNS1_17partition_subalgoE8EiNS0_10empty_typeEbEEZZNS1_14partition_implILS5_8ELb0ES3_jN6thrust23THRUST_200600_302600_NS10device_ptrIiEEPS6_PKS6_NS0_5tupleIJSC_S6_EEENSG_IJSD_SD_EEENS0_18inequality_wrapperINSA_8equal_toIiEEEEPmJS6_EEE10hipError_tPvRmT3_T4_T5_T6_T7_T9_mT8_P12ihipStream_tbDpT10_ENKUlT_T0_E_clISt17integral_constantIbLb1EES17_EEDaS12_S13_EUlS12_E_NS1_11comp_targetILNS1_3genE8ELNS1_11target_archE1030ELNS1_3gpuE2ELNS1_3repE0EEENS1_30default_config_static_selectorELNS0_4arch9wavefront6targetE1EEEvT1_.has_indirect_call, 0
	.section	.AMDGPU.csdata,"",@progbits
; Kernel info:
; codeLenInByte = 0
; TotalNumSgprs: 4
; NumVgprs: 0
; ScratchSize: 0
; MemoryBound: 0
; FloatMode: 240
; IeeeMode: 1
; LDSByteSize: 0 bytes/workgroup (compile time only)
; SGPRBlocks: 0
; VGPRBlocks: 0
; NumSGPRsForWavesPerEU: 4
; NumVGPRsForWavesPerEU: 1
; Occupancy: 10
; WaveLimiterHint : 0
; COMPUTE_PGM_RSRC2:SCRATCH_EN: 0
; COMPUTE_PGM_RSRC2:USER_SGPR: 6
; COMPUTE_PGM_RSRC2:TRAP_HANDLER: 0
; COMPUTE_PGM_RSRC2:TGID_X_EN: 1
; COMPUTE_PGM_RSRC2:TGID_Y_EN: 0
; COMPUTE_PGM_RSRC2:TGID_Z_EN: 0
; COMPUTE_PGM_RSRC2:TIDIG_COMP_CNT: 0
	.section	.text._ZN7rocprim17ROCPRIM_400000_NS6detail17trampoline_kernelINS0_14default_configENS1_25partition_config_selectorILNS1_17partition_subalgoE8EiNS0_10empty_typeEbEEZZNS1_14partition_implILS5_8ELb0ES3_jN6thrust23THRUST_200600_302600_NS10device_ptrIiEEPS6_PKS6_NS0_5tupleIJSC_S6_EEENSG_IJSD_SD_EEENS0_18inequality_wrapperINSA_8equal_toIiEEEEPmJS6_EEE10hipError_tPvRmT3_T4_T5_T6_T7_T9_mT8_P12ihipStream_tbDpT10_ENKUlT_T0_E_clISt17integral_constantIbLb1EES16_IbLb0EEEEDaS12_S13_EUlS12_E_NS1_11comp_targetILNS1_3genE0ELNS1_11target_archE4294967295ELNS1_3gpuE0ELNS1_3repE0EEENS1_30default_config_static_selectorELNS0_4arch9wavefront6targetE1EEEvT1_,"axG",@progbits,_ZN7rocprim17ROCPRIM_400000_NS6detail17trampoline_kernelINS0_14default_configENS1_25partition_config_selectorILNS1_17partition_subalgoE8EiNS0_10empty_typeEbEEZZNS1_14partition_implILS5_8ELb0ES3_jN6thrust23THRUST_200600_302600_NS10device_ptrIiEEPS6_PKS6_NS0_5tupleIJSC_S6_EEENSG_IJSD_SD_EEENS0_18inequality_wrapperINSA_8equal_toIiEEEEPmJS6_EEE10hipError_tPvRmT3_T4_T5_T6_T7_T9_mT8_P12ihipStream_tbDpT10_ENKUlT_T0_E_clISt17integral_constantIbLb1EES16_IbLb0EEEEDaS12_S13_EUlS12_E_NS1_11comp_targetILNS1_3genE0ELNS1_11target_archE4294967295ELNS1_3gpuE0ELNS1_3repE0EEENS1_30default_config_static_selectorELNS0_4arch9wavefront6targetE1EEEvT1_,comdat
	.protected	_ZN7rocprim17ROCPRIM_400000_NS6detail17trampoline_kernelINS0_14default_configENS1_25partition_config_selectorILNS1_17partition_subalgoE8EiNS0_10empty_typeEbEEZZNS1_14partition_implILS5_8ELb0ES3_jN6thrust23THRUST_200600_302600_NS10device_ptrIiEEPS6_PKS6_NS0_5tupleIJSC_S6_EEENSG_IJSD_SD_EEENS0_18inequality_wrapperINSA_8equal_toIiEEEEPmJS6_EEE10hipError_tPvRmT3_T4_T5_T6_T7_T9_mT8_P12ihipStream_tbDpT10_ENKUlT_T0_E_clISt17integral_constantIbLb1EES16_IbLb0EEEEDaS12_S13_EUlS12_E_NS1_11comp_targetILNS1_3genE0ELNS1_11target_archE4294967295ELNS1_3gpuE0ELNS1_3repE0EEENS1_30default_config_static_selectorELNS0_4arch9wavefront6targetE1EEEvT1_ ; -- Begin function _ZN7rocprim17ROCPRIM_400000_NS6detail17trampoline_kernelINS0_14default_configENS1_25partition_config_selectorILNS1_17partition_subalgoE8EiNS0_10empty_typeEbEEZZNS1_14partition_implILS5_8ELb0ES3_jN6thrust23THRUST_200600_302600_NS10device_ptrIiEEPS6_PKS6_NS0_5tupleIJSC_S6_EEENSG_IJSD_SD_EEENS0_18inequality_wrapperINSA_8equal_toIiEEEEPmJS6_EEE10hipError_tPvRmT3_T4_T5_T6_T7_T9_mT8_P12ihipStream_tbDpT10_ENKUlT_T0_E_clISt17integral_constantIbLb1EES16_IbLb0EEEEDaS12_S13_EUlS12_E_NS1_11comp_targetILNS1_3genE0ELNS1_11target_archE4294967295ELNS1_3gpuE0ELNS1_3repE0EEENS1_30default_config_static_selectorELNS0_4arch9wavefront6targetE1EEEvT1_
	.globl	_ZN7rocprim17ROCPRIM_400000_NS6detail17trampoline_kernelINS0_14default_configENS1_25partition_config_selectorILNS1_17partition_subalgoE8EiNS0_10empty_typeEbEEZZNS1_14partition_implILS5_8ELb0ES3_jN6thrust23THRUST_200600_302600_NS10device_ptrIiEEPS6_PKS6_NS0_5tupleIJSC_S6_EEENSG_IJSD_SD_EEENS0_18inequality_wrapperINSA_8equal_toIiEEEEPmJS6_EEE10hipError_tPvRmT3_T4_T5_T6_T7_T9_mT8_P12ihipStream_tbDpT10_ENKUlT_T0_E_clISt17integral_constantIbLb1EES16_IbLb0EEEEDaS12_S13_EUlS12_E_NS1_11comp_targetILNS1_3genE0ELNS1_11target_archE4294967295ELNS1_3gpuE0ELNS1_3repE0EEENS1_30default_config_static_selectorELNS0_4arch9wavefront6targetE1EEEvT1_
	.p2align	8
	.type	_ZN7rocprim17ROCPRIM_400000_NS6detail17trampoline_kernelINS0_14default_configENS1_25partition_config_selectorILNS1_17partition_subalgoE8EiNS0_10empty_typeEbEEZZNS1_14partition_implILS5_8ELb0ES3_jN6thrust23THRUST_200600_302600_NS10device_ptrIiEEPS6_PKS6_NS0_5tupleIJSC_S6_EEENSG_IJSD_SD_EEENS0_18inequality_wrapperINSA_8equal_toIiEEEEPmJS6_EEE10hipError_tPvRmT3_T4_T5_T6_T7_T9_mT8_P12ihipStream_tbDpT10_ENKUlT_T0_E_clISt17integral_constantIbLb1EES16_IbLb0EEEEDaS12_S13_EUlS12_E_NS1_11comp_targetILNS1_3genE0ELNS1_11target_archE4294967295ELNS1_3gpuE0ELNS1_3repE0EEENS1_30default_config_static_selectorELNS0_4arch9wavefront6targetE1EEEvT1_,@function
_ZN7rocprim17ROCPRIM_400000_NS6detail17trampoline_kernelINS0_14default_configENS1_25partition_config_selectorILNS1_17partition_subalgoE8EiNS0_10empty_typeEbEEZZNS1_14partition_implILS5_8ELb0ES3_jN6thrust23THRUST_200600_302600_NS10device_ptrIiEEPS6_PKS6_NS0_5tupleIJSC_S6_EEENSG_IJSD_SD_EEENS0_18inequality_wrapperINSA_8equal_toIiEEEEPmJS6_EEE10hipError_tPvRmT3_T4_T5_T6_T7_T9_mT8_P12ihipStream_tbDpT10_ENKUlT_T0_E_clISt17integral_constantIbLb1EES16_IbLb0EEEEDaS12_S13_EUlS12_E_NS1_11comp_targetILNS1_3genE0ELNS1_11target_archE4294967295ELNS1_3gpuE0ELNS1_3repE0EEENS1_30default_config_static_selectorELNS0_4arch9wavefront6targetE1EEEvT1_: ; @_ZN7rocprim17ROCPRIM_400000_NS6detail17trampoline_kernelINS0_14default_configENS1_25partition_config_selectorILNS1_17partition_subalgoE8EiNS0_10empty_typeEbEEZZNS1_14partition_implILS5_8ELb0ES3_jN6thrust23THRUST_200600_302600_NS10device_ptrIiEEPS6_PKS6_NS0_5tupleIJSC_S6_EEENSG_IJSD_SD_EEENS0_18inequality_wrapperINSA_8equal_toIiEEEEPmJS6_EEE10hipError_tPvRmT3_T4_T5_T6_T7_T9_mT8_P12ihipStream_tbDpT10_ENKUlT_T0_E_clISt17integral_constantIbLb1EES16_IbLb0EEEEDaS12_S13_EUlS12_E_NS1_11comp_targetILNS1_3genE0ELNS1_11target_archE4294967295ELNS1_3gpuE0ELNS1_3repE0EEENS1_30default_config_static_selectorELNS0_4arch9wavefront6targetE1EEEvT1_
; %bb.0:
	.section	.rodata,"a",@progbits
	.p2align	6, 0x0
	.amdhsa_kernel _ZN7rocprim17ROCPRIM_400000_NS6detail17trampoline_kernelINS0_14default_configENS1_25partition_config_selectorILNS1_17partition_subalgoE8EiNS0_10empty_typeEbEEZZNS1_14partition_implILS5_8ELb0ES3_jN6thrust23THRUST_200600_302600_NS10device_ptrIiEEPS6_PKS6_NS0_5tupleIJSC_S6_EEENSG_IJSD_SD_EEENS0_18inequality_wrapperINSA_8equal_toIiEEEEPmJS6_EEE10hipError_tPvRmT3_T4_T5_T6_T7_T9_mT8_P12ihipStream_tbDpT10_ENKUlT_T0_E_clISt17integral_constantIbLb1EES16_IbLb0EEEEDaS12_S13_EUlS12_E_NS1_11comp_targetILNS1_3genE0ELNS1_11target_archE4294967295ELNS1_3gpuE0ELNS1_3repE0EEENS1_30default_config_static_selectorELNS0_4arch9wavefront6targetE1EEEvT1_
		.amdhsa_group_segment_fixed_size 0
		.amdhsa_private_segment_fixed_size 0
		.amdhsa_kernarg_size 112
		.amdhsa_user_sgpr_count 6
		.amdhsa_user_sgpr_private_segment_buffer 1
		.amdhsa_user_sgpr_dispatch_ptr 0
		.amdhsa_user_sgpr_queue_ptr 0
		.amdhsa_user_sgpr_kernarg_segment_ptr 1
		.amdhsa_user_sgpr_dispatch_id 0
		.amdhsa_user_sgpr_flat_scratch_init 0
		.amdhsa_user_sgpr_private_segment_size 0
		.amdhsa_uses_dynamic_stack 0
		.amdhsa_system_sgpr_private_segment_wavefront_offset 0
		.amdhsa_system_sgpr_workgroup_id_x 1
		.amdhsa_system_sgpr_workgroup_id_y 0
		.amdhsa_system_sgpr_workgroup_id_z 0
		.amdhsa_system_sgpr_workgroup_info 0
		.amdhsa_system_vgpr_workitem_id 0
		.amdhsa_next_free_vgpr 1
		.amdhsa_next_free_sgpr 0
		.amdhsa_reserve_vcc 0
		.amdhsa_reserve_flat_scratch 0
		.amdhsa_float_round_mode_32 0
		.amdhsa_float_round_mode_16_64 0
		.amdhsa_float_denorm_mode_32 3
		.amdhsa_float_denorm_mode_16_64 3
		.amdhsa_dx10_clamp 1
		.amdhsa_ieee_mode 1
		.amdhsa_fp16_overflow 0
		.amdhsa_exception_fp_ieee_invalid_op 0
		.amdhsa_exception_fp_denorm_src 0
		.amdhsa_exception_fp_ieee_div_zero 0
		.amdhsa_exception_fp_ieee_overflow 0
		.amdhsa_exception_fp_ieee_underflow 0
		.amdhsa_exception_fp_ieee_inexact 0
		.amdhsa_exception_int_div_zero 0
	.end_amdhsa_kernel
	.section	.text._ZN7rocprim17ROCPRIM_400000_NS6detail17trampoline_kernelINS0_14default_configENS1_25partition_config_selectorILNS1_17partition_subalgoE8EiNS0_10empty_typeEbEEZZNS1_14partition_implILS5_8ELb0ES3_jN6thrust23THRUST_200600_302600_NS10device_ptrIiEEPS6_PKS6_NS0_5tupleIJSC_S6_EEENSG_IJSD_SD_EEENS0_18inequality_wrapperINSA_8equal_toIiEEEEPmJS6_EEE10hipError_tPvRmT3_T4_T5_T6_T7_T9_mT8_P12ihipStream_tbDpT10_ENKUlT_T0_E_clISt17integral_constantIbLb1EES16_IbLb0EEEEDaS12_S13_EUlS12_E_NS1_11comp_targetILNS1_3genE0ELNS1_11target_archE4294967295ELNS1_3gpuE0ELNS1_3repE0EEENS1_30default_config_static_selectorELNS0_4arch9wavefront6targetE1EEEvT1_,"axG",@progbits,_ZN7rocprim17ROCPRIM_400000_NS6detail17trampoline_kernelINS0_14default_configENS1_25partition_config_selectorILNS1_17partition_subalgoE8EiNS0_10empty_typeEbEEZZNS1_14partition_implILS5_8ELb0ES3_jN6thrust23THRUST_200600_302600_NS10device_ptrIiEEPS6_PKS6_NS0_5tupleIJSC_S6_EEENSG_IJSD_SD_EEENS0_18inequality_wrapperINSA_8equal_toIiEEEEPmJS6_EEE10hipError_tPvRmT3_T4_T5_T6_T7_T9_mT8_P12ihipStream_tbDpT10_ENKUlT_T0_E_clISt17integral_constantIbLb1EES16_IbLb0EEEEDaS12_S13_EUlS12_E_NS1_11comp_targetILNS1_3genE0ELNS1_11target_archE4294967295ELNS1_3gpuE0ELNS1_3repE0EEENS1_30default_config_static_selectorELNS0_4arch9wavefront6targetE1EEEvT1_,comdat
.Lfunc_end1047:
	.size	_ZN7rocprim17ROCPRIM_400000_NS6detail17trampoline_kernelINS0_14default_configENS1_25partition_config_selectorILNS1_17partition_subalgoE8EiNS0_10empty_typeEbEEZZNS1_14partition_implILS5_8ELb0ES3_jN6thrust23THRUST_200600_302600_NS10device_ptrIiEEPS6_PKS6_NS0_5tupleIJSC_S6_EEENSG_IJSD_SD_EEENS0_18inequality_wrapperINSA_8equal_toIiEEEEPmJS6_EEE10hipError_tPvRmT3_T4_T5_T6_T7_T9_mT8_P12ihipStream_tbDpT10_ENKUlT_T0_E_clISt17integral_constantIbLb1EES16_IbLb0EEEEDaS12_S13_EUlS12_E_NS1_11comp_targetILNS1_3genE0ELNS1_11target_archE4294967295ELNS1_3gpuE0ELNS1_3repE0EEENS1_30default_config_static_selectorELNS0_4arch9wavefront6targetE1EEEvT1_, .Lfunc_end1047-_ZN7rocprim17ROCPRIM_400000_NS6detail17trampoline_kernelINS0_14default_configENS1_25partition_config_selectorILNS1_17partition_subalgoE8EiNS0_10empty_typeEbEEZZNS1_14partition_implILS5_8ELb0ES3_jN6thrust23THRUST_200600_302600_NS10device_ptrIiEEPS6_PKS6_NS0_5tupleIJSC_S6_EEENSG_IJSD_SD_EEENS0_18inequality_wrapperINSA_8equal_toIiEEEEPmJS6_EEE10hipError_tPvRmT3_T4_T5_T6_T7_T9_mT8_P12ihipStream_tbDpT10_ENKUlT_T0_E_clISt17integral_constantIbLb1EES16_IbLb0EEEEDaS12_S13_EUlS12_E_NS1_11comp_targetILNS1_3genE0ELNS1_11target_archE4294967295ELNS1_3gpuE0ELNS1_3repE0EEENS1_30default_config_static_selectorELNS0_4arch9wavefront6targetE1EEEvT1_
                                        ; -- End function
	.set _ZN7rocprim17ROCPRIM_400000_NS6detail17trampoline_kernelINS0_14default_configENS1_25partition_config_selectorILNS1_17partition_subalgoE8EiNS0_10empty_typeEbEEZZNS1_14partition_implILS5_8ELb0ES3_jN6thrust23THRUST_200600_302600_NS10device_ptrIiEEPS6_PKS6_NS0_5tupleIJSC_S6_EEENSG_IJSD_SD_EEENS0_18inequality_wrapperINSA_8equal_toIiEEEEPmJS6_EEE10hipError_tPvRmT3_T4_T5_T6_T7_T9_mT8_P12ihipStream_tbDpT10_ENKUlT_T0_E_clISt17integral_constantIbLb1EES16_IbLb0EEEEDaS12_S13_EUlS12_E_NS1_11comp_targetILNS1_3genE0ELNS1_11target_archE4294967295ELNS1_3gpuE0ELNS1_3repE0EEENS1_30default_config_static_selectorELNS0_4arch9wavefront6targetE1EEEvT1_.num_vgpr, 0
	.set _ZN7rocprim17ROCPRIM_400000_NS6detail17trampoline_kernelINS0_14default_configENS1_25partition_config_selectorILNS1_17partition_subalgoE8EiNS0_10empty_typeEbEEZZNS1_14partition_implILS5_8ELb0ES3_jN6thrust23THRUST_200600_302600_NS10device_ptrIiEEPS6_PKS6_NS0_5tupleIJSC_S6_EEENSG_IJSD_SD_EEENS0_18inequality_wrapperINSA_8equal_toIiEEEEPmJS6_EEE10hipError_tPvRmT3_T4_T5_T6_T7_T9_mT8_P12ihipStream_tbDpT10_ENKUlT_T0_E_clISt17integral_constantIbLb1EES16_IbLb0EEEEDaS12_S13_EUlS12_E_NS1_11comp_targetILNS1_3genE0ELNS1_11target_archE4294967295ELNS1_3gpuE0ELNS1_3repE0EEENS1_30default_config_static_selectorELNS0_4arch9wavefront6targetE1EEEvT1_.num_agpr, 0
	.set _ZN7rocprim17ROCPRIM_400000_NS6detail17trampoline_kernelINS0_14default_configENS1_25partition_config_selectorILNS1_17partition_subalgoE8EiNS0_10empty_typeEbEEZZNS1_14partition_implILS5_8ELb0ES3_jN6thrust23THRUST_200600_302600_NS10device_ptrIiEEPS6_PKS6_NS0_5tupleIJSC_S6_EEENSG_IJSD_SD_EEENS0_18inequality_wrapperINSA_8equal_toIiEEEEPmJS6_EEE10hipError_tPvRmT3_T4_T5_T6_T7_T9_mT8_P12ihipStream_tbDpT10_ENKUlT_T0_E_clISt17integral_constantIbLb1EES16_IbLb0EEEEDaS12_S13_EUlS12_E_NS1_11comp_targetILNS1_3genE0ELNS1_11target_archE4294967295ELNS1_3gpuE0ELNS1_3repE0EEENS1_30default_config_static_selectorELNS0_4arch9wavefront6targetE1EEEvT1_.numbered_sgpr, 0
	.set _ZN7rocprim17ROCPRIM_400000_NS6detail17trampoline_kernelINS0_14default_configENS1_25partition_config_selectorILNS1_17partition_subalgoE8EiNS0_10empty_typeEbEEZZNS1_14partition_implILS5_8ELb0ES3_jN6thrust23THRUST_200600_302600_NS10device_ptrIiEEPS6_PKS6_NS0_5tupleIJSC_S6_EEENSG_IJSD_SD_EEENS0_18inequality_wrapperINSA_8equal_toIiEEEEPmJS6_EEE10hipError_tPvRmT3_T4_T5_T6_T7_T9_mT8_P12ihipStream_tbDpT10_ENKUlT_T0_E_clISt17integral_constantIbLb1EES16_IbLb0EEEEDaS12_S13_EUlS12_E_NS1_11comp_targetILNS1_3genE0ELNS1_11target_archE4294967295ELNS1_3gpuE0ELNS1_3repE0EEENS1_30default_config_static_selectorELNS0_4arch9wavefront6targetE1EEEvT1_.num_named_barrier, 0
	.set _ZN7rocprim17ROCPRIM_400000_NS6detail17trampoline_kernelINS0_14default_configENS1_25partition_config_selectorILNS1_17partition_subalgoE8EiNS0_10empty_typeEbEEZZNS1_14partition_implILS5_8ELb0ES3_jN6thrust23THRUST_200600_302600_NS10device_ptrIiEEPS6_PKS6_NS0_5tupleIJSC_S6_EEENSG_IJSD_SD_EEENS0_18inequality_wrapperINSA_8equal_toIiEEEEPmJS6_EEE10hipError_tPvRmT3_T4_T5_T6_T7_T9_mT8_P12ihipStream_tbDpT10_ENKUlT_T0_E_clISt17integral_constantIbLb1EES16_IbLb0EEEEDaS12_S13_EUlS12_E_NS1_11comp_targetILNS1_3genE0ELNS1_11target_archE4294967295ELNS1_3gpuE0ELNS1_3repE0EEENS1_30default_config_static_selectorELNS0_4arch9wavefront6targetE1EEEvT1_.private_seg_size, 0
	.set _ZN7rocprim17ROCPRIM_400000_NS6detail17trampoline_kernelINS0_14default_configENS1_25partition_config_selectorILNS1_17partition_subalgoE8EiNS0_10empty_typeEbEEZZNS1_14partition_implILS5_8ELb0ES3_jN6thrust23THRUST_200600_302600_NS10device_ptrIiEEPS6_PKS6_NS0_5tupleIJSC_S6_EEENSG_IJSD_SD_EEENS0_18inequality_wrapperINSA_8equal_toIiEEEEPmJS6_EEE10hipError_tPvRmT3_T4_T5_T6_T7_T9_mT8_P12ihipStream_tbDpT10_ENKUlT_T0_E_clISt17integral_constantIbLb1EES16_IbLb0EEEEDaS12_S13_EUlS12_E_NS1_11comp_targetILNS1_3genE0ELNS1_11target_archE4294967295ELNS1_3gpuE0ELNS1_3repE0EEENS1_30default_config_static_selectorELNS0_4arch9wavefront6targetE1EEEvT1_.uses_vcc, 0
	.set _ZN7rocprim17ROCPRIM_400000_NS6detail17trampoline_kernelINS0_14default_configENS1_25partition_config_selectorILNS1_17partition_subalgoE8EiNS0_10empty_typeEbEEZZNS1_14partition_implILS5_8ELb0ES3_jN6thrust23THRUST_200600_302600_NS10device_ptrIiEEPS6_PKS6_NS0_5tupleIJSC_S6_EEENSG_IJSD_SD_EEENS0_18inequality_wrapperINSA_8equal_toIiEEEEPmJS6_EEE10hipError_tPvRmT3_T4_T5_T6_T7_T9_mT8_P12ihipStream_tbDpT10_ENKUlT_T0_E_clISt17integral_constantIbLb1EES16_IbLb0EEEEDaS12_S13_EUlS12_E_NS1_11comp_targetILNS1_3genE0ELNS1_11target_archE4294967295ELNS1_3gpuE0ELNS1_3repE0EEENS1_30default_config_static_selectorELNS0_4arch9wavefront6targetE1EEEvT1_.uses_flat_scratch, 0
	.set _ZN7rocprim17ROCPRIM_400000_NS6detail17trampoline_kernelINS0_14default_configENS1_25partition_config_selectorILNS1_17partition_subalgoE8EiNS0_10empty_typeEbEEZZNS1_14partition_implILS5_8ELb0ES3_jN6thrust23THRUST_200600_302600_NS10device_ptrIiEEPS6_PKS6_NS0_5tupleIJSC_S6_EEENSG_IJSD_SD_EEENS0_18inequality_wrapperINSA_8equal_toIiEEEEPmJS6_EEE10hipError_tPvRmT3_T4_T5_T6_T7_T9_mT8_P12ihipStream_tbDpT10_ENKUlT_T0_E_clISt17integral_constantIbLb1EES16_IbLb0EEEEDaS12_S13_EUlS12_E_NS1_11comp_targetILNS1_3genE0ELNS1_11target_archE4294967295ELNS1_3gpuE0ELNS1_3repE0EEENS1_30default_config_static_selectorELNS0_4arch9wavefront6targetE1EEEvT1_.has_dyn_sized_stack, 0
	.set _ZN7rocprim17ROCPRIM_400000_NS6detail17trampoline_kernelINS0_14default_configENS1_25partition_config_selectorILNS1_17partition_subalgoE8EiNS0_10empty_typeEbEEZZNS1_14partition_implILS5_8ELb0ES3_jN6thrust23THRUST_200600_302600_NS10device_ptrIiEEPS6_PKS6_NS0_5tupleIJSC_S6_EEENSG_IJSD_SD_EEENS0_18inequality_wrapperINSA_8equal_toIiEEEEPmJS6_EEE10hipError_tPvRmT3_T4_T5_T6_T7_T9_mT8_P12ihipStream_tbDpT10_ENKUlT_T0_E_clISt17integral_constantIbLb1EES16_IbLb0EEEEDaS12_S13_EUlS12_E_NS1_11comp_targetILNS1_3genE0ELNS1_11target_archE4294967295ELNS1_3gpuE0ELNS1_3repE0EEENS1_30default_config_static_selectorELNS0_4arch9wavefront6targetE1EEEvT1_.has_recursion, 0
	.set _ZN7rocprim17ROCPRIM_400000_NS6detail17trampoline_kernelINS0_14default_configENS1_25partition_config_selectorILNS1_17partition_subalgoE8EiNS0_10empty_typeEbEEZZNS1_14partition_implILS5_8ELb0ES3_jN6thrust23THRUST_200600_302600_NS10device_ptrIiEEPS6_PKS6_NS0_5tupleIJSC_S6_EEENSG_IJSD_SD_EEENS0_18inequality_wrapperINSA_8equal_toIiEEEEPmJS6_EEE10hipError_tPvRmT3_T4_T5_T6_T7_T9_mT8_P12ihipStream_tbDpT10_ENKUlT_T0_E_clISt17integral_constantIbLb1EES16_IbLb0EEEEDaS12_S13_EUlS12_E_NS1_11comp_targetILNS1_3genE0ELNS1_11target_archE4294967295ELNS1_3gpuE0ELNS1_3repE0EEENS1_30default_config_static_selectorELNS0_4arch9wavefront6targetE1EEEvT1_.has_indirect_call, 0
	.section	.AMDGPU.csdata,"",@progbits
; Kernel info:
; codeLenInByte = 0
; TotalNumSgprs: 4
; NumVgprs: 0
; ScratchSize: 0
; MemoryBound: 0
; FloatMode: 240
; IeeeMode: 1
; LDSByteSize: 0 bytes/workgroup (compile time only)
; SGPRBlocks: 0
; VGPRBlocks: 0
; NumSGPRsForWavesPerEU: 4
; NumVGPRsForWavesPerEU: 1
; Occupancy: 10
; WaveLimiterHint : 0
; COMPUTE_PGM_RSRC2:SCRATCH_EN: 0
; COMPUTE_PGM_RSRC2:USER_SGPR: 6
; COMPUTE_PGM_RSRC2:TRAP_HANDLER: 0
; COMPUTE_PGM_RSRC2:TGID_X_EN: 1
; COMPUTE_PGM_RSRC2:TGID_Y_EN: 0
; COMPUTE_PGM_RSRC2:TGID_Z_EN: 0
; COMPUTE_PGM_RSRC2:TIDIG_COMP_CNT: 0
	.section	.text._ZN7rocprim17ROCPRIM_400000_NS6detail17trampoline_kernelINS0_14default_configENS1_25partition_config_selectorILNS1_17partition_subalgoE8EiNS0_10empty_typeEbEEZZNS1_14partition_implILS5_8ELb0ES3_jN6thrust23THRUST_200600_302600_NS10device_ptrIiEEPS6_PKS6_NS0_5tupleIJSC_S6_EEENSG_IJSD_SD_EEENS0_18inequality_wrapperINSA_8equal_toIiEEEEPmJS6_EEE10hipError_tPvRmT3_T4_T5_T6_T7_T9_mT8_P12ihipStream_tbDpT10_ENKUlT_T0_E_clISt17integral_constantIbLb1EES16_IbLb0EEEEDaS12_S13_EUlS12_E_NS1_11comp_targetILNS1_3genE5ELNS1_11target_archE942ELNS1_3gpuE9ELNS1_3repE0EEENS1_30default_config_static_selectorELNS0_4arch9wavefront6targetE1EEEvT1_,"axG",@progbits,_ZN7rocprim17ROCPRIM_400000_NS6detail17trampoline_kernelINS0_14default_configENS1_25partition_config_selectorILNS1_17partition_subalgoE8EiNS0_10empty_typeEbEEZZNS1_14partition_implILS5_8ELb0ES3_jN6thrust23THRUST_200600_302600_NS10device_ptrIiEEPS6_PKS6_NS0_5tupleIJSC_S6_EEENSG_IJSD_SD_EEENS0_18inequality_wrapperINSA_8equal_toIiEEEEPmJS6_EEE10hipError_tPvRmT3_T4_T5_T6_T7_T9_mT8_P12ihipStream_tbDpT10_ENKUlT_T0_E_clISt17integral_constantIbLb1EES16_IbLb0EEEEDaS12_S13_EUlS12_E_NS1_11comp_targetILNS1_3genE5ELNS1_11target_archE942ELNS1_3gpuE9ELNS1_3repE0EEENS1_30default_config_static_selectorELNS0_4arch9wavefront6targetE1EEEvT1_,comdat
	.protected	_ZN7rocprim17ROCPRIM_400000_NS6detail17trampoline_kernelINS0_14default_configENS1_25partition_config_selectorILNS1_17partition_subalgoE8EiNS0_10empty_typeEbEEZZNS1_14partition_implILS5_8ELb0ES3_jN6thrust23THRUST_200600_302600_NS10device_ptrIiEEPS6_PKS6_NS0_5tupleIJSC_S6_EEENSG_IJSD_SD_EEENS0_18inequality_wrapperINSA_8equal_toIiEEEEPmJS6_EEE10hipError_tPvRmT3_T4_T5_T6_T7_T9_mT8_P12ihipStream_tbDpT10_ENKUlT_T0_E_clISt17integral_constantIbLb1EES16_IbLb0EEEEDaS12_S13_EUlS12_E_NS1_11comp_targetILNS1_3genE5ELNS1_11target_archE942ELNS1_3gpuE9ELNS1_3repE0EEENS1_30default_config_static_selectorELNS0_4arch9wavefront6targetE1EEEvT1_ ; -- Begin function _ZN7rocprim17ROCPRIM_400000_NS6detail17trampoline_kernelINS0_14default_configENS1_25partition_config_selectorILNS1_17partition_subalgoE8EiNS0_10empty_typeEbEEZZNS1_14partition_implILS5_8ELb0ES3_jN6thrust23THRUST_200600_302600_NS10device_ptrIiEEPS6_PKS6_NS0_5tupleIJSC_S6_EEENSG_IJSD_SD_EEENS0_18inequality_wrapperINSA_8equal_toIiEEEEPmJS6_EEE10hipError_tPvRmT3_T4_T5_T6_T7_T9_mT8_P12ihipStream_tbDpT10_ENKUlT_T0_E_clISt17integral_constantIbLb1EES16_IbLb0EEEEDaS12_S13_EUlS12_E_NS1_11comp_targetILNS1_3genE5ELNS1_11target_archE942ELNS1_3gpuE9ELNS1_3repE0EEENS1_30default_config_static_selectorELNS0_4arch9wavefront6targetE1EEEvT1_
	.globl	_ZN7rocprim17ROCPRIM_400000_NS6detail17trampoline_kernelINS0_14default_configENS1_25partition_config_selectorILNS1_17partition_subalgoE8EiNS0_10empty_typeEbEEZZNS1_14partition_implILS5_8ELb0ES3_jN6thrust23THRUST_200600_302600_NS10device_ptrIiEEPS6_PKS6_NS0_5tupleIJSC_S6_EEENSG_IJSD_SD_EEENS0_18inequality_wrapperINSA_8equal_toIiEEEEPmJS6_EEE10hipError_tPvRmT3_T4_T5_T6_T7_T9_mT8_P12ihipStream_tbDpT10_ENKUlT_T0_E_clISt17integral_constantIbLb1EES16_IbLb0EEEEDaS12_S13_EUlS12_E_NS1_11comp_targetILNS1_3genE5ELNS1_11target_archE942ELNS1_3gpuE9ELNS1_3repE0EEENS1_30default_config_static_selectorELNS0_4arch9wavefront6targetE1EEEvT1_
	.p2align	8
	.type	_ZN7rocprim17ROCPRIM_400000_NS6detail17trampoline_kernelINS0_14default_configENS1_25partition_config_selectorILNS1_17partition_subalgoE8EiNS0_10empty_typeEbEEZZNS1_14partition_implILS5_8ELb0ES3_jN6thrust23THRUST_200600_302600_NS10device_ptrIiEEPS6_PKS6_NS0_5tupleIJSC_S6_EEENSG_IJSD_SD_EEENS0_18inequality_wrapperINSA_8equal_toIiEEEEPmJS6_EEE10hipError_tPvRmT3_T4_T5_T6_T7_T9_mT8_P12ihipStream_tbDpT10_ENKUlT_T0_E_clISt17integral_constantIbLb1EES16_IbLb0EEEEDaS12_S13_EUlS12_E_NS1_11comp_targetILNS1_3genE5ELNS1_11target_archE942ELNS1_3gpuE9ELNS1_3repE0EEENS1_30default_config_static_selectorELNS0_4arch9wavefront6targetE1EEEvT1_,@function
_ZN7rocprim17ROCPRIM_400000_NS6detail17trampoline_kernelINS0_14default_configENS1_25partition_config_selectorILNS1_17partition_subalgoE8EiNS0_10empty_typeEbEEZZNS1_14partition_implILS5_8ELb0ES3_jN6thrust23THRUST_200600_302600_NS10device_ptrIiEEPS6_PKS6_NS0_5tupleIJSC_S6_EEENSG_IJSD_SD_EEENS0_18inequality_wrapperINSA_8equal_toIiEEEEPmJS6_EEE10hipError_tPvRmT3_T4_T5_T6_T7_T9_mT8_P12ihipStream_tbDpT10_ENKUlT_T0_E_clISt17integral_constantIbLb1EES16_IbLb0EEEEDaS12_S13_EUlS12_E_NS1_11comp_targetILNS1_3genE5ELNS1_11target_archE942ELNS1_3gpuE9ELNS1_3repE0EEENS1_30default_config_static_selectorELNS0_4arch9wavefront6targetE1EEEvT1_: ; @_ZN7rocprim17ROCPRIM_400000_NS6detail17trampoline_kernelINS0_14default_configENS1_25partition_config_selectorILNS1_17partition_subalgoE8EiNS0_10empty_typeEbEEZZNS1_14partition_implILS5_8ELb0ES3_jN6thrust23THRUST_200600_302600_NS10device_ptrIiEEPS6_PKS6_NS0_5tupleIJSC_S6_EEENSG_IJSD_SD_EEENS0_18inequality_wrapperINSA_8equal_toIiEEEEPmJS6_EEE10hipError_tPvRmT3_T4_T5_T6_T7_T9_mT8_P12ihipStream_tbDpT10_ENKUlT_T0_E_clISt17integral_constantIbLb1EES16_IbLb0EEEEDaS12_S13_EUlS12_E_NS1_11comp_targetILNS1_3genE5ELNS1_11target_archE942ELNS1_3gpuE9ELNS1_3repE0EEENS1_30default_config_static_selectorELNS0_4arch9wavefront6targetE1EEEvT1_
; %bb.0:
	.section	.rodata,"a",@progbits
	.p2align	6, 0x0
	.amdhsa_kernel _ZN7rocprim17ROCPRIM_400000_NS6detail17trampoline_kernelINS0_14default_configENS1_25partition_config_selectorILNS1_17partition_subalgoE8EiNS0_10empty_typeEbEEZZNS1_14partition_implILS5_8ELb0ES3_jN6thrust23THRUST_200600_302600_NS10device_ptrIiEEPS6_PKS6_NS0_5tupleIJSC_S6_EEENSG_IJSD_SD_EEENS0_18inequality_wrapperINSA_8equal_toIiEEEEPmJS6_EEE10hipError_tPvRmT3_T4_T5_T6_T7_T9_mT8_P12ihipStream_tbDpT10_ENKUlT_T0_E_clISt17integral_constantIbLb1EES16_IbLb0EEEEDaS12_S13_EUlS12_E_NS1_11comp_targetILNS1_3genE5ELNS1_11target_archE942ELNS1_3gpuE9ELNS1_3repE0EEENS1_30default_config_static_selectorELNS0_4arch9wavefront6targetE1EEEvT1_
		.amdhsa_group_segment_fixed_size 0
		.amdhsa_private_segment_fixed_size 0
		.amdhsa_kernarg_size 112
		.amdhsa_user_sgpr_count 6
		.amdhsa_user_sgpr_private_segment_buffer 1
		.amdhsa_user_sgpr_dispatch_ptr 0
		.amdhsa_user_sgpr_queue_ptr 0
		.amdhsa_user_sgpr_kernarg_segment_ptr 1
		.amdhsa_user_sgpr_dispatch_id 0
		.amdhsa_user_sgpr_flat_scratch_init 0
		.amdhsa_user_sgpr_private_segment_size 0
		.amdhsa_uses_dynamic_stack 0
		.amdhsa_system_sgpr_private_segment_wavefront_offset 0
		.amdhsa_system_sgpr_workgroup_id_x 1
		.amdhsa_system_sgpr_workgroup_id_y 0
		.amdhsa_system_sgpr_workgroup_id_z 0
		.amdhsa_system_sgpr_workgroup_info 0
		.amdhsa_system_vgpr_workitem_id 0
		.amdhsa_next_free_vgpr 1
		.amdhsa_next_free_sgpr 0
		.amdhsa_reserve_vcc 0
		.amdhsa_reserve_flat_scratch 0
		.amdhsa_float_round_mode_32 0
		.amdhsa_float_round_mode_16_64 0
		.amdhsa_float_denorm_mode_32 3
		.amdhsa_float_denorm_mode_16_64 3
		.amdhsa_dx10_clamp 1
		.amdhsa_ieee_mode 1
		.amdhsa_fp16_overflow 0
		.amdhsa_exception_fp_ieee_invalid_op 0
		.amdhsa_exception_fp_denorm_src 0
		.amdhsa_exception_fp_ieee_div_zero 0
		.amdhsa_exception_fp_ieee_overflow 0
		.amdhsa_exception_fp_ieee_underflow 0
		.amdhsa_exception_fp_ieee_inexact 0
		.amdhsa_exception_int_div_zero 0
	.end_amdhsa_kernel
	.section	.text._ZN7rocprim17ROCPRIM_400000_NS6detail17trampoline_kernelINS0_14default_configENS1_25partition_config_selectorILNS1_17partition_subalgoE8EiNS0_10empty_typeEbEEZZNS1_14partition_implILS5_8ELb0ES3_jN6thrust23THRUST_200600_302600_NS10device_ptrIiEEPS6_PKS6_NS0_5tupleIJSC_S6_EEENSG_IJSD_SD_EEENS0_18inequality_wrapperINSA_8equal_toIiEEEEPmJS6_EEE10hipError_tPvRmT3_T4_T5_T6_T7_T9_mT8_P12ihipStream_tbDpT10_ENKUlT_T0_E_clISt17integral_constantIbLb1EES16_IbLb0EEEEDaS12_S13_EUlS12_E_NS1_11comp_targetILNS1_3genE5ELNS1_11target_archE942ELNS1_3gpuE9ELNS1_3repE0EEENS1_30default_config_static_selectorELNS0_4arch9wavefront6targetE1EEEvT1_,"axG",@progbits,_ZN7rocprim17ROCPRIM_400000_NS6detail17trampoline_kernelINS0_14default_configENS1_25partition_config_selectorILNS1_17partition_subalgoE8EiNS0_10empty_typeEbEEZZNS1_14partition_implILS5_8ELb0ES3_jN6thrust23THRUST_200600_302600_NS10device_ptrIiEEPS6_PKS6_NS0_5tupleIJSC_S6_EEENSG_IJSD_SD_EEENS0_18inequality_wrapperINSA_8equal_toIiEEEEPmJS6_EEE10hipError_tPvRmT3_T4_T5_T6_T7_T9_mT8_P12ihipStream_tbDpT10_ENKUlT_T0_E_clISt17integral_constantIbLb1EES16_IbLb0EEEEDaS12_S13_EUlS12_E_NS1_11comp_targetILNS1_3genE5ELNS1_11target_archE942ELNS1_3gpuE9ELNS1_3repE0EEENS1_30default_config_static_selectorELNS0_4arch9wavefront6targetE1EEEvT1_,comdat
.Lfunc_end1048:
	.size	_ZN7rocprim17ROCPRIM_400000_NS6detail17trampoline_kernelINS0_14default_configENS1_25partition_config_selectorILNS1_17partition_subalgoE8EiNS0_10empty_typeEbEEZZNS1_14partition_implILS5_8ELb0ES3_jN6thrust23THRUST_200600_302600_NS10device_ptrIiEEPS6_PKS6_NS0_5tupleIJSC_S6_EEENSG_IJSD_SD_EEENS0_18inequality_wrapperINSA_8equal_toIiEEEEPmJS6_EEE10hipError_tPvRmT3_T4_T5_T6_T7_T9_mT8_P12ihipStream_tbDpT10_ENKUlT_T0_E_clISt17integral_constantIbLb1EES16_IbLb0EEEEDaS12_S13_EUlS12_E_NS1_11comp_targetILNS1_3genE5ELNS1_11target_archE942ELNS1_3gpuE9ELNS1_3repE0EEENS1_30default_config_static_selectorELNS0_4arch9wavefront6targetE1EEEvT1_, .Lfunc_end1048-_ZN7rocprim17ROCPRIM_400000_NS6detail17trampoline_kernelINS0_14default_configENS1_25partition_config_selectorILNS1_17partition_subalgoE8EiNS0_10empty_typeEbEEZZNS1_14partition_implILS5_8ELb0ES3_jN6thrust23THRUST_200600_302600_NS10device_ptrIiEEPS6_PKS6_NS0_5tupleIJSC_S6_EEENSG_IJSD_SD_EEENS0_18inequality_wrapperINSA_8equal_toIiEEEEPmJS6_EEE10hipError_tPvRmT3_T4_T5_T6_T7_T9_mT8_P12ihipStream_tbDpT10_ENKUlT_T0_E_clISt17integral_constantIbLb1EES16_IbLb0EEEEDaS12_S13_EUlS12_E_NS1_11comp_targetILNS1_3genE5ELNS1_11target_archE942ELNS1_3gpuE9ELNS1_3repE0EEENS1_30default_config_static_selectorELNS0_4arch9wavefront6targetE1EEEvT1_
                                        ; -- End function
	.set _ZN7rocprim17ROCPRIM_400000_NS6detail17trampoline_kernelINS0_14default_configENS1_25partition_config_selectorILNS1_17partition_subalgoE8EiNS0_10empty_typeEbEEZZNS1_14partition_implILS5_8ELb0ES3_jN6thrust23THRUST_200600_302600_NS10device_ptrIiEEPS6_PKS6_NS0_5tupleIJSC_S6_EEENSG_IJSD_SD_EEENS0_18inequality_wrapperINSA_8equal_toIiEEEEPmJS6_EEE10hipError_tPvRmT3_T4_T5_T6_T7_T9_mT8_P12ihipStream_tbDpT10_ENKUlT_T0_E_clISt17integral_constantIbLb1EES16_IbLb0EEEEDaS12_S13_EUlS12_E_NS1_11comp_targetILNS1_3genE5ELNS1_11target_archE942ELNS1_3gpuE9ELNS1_3repE0EEENS1_30default_config_static_selectorELNS0_4arch9wavefront6targetE1EEEvT1_.num_vgpr, 0
	.set _ZN7rocprim17ROCPRIM_400000_NS6detail17trampoline_kernelINS0_14default_configENS1_25partition_config_selectorILNS1_17partition_subalgoE8EiNS0_10empty_typeEbEEZZNS1_14partition_implILS5_8ELb0ES3_jN6thrust23THRUST_200600_302600_NS10device_ptrIiEEPS6_PKS6_NS0_5tupleIJSC_S6_EEENSG_IJSD_SD_EEENS0_18inequality_wrapperINSA_8equal_toIiEEEEPmJS6_EEE10hipError_tPvRmT3_T4_T5_T6_T7_T9_mT8_P12ihipStream_tbDpT10_ENKUlT_T0_E_clISt17integral_constantIbLb1EES16_IbLb0EEEEDaS12_S13_EUlS12_E_NS1_11comp_targetILNS1_3genE5ELNS1_11target_archE942ELNS1_3gpuE9ELNS1_3repE0EEENS1_30default_config_static_selectorELNS0_4arch9wavefront6targetE1EEEvT1_.num_agpr, 0
	.set _ZN7rocprim17ROCPRIM_400000_NS6detail17trampoline_kernelINS0_14default_configENS1_25partition_config_selectorILNS1_17partition_subalgoE8EiNS0_10empty_typeEbEEZZNS1_14partition_implILS5_8ELb0ES3_jN6thrust23THRUST_200600_302600_NS10device_ptrIiEEPS6_PKS6_NS0_5tupleIJSC_S6_EEENSG_IJSD_SD_EEENS0_18inequality_wrapperINSA_8equal_toIiEEEEPmJS6_EEE10hipError_tPvRmT3_T4_T5_T6_T7_T9_mT8_P12ihipStream_tbDpT10_ENKUlT_T0_E_clISt17integral_constantIbLb1EES16_IbLb0EEEEDaS12_S13_EUlS12_E_NS1_11comp_targetILNS1_3genE5ELNS1_11target_archE942ELNS1_3gpuE9ELNS1_3repE0EEENS1_30default_config_static_selectorELNS0_4arch9wavefront6targetE1EEEvT1_.numbered_sgpr, 0
	.set _ZN7rocprim17ROCPRIM_400000_NS6detail17trampoline_kernelINS0_14default_configENS1_25partition_config_selectorILNS1_17partition_subalgoE8EiNS0_10empty_typeEbEEZZNS1_14partition_implILS5_8ELb0ES3_jN6thrust23THRUST_200600_302600_NS10device_ptrIiEEPS6_PKS6_NS0_5tupleIJSC_S6_EEENSG_IJSD_SD_EEENS0_18inequality_wrapperINSA_8equal_toIiEEEEPmJS6_EEE10hipError_tPvRmT3_T4_T5_T6_T7_T9_mT8_P12ihipStream_tbDpT10_ENKUlT_T0_E_clISt17integral_constantIbLb1EES16_IbLb0EEEEDaS12_S13_EUlS12_E_NS1_11comp_targetILNS1_3genE5ELNS1_11target_archE942ELNS1_3gpuE9ELNS1_3repE0EEENS1_30default_config_static_selectorELNS0_4arch9wavefront6targetE1EEEvT1_.num_named_barrier, 0
	.set _ZN7rocprim17ROCPRIM_400000_NS6detail17trampoline_kernelINS0_14default_configENS1_25partition_config_selectorILNS1_17partition_subalgoE8EiNS0_10empty_typeEbEEZZNS1_14partition_implILS5_8ELb0ES3_jN6thrust23THRUST_200600_302600_NS10device_ptrIiEEPS6_PKS6_NS0_5tupleIJSC_S6_EEENSG_IJSD_SD_EEENS0_18inequality_wrapperINSA_8equal_toIiEEEEPmJS6_EEE10hipError_tPvRmT3_T4_T5_T6_T7_T9_mT8_P12ihipStream_tbDpT10_ENKUlT_T0_E_clISt17integral_constantIbLb1EES16_IbLb0EEEEDaS12_S13_EUlS12_E_NS1_11comp_targetILNS1_3genE5ELNS1_11target_archE942ELNS1_3gpuE9ELNS1_3repE0EEENS1_30default_config_static_selectorELNS0_4arch9wavefront6targetE1EEEvT1_.private_seg_size, 0
	.set _ZN7rocprim17ROCPRIM_400000_NS6detail17trampoline_kernelINS0_14default_configENS1_25partition_config_selectorILNS1_17partition_subalgoE8EiNS0_10empty_typeEbEEZZNS1_14partition_implILS5_8ELb0ES3_jN6thrust23THRUST_200600_302600_NS10device_ptrIiEEPS6_PKS6_NS0_5tupleIJSC_S6_EEENSG_IJSD_SD_EEENS0_18inequality_wrapperINSA_8equal_toIiEEEEPmJS6_EEE10hipError_tPvRmT3_T4_T5_T6_T7_T9_mT8_P12ihipStream_tbDpT10_ENKUlT_T0_E_clISt17integral_constantIbLb1EES16_IbLb0EEEEDaS12_S13_EUlS12_E_NS1_11comp_targetILNS1_3genE5ELNS1_11target_archE942ELNS1_3gpuE9ELNS1_3repE0EEENS1_30default_config_static_selectorELNS0_4arch9wavefront6targetE1EEEvT1_.uses_vcc, 0
	.set _ZN7rocprim17ROCPRIM_400000_NS6detail17trampoline_kernelINS0_14default_configENS1_25partition_config_selectorILNS1_17partition_subalgoE8EiNS0_10empty_typeEbEEZZNS1_14partition_implILS5_8ELb0ES3_jN6thrust23THRUST_200600_302600_NS10device_ptrIiEEPS6_PKS6_NS0_5tupleIJSC_S6_EEENSG_IJSD_SD_EEENS0_18inequality_wrapperINSA_8equal_toIiEEEEPmJS6_EEE10hipError_tPvRmT3_T4_T5_T6_T7_T9_mT8_P12ihipStream_tbDpT10_ENKUlT_T0_E_clISt17integral_constantIbLb1EES16_IbLb0EEEEDaS12_S13_EUlS12_E_NS1_11comp_targetILNS1_3genE5ELNS1_11target_archE942ELNS1_3gpuE9ELNS1_3repE0EEENS1_30default_config_static_selectorELNS0_4arch9wavefront6targetE1EEEvT1_.uses_flat_scratch, 0
	.set _ZN7rocprim17ROCPRIM_400000_NS6detail17trampoline_kernelINS0_14default_configENS1_25partition_config_selectorILNS1_17partition_subalgoE8EiNS0_10empty_typeEbEEZZNS1_14partition_implILS5_8ELb0ES3_jN6thrust23THRUST_200600_302600_NS10device_ptrIiEEPS6_PKS6_NS0_5tupleIJSC_S6_EEENSG_IJSD_SD_EEENS0_18inequality_wrapperINSA_8equal_toIiEEEEPmJS6_EEE10hipError_tPvRmT3_T4_T5_T6_T7_T9_mT8_P12ihipStream_tbDpT10_ENKUlT_T0_E_clISt17integral_constantIbLb1EES16_IbLb0EEEEDaS12_S13_EUlS12_E_NS1_11comp_targetILNS1_3genE5ELNS1_11target_archE942ELNS1_3gpuE9ELNS1_3repE0EEENS1_30default_config_static_selectorELNS0_4arch9wavefront6targetE1EEEvT1_.has_dyn_sized_stack, 0
	.set _ZN7rocprim17ROCPRIM_400000_NS6detail17trampoline_kernelINS0_14default_configENS1_25partition_config_selectorILNS1_17partition_subalgoE8EiNS0_10empty_typeEbEEZZNS1_14partition_implILS5_8ELb0ES3_jN6thrust23THRUST_200600_302600_NS10device_ptrIiEEPS6_PKS6_NS0_5tupleIJSC_S6_EEENSG_IJSD_SD_EEENS0_18inequality_wrapperINSA_8equal_toIiEEEEPmJS6_EEE10hipError_tPvRmT3_T4_T5_T6_T7_T9_mT8_P12ihipStream_tbDpT10_ENKUlT_T0_E_clISt17integral_constantIbLb1EES16_IbLb0EEEEDaS12_S13_EUlS12_E_NS1_11comp_targetILNS1_3genE5ELNS1_11target_archE942ELNS1_3gpuE9ELNS1_3repE0EEENS1_30default_config_static_selectorELNS0_4arch9wavefront6targetE1EEEvT1_.has_recursion, 0
	.set _ZN7rocprim17ROCPRIM_400000_NS6detail17trampoline_kernelINS0_14default_configENS1_25partition_config_selectorILNS1_17partition_subalgoE8EiNS0_10empty_typeEbEEZZNS1_14partition_implILS5_8ELb0ES3_jN6thrust23THRUST_200600_302600_NS10device_ptrIiEEPS6_PKS6_NS0_5tupleIJSC_S6_EEENSG_IJSD_SD_EEENS0_18inequality_wrapperINSA_8equal_toIiEEEEPmJS6_EEE10hipError_tPvRmT3_T4_T5_T6_T7_T9_mT8_P12ihipStream_tbDpT10_ENKUlT_T0_E_clISt17integral_constantIbLb1EES16_IbLb0EEEEDaS12_S13_EUlS12_E_NS1_11comp_targetILNS1_3genE5ELNS1_11target_archE942ELNS1_3gpuE9ELNS1_3repE0EEENS1_30default_config_static_selectorELNS0_4arch9wavefront6targetE1EEEvT1_.has_indirect_call, 0
	.section	.AMDGPU.csdata,"",@progbits
; Kernel info:
; codeLenInByte = 0
; TotalNumSgprs: 4
; NumVgprs: 0
; ScratchSize: 0
; MemoryBound: 0
; FloatMode: 240
; IeeeMode: 1
; LDSByteSize: 0 bytes/workgroup (compile time only)
; SGPRBlocks: 0
; VGPRBlocks: 0
; NumSGPRsForWavesPerEU: 4
; NumVGPRsForWavesPerEU: 1
; Occupancy: 10
; WaveLimiterHint : 0
; COMPUTE_PGM_RSRC2:SCRATCH_EN: 0
; COMPUTE_PGM_RSRC2:USER_SGPR: 6
; COMPUTE_PGM_RSRC2:TRAP_HANDLER: 0
; COMPUTE_PGM_RSRC2:TGID_X_EN: 1
; COMPUTE_PGM_RSRC2:TGID_Y_EN: 0
; COMPUTE_PGM_RSRC2:TGID_Z_EN: 0
; COMPUTE_PGM_RSRC2:TIDIG_COMP_CNT: 0
	.section	.text._ZN7rocprim17ROCPRIM_400000_NS6detail17trampoline_kernelINS0_14default_configENS1_25partition_config_selectorILNS1_17partition_subalgoE8EiNS0_10empty_typeEbEEZZNS1_14partition_implILS5_8ELb0ES3_jN6thrust23THRUST_200600_302600_NS10device_ptrIiEEPS6_PKS6_NS0_5tupleIJSC_S6_EEENSG_IJSD_SD_EEENS0_18inequality_wrapperINSA_8equal_toIiEEEEPmJS6_EEE10hipError_tPvRmT3_T4_T5_T6_T7_T9_mT8_P12ihipStream_tbDpT10_ENKUlT_T0_E_clISt17integral_constantIbLb1EES16_IbLb0EEEEDaS12_S13_EUlS12_E_NS1_11comp_targetILNS1_3genE4ELNS1_11target_archE910ELNS1_3gpuE8ELNS1_3repE0EEENS1_30default_config_static_selectorELNS0_4arch9wavefront6targetE1EEEvT1_,"axG",@progbits,_ZN7rocprim17ROCPRIM_400000_NS6detail17trampoline_kernelINS0_14default_configENS1_25partition_config_selectorILNS1_17partition_subalgoE8EiNS0_10empty_typeEbEEZZNS1_14partition_implILS5_8ELb0ES3_jN6thrust23THRUST_200600_302600_NS10device_ptrIiEEPS6_PKS6_NS0_5tupleIJSC_S6_EEENSG_IJSD_SD_EEENS0_18inequality_wrapperINSA_8equal_toIiEEEEPmJS6_EEE10hipError_tPvRmT3_T4_T5_T6_T7_T9_mT8_P12ihipStream_tbDpT10_ENKUlT_T0_E_clISt17integral_constantIbLb1EES16_IbLb0EEEEDaS12_S13_EUlS12_E_NS1_11comp_targetILNS1_3genE4ELNS1_11target_archE910ELNS1_3gpuE8ELNS1_3repE0EEENS1_30default_config_static_selectorELNS0_4arch9wavefront6targetE1EEEvT1_,comdat
	.protected	_ZN7rocprim17ROCPRIM_400000_NS6detail17trampoline_kernelINS0_14default_configENS1_25partition_config_selectorILNS1_17partition_subalgoE8EiNS0_10empty_typeEbEEZZNS1_14partition_implILS5_8ELb0ES3_jN6thrust23THRUST_200600_302600_NS10device_ptrIiEEPS6_PKS6_NS0_5tupleIJSC_S6_EEENSG_IJSD_SD_EEENS0_18inequality_wrapperINSA_8equal_toIiEEEEPmJS6_EEE10hipError_tPvRmT3_T4_T5_T6_T7_T9_mT8_P12ihipStream_tbDpT10_ENKUlT_T0_E_clISt17integral_constantIbLb1EES16_IbLb0EEEEDaS12_S13_EUlS12_E_NS1_11comp_targetILNS1_3genE4ELNS1_11target_archE910ELNS1_3gpuE8ELNS1_3repE0EEENS1_30default_config_static_selectorELNS0_4arch9wavefront6targetE1EEEvT1_ ; -- Begin function _ZN7rocprim17ROCPRIM_400000_NS6detail17trampoline_kernelINS0_14default_configENS1_25partition_config_selectorILNS1_17partition_subalgoE8EiNS0_10empty_typeEbEEZZNS1_14partition_implILS5_8ELb0ES3_jN6thrust23THRUST_200600_302600_NS10device_ptrIiEEPS6_PKS6_NS0_5tupleIJSC_S6_EEENSG_IJSD_SD_EEENS0_18inequality_wrapperINSA_8equal_toIiEEEEPmJS6_EEE10hipError_tPvRmT3_T4_T5_T6_T7_T9_mT8_P12ihipStream_tbDpT10_ENKUlT_T0_E_clISt17integral_constantIbLb1EES16_IbLb0EEEEDaS12_S13_EUlS12_E_NS1_11comp_targetILNS1_3genE4ELNS1_11target_archE910ELNS1_3gpuE8ELNS1_3repE0EEENS1_30default_config_static_selectorELNS0_4arch9wavefront6targetE1EEEvT1_
	.globl	_ZN7rocprim17ROCPRIM_400000_NS6detail17trampoline_kernelINS0_14default_configENS1_25partition_config_selectorILNS1_17partition_subalgoE8EiNS0_10empty_typeEbEEZZNS1_14partition_implILS5_8ELb0ES3_jN6thrust23THRUST_200600_302600_NS10device_ptrIiEEPS6_PKS6_NS0_5tupleIJSC_S6_EEENSG_IJSD_SD_EEENS0_18inequality_wrapperINSA_8equal_toIiEEEEPmJS6_EEE10hipError_tPvRmT3_T4_T5_T6_T7_T9_mT8_P12ihipStream_tbDpT10_ENKUlT_T0_E_clISt17integral_constantIbLb1EES16_IbLb0EEEEDaS12_S13_EUlS12_E_NS1_11comp_targetILNS1_3genE4ELNS1_11target_archE910ELNS1_3gpuE8ELNS1_3repE0EEENS1_30default_config_static_selectorELNS0_4arch9wavefront6targetE1EEEvT1_
	.p2align	8
	.type	_ZN7rocprim17ROCPRIM_400000_NS6detail17trampoline_kernelINS0_14default_configENS1_25partition_config_selectorILNS1_17partition_subalgoE8EiNS0_10empty_typeEbEEZZNS1_14partition_implILS5_8ELb0ES3_jN6thrust23THRUST_200600_302600_NS10device_ptrIiEEPS6_PKS6_NS0_5tupleIJSC_S6_EEENSG_IJSD_SD_EEENS0_18inequality_wrapperINSA_8equal_toIiEEEEPmJS6_EEE10hipError_tPvRmT3_T4_T5_T6_T7_T9_mT8_P12ihipStream_tbDpT10_ENKUlT_T0_E_clISt17integral_constantIbLb1EES16_IbLb0EEEEDaS12_S13_EUlS12_E_NS1_11comp_targetILNS1_3genE4ELNS1_11target_archE910ELNS1_3gpuE8ELNS1_3repE0EEENS1_30default_config_static_selectorELNS0_4arch9wavefront6targetE1EEEvT1_,@function
_ZN7rocprim17ROCPRIM_400000_NS6detail17trampoline_kernelINS0_14default_configENS1_25partition_config_selectorILNS1_17partition_subalgoE8EiNS0_10empty_typeEbEEZZNS1_14partition_implILS5_8ELb0ES3_jN6thrust23THRUST_200600_302600_NS10device_ptrIiEEPS6_PKS6_NS0_5tupleIJSC_S6_EEENSG_IJSD_SD_EEENS0_18inequality_wrapperINSA_8equal_toIiEEEEPmJS6_EEE10hipError_tPvRmT3_T4_T5_T6_T7_T9_mT8_P12ihipStream_tbDpT10_ENKUlT_T0_E_clISt17integral_constantIbLb1EES16_IbLb0EEEEDaS12_S13_EUlS12_E_NS1_11comp_targetILNS1_3genE4ELNS1_11target_archE910ELNS1_3gpuE8ELNS1_3repE0EEENS1_30default_config_static_selectorELNS0_4arch9wavefront6targetE1EEEvT1_: ; @_ZN7rocprim17ROCPRIM_400000_NS6detail17trampoline_kernelINS0_14default_configENS1_25partition_config_selectorILNS1_17partition_subalgoE8EiNS0_10empty_typeEbEEZZNS1_14partition_implILS5_8ELb0ES3_jN6thrust23THRUST_200600_302600_NS10device_ptrIiEEPS6_PKS6_NS0_5tupleIJSC_S6_EEENSG_IJSD_SD_EEENS0_18inequality_wrapperINSA_8equal_toIiEEEEPmJS6_EEE10hipError_tPvRmT3_T4_T5_T6_T7_T9_mT8_P12ihipStream_tbDpT10_ENKUlT_T0_E_clISt17integral_constantIbLb1EES16_IbLb0EEEEDaS12_S13_EUlS12_E_NS1_11comp_targetILNS1_3genE4ELNS1_11target_archE910ELNS1_3gpuE8ELNS1_3repE0EEENS1_30default_config_static_selectorELNS0_4arch9wavefront6targetE1EEEvT1_
; %bb.0:
	.section	.rodata,"a",@progbits
	.p2align	6, 0x0
	.amdhsa_kernel _ZN7rocprim17ROCPRIM_400000_NS6detail17trampoline_kernelINS0_14default_configENS1_25partition_config_selectorILNS1_17partition_subalgoE8EiNS0_10empty_typeEbEEZZNS1_14partition_implILS5_8ELb0ES3_jN6thrust23THRUST_200600_302600_NS10device_ptrIiEEPS6_PKS6_NS0_5tupleIJSC_S6_EEENSG_IJSD_SD_EEENS0_18inequality_wrapperINSA_8equal_toIiEEEEPmJS6_EEE10hipError_tPvRmT3_T4_T5_T6_T7_T9_mT8_P12ihipStream_tbDpT10_ENKUlT_T0_E_clISt17integral_constantIbLb1EES16_IbLb0EEEEDaS12_S13_EUlS12_E_NS1_11comp_targetILNS1_3genE4ELNS1_11target_archE910ELNS1_3gpuE8ELNS1_3repE0EEENS1_30default_config_static_selectorELNS0_4arch9wavefront6targetE1EEEvT1_
		.amdhsa_group_segment_fixed_size 0
		.amdhsa_private_segment_fixed_size 0
		.amdhsa_kernarg_size 112
		.amdhsa_user_sgpr_count 6
		.amdhsa_user_sgpr_private_segment_buffer 1
		.amdhsa_user_sgpr_dispatch_ptr 0
		.amdhsa_user_sgpr_queue_ptr 0
		.amdhsa_user_sgpr_kernarg_segment_ptr 1
		.amdhsa_user_sgpr_dispatch_id 0
		.amdhsa_user_sgpr_flat_scratch_init 0
		.amdhsa_user_sgpr_private_segment_size 0
		.amdhsa_uses_dynamic_stack 0
		.amdhsa_system_sgpr_private_segment_wavefront_offset 0
		.amdhsa_system_sgpr_workgroup_id_x 1
		.amdhsa_system_sgpr_workgroup_id_y 0
		.amdhsa_system_sgpr_workgroup_id_z 0
		.amdhsa_system_sgpr_workgroup_info 0
		.amdhsa_system_vgpr_workitem_id 0
		.amdhsa_next_free_vgpr 1
		.amdhsa_next_free_sgpr 0
		.amdhsa_reserve_vcc 0
		.amdhsa_reserve_flat_scratch 0
		.amdhsa_float_round_mode_32 0
		.amdhsa_float_round_mode_16_64 0
		.amdhsa_float_denorm_mode_32 3
		.amdhsa_float_denorm_mode_16_64 3
		.amdhsa_dx10_clamp 1
		.amdhsa_ieee_mode 1
		.amdhsa_fp16_overflow 0
		.amdhsa_exception_fp_ieee_invalid_op 0
		.amdhsa_exception_fp_denorm_src 0
		.amdhsa_exception_fp_ieee_div_zero 0
		.amdhsa_exception_fp_ieee_overflow 0
		.amdhsa_exception_fp_ieee_underflow 0
		.amdhsa_exception_fp_ieee_inexact 0
		.amdhsa_exception_int_div_zero 0
	.end_amdhsa_kernel
	.section	.text._ZN7rocprim17ROCPRIM_400000_NS6detail17trampoline_kernelINS0_14default_configENS1_25partition_config_selectorILNS1_17partition_subalgoE8EiNS0_10empty_typeEbEEZZNS1_14partition_implILS5_8ELb0ES3_jN6thrust23THRUST_200600_302600_NS10device_ptrIiEEPS6_PKS6_NS0_5tupleIJSC_S6_EEENSG_IJSD_SD_EEENS0_18inequality_wrapperINSA_8equal_toIiEEEEPmJS6_EEE10hipError_tPvRmT3_T4_T5_T6_T7_T9_mT8_P12ihipStream_tbDpT10_ENKUlT_T0_E_clISt17integral_constantIbLb1EES16_IbLb0EEEEDaS12_S13_EUlS12_E_NS1_11comp_targetILNS1_3genE4ELNS1_11target_archE910ELNS1_3gpuE8ELNS1_3repE0EEENS1_30default_config_static_selectorELNS0_4arch9wavefront6targetE1EEEvT1_,"axG",@progbits,_ZN7rocprim17ROCPRIM_400000_NS6detail17trampoline_kernelINS0_14default_configENS1_25partition_config_selectorILNS1_17partition_subalgoE8EiNS0_10empty_typeEbEEZZNS1_14partition_implILS5_8ELb0ES3_jN6thrust23THRUST_200600_302600_NS10device_ptrIiEEPS6_PKS6_NS0_5tupleIJSC_S6_EEENSG_IJSD_SD_EEENS0_18inequality_wrapperINSA_8equal_toIiEEEEPmJS6_EEE10hipError_tPvRmT3_T4_T5_T6_T7_T9_mT8_P12ihipStream_tbDpT10_ENKUlT_T0_E_clISt17integral_constantIbLb1EES16_IbLb0EEEEDaS12_S13_EUlS12_E_NS1_11comp_targetILNS1_3genE4ELNS1_11target_archE910ELNS1_3gpuE8ELNS1_3repE0EEENS1_30default_config_static_selectorELNS0_4arch9wavefront6targetE1EEEvT1_,comdat
.Lfunc_end1049:
	.size	_ZN7rocprim17ROCPRIM_400000_NS6detail17trampoline_kernelINS0_14default_configENS1_25partition_config_selectorILNS1_17partition_subalgoE8EiNS0_10empty_typeEbEEZZNS1_14partition_implILS5_8ELb0ES3_jN6thrust23THRUST_200600_302600_NS10device_ptrIiEEPS6_PKS6_NS0_5tupleIJSC_S6_EEENSG_IJSD_SD_EEENS0_18inequality_wrapperINSA_8equal_toIiEEEEPmJS6_EEE10hipError_tPvRmT3_T4_T5_T6_T7_T9_mT8_P12ihipStream_tbDpT10_ENKUlT_T0_E_clISt17integral_constantIbLb1EES16_IbLb0EEEEDaS12_S13_EUlS12_E_NS1_11comp_targetILNS1_3genE4ELNS1_11target_archE910ELNS1_3gpuE8ELNS1_3repE0EEENS1_30default_config_static_selectorELNS0_4arch9wavefront6targetE1EEEvT1_, .Lfunc_end1049-_ZN7rocprim17ROCPRIM_400000_NS6detail17trampoline_kernelINS0_14default_configENS1_25partition_config_selectorILNS1_17partition_subalgoE8EiNS0_10empty_typeEbEEZZNS1_14partition_implILS5_8ELb0ES3_jN6thrust23THRUST_200600_302600_NS10device_ptrIiEEPS6_PKS6_NS0_5tupleIJSC_S6_EEENSG_IJSD_SD_EEENS0_18inequality_wrapperINSA_8equal_toIiEEEEPmJS6_EEE10hipError_tPvRmT3_T4_T5_T6_T7_T9_mT8_P12ihipStream_tbDpT10_ENKUlT_T0_E_clISt17integral_constantIbLb1EES16_IbLb0EEEEDaS12_S13_EUlS12_E_NS1_11comp_targetILNS1_3genE4ELNS1_11target_archE910ELNS1_3gpuE8ELNS1_3repE0EEENS1_30default_config_static_selectorELNS0_4arch9wavefront6targetE1EEEvT1_
                                        ; -- End function
	.set _ZN7rocprim17ROCPRIM_400000_NS6detail17trampoline_kernelINS0_14default_configENS1_25partition_config_selectorILNS1_17partition_subalgoE8EiNS0_10empty_typeEbEEZZNS1_14partition_implILS5_8ELb0ES3_jN6thrust23THRUST_200600_302600_NS10device_ptrIiEEPS6_PKS6_NS0_5tupleIJSC_S6_EEENSG_IJSD_SD_EEENS0_18inequality_wrapperINSA_8equal_toIiEEEEPmJS6_EEE10hipError_tPvRmT3_T4_T5_T6_T7_T9_mT8_P12ihipStream_tbDpT10_ENKUlT_T0_E_clISt17integral_constantIbLb1EES16_IbLb0EEEEDaS12_S13_EUlS12_E_NS1_11comp_targetILNS1_3genE4ELNS1_11target_archE910ELNS1_3gpuE8ELNS1_3repE0EEENS1_30default_config_static_selectorELNS0_4arch9wavefront6targetE1EEEvT1_.num_vgpr, 0
	.set _ZN7rocprim17ROCPRIM_400000_NS6detail17trampoline_kernelINS0_14default_configENS1_25partition_config_selectorILNS1_17partition_subalgoE8EiNS0_10empty_typeEbEEZZNS1_14partition_implILS5_8ELb0ES3_jN6thrust23THRUST_200600_302600_NS10device_ptrIiEEPS6_PKS6_NS0_5tupleIJSC_S6_EEENSG_IJSD_SD_EEENS0_18inequality_wrapperINSA_8equal_toIiEEEEPmJS6_EEE10hipError_tPvRmT3_T4_T5_T6_T7_T9_mT8_P12ihipStream_tbDpT10_ENKUlT_T0_E_clISt17integral_constantIbLb1EES16_IbLb0EEEEDaS12_S13_EUlS12_E_NS1_11comp_targetILNS1_3genE4ELNS1_11target_archE910ELNS1_3gpuE8ELNS1_3repE0EEENS1_30default_config_static_selectorELNS0_4arch9wavefront6targetE1EEEvT1_.num_agpr, 0
	.set _ZN7rocprim17ROCPRIM_400000_NS6detail17trampoline_kernelINS0_14default_configENS1_25partition_config_selectorILNS1_17partition_subalgoE8EiNS0_10empty_typeEbEEZZNS1_14partition_implILS5_8ELb0ES3_jN6thrust23THRUST_200600_302600_NS10device_ptrIiEEPS6_PKS6_NS0_5tupleIJSC_S6_EEENSG_IJSD_SD_EEENS0_18inequality_wrapperINSA_8equal_toIiEEEEPmJS6_EEE10hipError_tPvRmT3_T4_T5_T6_T7_T9_mT8_P12ihipStream_tbDpT10_ENKUlT_T0_E_clISt17integral_constantIbLb1EES16_IbLb0EEEEDaS12_S13_EUlS12_E_NS1_11comp_targetILNS1_3genE4ELNS1_11target_archE910ELNS1_3gpuE8ELNS1_3repE0EEENS1_30default_config_static_selectorELNS0_4arch9wavefront6targetE1EEEvT1_.numbered_sgpr, 0
	.set _ZN7rocprim17ROCPRIM_400000_NS6detail17trampoline_kernelINS0_14default_configENS1_25partition_config_selectorILNS1_17partition_subalgoE8EiNS0_10empty_typeEbEEZZNS1_14partition_implILS5_8ELb0ES3_jN6thrust23THRUST_200600_302600_NS10device_ptrIiEEPS6_PKS6_NS0_5tupleIJSC_S6_EEENSG_IJSD_SD_EEENS0_18inequality_wrapperINSA_8equal_toIiEEEEPmJS6_EEE10hipError_tPvRmT3_T4_T5_T6_T7_T9_mT8_P12ihipStream_tbDpT10_ENKUlT_T0_E_clISt17integral_constantIbLb1EES16_IbLb0EEEEDaS12_S13_EUlS12_E_NS1_11comp_targetILNS1_3genE4ELNS1_11target_archE910ELNS1_3gpuE8ELNS1_3repE0EEENS1_30default_config_static_selectorELNS0_4arch9wavefront6targetE1EEEvT1_.num_named_barrier, 0
	.set _ZN7rocprim17ROCPRIM_400000_NS6detail17trampoline_kernelINS0_14default_configENS1_25partition_config_selectorILNS1_17partition_subalgoE8EiNS0_10empty_typeEbEEZZNS1_14partition_implILS5_8ELb0ES3_jN6thrust23THRUST_200600_302600_NS10device_ptrIiEEPS6_PKS6_NS0_5tupleIJSC_S6_EEENSG_IJSD_SD_EEENS0_18inequality_wrapperINSA_8equal_toIiEEEEPmJS6_EEE10hipError_tPvRmT3_T4_T5_T6_T7_T9_mT8_P12ihipStream_tbDpT10_ENKUlT_T0_E_clISt17integral_constantIbLb1EES16_IbLb0EEEEDaS12_S13_EUlS12_E_NS1_11comp_targetILNS1_3genE4ELNS1_11target_archE910ELNS1_3gpuE8ELNS1_3repE0EEENS1_30default_config_static_selectorELNS0_4arch9wavefront6targetE1EEEvT1_.private_seg_size, 0
	.set _ZN7rocprim17ROCPRIM_400000_NS6detail17trampoline_kernelINS0_14default_configENS1_25partition_config_selectorILNS1_17partition_subalgoE8EiNS0_10empty_typeEbEEZZNS1_14partition_implILS5_8ELb0ES3_jN6thrust23THRUST_200600_302600_NS10device_ptrIiEEPS6_PKS6_NS0_5tupleIJSC_S6_EEENSG_IJSD_SD_EEENS0_18inequality_wrapperINSA_8equal_toIiEEEEPmJS6_EEE10hipError_tPvRmT3_T4_T5_T6_T7_T9_mT8_P12ihipStream_tbDpT10_ENKUlT_T0_E_clISt17integral_constantIbLb1EES16_IbLb0EEEEDaS12_S13_EUlS12_E_NS1_11comp_targetILNS1_3genE4ELNS1_11target_archE910ELNS1_3gpuE8ELNS1_3repE0EEENS1_30default_config_static_selectorELNS0_4arch9wavefront6targetE1EEEvT1_.uses_vcc, 0
	.set _ZN7rocprim17ROCPRIM_400000_NS6detail17trampoline_kernelINS0_14default_configENS1_25partition_config_selectorILNS1_17partition_subalgoE8EiNS0_10empty_typeEbEEZZNS1_14partition_implILS5_8ELb0ES3_jN6thrust23THRUST_200600_302600_NS10device_ptrIiEEPS6_PKS6_NS0_5tupleIJSC_S6_EEENSG_IJSD_SD_EEENS0_18inequality_wrapperINSA_8equal_toIiEEEEPmJS6_EEE10hipError_tPvRmT3_T4_T5_T6_T7_T9_mT8_P12ihipStream_tbDpT10_ENKUlT_T0_E_clISt17integral_constantIbLb1EES16_IbLb0EEEEDaS12_S13_EUlS12_E_NS1_11comp_targetILNS1_3genE4ELNS1_11target_archE910ELNS1_3gpuE8ELNS1_3repE0EEENS1_30default_config_static_selectorELNS0_4arch9wavefront6targetE1EEEvT1_.uses_flat_scratch, 0
	.set _ZN7rocprim17ROCPRIM_400000_NS6detail17trampoline_kernelINS0_14default_configENS1_25partition_config_selectorILNS1_17partition_subalgoE8EiNS0_10empty_typeEbEEZZNS1_14partition_implILS5_8ELb0ES3_jN6thrust23THRUST_200600_302600_NS10device_ptrIiEEPS6_PKS6_NS0_5tupleIJSC_S6_EEENSG_IJSD_SD_EEENS0_18inequality_wrapperINSA_8equal_toIiEEEEPmJS6_EEE10hipError_tPvRmT3_T4_T5_T6_T7_T9_mT8_P12ihipStream_tbDpT10_ENKUlT_T0_E_clISt17integral_constantIbLb1EES16_IbLb0EEEEDaS12_S13_EUlS12_E_NS1_11comp_targetILNS1_3genE4ELNS1_11target_archE910ELNS1_3gpuE8ELNS1_3repE0EEENS1_30default_config_static_selectorELNS0_4arch9wavefront6targetE1EEEvT1_.has_dyn_sized_stack, 0
	.set _ZN7rocprim17ROCPRIM_400000_NS6detail17trampoline_kernelINS0_14default_configENS1_25partition_config_selectorILNS1_17partition_subalgoE8EiNS0_10empty_typeEbEEZZNS1_14partition_implILS5_8ELb0ES3_jN6thrust23THRUST_200600_302600_NS10device_ptrIiEEPS6_PKS6_NS0_5tupleIJSC_S6_EEENSG_IJSD_SD_EEENS0_18inequality_wrapperINSA_8equal_toIiEEEEPmJS6_EEE10hipError_tPvRmT3_T4_T5_T6_T7_T9_mT8_P12ihipStream_tbDpT10_ENKUlT_T0_E_clISt17integral_constantIbLb1EES16_IbLb0EEEEDaS12_S13_EUlS12_E_NS1_11comp_targetILNS1_3genE4ELNS1_11target_archE910ELNS1_3gpuE8ELNS1_3repE0EEENS1_30default_config_static_selectorELNS0_4arch9wavefront6targetE1EEEvT1_.has_recursion, 0
	.set _ZN7rocprim17ROCPRIM_400000_NS6detail17trampoline_kernelINS0_14default_configENS1_25partition_config_selectorILNS1_17partition_subalgoE8EiNS0_10empty_typeEbEEZZNS1_14partition_implILS5_8ELb0ES3_jN6thrust23THRUST_200600_302600_NS10device_ptrIiEEPS6_PKS6_NS0_5tupleIJSC_S6_EEENSG_IJSD_SD_EEENS0_18inequality_wrapperINSA_8equal_toIiEEEEPmJS6_EEE10hipError_tPvRmT3_T4_T5_T6_T7_T9_mT8_P12ihipStream_tbDpT10_ENKUlT_T0_E_clISt17integral_constantIbLb1EES16_IbLb0EEEEDaS12_S13_EUlS12_E_NS1_11comp_targetILNS1_3genE4ELNS1_11target_archE910ELNS1_3gpuE8ELNS1_3repE0EEENS1_30default_config_static_selectorELNS0_4arch9wavefront6targetE1EEEvT1_.has_indirect_call, 0
	.section	.AMDGPU.csdata,"",@progbits
; Kernel info:
; codeLenInByte = 0
; TotalNumSgprs: 4
; NumVgprs: 0
; ScratchSize: 0
; MemoryBound: 0
; FloatMode: 240
; IeeeMode: 1
; LDSByteSize: 0 bytes/workgroup (compile time only)
; SGPRBlocks: 0
; VGPRBlocks: 0
; NumSGPRsForWavesPerEU: 4
; NumVGPRsForWavesPerEU: 1
; Occupancy: 10
; WaveLimiterHint : 0
; COMPUTE_PGM_RSRC2:SCRATCH_EN: 0
; COMPUTE_PGM_RSRC2:USER_SGPR: 6
; COMPUTE_PGM_RSRC2:TRAP_HANDLER: 0
; COMPUTE_PGM_RSRC2:TGID_X_EN: 1
; COMPUTE_PGM_RSRC2:TGID_Y_EN: 0
; COMPUTE_PGM_RSRC2:TGID_Z_EN: 0
; COMPUTE_PGM_RSRC2:TIDIG_COMP_CNT: 0
	.section	.text._ZN7rocprim17ROCPRIM_400000_NS6detail17trampoline_kernelINS0_14default_configENS1_25partition_config_selectorILNS1_17partition_subalgoE8EiNS0_10empty_typeEbEEZZNS1_14partition_implILS5_8ELb0ES3_jN6thrust23THRUST_200600_302600_NS10device_ptrIiEEPS6_PKS6_NS0_5tupleIJSC_S6_EEENSG_IJSD_SD_EEENS0_18inequality_wrapperINSA_8equal_toIiEEEEPmJS6_EEE10hipError_tPvRmT3_T4_T5_T6_T7_T9_mT8_P12ihipStream_tbDpT10_ENKUlT_T0_E_clISt17integral_constantIbLb1EES16_IbLb0EEEEDaS12_S13_EUlS12_E_NS1_11comp_targetILNS1_3genE3ELNS1_11target_archE908ELNS1_3gpuE7ELNS1_3repE0EEENS1_30default_config_static_selectorELNS0_4arch9wavefront6targetE1EEEvT1_,"axG",@progbits,_ZN7rocprim17ROCPRIM_400000_NS6detail17trampoline_kernelINS0_14default_configENS1_25partition_config_selectorILNS1_17partition_subalgoE8EiNS0_10empty_typeEbEEZZNS1_14partition_implILS5_8ELb0ES3_jN6thrust23THRUST_200600_302600_NS10device_ptrIiEEPS6_PKS6_NS0_5tupleIJSC_S6_EEENSG_IJSD_SD_EEENS0_18inequality_wrapperINSA_8equal_toIiEEEEPmJS6_EEE10hipError_tPvRmT3_T4_T5_T6_T7_T9_mT8_P12ihipStream_tbDpT10_ENKUlT_T0_E_clISt17integral_constantIbLb1EES16_IbLb0EEEEDaS12_S13_EUlS12_E_NS1_11comp_targetILNS1_3genE3ELNS1_11target_archE908ELNS1_3gpuE7ELNS1_3repE0EEENS1_30default_config_static_selectorELNS0_4arch9wavefront6targetE1EEEvT1_,comdat
	.protected	_ZN7rocprim17ROCPRIM_400000_NS6detail17trampoline_kernelINS0_14default_configENS1_25partition_config_selectorILNS1_17partition_subalgoE8EiNS0_10empty_typeEbEEZZNS1_14partition_implILS5_8ELb0ES3_jN6thrust23THRUST_200600_302600_NS10device_ptrIiEEPS6_PKS6_NS0_5tupleIJSC_S6_EEENSG_IJSD_SD_EEENS0_18inequality_wrapperINSA_8equal_toIiEEEEPmJS6_EEE10hipError_tPvRmT3_T4_T5_T6_T7_T9_mT8_P12ihipStream_tbDpT10_ENKUlT_T0_E_clISt17integral_constantIbLb1EES16_IbLb0EEEEDaS12_S13_EUlS12_E_NS1_11comp_targetILNS1_3genE3ELNS1_11target_archE908ELNS1_3gpuE7ELNS1_3repE0EEENS1_30default_config_static_selectorELNS0_4arch9wavefront6targetE1EEEvT1_ ; -- Begin function _ZN7rocprim17ROCPRIM_400000_NS6detail17trampoline_kernelINS0_14default_configENS1_25partition_config_selectorILNS1_17partition_subalgoE8EiNS0_10empty_typeEbEEZZNS1_14partition_implILS5_8ELb0ES3_jN6thrust23THRUST_200600_302600_NS10device_ptrIiEEPS6_PKS6_NS0_5tupleIJSC_S6_EEENSG_IJSD_SD_EEENS0_18inequality_wrapperINSA_8equal_toIiEEEEPmJS6_EEE10hipError_tPvRmT3_T4_T5_T6_T7_T9_mT8_P12ihipStream_tbDpT10_ENKUlT_T0_E_clISt17integral_constantIbLb1EES16_IbLb0EEEEDaS12_S13_EUlS12_E_NS1_11comp_targetILNS1_3genE3ELNS1_11target_archE908ELNS1_3gpuE7ELNS1_3repE0EEENS1_30default_config_static_selectorELNS0_4arch9wavefront6targetE1EEEvT1_
	.globl	_ZN7rocprim17ROCPRIM_400000_NS6detail17trampoline_kernelINS0_14default_configENS1_25partition_config_selectorILNS1_17partition_subalgoE8EiNS0_10empty_typeEbEEZZNS1_14partition_implILS5_8ELb0ES3_jN6thrust23THRUST_200600_302600_NS10device_ptrIiEEPS6_PKS6_NS0_5tupleIJSC_S6_EEENSG_IJSD_SD_EEENS0_18inequality_wrapperINSA_8equal_toIiEEEEPmJS6_EEE10hipError_tPvRmT3_T4_T5_T6_T7_T9_mT8_P12ihipStream_tbDpT10_ENKUlT_T0_E_clISt17integral_constantIbLb1EES16_IbLb0EEEEDaS12_S13_EUlS12_E_NS1_11comp_targetILNS1_3genE3ELNS1_11target_archE908ELNS1_3gpuE7ELNS1_3repE0EEENS1_30default_config_static_selectorELNS0_4arch9wavefront6targetE1EEEvT1_
	.p2align	8
	.type	_ZN7rocprim17ROCPRIM_400000_NS6detail17trampoline_kernelINS0_14default_configENS1_25partition_config_selectorILNS1_17partition_subalgoE8EiNS0_10empty_typeEbEEZZNS1_14partition_implILS5_8ELb0ES3_jN6thrust23THRUST_200600_302600_NS10device_ptrIiEEPS6_PKS6_NS0_5tupleIJSC_S6_EEENSG_IJSD_SD_EEENS0_18inequality_wrapperINSA_8equal_toIiEEEEPmJS6_EEE10hipError_tPvRmT3_T4_T5_T6_T7_T9_mT8_P12ihipStream_tbDpT10_ENKUlT_T0_E_clISt17integral_constantIbLb1EES16_IbLb0EEEEDaS12_S13_EUlS12_E_NS1_11comp_targetILNS1_3genE3ELNS1_11target_archE908ELNS1_3gpuE7ELNS1_3repE0EEENS1_30default_config_static_selectorELNS0_4arch9wavefront6targetE1EEEvT1_,@function
_ZN7rocprim17ROCPRIM_400000_NS6detail17trampoline_kernelINS0_14default_configENS1_25partition_config_selectorILNS1_17partition_subalgoE8EiNS0_10empty_typeEbEEZZNS1_14partition_implILS5_8ELb0ES3_jN6thrust23THRUST_200600_302600_NS10device_ptrIiEEPS6_PKS6_NS0_5tupleIJSC_S6_EEENSG_IJSD_SD_EEENS0_18inequality_wrapperINSA_8equal_toIiEEEEPmJS6_EEE10hipError_tPvRmT3_T4_T5_T6_T7_T9_mT8_P12ihipStream_tbDpT10_ENKUlT_T0_E_clISt17integral_constantIbLb1EES16_IbLb0EEEEDaS12_S13_EUlS12_E_NS1_11comp_targetILNS1_3genE3ELNS1_11target_archE908ELNS1_3gpuE7ELNS1_3repE0EEENS1_30default_config_static_selectorELNS0_4arch9wavefront6targetE1EEEvT1_: ; @_ZN7rocprim17ROCPRIM_400000_NS6detail17trampoline_kernelINS0_14default_configENS1_25partition_config_selectorILNS1_17partition_subalgoE8EiNS0_10empty_typeEbEEZZNS1_14partition_implILS5_8ELb0ES3_jN6thrust23THRUST_200600_302600_NS10device_ptrIiEEPS6_PKS6_NS0_5tupleIJSC_S6_EEENSG_IJSD_SD_EEENS0_18inequality_wrapperINSA_8equal_toIiEEEEPmJS6_EEE10hipError_tPvRmT3_T4_T5_T6_T7_T9_mT8_P12ihipStream_tbDpT10_ENKUlT_T0_E_clISt17integral_constantIbLb1EES16_IbLb0EEEEDaS12_S13_EUlS12_E_NS1_11comp_targetILNS1_3genE3ELNS1_11target_archE908ELNS1_3gpuE7ELNS1_3repE0EEENS1_30default_config_static_selectorELNS0_4arch9wavefront6targetE1EEEvT1_
; %bb.0:
	.section	.rodata,"a",@progbits
	.p2align	6, 0x0
	.amdhsa_kernel _ZN7rocprim17ROCPRIM_400000_NS6detail17trampoline_kernelINS0_14default_configENS1_25partition_config_selectorILNS1_17partition_subalgoE8EiNS0_10empty_typeEbEEZZNS1_14partition_implILS5_8ELb0ES3_jN6thrust23THRUST_200600_302600_NS10device_ptrIiEEPS6_PKS6_NS0_5tupleIJSC_S6_EEENSG_IJSD_SD_EEENS0_18inequality_wrapperINSA_8equal_toIiEEEEPmJS6_EEE10hipError_tPvRmT3_T4_T5_T6_T7_T9_mT8_P12ihipStream_tbDpT10_ENKUlT_T0_E_clISt17integral_constantIbLb1EES16_IbLb0EEEEDaS12_S13_EUlS12_E_NS1_11comp_targetILNS1_3genE3ELNS1_11target_archE908ELNS1_3gpuE7ELNS1_3repE0EEENS1_30default_config_static_selectorELNS0_4arch9wavefront6targetE1EEEvT1_
		.amdhsa_group_segment_fixed_size 0
		.amdhsa_private_segment_fixed_size 0
		.amdhsa_kernarg_size 112
		.amdhsa_user_sgpr_count 6
		.amdhsa_user_sgpr_private_segment_buffer 1
		.amdhsa_user_sgpr_dispatch_ptr 0
		.amdhsa_user_sgpr_queue_ptr 0
		.amdhsa_user_sgpr_kernarg_segment_ptr 1
		.amdhsa_user_sgpr_dispatch_id 0
		.amdhsa_user_sgpr_flat_scratch_init 0
		.amdhsa_user_sgpr_private_segment_size 0
		.amdhsa_uses_dynamic_stack 0
		.amdhsa_system_sgpr_private_segment_wavefront_offset 0
		.amdhsa_system_sgpr_workgroup_id_x 1
		.amdhsa_system_sgpr_workgroup_id_y 0
		.amdhsa_system_sgpr_workgroup_id_z 0
		.amdhsa_system_sgpr_workgroup_info 0
		.amdhsa_system_vgpr_workitem_id 0
		.amdhsa_next_free_vgpr 1
		.amdhsa_next_free_sgpr 0
		.amdhsa_reserve_vcc 0
		.amdhsa_reserve_flat_scratch 0
		.amdhsa_float_round_mode_32 0
		.amdhsa_float_round_mode_16_64 0
		.amdhsa_float_denorm_mode_32 3
		.amdhsa_float_denorm_mode_16_64 3
		.amdhsa_dx10_clamp 1
		.amdhsa_ieee_mode 1
		.amdhsa_fp16_overflow 0
		.amdhsa_exception_fp_ieee_invalid_op 0
		.amdhsa_exception_fp_denorm_src 0
		.amdhsa_exception_fp_ieee_div_zero 0
		.amdhsa_exception_fp_ieee_overflow 0
		.amdhsa_exception_fp_ieee_underflow 0
		.amdhsa_exception_fp_ieee_inexact 0
		.amdhsa_exception_int_div_zero 0
	.end_amdhsa_kernel
	.section	.text._ZN7rocprim17ROCPRIM_400000_NS6detail17trampoline_kernelINS0_14default_configENS1_25partition_config_selectorILNS1_17partition_subalgoE8EiNS0_10empty_typeEbEEZZNS1_14partition_implILS5_8ELb0ES3_jN6thrust23THRUST_200600_302600_NS10device_ptrIiEEPS6_PKS6_NS0_5tupleIJSC_S6_EEENSG_IJSD_SD_EEENS0_18inequality_wrapperINSA_8equal_toIiEEEEPmJS6_EEE10hipError_tPvRmT3_T4_T5_T6_T7_T9_mT8_P12ihipStream_tbDpT10_ENKUlT_T0_E_clISt17integral_constantIbLb1EES16_IbLb0EEEEDaS12_S13_EUlS12_E_NS1_11comp_targetILNS1_3genE3ELNS1_11target_archE908ELNS1_3gpuE7ELNS1_3repE0EEENS1_30default_config_static_selectorELNS0_4arch9wavefront6targetE1EEEvT1_,"axG",@progbits,_ZN7rocprim17ROCPRIM_400000_NS6detail17trampoline_kernelINS0_14default_configENS1_25partition_config_selectorILNS1_17partition_subalgoE8EiNS0_10empty_typeEbEEZZNS1_14partition_implILS5_8ELb0ES3_jN6thrust23THRUST_200600_302600_NS10device_ptrIiEEPS6_PKS6_NS0_5tupleIJSC_S6_EEENSG_IJSD_SD_EEENS0_18inequality_wrapperINSA_8equal_toIiEEEEPmJS6_EEE10hipError_tPvRmT3_T4_T5_T6_T7_T9_mT8_P12ihipStream_tbDpT10_ENKUlT_T0_E_clISt17integral_constantIbLb1EES16_IbLb0EEEEDaS12_S13_EUlS12_E_NS1_11comp_targetILNS1_3genE3ELNS1_11target_archE908ELNS1_3gpuE7ELNS1_3repE0EEENS1_30default_config_static_selectorELNS0_4arch9wavefront6targetE1EEEvT1_,comdat
.Lfunc_end1050:
	.size	_ZN7rocprim17ROCPRIM_400000_NS6detail17trampoline_kernelINS0_14default_configENS1_25partition_config_selectorILNS1_17partition_subalgoE8EiNS0_10empty_typeEbEEZZNS1_14partition_implILS5_8ELb0ES3_jN6thrust23THRUST_200600_302600_NS10device_ptrIiEEPS6_PKS6_NS0_5tupleIJSC_S6_EEENSG_IJSD_SD_EEENS0_18inequality_wrapperINSA_8equal_toIiEEEEPmJS6_EEE10hipError_tPvRmT3_T4_T5_T6_T7_T9_mT8_P12ihipStream_tbDpT10_ENKUlT_T0_E_clISt17integral_constantIbLb1EES16_IbLb0EEEEDaS12_S13_EUlS12_E_NS1_11comp_targetILNS1_3genE3ELNS1_11target_archE908ELNS1_3gpuE7ELNS1_3repE0EEENS1_30default_config_static_selectorELNS0_4arch9wavefront6targetE1EEEvT1_, .Lfunc_end1050-_ZN7rocprim17ROCPRIM_400000_NS6detail17trampoline_kernelINS0_14default_configENS1_25partition_config_selectorILNS1_17partition_subalgoE8EiNS0_10empty_typeEbEEZZNS1_14partition_implILS5_8ELb0ES3_jN6thrust23THRUST_200600_302600_NS10device_ptrIiEEPS6_PKS6_NS0_5tupleIJSC_S6_EEENSG_IJSD_SD_EEENS0_18inequality_wrapperINSA_8equal_toIiEEEEPmJS6_EEE10hipError_tPvRmT3_T4_T5_T6_T7_T9_mT8_P12ihipStream_tbDpT10_ENKUlT_T0_E_clISt17integral_constantIbLb1EES16_IbLb0EEEEDaS12_S13_EUlS12_E_NS1_11comp_targetILNS1_3genE3ELNS1_11target_archE908ELNS1_3gpuE7ELNS1_3repE0EEENS1_30default_config_static_selectorELNS0_4arch9wavefront6targetE1EEEvT1_
                                        ; -- End function
	.set _ZN7rocprim17ROCPRIM_400000_NS6detail17trampoline_kernelINS0_14default_configENS1_25partition_config_selectorILNS1_17partition_subalgoE8EiNS0_10empty_typeEbEEZZNS1_14partition_implILS5_8ELb0ES3_jN6thrust23THRUST_200600_302600_NS10device_ptrIiEEPS6_PKS6_NS0_5tupleIJSC_S6_EEENSG_IJSD_SD_EEENS0_18inequality_wrapperINSA_8equal_toIiEEEEPmJS6_EEE10hipError_tPvRmT3_T4_T5_T6_T7_T9_mT8_P12ihipStream_tbDpT10_ENKUlT_T0_E_clISt17integral_constantIbLb1EES16_IbLb0EEEEDaS12_S13_EUlS12_E_NS1_11comp_targetILNS1_3genE3ELNS1_11target_archE908ELNS1_3gpuE7ELNS1_3repE0EEENS1_30default_config_static_selectorELNS0_4arch9wavefront6targetE1EEEvT1_.num_vgpr, 0
	.set _ZN7rocprim17ROCPRIM_400000_NS6detail17trampoline_kernelINS0_14default_configENS1_25partition_config_selectorILNS1_17partition_subalgoE8EiNS0_10empty_typeEbEEZZNS1_14partition_implILS5_8ELb0ES3_jN6thrust23THRUST_200600_302600_NS10device_ptrIiEEPS6_PKS6_NS0_5tupleIJSC_S6_EEENSG_IJSD_SD_EEENS0_18inequality_wrapperINSA_8equal_toIiEEEEPmJS6_EEE10hipError_tPvRmT3_T4_T5_T6_T7_T9_mT8_P12ihipStream_tbDpT10_ENKUlT_T0_E_clISt17integral_constantIbLb1EES16_IbLb0EEEEDaS12_S13_EUlS12_E_NS1_11comp_targetILNS1_3genE3ELNS1_11target_archE908ELNS1_3gpuE7ELNS1_3repE0EEENS1_30default_config_static_selectorELNS0_4arch9wavefront6targetE1EEEvT1_.num_agpr, 0
	.set _ZN7rocprim17ROCPRIM_400000_NS6detail17trampoline_kernelINS0_14default_configENS1_25partition_config_selectorILNS1_17partition_subalgoE8EiNS0_10empty_typeEbEEZZNS1_14partition_implILS5_8ELb0ES3_jN6thrust23THRUST_200600_302600_NS10device_ptrIiEEPS6_PKS6_NS0_5tupleIJSC_S6_EEENSG_IJSD_SD_EEENS0_18inequality_wrapperINSA_8equal_toIiEEEEPmJS6_EEE10hipError_tPvRmT3_T4_T5_T6_T7_T9_mT8_P12ihipStream_tbDpT10_ENKUlT_T0_E_clISt17integral_constantIbLb1EES16_IbLb0EEEEDaS12_S13_EUlS12_E_NS1_11comp_targetILNS1_3genE3ELNS1_11target_archE908ELNS1_3gpuE7ELNS1_3repE0EEENS1_30default_config_static_selectorELNS0_4arch9wavefront6targetE1EEEvT1_.numbered_sgpr, 0
	.set _ZN7rocprim17ROCPRIM_400000_NS6detail17trampoline_kernelINS0_14default_configENS1_25partition_config_selectorILNS1_17partition_subalgoE8EiNS0_10empty_typeEbEEZZNS1_14partition_implILS5_8ELb0ES3_jN6thrust23THRUST_200600_302600_NS10device_ptrIiEEPS6_PKS6_NS0_5tupleIJSC_S6_EEENSG_IJSD_SD_EEENS0_18inequality_wrapperINSA_8equal_toIiEEEEPmJS6_EEE10hipError_tPvRmT3_T4_T5_T6_T7_T9_mT8_P12ihipStream_tbDpT10_ENKUlT_T0_E_clISt17integral_constantIbLb1EES16_IbLb0EEEEDaS12_S13_EUlS12_E_NS1_11comp_targetILNS1_3genE3ELNS1_11target_archE908ELNS1_3gpuE7ELNS1_3repE0EEENS1_30default_config_static_selectorELNS0_4arch9wavefront6targetE1EEEvT1_.num_named_barrier, 0
	.set _ZN7rocprim17ROCPRIM_400000_NS6detail17trampoline_kernelINS0_14default_configENS1_25partition_config_selectorILNS1_17partition_subalgoE8EiNS0_10empty_typeEbEEZZNS1_14partition_implILS5_8ELb0ES3_jN6thrust23THRUST_200600_302600_NS10device_ptrIiEEPS6_PKS6_NS0_5tupleIJSC_S6_EEENSG_IJSD_SD_EEENS0_18inequality_wrapperINSA_8equal_toIiEEEEPmJS6_EEE10hipError_tPvRmT3_T4_T5_T6_T7_T9_mT8_P12ihipStream_tbDpT10_ENKUlT_T0_E_clISt17integral_constantIbLb1EES16_IbLb0EEEEDaS12_S13_EUlS12_E_NS1_11comp_targetILNS1_3genE3ELNS1_11target_archE908ELNS1_3gpuE7ELNS1_3repE0EEENS1_30default_config_static_selectorELNS0_4arch9wavefront6targetE1EEEvT1_.private_seg_size, 0
	.set _ZN7rocprim17ROCPRIM_400000_NS6detail17trampoline_kernelINS0_14default_configENS1_25partition_config_selectorILNS1_17partition_subalgoE8EiNS0_10empty_typeEbEEZZNS1_14partition_implILS5_8ELb0ES3_jN6thrust23THRUST_200600_302600_NS10device_ptrIiEEPS6_PKS6_NS0_5tupleIJSC_S6_EEENSG_IJSD_SD_EEENS0_18inequality_wrapperINSA_8equal_toIiEEEEPmJS6_EEE10hipError_tPvRmT3_T4_T5_T6_T7_T9_mT8_P12ihipStream_tbDpT10_ENKUlT_T0_E_clISt17integral_constantIbLb1EES16_IbLb0EEEEDaS12_S13_EUlS12_E_NS1_11comp_targetILNS1_3genE3ELNS1_11target_archE908ELNS1_3gpuE7ELNS1_3repE0EEENS1_30default_config_static_selectorELNS0_4arch9wavefront6targetE1EEEvT1_.uses_vcc, 0
	.set _ZN7rocprim17ROCPRIM_400000_NS6detail17trampoline_kernelINS0_14default_configENS1_25partition_config_selectorILNS1_17partition_subalgoE8EiNS0_10empty_typeEbEEZZNS1_14partition_implILS5_8ELb0ES3_jN6thrust23THRUST_200600_302600_NS10device_ptrIiEEPS6_PKS6_NS0_5tupleIJSC_S6_EEENSG_IJSD_SD_EEENS0_18inequality_wrapperINSA_8equal_toIiEEEEPmJS6_EEE10hipError_tPvRmT3_T4_T5_T6_T7_T9_mT8_P12ihipStream_tbDpT10_ENKUlT_T0_E_clISt17integral_constantIbLb1EES16_IbLb0EEEEDaS12_S13_EUlS12_E_NS1_11comp_targetILNS1_3genE3ELNS1_11target_archE908ELNS1_3gpuE7ELNS1_3repE0EEENS1_30default_config_static_selectorELNS0_4arch9wavefront6targetE1EEEvT1_.uses_flat_scratch, 0
	.set _ZN7rocprim17ROCPRIM_400000_NS6detail17trampoline_kernelINS0_14default_configENS1_25partition_config_selectorILNS1_17partition_subalgoE8EiNS0_10empty_typeEbEEZZNS1_14partition_implILS5_8ELb0ES3_jN6thrust23THRUST_200600_302600_NS10device_ptrIiEEPS6_PKS6_NS0_5tupleIJSC_S6_EEENSG_IJSD_SD_EEENS0_18inequality_wrapperINSA_8equal_toIiEEEEPmJS6_EEE10hipError_tPvRmT3_T4_T5_T6_T7_T9_mT8_P12ihipStream_tbDpT10_ENKUlT_T0_E_clISt17integral_constantIbLb1EES16_IbLb0EEEEDaS12_S13_EUlS12_E_NS1_11comp_targetILNS1_3genE3ELNS1_11target_archE908ELNS1_3gpuE7ELNS1_3repE0EEENS1_30default_config_static_selectorELNS0_4arch9wavefront6targetE1EEEvT1_.has_dyn_sized_stack, 0
	.set _ZN7rocprim17ROCPRIM_400000_NS6detail17trampoline_kernelINS0_14default_configENS1_25partition_config_selectorILNS1_17partition_subalgoE8EiNS0_10empty_typeEbEEZZNS1_14partition_implILS5_8ELb0ES3_jN6thrust23THRUST_200600_302600_NS10device_ptrIiEEPS6_PKS6_NS0_5tupleIJSC_S6_EEENSG_IJSD_SD_EEENS0_18inequality_wrapperINSA_8equal_toIiEEEEPmJS6_EEE10hipError_tPvRmT3_T4_T5_T6_T7_T9_mT8_P12ihipStream_tbDpT10_ENKUlT_T0_E_clISt17integral_constantIbLb1EES16_IbLb0EEEEDaS12_S13_EUlS12_E_NS1_11comp_targetILNS1_3genE3ELNS1_11target_archE908ELNS1_3gpuE7ELNS1_3repE0EEENS1_30default_config_static_selectorELNS0_4arch9wavefront6targetE1EEEvT1_.has_recursion, 0
	.set _ZN7rocprim17ROCPRIM_400000_NS6detail17trampoline_kernelINS0_14default_configENS1_25partition_config_selectorILNS1_17partition_subalgoE8EiNS0_10empty_typeEbEEZZNS1_14partition_implILS5_8ELb0ES3_jN6thrust23THRUST_200600_302600_NS10device_ptrIiEEPS6_PKS6_NS0_5tupleIJSC_S6_EEENSG_IJSD_SD_EEENS0_18inequality_wrapperINSA_8equal_toIiEEEEPmJS6_EEE10hipError_tPvRmT3_T4_T5_T6_T7_T9_mT8_P12ihipStream_tbDpT10_ENKUlT_T0_E_clISt17integral_constantIbLb1EES16_IbLb0EEEEDaS12_S13_EUlS12_E_NS1_11comp_targetILNS1_3genE3ELNS1_11target_archE908ELNS1_3gpuE7ELNS1_3repE0EEENS1_30default_config_static_selectorELNS0_4arch9wavefront6targetE1EEEvT1_.has_indirect_call, 0
	.section	.AMDGPU.csdata,"",@progbits
; Kernel info:
; codeLenInByte = 0
; TotalNumSgprs: 4
; NumVgprs: 0
; ScratchSize: 0
; MemoryBound: 0
; FloatMode: 240
; IeeeMode: 1
; LDSByteSize: 0 bytes/workgroup (compile time only)
; SGPRBlocks: 0
; VGPRBlocks: 0
; NumSGPRsForWavesPerEU: 4
; NumVGPRsForWavesPerEU: 1
; Occupancy: 10
; WaveLimiterHint : 0
; COMPUTE_PGM_RSRC2:SCRATCH_EN: 0
; COMPUTE_PGM_RSRC2:USER_SGPR: 6
; COMPUTE_PGM_RSRC2:TRAP_HANDLER: 0
; COMPUTE_PGM_RSRC2:TGID_X_EN: 1
; COMPUTE_PGM_RSRC2:TGID_Y_EN: 0
; COMPUTE_PGM_RSRC2:TGID_Z_EN: 0
; COMPUTE_PGM_RSRC2:TIDIG_COMP_CNT: 0
	.section	.text._ZN7rocprim17ROCPRIM_400000_NS6detail17trampoline_kernelINS0_14default_configENS1_25partition_config_selectorILNS1_17partition_subalgoE8EiNS0_10empty_typeEbEEZZNS1_14partition_implILS5_8ELb0ES3_jN6thrust23THRUST_200600_302600_NS10device_ptrIiEEPS6_PKS6_NS0_5tupleIJSC_S6_EEENSG_IJSD_SD_EEENS0_18inequality_wrapperINSA_8equal_toIiEEEEPmJS6_EEE10hipError_tPvRmT3_T4_T5_T6_T7_T9_mT8_P12ihipStream_tbDpT10_ENKUlT_T0_E_clISt17integral_constantIbLb1EES16_IbLb0EEEEDaS12_S13_EUlS12_E_NS1_11comp_targetILNS1_3genE2ELNS1_11target_archE906ELNS1_3gpuE6ELNS1_3repE0EEENS1_30default_config_static_selectorELNS0_4arch9wavefront6targetE1EEEvT1_,"axG",@progbits,_ZN7rocprim17ROCPRIM_400000_NS6detail17trampoline_kernelINS0_14default_configENS1_25partition_config_selectorILNS1_17partition_subalgoE8EiNS0_10empty_typeEbEEZZNS1_14partition_implILS5_8ELb0ES3_jN6thrust23THRUST_200600_302600_NS10device_ptrIiEEPS6_PKS6_NS0_5tupleIJSC_S6_EEENSG_IJSD_SD_EEENS0_18inequality_wrapperINSA_8equal_toIiEEEEPmJS6_EEE10hipError_tPvRmT3_T4_T5_T6_T7_T9_mT8_P12ihipStream_tbDpT10_ENKUlT_T0_E_clISt17integral_constantIbLb1EES16_IbLb0EEEEDaS12_S13_EUlS12_E_NS1_11comp_targetILNS1_3genE2ELNS1_11target_archE906ELNS1_3gpuE6ELNS1_3repE0EEENS1_30default_config_static_selectorELNS0_4arch9wavefront6targetE1EEEvT1_,comdat
	.protected	_ZN7rocprim17ROCPRIM_400000_NS6detail17trampoline_kernelINS0_14default_configENS1_25partition_config_selectorILNS1_17partition_subalgoE8EiNS0_10empty_typeEbEEZZNS1_14partition_implILS5_8ELb0ES3_jN6thrust23THRUST_200600_302600_NS10device_ptrIiEEPS6_PKS6_NS0_5tupleIJSC_S6_EEENSG_IJSD_SD_EEENS0_18inequality_wrapperINSA_8equal_toIiEEEEPmJS6_EEE10hipError_tPvRmT3_T4_T5_T6_T7_T9_mT8_P12ihipStream_tbDpT10_ENKUlT_T0_E_clISt17integral_constantIbLb1EES16_IbLb0EEEEDaS12_S13_EUlS12_E_NS1_11comp_targetILNS1_3genE2ELNS1_11target_archE906ELNS1_3gpuE6ELNS1_3repE0EEENS1_30default_config_static_selectorELNS0_4arch9wavefront6targetE1EEEvT1_ ; -- Begin function _ZN7rocprim17ROCPRIM_400000_NS6detail17trampoline_kernelINS0_14default_configENS1_25partition_config_selectorILNS1_17partition_subalgoE8EiNS0_10empty_typeEbEEZZNS1_14partition_implILS5_8ELb0ES3_jN6thrust23THRUST_200600_302600_NS10device_ptrIiEEPS6_PKS6_NS0_5tupleIJSC_S6_EEENSG_IJSD_SD_EEENS0_18inequality_wrapperINSA_8equal_toIiEEEEPmJS6_EEE10hipError_tPvRmT3_T4_T5_T6_T7_T9_mT8_P12ihipStream_tbDpT10_ENKUlT_T0_E_clISt17integral_constantIbLb1EES16_IbLb0EEEEDaS12_S13_EUlS12_E_NS1_11comp_targetILNS1_3genE2ELNS1_11target_archE906ELNS1_3gpuE6ELNS1_3repE0EEENS1_30default_config_static_selectorELNS0_4arch9wavefront6targetE1EEEvT1_
	.globl	_ZN7rocprim17ROCPRIM_400000_NS6detail17trampoline_kernelINS0_14default_configENS1_25partition_config_selectorILNS1_17partition_subalgoE8EiNS0_10empty_typeEbEEZZNS1_14partition_implILS5_8ELb0ES3_jN6thrust23THRUST_200600_302600_NS10device_ptrIiEEPS6_PKS6_NS0_5tupleIJSC_S6_EEENSG_IJSD_SD_EEENS0_18inequality_wrapperINSA_8equal_toIiEEEEPmJS6_EEE10hipError_tPvRmT3_T4_T5_T6_T7_T9_mT8_P12ihipStream_tbDpT10_ENKUlT_T0_E_clISt17integral_constantIbLb1EES16_IbLb0EEEEDaS12_S13_EUlS12_E_NS1_11comp_targetILNS1_3genE2ELNS1_11target_archE906ELNS1_3gpuE6ELNS1_3repE0EEENS1_30default_config_static_selectorELNS0_4arch9wavefront6targetE1EEEvT1_
	.p2align	8
	.type	_ZN7rocprim17ROCPRIM_400000_NS6detail17trampoline_kernelINS0_14default_configENS1_25partition_config_selectorILNS1_17partition_subalgoE8EiNS0_10empty_typeEbEEZZNS1_14partition_implILS5_8ELb0ES3_jN6thrust23THRUST_200600_302600_NS10device_ptrIiEEPS6_PKS6_NS0_5tupleIJSC_S6_EEENSG_IJSD_SD_EEENS0_18inequality_wrapperINSA_8equal_toIiEEEEPmJS6_EEE10hipError_tPvRmT3_T4_T5_T6_T7_T9_mT8_P12ihipStream_tbDpT10_ENKUlT_T0_E_clISt17integral_constantIbLb1EES16_IbLb0EEEEDaS12_S13_EUlS12_E_NS1_11comp_targetILNS1_3genE2ELNS1_11target_archE906ELNS1_3gpuE6ELNS1_3repE0EEENS1_30default_config_static_selectorELNS0_4arch9wavefront6targetE1EEEvT1_,@function
_ZN7rocprim17ROCPRIM_400000_NS6detail17trampoline_kernelINS0_14default_configENS1_25partition_config_selectorILNS1_17partition_subalgoE8EiNS0_10empty_typeEbEEZZNS1_14partition_implILS5_8ELb0ES3_jN6thrust23THRUST_200600_302600_NS10device_ptrIiEEPS6_PKS6_NS0_5tupleIJSC_S6_EEENSG_IJSD_SD_EEENS0_18inequality_wrapperINSA_8equal_toIiEEEEPmJS6_EEE10hipError_tPvRmT3_T4_T5_T6_T7_T9_mT8_P12ihipStream_tbDpT10_ENKUlT_T0_E_clISt17integral_constantIbLb1EES16_IbLb0EEEEDaS12_S13_EUlS12_E_NS1_11comp_targetILNS1_3genE2ELNS1_11target_archE906ELNS1_3gpuE6ELNS1_3repE0EEENS1_30default_config_static_selectorELNS0_4arch9wavefront6targetE1EEEvT1_: ; @_ZN7rocprim17ROCPRIM_400000_NS6detail17trampoline_kernelINS0_14default_configENS1_25partition_config_selectorILNS1_17partition_subalgoE8EiNS0_10empty_typeEbEEZZNS1_14partition_implILS5_8ELb0ES3_jN6thrust23THRUST_200600_302600_NS10device_ptrIiEEPS6_PKS6_NS0_5tupleIJSC_S6_EEENSG_IJSD_SD_EEENS0_18inequality_wrapperINSA_8equal_toIiEEEEPmJS6_EEE10hipError_tPvRmT3_T4_T5_T6_T7_T9_mT8_P12ihipStream_tbDpT10_ENKUlT_T0_E_clISt17integral_constantIbLb1EES16_IbLb0EEEEDaS12_S13_EUlS12_E_NS1_11comp_targetILNS1_3genE2ELNS1_11target_archE906ELNS1_3gpuE6ELNS1_3repE0EEENS1_30default_config_static_selectorELNS0_4arch9wavefront6targetE1EEEvT1_
; %bb.0:
	s_endpgm
	.section	.rodata,"a",@progbits
	.p2align	6, 0x0
	.amdhsa_kernel _ZN7rocprim17ROCPRIM_400000_NS6detail17trampoline_kernelINS0_14default_configENS1_25partition_config_selectorILNS1_17partition_subalgoE8EiNS0_10empty_typeEbEEZZNS1_14partition_implILS5_8ELb0ES3_jN6thrust23THRUST_200600_302600_NS10device_ptrIiEEPS6_PKS6_NS0_5tupleIJSC_S6_EEENSG_IJSD_SD_EEENS0_18inequality_wrapperINSA_8equal_toIiEEEEPmJS6_EEE10hipError_tPvRmT3_T4_T5_T6_T7_T9_mT8_P12ihipStream_tbDpT10_ENKUlT_T0_E_clISt17integral_constantIbLb1EES16_IbLb0EEEEDaS12_S13_EUlS12_E_NS1_11comp_targetILNS1_3genE2ELNS1_11target_archE906ELNS1_3gpuE6ELNS1_3repE0EEENS1_30default_config_static_selectorELNS0_4arch9wavefront6targetE1EEEvT1_
		.amdhsa_group_segment_fixed_size 0
		.amdhsa_private_segment_fixed_size 0
		.amdhsa_kernarg_size 112
		.amdhsa_user_sgpr_count 6
		.amdhsa_user_sgpr_private_segment_buffer 1
		.amdhsa_user_sgpr_dispatch_ptr 0
		.amdhsa_user_sgpr_queue_ptr 0
		.amdhsa_user_sgpr_kernarg_segment_ptr 1
		.amdhsa_user_sgpr_dispatch_id 0
		.amdhsa_user_sgpr_flat_scratch_init 0
		.amdhsa_user_sgpr_private_segment_size 0
		.amdhsa_uses_dynamic_stack 0
		.amdhsa_system_sgpr_private_segment_wavefront_offset 0
		.amdhsa_system_sgpr_workgroup_id_x 1
		.amdhsa_system_sgpr_workgroup_id_y 0
		.amdhsa_system_sgpr_workgroup_id_z 0
		.amdhsa_system_sgpr_workgroup_info 0
		.amdhsa_system_vgpr_workitem_id 0
		.amdhsa_next_free_vgpr 1
		.amdhsa_next_free_sgpr 0
		.amdhsa_reserve_vcc 0
		.amdhsa_reserve_flat_scratch 0
		.amdhsa_float_round_mode_32 0
		.amdhsa_float_round_mode_16_64 0
		.amdhsa_float_denorm_mode_32 3
		.amdhsa_float_denorm_mode_16_64 3
		.amdhsa_dx10_clamp 1
		.amdhsa_ieee_mode 1
		.amdhsa_fp16_overflow 0
		.amdhsa_exception_fp_ieee_invalid_op 0
		.amdhsa_exception_fp_denorm_src 0
		.amdhsa_exception_fp_ieee_div_zero 0
		.amdhsa_exception_fp_ieee_overflow 0
		.amdhsa_exception_fp_ieee_underflow 0
		.amdhsa_exception_fp_ieee_inexact 0
		.amdhsa_exception_int_div_zero 0
	.end_amdhsa_kernel
	.section	.text._ZN7rocprim17ROCPRIM_400000_NS6detail17trampoline_kernelINS0_14default_configENS1_25partition_config_selectorILNS1_17partition_subalgoE8EiNS0_10empty_typeEbEEZZNS1_14partition_implILS5_8ELb0ES3_jN6thrust23THRUST_200600_302600_NS10device_ptrIiEEPS6_PKS6_NS0_5tupleIJSC_S6_EEENSG_IJSD_SD_EEENS0_18inequality_wrapperINSA_8equal_toIiEEEEPmJS6_EEE10hipError_tPvRmT3_T4_T5_T6_T7_T9_mT8_P12ihipStream_tbDpT10_ENKUlT_T0_E_clISt17integral_constantIbLb1EES16_IbLb0EEEEDaS12_S13_EUlS12_E_NS1_11comp_targetILNS1_3genE2ELNS1_11target_archE906ELNS1_3gpuE6ELNS1_3repE0EEENS1_30default_config_static_selectorELNS0_4arch9wavefront6targetE1EEEvT1_,"axG",@progbits,_ZN7rocprim17ROCPRIM_400000_NS6detail17trampoline_kernelINS0_14default_configENS1_25partition_config_selectorILNS1_17partition_subalgoE8EiNS0_10empty_typeEbEEZZNS1_14partition_implILS5_8ELb0ES3_jN6thrust23THRUST_200600_302600_NS10device_ptrIiEEPS6_PKS6_NS0_5tupleIJSC_S6_EEENSG_IJSD_SD_EEENS0_18inequality_wrapperINSA_8equal_toIiEEEEPmJS6_EEE10hipError_tPvRmT3_T4_T5_T6_T7_T9_mT8_P12ihipStream_tbDpT10_ENKUlT_T0_E_clISt17integral_constantIbLb1EES16_IbLb0EEEEDaS12_S13_EUlS12_E_NS1_11comp_targetILNS1_3genE2ELNS1_11target_archE906ELNS1_3gpuE6ELNS1_3repE0EEENS1_30default_config_static_selectorELNS0_4arch9wavefront6targetE1EEEvT1_,comdat
.Lfunc_end1051:
	.size	_ZN7rocprim17ROCPRIM_400000_NS6detail17trampoline_kernelINS0_14default_configENS1_25partition_config_selectorILNS1_17partition_subalgoE8EiNS0_10empty_typeEbEEZZNS1_14partition_implILS5_8ELb0ES3_jN6thrust23THRUST_200600_302600_NS10device_ptrIiEEPS6_PKS6_NS0_5tupleIJSC_S6_EEENSG_IJSD_SD_EEENS0_18inequality_wrapperINSA_8equal_toIiEEEEPmJS6_EEE10hipError_tPvRmT3_T4_T5_T6_T7_T9_mT8_P12ihipStream_tbDpT10_ENKUlT_T0_E_clISt17integral_constantIbLb1EES16_IbLb0EEEEDaS12_S13_EUlS12_E_NS1_11comp_targetILNS1_3genE2ELNS1_11target_archE906ELNS1_3gpuE6ELNS1_3repE0EEENS1_30default_config_static_selectorELNS0_4arch9wavefront6targetE1EEEvT1_, .Lfunc_end1051-_ZN7rocprim17ROCPRIM_400000_NS6detail17trampoline_kernelINS0_14default_configENS1_25partition_config_selectorILNS1_17partition_subalgoE8EiNS0_10empty_typeEbEEZZNS1_14partition_implILS5_8ELb0ES3_jN6thrust23THRUST_200600_302600_NS10device_ptrIiEEPS6_PKS6_NS0_5tupleIJSC_S6_EEENSG_IJSD_SD_EEENS0_18inequality_wrapperINSA_8equal_toIiEEEEPmJS6_EEE10hipError_tPvRmT3_T4_T5_T6_T7_T9_mT8_P12ihipStream_tbDpT10_ENKUlT_T0_E_clISt17integral_constantIbLb1EES16_IbLb0EEEEDaS12_S13_EUlS12_E_NS1_11comp_targetILNS1_3genE2ELNS1_11target_archE906ELNS1_3gpuE6ELNS1_3repE0EEENS1_30default_config_static_selectorELNS0_4arch9wavefront6targetE1EEEvT1_
                                        ; -- End function
	.set _ZN7rocprim17ROCPRIM_400000_NS6detail17trampoline_kernelINS0_14default_configENS1_25partition_config_selectorILNS1_17partition_subalgoE8EiNS0_10empty_typeEbEEZZNS1_14partition_implILS5_8ELb0ES3_jN6thrust23THRUST_200600_302600_NS10device_ptrIiEEPS6_PKS6_NS0_5tupleIJSC_S6_EEENSG_IJSD_SD_EEENS0_18inequality_wrapperINSA_8equal_toIiEEEEPmJS6_EEE10hipError_tPvRmT3_T4_T5_T6_T7_T9_mT8_P12ihipStream_tbDpT10_ENKUlT_T0_E_clISt17integral_constantIbLb1EES16_IbLb0EEEEDaS12_S13_EUlS12_E_NS1_11comp_targetILNS1_3genE2ELNS1_11target_archE906ELNS1_3gpuE6ELNS1_3repE0EEENS1_30default_config_static_selectorELNS0_4arch9wavefront6targetE1EEEvT1_.num_vgpr, 0
	.set _ZN7rocprim17ROCPRIM_400000_NS6detail17trampoline_kernelINS0_14default_configENS1_25partition_config_selectorILNS1_17partition_subalgoE8EiNS0_10empty_typeEbEEZZNS1_14partition_implILS5_8ELb0ES3_jN6thrust23THRUST_200600_302600_NS10device_ptrIiEEPS6_PKS6_NS0_5tupleIJSC_S6_EEENSG_IJSD_SD_EEENS0_18inequality_wrapperINSA_8equal_toIiEEEEPmJS6_EEE10hipError_tPvRmT3_T4_T5_T6_T7_T9_mT8_P12ihipStream_tbDpT10_ENKUlT_T0_E_clISt17integral_constantIbLb1EES16_IbLb0EEEEDaS12_S13_EUlS12_E_NS1_11comp_targetILNS1_3genE2ELNS1_11target_archE906ELNS1_3gpuE6ELNS1_3repE0EEENS1_30default_config_static_selectorELNS0_4arch9wavefront6targetE1EEEvT1_.num_agpr, 0
	.set _ZN7rocprim17ROCPRIM_400000_NS6detail17trampoline_kernelINS0_14default_configENS1_25partition_config_selectorILNS1_17partition_subalgoE8EiNS0_10empty_typeEbEEZZNS1_14partition_implILS5_8ELb0ES3_jN6thrust23THRUST_200600_302600_NS10device_ptrIiEEPS6_PKS6_NS0_5tupleIJSC_S6_EEENSG_IJSD_SD_EEENS0_18inequality_wrapperINSA_8equal_toIiEEEEPmJS6_EEE10hipError_tPvRmT3_T4_T5_T6_T7_T9_mT8_P12ihipStream_tbDpT10_ENKUlT_T0_E_clISt17integral_constantIbLb1EES16_IbLb0EEEEDaS12_S13_EUlS12_E_NS1_11comp_targetILNS1_3genE2ELNS1_11target_archE906ELNS1_3gpuE6ELNS1_3repE0EEENS1_30default_config_static_selectorELNS0_4arch9wavefront6targetE1EEEvT1_.numbered_sgpr, 0
	.set _ZN7rocprim17ROCPRIM_400000_NS6detail17trampoline_kernelINS0_14default_configENS1_25partition_config_selectorILNS1_17partition_subalgoE8EiNS0_10empty_typeEbEEZZNS1_14partition_implILS5_8ELb0ES3_jN6thrust23THRUST_200600_302600_NS10device_ptrIiEEPS6_PKS6_NS0_5tupleIJSC_S6_EEENSG_IJSD_SD_EEENS0_18inequality_wrapperINSA_8equal_toIiEEEEPmJS6_EEE10hipError_tPvRmT3_T4_T5_T6_T7_T9_mT8_P12ihipStream_tbDpT10_ENKUlT_T0_E_clISt17integral_constantIbLb1EES16_IbLb0EEEEDaS12_S13_EUlS12_E_NS1_11comp_targetILNS1_3genE2ELNS1_11target_archE906ELNS1_3gpuE6ELNS1_3repE0EEENS1_30default_config_static_selectorELNS0_4arch9wavefront6targetE1EEEvT1_.num_named_barrier, 0
	.set _ZN7rocprim17ROCPRIM_400000_NS6detail17trampoline_kernelINS0_14default_configENS1_25partition_config_selectorILNS1_17partition_subalgoE8EiNS0_10empty_typeEbEEZZNS1_14partition_implILS5_8ELb0ES3_jN6thrust23THRUST_200600_302600_NS10device_ptrIiEEPS6_PKS6_NS0_5tupleIJSC_S6_EEENSG_IJSD_SD_EEENS0_18inequality_wrapperINSA_8equal_toIiEEEEPmJS6_EEE10hipError_tPvRmT3_T4_T5_T6_T7_T9_mT8_P12ihipStream_tbDpT10_ENKUlT_T0_E_clISt17integral_constantIbLb1EES16_IbLb0EEEEDaS12_S13_EUlS12_E_NS1_11comp_targetILNS1_3genE2ELNS1_11target_archE906ELNS1_3gpuE6ELNS1_3repE0EEENS1_30default_config_static_selectorELNS0_4arch9wavefront6targetE1EEEvT1_.private_seg_size, 0
	.set _ZN7rocprim17ROCPRIM_400000_NS6detail17trampoline_kernelINS0_14default_configENS1_25partition_config_selectorILNS1_17partition_subalgoE8EiNS0_10empty_typeEbEEZZNS1_14partition_implILS5_8ELb0ES3_jN6thrust23THRUST_200600_302600_NS10device_ptrIiEEPS6_PKS6_NS0_5tupleIJSC_S6_EEENSG_IJSD_SD_EEENS0_18inequality_wrapperINSA_8equal_toIiEEEEPmJS6_EEE10hipError_tPvRmT3_T4_T5_T6_T7_T9_mT8_P12ihipStream_tbDpT10_ENKUlT_T0_E_clISt17integral_constantIbLb1EES16_IbLb0EEEEDaS12_S13_EUlS12_E_NS1_11comp_targetILNS1_3genE2ELNS1_11target_archE906ELNS1_3gpuE6ELNS1_3repE0EEENS1_30default_config_static_selectorELNS0_4arch9wavefront6targetE1EEEvT1_.uses_vcc, 0
	.set _ZN7rocprim17ROCPRIM_400000_NS6detail17trampoline_kernelINS0_14default_configENS1_25partition_config_selectorILNS1_17partition_subalgoE8EiNS0_10empty_typeEbEEZZNS1_14partition_implILS5_8ELb0ES3_jN6thrust23THRUST_200600_302600_NS10device_ptrIiEEPS6_PKS6_NS0_5tupleIJSC_S6_EEENSG_IJSD_SD_EEENS0_18inequality_wrapperINSA_8equal_toIiEEEEPmJS6_EEE10hipError_tPvRmT3_T4_T5_T6_T7_T9_mT8_P12ihipStream_tbDpT10_ENKUlT_T0_E_clISt17integral_constantIbLb1EES16_IbLb0EEEEDaS12_S13_EUlS12_E_NS1_11comp_targetILNS1_3genE2ELNS1_11target_archE906ELNS1_3gpuE6ELNS1_3repE0EEENS1_30default_config_static_selectorELNS0_4arch9wavefront6targetE1EEEvT1_.uses_flat_scratch, 0
	.set _ZN7rocprim17ROCPRIM_400000_NS6detail17trampoline_kernelINS0_14default_configENS1_25partition_config_selectorILNS1_17partition_subalgoE8EiNS0_10empty_typeEbEEZZNS1_14partition_implILS5_8ELb0ES3_jN6thrust23THRUST_200600_302600_NS10device_ptrIiEEPS6_PKS6_NS0_5tupleIJSC_S6_EEENSG_IJSD_SD_EEENS0_18inequality_wrapperINSA_8equal_toIiEEEEPmJS6_EEE10hipError_tPvRmT3_T4_T5_T6_T7_T9_mT8_P12ihipStream_tbDpT10_ENKUlT_T0_E_clISt17integral_constantIbLb1EES16_IbLb0EEEEDaS12_S13_EUlS12_E_NS1_11comp_targetILNS1_3genE2ELNS1_11target_archE906ELNS1_3gpuE6ELNS1_3repE0EEENS1_30default_config_static_selectorELNS0_4arch9wavefront6targetE1EEEvT1_.has_dyn_sized_stack, 0
	.set _ZN7rocprim17ROCPRIM_400000_NS6detail17trampoline_kernelINS0_14default_configENS1_25partition_config_selectorILNS1_17partition_subalgoE8EiNS0_10empty_typeEbEEZZNS1_14partition_implILS5_8ELb0ES3_jN6thrust23THRUST_200600_302600_NS10device_ptrIiEEPS6_PKS6_NS0_5tupleIJSC_S6_EEENSG_IJSD_SD_EEENS0_18inequality_wrapperINSA_8equal_toIiEEEEPmJS6_EEE10hipError_tPvRmT3_T4_T5_T6_T7_T9_mT8_P12ihipStream_tbDpT10_ENKUlT_T0_E_clISt17integral_constantIbLb1EES16_IbLb0EEEEDaS12_S13_EUlS12_E_NS1_11comp_targetILNS1_3genE2ELNS1_11target_archE906ELNS1_3gpuE6ELNS1_3repE0EEENS1_30default_config_static_selectorELNS0_4arch9wavefront6targetE1EEEvT1_.has_recursion, 0
	.set _ZN7rocprim17ROCPRIM_400000_NS6detail17trampoline_kernelINS0_14default_configENS1_25partition_config_selectorILNS1_17partition_subalgoE8EiNS0_10empty_typeEbEEZZNS1_14partition_implILS5_8ELb0ES3_jN6thrust23THRUST_200600_302600_NS10device_ptrIiEEPS6_PKS6_NS0_5tupleIJSC_S6_EEENSG_IJSD_SD_EEENS0_18inequality_wrapperINSA_8equal_toIiEEEEPmJS6_EEE10hipError_tPvRmT3_T4_T5_T6_T7_T9_mT8_P12ihipStream_tbDpT10_ENKUlT_T0_E_clISt17integral_constantIbLb1EES16_IbLb0EEEEDaS12_S13_EUlS12_E_NS1_11comp_targetILNS1_3genE2ELNS1_11target_archE906ELNS1_3gpuE6ELNS1_3repE0EEENS1_30default_config_static_selectorELNS0_4arch9wavefront6targetE1EEEvT1_.has_indirect_call, 0
	.section	.AMDGPU.csdata,"",@progbits
; Kernel info:
; codeLenInByte = 4
; TotalNumSgprs: 4
; NumVgprs: 0
; ScratchSize: 0
; MemoryBound: 0
; FloatMode: 240
; IeeeMode: 1
; LDSByteSize: 0 bytes/workgroup (compile time only)
; SGPRBlocks: 0
; VGPRBlocks: 0
; NumSGPRsForWavesPerEU: 4
; NumVGPRsForWavesPerEU: 1
; Occupancy: 10
; WaveLimiterHint : 0
; COMPUTE_PGM_RSRC2:SCRATCH_EN: 0
; COMPUTE_PGM_RSRC2:USER_SGPR: 6
; COMPUTE_PGM_RSRC2:TRAP_HANDLER: 0
; COMPUTE_PGM_RSRC2:TGID_X_EN: 1
; COMPUTE_PGM_RSRC2:TGID_Y_EN: 0
; COMPUTE_PGM_RSRC2:TGID_Z_EN: 0
; COMPUTE_PGM_RSRC2:TIDIG_COMP_CNT: 0
	.section	.text._ZN7rocprim17ROCPRIM_400000_NS6detail17trampoline_kernelINS0_14default_configENS1_25partition_config_selectorILNS1_17partition_subalgoE8EiNS0_10empty_typeEbEEZZNS1_14partition_implILS5_8ELb0ES3_jN6thrust23THRUST_200600_302600_NS10device_ptrIiEEPS6_PKS6_NS0_5tupleIJSC_S6_EEENSG_IJSD_SD_EEENS0_18inequality_wrapperINSA_8equal_toIiEEEEPmJS6_EEE10hipError_tPvRmT3_T4_T5_T6_T7_T9_mT8_P12ihipStream_tbDpT10_ENKUlT_T0_E_clISt17integral_constantIbLb1EES16_IbLb0EEEEDaS12_S13_EUlS12_E_NS1_11comp_targetILNS1_3genE10ELNS1_11target_archE1200ELNS1_3gpuE4ELNS1_3repE0EEENS1_30default_config_static_selectorELNS0_4arch9wavefront6targetE1EEEvT1_,"axG",@progbits,_ZN7rocprim17ROCPRIM_400000_NS6detail17trampoline_kernelINS0_14default_configENS1_25partition_config_selectorILNS1_17partition_subalgoE8EiNS0_10empty_typeEbEEZZNS1_14partition_implILS5_8ELb0ES3_jN6thrust23THRUST_200600_302600_NS10device_ptrIiEEPS6_PKS6_NS0_5tupleIJSC_S6_EEENSG_IJSD_SD_EEENS0_18inequality_wrapperINSA_8equal_toIiEEEEPmJS6_EEE10hipError_tPvRmT3_T4_T5_T6_T7_T9_mT8_P12ihipStream_tbDpT10_ENKUlT_T0_E_clISt17integral_constantIbLb1EES16_IbLb0EEEEDaS12_S13_EUlS12_E_NS1_11comp_targetILNS1_3genE10ELNS1_11target_archE1200ELNS1_3gpuE4ELNS1_3repE0EEENS1_30default_config_static_selectorELNS0_4arch9wavefront6targetE1EEEvT1_,comdat
	.protected	_ZN7rocprim17ROCPRIM_400000_NS6detail17trampoline_kernelINS0_14default_configENS1_25partition_config_selectorILNS1_17partition_subalgoE8EiNS0_10empty_typeEbEEZZNS1_14partition_implILS5_8ELb0ES3_jN6thrust23THRUST_200600_302600_NS10device_ptrIiEEPS6_PKS6_NS0_5tupleIJSC_S6_EEENSG_IJSD_SD_EEENS0_18inequality_wrapperINSA_8equal_toIiEEEEPmJS6_EEE10hipError_tPvRmT3_T4_T5_T6_T7_T9_mT8_P12ihipStream_tbDpT10_ENKUlT_T0_E_clISt17integral_constantIbLb1EES16_IbLb0EEEEDaS12_S13_EUlS12_E_NS1_11comp_targetILNS1_3genE10ELNS1_11target_archE1200ELNS1_3gpuE4ELNS1_3repE0EEENS1_30default_config_static_selectorELNS0_4arch9wavefront6targetE1EEEvT1_ ; -- Begin function _ZN7rocprim17ROCPRIM_400000_NS6detail17trampoline_kernelINS0_14default_configENS1_25partition_config_selectorILNS1_17partition_subalgoE8EiNS0_10empty_typeEbEEZZNS1_14partition_implILS5_8ELb0ES3_jN6thrust23THRUST_200600_302600_NS10device_ptrIiEEPS6_PKS6_NS0_5tupleIJSC_S6_EEENSG_IJSD_SD_EEENS0_18inequality_wrapperINSA_8equal_toIiEEEEPmJS6_EEE10hipError_tPvRmT3_T4_T5_T6_T7_T9_mT8_P12ihipStream_tbDpT10_ENKUlT_T0_E_clISt17integral_constantIbLb1EES16_IbLb0EEEEDaS12_S13_EUlS12_E_NS1_11comp_targetILNS1_3genE10ELNS1_11target_archE1200ELNS1_3gpuE4ELNS1_3repE0EEENS1_30default_config_static_selectorELNS0_4arch9wavefront6targetE1EEEvT1_
	.globl	_ZN7rocprim17ROCPRIM_400000_NS6detail17trampoline_kernelINS0_14default_configENS1_25partition_config_selectorILNS1_17partition_subalgoE8EiNS0_10empty_typeEbEEZZNS1_14partition_implILS5_8ELb0ES3_jN6thrust23THRUST_200600_302600_NS10device_ptrIiEEPS6_PKS6_NS0_5tupleIJSC_S6_EEENSG_IJSD_SD_EEENS0_18inequality_wrapperINSA_8equal_toIiEEEEPmJS6_EEE10hipError_tPvRmT3_T4_T5_T6_T7_T9_mT8_P12ihipStream_tbDpT10_ENKUlT_T0_E_clISt17integral_constantIbLb1EES16_IbLb0EEEEDaS12_S13_EUlS12_E_NS1_11comp_targetILNS1_3genE10ELNS1_11target_archE1200ELNS1_3gpuE4ELNS1_3repE0EEENS1_30default_config_static_selectorELNS0_4arch9wavefront6targetE1EEEvT1_
	.p2align	8
	.type	_ZN7rocprim17ROCPRIM_400000_NS6detail17trampoline_kernelINS0_14default_configENS1_25partition_config_selectorILNS1_17partition_subalgoE8EiNS0_10empty_typeEbEEZZNS1_14partition_implILS5_8ELb0ES3_jN6thrust23THRUST_200600_302600_NS10device_ptrIiEEPS6_PKS6_NS0_5tupleIJSC_S6_EEENSG_IJSD_SD_EEENS0_18inequality_wrapperINSA_8equal_toIiEEEEPmJS6_EEE10hipError_tPvRmT3_T4_T5_T6_T7_T9_mT8_P12ihipStream_tbDpT10_ENKUlT_T0_E_clISt17integral_constantIbLb1EES16_IbLb0EEEEDaS12_S13_EUlS12_E_NS1_11comp_targetILNS1_3genE10ELNS1_11target_archE1200ELNS1_3gpuE4ELNS1_3repE0EEENS1_30default_config_static_selectorELNS0_4arch9wavefront6targetE1EEEvT1_,@function
_ZN7rocprim17ROCPRIM_400000_NS6detail17trampoline_kernelINS0_14default_configENS1_25partition_config_selectorILNS1_17partition_subalgoE8EiNS0_10empty_typeEbEEZZNS1_14partition_implILS5_8ELb0ES3_jN6thrust23THRUST_200600_302600_NS10device_ptrIiEEPS6_PKS6_NS0_5tupleIJSC_S6_EEENSG_IJSD_SD_EEENS0_18inequality_wrapperINSA_8equal_toIiEEEEPmJS6_EEE10hipError_tPvRmT3_T4_T5_T6_T7_T9_mT8_P12ihipStream_tbDpT10_ENKUlT_T0_E_clISt17integral_constantIbLb1EES16_IbLb0EEEEDaS12_S13_EUlS12_E_NS1_11comp_targetILNS1_3genE10ELNS1_11target_archE1200ELNS1_3gpuE4ELNS1_3repE0EEENS1_30default_config_static_selectorELNS0_4arch9wavefront6targetE1EEEvT1_: ; @_ZN7rocprim17ROCPRIM_400000_NS6detail17trampoline_kernelINS0_14default_configENS1_25partition_config_selectorILNS1_17partition_subalgoE8EiNS0_10empty_typeEbEEZZNS1_14partition_implILS5_8ELb0ES3_jN6thrust23THRUST_200600_302600_NS10device_ptrIiEEPS6_PKS6_NS0_5tupleIJSC_S6_EEENSG_IJSD_SD_EEENS0_18inequality_wrapperINSA_8equal_toIiEEEEPmJS6_EEE10hipError_tPvRmT3_T4_T5_T6_T7_T9_mT8_P12ihipStream_tbDpT10_ENKUlT_T0_E_clISt17integral_constantIbLb1EES16_IbLb0EEEEDaS12_S13_EUlS12_E_NS1_11comp_targetILNS1_3genE10ELNS1_11target_archE1200ELNS1_3gpuE4ELNS1_3repE0EEENS1_30default_config_static_selectorELNS0_4arch9wavefront6targetE1EEEvT1_
; %bb.0:
	.section	.rodata,"a",@progbits
	.p2align	6, 0x0
	.amdhsa_kernel _ZN7rocprim17ROCPRIM_400000_NS6detail17trampoline_kernelINS0_14default_configENS1_25partition_config_selectorILNS1_17partition_subalgoE8EiNS0_10empty_typeEbEEZZNS1_14partition_implILS5_8ELb0ES3_jN6thrust23THRUST_200600_302600_NS10device_ptrIiEEPS6_PKS6_NS0_5tupleIJSC_S6_EEENSG_IJSD_SD_EEENS0_18inequality_wrapperINSA_8equal_toIiEEEEPmJS6_EEE10hipError_tPvRmT3_T4_T5_T6_T7_T9_mT8_P12ihipStream_tbDpT10_ENKUlT_T0_E_clISt17integral_constantIbLb1EES16_IbLb0EEEEDaS12_S13_EUlS12_E_NS1_11comp_targetILNS1_3genE10ELNS1_11target_archE1200ELNS1_3gpuE4ELNS1_3repE0EEENS1_30default_config_static_selectorELNS0_4arch9wavefront6targetE1EEEvT1_
		.amdhsa_group_segment_fixed_size 0
		.amdhsa_private_segment_fixed_size 0
		.amdhsa_kernarg_size 112
		.amdhsa_user_sgpr_count 6
		.amdhsa_user_sgpr_private_segment_buffer 1
		.amdhsa_user_sgpr_dispatch_ptr 0
		.amdhsa_user_sgpr_queue_ptr 0
		.amdhsa_user_sgpr_kernarg_segment_ptr 1
		.amdhsa_user_sgpr_dispatch_id 0
		.amdhsa_user_sgpr_flat_scratch_init 0
		.amdhsa_user_sgpr_private_segment_size 0
		.amdhsa_uses_dynamic_stack 0
		.amdhsa_system_sgpr_private_segment_wavefront_offset 0
		.amdhsa_system_sgpr_workgroup_id_x 1
		.amdhsa_system_sgpr_workgroup_id_y 0
		.amdhsa_system_sgpr_workgroup_id_z 0
		.amdhsa_system_sgpr_workgroup_info 0
		.amdhsa_system_vgpr_workitem_id 0
		.amdhsa_next_free_vgpr 1
		.amdhsa_next_free_sgpr 0
		.amdhsa_reserve_vcc 0
		.amdhsa_reserve_flat_scratch 0
		.amdhsa_float_round_mode_32 0
		.amdhsa_float_round_mode_16_64 0
		.amdhsa_float_denorm_mode_32 3
		.amdhsa_float_denorm_mode_16_64 3
		.amdhsa_dx10_clamp 1
		.amdhsa_ieee_mode 1
		.amdhsa_fp16_overflow 0
		.amdhsa_exception_fp_ieee_invalid_op 0
		.amdhsa_exception_fp_denorm_src 0
		.amdhsa_exception_fp_ieee_div_zero 0
		.amdhsa_exception_fp_ieee_overflow 0
		.amdhsa_exception_fp_ieee_underflow 0
		.amdhsa_exception_fp_ieee_inexact 0
		.amdhsa_exception_int_div_zero 0
	.end_amdhsa_kernel
	.section	.text._ZN7rocprim17ROCPRIM_400000_NS6detail17trampoline_kernelINS0_14default_configENS1_25partition_config_selectorILNS1_17partition_subalgoE8EiNS0_10empty_typeEbEEZZNS1_14partition_implILS5_8ELb0ES3_jN6thrust23THRUST_200600_302600_NS10device_ptrIiEEPS6_PKS6_NS0_5tupleIJSC_S6_EEENSG_IJSD_SD_EEENS0_18inequality_wrapperINSA_8equal_toIiEEEEPmJS6_EEE10hipError_tPvRmT3_T4_T5_T6_T7_T9_mT8_P12ihipStream_tbDpT10_ENKUlT_T0_E_clISt17integral_constantIbLb1EES16_IbLb0EEEEDaS12_S13_EUlS12_E_NS1_11comp_targetILNS1_3genE10ELNS1_11target_archE1200ELNS1_3gpuE4ELNS1_3repE0EEENS1_30default_config_static_selectorELNS0_4arch9wavefront6targetE1EEEvT1_,"axG",@progbits,_ZN7rocprim17ROCPRIM_400000_NS6detail17trampoline_kernelINS0_14default_configENS1_25partition_config_selectorILNS1_17partition_subalgoE8EiNS0_10empty_typeEbEEZZNS1_14partition_implILS5_8ELb0ES3_jN6thrust23THRUST_200600_302600_NS10device_ptrIiEEPS6_PKS6_NS0_5tupleIJSC_S6_EEENSG_IJSD_SD_EEENS0_18inequality_wrapperINSA_8equal_toIiEEEEPmJS6_EEE10hipError_tPvRmT3_T4_T5_T6_T7_T9_mT8_P12ihipStream_tbDpT10_ENKUlT_T0_E_clISt17integral_constantIbLb1EES16_IbLb0EEEEDaS12_S13_EUlS12_E_NS1_11comp_targetILNS1_3genE10ELNS1_11target_archE1200ELNS1_3gpuE4ELNS1_3repE0EEENS1_30default_config_static_selectorELNS0_4arch9wavefront6targetE1EEEvT1_,comdat
.Lfunc_end1052:
	.size	_ZN7rocprim17ROCPRIM_400000_NS6detail17trampoline_kernelINS0_14default_configENS1_25partition_config_selectorILNS1_17partition_subalgoE8EiNS0_10empty_typeEbEEZZNS1_14partition_implILS5_8ELb0ES3_jN6thrust23THRUST_200600_302600_NS10device_ptrIiEEPS6_PKS6_NS0_5tupleIJSC_S6_EEENSG_IJSD_SD_EEENS0_18inequality_wrapperINSA_8equal_toIiEEEEPmJS6_EEE10hipError_tPvRmT3_T4_T5_T6_T7_T9_mT8_P12ihipStream_tbDpT10_ENKUlT_T0_E_clISt17integral_constantIbLb1EES16_IbLb0EEEEDaS12_S13_EUlS12_E_NS1_11comp_targetILNS1_3genE10ELNS1_11target_archE1200ELNS1_3gpuE4ELNS1_3repE0EEENS1_30default_config_static_selectorELNS0_4arch9wavefront6targetE1EEEvT1_, .Lfunc_end1052-_ZN7rocprim17ROCPRIM_400000_NS6detail17trampoline_kernelINS0_14default_configENS1_25partition_config_selectorILNS1_17partition_subalgoE8EiNS0_10empty_typeEbEEZZNS1_14partition_implILS5_8ELb0ES3_jN6thrust23THRUST_200600_302600_NS10device_ptrIiEEPS6_PKS6_NS0_5tupleIJSC_S6_EEENSG_IJSD_SD_EEENS0_18inequality_wrapperINSA_8equal_toIiEEEEPmJS6_EEE10hipError_tPvRmT3_T4_T5_T6_T7_T9_mT8_P12ihipStream_tbDpT10_ENKUlT_T0_E_clISt17integral_constantIbLb1EES16_IbLb0EEEEDaS12_S13_EUlS12_E_NS1_11comp_targetILNS1_3genE10ELNS1_11target_archE1200ELNS1_3gpuE4ELNS1_3repE0EEENS1_30default_config_static_selectorELNS0_4arch9wavefront6targetE1EEEvT1_
                                        ; -- End function
	.set _ZN7rocprim17ROCPRIM_400000_NS6detail17trampoline_kernelINS0_14default_configENS1_25partition_config_selectorILNS1_17partition_subalgoE8EiNS0_10empty_typeEbEEZZNS1_14partition_implILS5_8ELb0ES3_jN6thrust23THRUST_200600_302600_NS10device_ptrIiEEPS6_PKS6_NS0_5tupleIJSC_S6_EEENSG_IJSD_SD_EEENS0_18inequality_wrapperINSA_8equal_toIiEEEEPmJS6_EEE10hipError_tPvRmT3_T4_T5_T6_T7_T9_mT8_P12ihipStream_tbDpT10_ENKUlT_T0_E_clISt17integral_constantIbLb1EES16_IbLb0EEEEDaS12_S13_EUlS12_E_NS1_11comp_targetILNS1_3genE10ELNS1_11target_archE1200ELNS1_3gpuE4ELNS1_3repE0EEENS1_30default_config_static_selectorELNS0_4arch9wavefront6targetE1EEEvT1_.num_vgpr, 0
	.set _ZN7rocprim17ROCPRIM_400000_NS6detail17trampoline_kernelINS0_14default_configENS1_25partition_config_selectorILNS1_17partition_subalgoE8EiNS0_10empty_typeEbEEZZNS1_14partition_implILS5_8ELb0ES3_jN6thrust23THRUST_200600_302600_NS10device_ptrIiEEPS6_PKS6_NS0_5tupleIJSC_S6_EEENSG_IJSD_SD_EEENS0_18inequality_wrapperINSA_8equal_toIiEEEEPmJS6_EEE10hipError_tPvRmT3_T4_T5_T6_T7_T9_mT8_P12ihipStream_tbDpT10_ENKUlT_T0_E_clISt17integral_constantIbLb1EES16_IbLb0EEEEDaS12_S13_EUlS12_E_NS1_11comp_targetILNS1_3genE10ELNS1_11target_archE1200ELNS1_3gpuE4ELNS1_3repE0EEENS1_30default_config_static_selectorELNS0_4arch9wavefront6targetE1EEEvT1_.num_agpr, 0
	.set _ZN7rocprim17ROCPRIM_400000_NS6detail17trampoline_kernelINS0_14default_configENS1_25partition_config_selectorILNS1_17partition_subalgoE8EiNS0_10empty_typeEbEEZZNS1_14partition_implILS5_8ELb0ES3_jN6thrust23THRUST_200600_302600_NS10device_ptrIiEEPS6_PKS6_NS0_5tupleIJSC_S6_EEENSG_IJSD_SD_EEENS0_18inequality_wrapperINSA_8equal_toIiEEEEPmJS6_EEE10hipError_tPvRmT3_T4_T5_T6_T7_T9_mT8_P12ihipStream_tbDpT10_ENKUlT_T0_E_clISt17integral_constantIbLb1EES16_IbLb0EEEEDaS12_S13_EUlS12_E_NS1_11comp_targetILNS1_3genE10ELNS1_11target_archE1200ELNS1_3gpuE4ELNS1_3repE0EEENS1_30default_config_static_selectorELNS0_4arch9wavefront6targetE1EEEvT1_.numbered_sgpr, 0
	.set _ZN7rocprim17ROCPRIM_400000_NS6detail17trampoline_kernelINS0_14default_configENS1_25partition_config_selectorILNS1_17partition_subalgoE8EiNS0_10empty_typeEbEEZZNS1_14partition_implILS5_8ELb0ES3_jN6thrust23THRUST_200600_302600_NS10device_ptrIiEEPS6_PKS6_NS0_5tupleIJSC_S6_EEENSG_IJSD_SD_EEENS0_18inequality_wrapperINSA_8equal_toIiEEEEPmJS6_EEE10hipError_tPvRmT3_T4_T5_T6_T7_T9_mT8_P12ihipStream_tbDpT10_ENKUlT_T0_E_clISt17integral_constantIbLb1EES16_IbLb0EEEEDaS12_S13_EUlS12_E_NS1_11comp_targetILNS1_3genE10ELNS1_11target_archE1200ELNS1_3gpuE4ELNS1_3repE0EEENS1_30default_config_static_selectorELNS0_4arch9wavefront6targetE1EEEvT1_.num_named_barrier, 0
	.set _ZN7rocprim17ROCPRIM_400000_NS6detail17trampoline_kernelINS0_14default_configENS1_25partition_config_selectorILNS1_17partition_subalgoE8EiNS0_10empty_typeEbEEZZNS1_14partition_implILS5_8ELb0ES3_jN6thrust23THRUST_200600_302600_NS10device_ptrIiEEPS6_PKS6_NS0_5tupleIJSC_S6_EEENSG_IJSD_SD_EEENS0_18inequality_wrapperINSA_8equal_toIiEEEEPmJS6_EEE10hipError_tPvRmT3_T4_T5_T6_T7_T9_mT8_P12ihipStream_tbDpT10_ENKUlT_T0_E_clISt17integral_constantIbLb1EES16_IbLb0EEEEDaS12_S13_EUlS12_E_NS1_11comp_targetILNS1_3genE10ELNS1_11target_archE1200ELNS1_3gpuE4ELNS1_3repE0EEENS1_30default_config_static_selectorELNS0_4arch9wavefront6targetE1EEEvT1_.private_seg_size, 0
	.set _ZN7rocprim17ROCPRIM_400000_NS6detail17trampoline_kernelINS0_14default_configENS1_25partition_config_selectorILNS1_17partition_subalgoE8EiNS0_10empty_typeEbEEZZNS1_14partition_implILS5_8ELb0ES3_jN6thrust23THRUST_200600_302600_NS10device_ptrIiEEPS6_PKS6_NS0_5tupleIJSC_S6_EEENSG_IJSD_SD_EEENS0_18inequality_wrapperINSA_8equal_toIiEEEEPmJS6_EEE10hipError_tPvRmT3_T4_T5_T6_T7_T9_mT8_P12ihipStream_tbDpT10_ENKUlT_T0_E_clISt17integral_constantIbLb1EES16_IbLb0EEEEDaS12_S13_EUlS12_E_NS1_11comp_targetILNS1_3genE10ELNS1_11target_archE1200ELNS1_3gpuE4ELNS1_3repE0EEENS1_30default_config_static_selectorELNS0_4arch9wavefront6targetE1EEEvT1_.uses_vcc, 0
	.set _ZN7rocprim17ROCPRIM_400000_NS6detail17trampoline_kernelINS0_14default_configENS1_25partition_config_selectorILNS1_17partition_subalgoE8EiNS0_10empty_typeEbEEZZNS1_14partition_implILS5_8ELb0ES3_jN6thrust23THRUST_200600_302600_NS10device_ptrIiEEPS6_PKS6_NS0_5tupleIJSC_S6_EEENSG_IJSD_SD_EEENS0_18inequality_wrapperINSA_8equal_toIiEEEEPmJS6_EEE10hipError_tPvRmT3_T4_T5_T6_T7_T9_mT8_P12ihipStream_tbDpT10_ENKUlT_T0_E_clISt17integral_constantIbLb1EES16_IbLb0EEEEDaS12_S13_EUlS12_E_NS1_11comp_targetILNS1_3genE10ELNS1_11target_archE1200ELNS1_3gpuE4ELNS1_3repE0EEENS1_30default_config_static_selectorELNS0_4arch9wavefront6targetE1EEEvT1_.uses_flat_scratch, 0
	.set _ZN7rocprim17ROCPRIM_400000_NS6detail17trampoline_kernelINS0_14default_configENS1_25partition_config_selectorILNS1_17partition_subalgoE8EiNS0_10empty_typeEbEEZZNS1_14partition_implILS5_8ELb0ES3_jN6thrust23THRUST_200600_302600_NS10device_ptrIiEEPS6_PKS6_NS0_5tupleIJSC_S6_EEENSG_IJSD_SD_EEENS0_18inequality_wrapperINSA_8equal_toIiEEEEPmJS6_EEE10hipError_tPvRmT3_T4_T5_T6_T7_T9_mT8_P12ihipStream_tbDpT10_ENKUlT_T0_E_clISt17integral_constantIbLb1EES16_IbLb0EEEEDaS12_S13_EUlS12_E_NS1_11comp_targetILNS1_3genE10ELNS1_11target_archE1200ELNS1_3gpuE4ELNS1_3repE0EEENS1_30default_config_static_selectorELNS0_4arch9wavefront6targetE1EEEvT1_.has_dyn_sized_stack, 0
	.set _ZN7rocprim17ROCPRIM_400000_NS6detail17trampoline_kernelINS0_14default_configENS1_25partition_config_selectorILNS1_17partition_subalgoE8EiNS0_10empty_typeEbEEZZNS1_14partition_implILS5_8ELb0ES3_jN6thrust23THRUST_200600_302600_NS10device_ptrIiEEPS6_PKS6_NS0_5tupleIJSC_S6_EEENSG_IJSD_SD_EEENS0_18inequality_wrapperINSA_8equal_toIiEEEEPmJS6_EEE10hipError_tPvRmT3_T4_T5_T6_T7_T9_mT8_P12ihipStream_tbDpT10_ENKUlT_T0_E_clISt17integral_constantIbLb1EES16_IbLb0EEEEDaS12_S13_EUlS12_E_NS1_11comp_targetILNS1_3genE10ELNS1_11target_archE1200ELNS1_3gpuE4ELNS1_3repE0EEENS1_30default_config_static_selectorELNS0_4arch9wavefront6targetE1EEEvT1_.has_recursion, 0
	.set _ZN7rocprim17ROCPRIM_400000_NS6detail17trampoline_kernelINS0_14default_configENS1_25partition_config_selectorILNS1_17partition_subalgoE8EiNS0_10empty_typeEbEEZZNS1_14partition_implILS5_8ELb0ES3_jN6thrust23THRUST_200600_302600_NS10device_ptrIiEEPS6_PKS6_NS0_5tupleIJSC_S6_EEENSG_IJSD_SD_EEENS0_18inequality_wrapperINSA_8equal_toIiEEEEPmJS6_EEE10hipError_tPvRmT3_T4_T5_T6_T7_T9_mT8_P12ihipStream_tbDpT10_ENKUlT_T0_E_clISt17integral_constantIbLb1EES16_IbLb0EEEEDaS12_S13_EUlS12_E_NS1_11comp_targetILNS1_3genE10ELNS1_11target_archE1200ELNS1_3gpuE4ELNS1_3repE0EEENS1_30default_config_static_selectorELNS0_4arch9wavefront6targetE1EEEvT1_.has_indirect_call, 0
	.section	.AMDGPU.csdata,"",@progbits
; Kernel info:
; codeLenInByte = 0
; TotalNumSgprs: 4
; NumVgprs: 0
; ScratchSize: 0
; MemoryBound: 0
; FloatMode: 240
; IeeeMode: 1
; LDSByteSize: 0 bytes/workgroup (compile time only)
; SGPRBlocks: 0
; VGPRBlocks: 0
; NumSGPRsForWavesPerEU: 4
; NumVGPRsForWavesPerEU: 1
; Occupancy: 10
; WaveLimiterHint : 0
; COMPUTE_PGM_RSRC2:SCRATCH_EN: 0
; COMPUTE_PGM_RSRC2:USER_SGPR: 6
; COMPUTE_PGM_RSRC2:TRAP_HANDLER: 0
; COMPUTE_PGM_RSRC2:TGID_X_EN: 1
; COMPUTE_PGM_RSRC2:TGID_Y_EN: 0
; COMPUTE_PGM_RSRC2:TGID_Z_EN: 0
; COMPUTE_PGM_RSRC2:TIDIG_COMP_CNT: 0
	.section	.text._ZN7rocprim17ROCPRIM_400000_NS6detail17trampoline_kernelINS0_14default_configENS1_25partition_config_selectorILNS1_17partition_subalgoE8EiNS0_10empty_typeEbEEZZNS1_14partition_implILS5_8ELb0ES3_jN6thrust23THRUST_200600_302600_NS10device_ptrIiEEPS6_PKS6_NS0_5tupleIJSC_S6_EEENSG_IJSD_SD_EEENS0_18inequality_wrapperINSA_8equal_toIiEEEEPmJS6_EEE10hipError_tPvRmT3_T4_T5_T6_T7_T9_mT8_P12ihipStream_tbDpT10_ENKUlT_T0_E_clISt17integral_constantIbLb1EES16_IbLb0EEEEDaS12_S13_EUlS12_E_NS1_11comp_targetILNS1_3genE9ELNS1_11target_archE1100ELNS1_3gpuE3ELNS1_3repE0EEENS1_30default_config_static_selectorELNS0_4arch9wavefront6targetE1EEEvT1_,"axG",@progbits,_ZN7rocprim17ROCPRIM_400000_NS6detail17trampoline_kernelINS0_14default_configENS1_25partition_config_selectorILNS1_17partition_subalgoE8EiNS0_10empty_typeEbEEZZNS1_14partition_implILS5_8ELb0ES3_jN6thrust23THRUST_200600_302600_NS10device_ptrIiEEPS6_PKS6_NS0_5tupleIJSC_S6_EEENSG_IJSD_SD_EEENS0_18inequality_wrapperINSA_8equal_toIiEEEEPmJS6_EEE10hipError_tPvRmT3_T4_T5_T6_T7_T9_mT8_P12ihipStream_tbDpT10_ENKUlT_T0_E_clISt17integral_constantIbLb1EES16_IbLb0EEEEDaS12_S13_EUlS12_E_NS1_11comp_targetILNS1_3genE9ELNS1_11target_archE1100ELNS1_3gpuE3ELNS1_3repE0EEENS1_30default_config_static_selectorELNS0_4arch9wavefront6targetE1EEEvT1_,comdat
	.protected	_ZN7rocprim17ROCPRIM_400000_NS6detail17trampoline_kernelINS0_14default_configENS1_25partition_config_selectorILNS1_17partition_subalgoE8EiNS0_10empty_typeEbEEZZNS1_14partition_implILS5_8ELb0ES3_jN6thrust23THRUST_200600_302600_NS10device_ptrIiEEPS6_PKS6_NS0_5tupleIJSC_S6_EEENSG_IJSD_SD_EEENS0_18inequality_wrapperINSA_8equal_toIiEEEEPmJS6_EEE10hipError_tPvRmT3_T4_T5_T6_T7_T9_mT8_P12ihipStream_tbDpT10_ENKUlT_T0_E_clISt17integral_constantIbLb1EES16_IbLb0EEEEDaS12_S13_EUlS12_E_NS1_11comp_targetILNS1_3genE9ELNS1_11target_archE1100ELNS1_3gpuE3ELNS1_3repE0EEENS1_30default_config_static_selectorELNS0_4arch9wavefront6targetE1EEEvT1_ ; -- Begin function _ZN7rocprim17ROCPRIM_400000_NS6detail17trampoline_kernelINS0_14default_configENS1_25partition_config_selectorILNS1_17partition_subalgoE8EiNS0_10empty_typeEbEEZZNS1_14partition_implILS5_8ELb0ES3_jN6thrust23THRUST_200600_302600_NS10device_ptrIiEEPS6_PKS6_NS0_5tupleIJSC_S6_EEENSG_IJSD_SD_EEENS0_18inequality_wrapperINSA_8equal_toIiEEEEPmJS6_EEE10hipError_tPvRmT3_T4_T5_T6_T7_T9_mT8_P12ihipStream_tbDpT10_ENKUlT_T0_E_clISt17integral_constantIbLb1EES16_IbLb0EEEEDaS12_S13_EUlS12_E_NS1_11comp_targetILNS1_3genE9ELNS1_11target_archE1100ELNS1_3gpuE3ELNS1_3repE0EEENS1_30default_config_static_selectorELNS0_4arch9wavefront6targetE1EEEvT1_
	.globl	_ZN7rocprim17ROCPRIM_400000_NS6detail17trampoline_kernelINS0_14default_configENS1_25partition_config_selectorILNS1_17partition_subalgoE8EiNS0_10empty_typeEbEEZZNS1_14partition_implILS5_8ELb0ES3_jN6thrust23THRUST_200600_302600_NS10device_ptrIiEEPS6_PKS6_NS0_5tupleIJSC_S6_EEENSG_IJSD_SD_EEENS0_18inequality_wrapperINSA_8equal_toIiEEEEPmJS6_EEE10hipError_tPvRmT3_T4_T5_T6_T7_T9_mT8_P12ihipStream_tbDpT10_ENKUlT_T0_E_clISt17integral_constantIbLb1EES16_IbLb0EEEEDaS12_S13_EUlS12_E_NS1_11comp_targetILNS1_3genE9ELNS1_11target_archE1100ELNS1_3gpuE3ELNS1_3repE0EEENS1_30default_config_static_selectorELNS0_4arch9wavefront6targetE1EEEvT1_
	.p2align	8
	.type	_ZN7rocprim17ROCPRIM_400000_NS6detail17trampoline_kernelINS0_14default_configENS1_25partition_config_selectorILNS1_17partition_subalgoE8EiNS0_10empty_typeEbEEZZNS1_14partition_implILS5_8ELb0ES3_jN6thrust23THRUST_200600_302600_NS10device_ptrIiEEPS6_PKS6_NS0_5tupleIJSC_S6_EEENSG_IJSD_SD_EEENS0_18inequality_wrapperINSA_8equal_toIiEEEEPmJS6_EEE10hipError_tPvRmT3_T4_T5_T6_T7_T9_mT8_P12ihipStream_tbDpT10_ENKUlT_T0_E_clISt17integral_constantIbLb1EES16_IbLb0EEEEDaS12_S13_EUlS12_E_NS1_11comp_targetILNS1_3genE9ELNS1_11target_archE1100ELNS1_3gpuE3ELNS1_3repE0EEENS1_30default_config_static_selectorELNS0_4arch9wavefront6targetE1EEEvT1_,@function
_ZN7rocprim17ROCPRIM_400000_NS6detail17trampoline_kernelINS0_14default_configENS1_25partition_config_selectorILNS1_17partition_subalgoE8EiNS0_10empty_typeEbEEZZNS1_14partition_implILS5_8ELb0ES3_jN6thrust23THRUST_200600_302600_NS10device_ptrIiEEPS6_PKS6_NS0_5tupleIJSC_S6_EEENSG_IJSD_SD_EEENS0_18inequality_wrapperINSA_8equal_toIiEEEEPmJS6_EEE10hipError_tPvRmT3_T4_T5_T6_T7_T9_mT8_P12ihipStream_tbDpT10_ENKUlT_T0_E_clISt17integral_constantIbLb1EES16_IbLb0EEEEDaS12_S13_EUlS12_E_NS1_11comp_targetILNS1_3genE9ELNS1_11target_archE1100ELNS1_3gpuE3ELNS1_3repE0EEENS1_30default_config_static_selectorELNS0_4arch9wavefront6targetE1EEEvT1_: ; @_ZN7rocprim17ROCPRIM_400000_NS6detail17trampoline_kernelINS0_14default_configENS1_25partition_config_selectorILNS1_17partition_subalgoE8EiNS0_10empty_typeEbEEZZNS1_14partition_implILS5_8ELb0ES3_jN6thrust23THRUST_200600_302600_NS10device_ptrIiEEPS6_PKS6_NS0_5tupleIJSC_S6_EEENSG_IJSD_SD_EEENS0_18inequality_wrapperINSA_8equal_toIiEEEEPmJS6_EEE10hipError_tPvRmT3_T4_T5_T6_T7_T9_mT8_P12ihipStream_tbDpT10_ENKUlT_T0_E_clISt17integral_constantIbLb1EES16_IbLb0EEEEDaS12_S13_EUlS12_E_NS1_11comp_targetILNS1_3genE9ELNS1_11target_archE1100ELNS1_3gpuE3ELNS1_3repE0EEENS1_30default_config_static_selectorELNS0_4arch9wavefront6targetE1EEEvT1_
; %bb.0:
	.section	.rodata,"a",@progbits
	.p2align	6, 0x0
	.amdhsa_kernel _ZN7rocprim17ROCPRIM_400000_NS6detail17trampoline_kernelINS0_14default_configENS1_25partition_config_selectorILNS1_17partition_subalgoE8EiNS0_10empty_typeEbEEZZNS1_14partition_implILS5_8ELb0ES3_jN6thrust23THRUST_200600_302600_NS10device_ptrIiEEPS6_PKS6_NS0_5tupleIJSC_S6_EEENSG_IJSD_SD_EEENS0_18inequality_wrapperINSA_8equal_toIiEEEEPmJS6_EEE10hipError_tPvRmT3_T4_T5_T6_T7_T9_mT8_P12ihipStream_tbDpT10_ENKUlT_T0_E_clISt17integral_constantIbLb1EES16_IbLb0EEEEDaS12_S13_EUlS12_E_NS1_11comp_targetILNS1_3genE9ELNS1_11target_archE1100ELNS1_3gpuE3ELNS1_3repE0EEENS1_30default_config_static_selectorELNS0_4arch9wavefront6targetE1EEEvT1_
		.amdhsa_group_segment_fixed_size 0
		.amdhsa_private_segment_fixed_size 0
		.amdhsa_kernarg_size 112
		.amdhsa_user_sgpr_count 6
		.amdhsa_user_sgpr_private_segment_buffer 1
		.amdhsa_user_sgpr_dispatch_ptr 0
		.amdhsa_user_sgpr_queue_ptr 0
		.amdhsa_user_sgpr_kernarg_segment_ptr 1
		.amdhsa_user_sgpr_dispatch_id 0
		.amdhsa_user_sgpr_flat_scratch_init 0
		.amdhsa_user_sgpr_private_segment_size 0
		.amdhsa_uses_dynamic_stack 0
		.amdhsa_system_sgpr_private_segment_wavefront_offset 0
		.amdhsa_system_sgpr_workgroup_id_x 1
		.amdhsa_system_sgpr_workgroup_id_y 0
		.amdhsa_system_sgpr_workgroup_id_z 0
		.amdhsa_system_sgpr_workgroup_info 0
		.amdhsa_system_vgpr_workitem_id 0
		.amdhsa_next_free_vgpr 1
		.amdhsa_next_free_sgpr 0
		.amdhsa_reserve_vcc 0
		.amdhsa_reserve_flat_scratch 0
		.amdhsa_float_round_mode_32 0
		.amdhsa_float_round_mode_16_64 0
		.amdhsa_float_denorm_mode_32 3
		.amdhsa_float_denorm_mode_16_64 3
		.amdhsa_dx10_clamp 1
		.amdhsa_ieee_mode 1
		.amdhsa_fp16_overflow 0
		.amdhsa_exception_fp_ieee_invalid_op 0
		.amdhsa_exception_fp_denorm_src 0
		.amdhsa_exception_fp_ieee_div_zero 0
		.amdhsa_exception_fp_ieee_overflow 0
		.amdhsa_exception_fp_ieee_underflow 0
		.amdhsa_exception_fp_ieee_inexact 0
		.amdhsa_exception_int_div_zero 0
	.end_amdhsa_kernel
	.section	.text._ZN7rocprim17ROCPRIM_400000_NS6detail17trampoline_kernelINS0_14default_configENS1_25partition_config_selectorILNS1_17partition_subalgoE8EiNS0_10empty_typeEbEEZZNS1_14partition_implILS5_8ELb0ES3_jN6thrust23THRUST_200600_302600_NS10device_ptrIiEEPS6_PKS6_NS0_5tupleIJSC_S6_EEENSG_IJSD_SD_EEENS0_18inequality_wrapperINSA_8equal_toIiEEEEPmJS6_EEE10hipError_tPvRmT3_T4_T5_T6_T7_T9_mT8_P12ihipStream_tbDpT10_ENKUlT_T0_E_clISt17integral_constantIbLb1EES16_IbLb0EEEEDaS12_S13_EUlS12_E_NS1_11comp_targetILNS1_3genE9ELNS1_11target_archE1100ELNS1_3gpuE3ELNS1_3repE0EEENS1_30default_config_static_selectorELNS0_4arch9wavefront6targetE1EEEvT1_,"axG",@progbits,_ZN7rocprim17ROCPRIM_400000_NS6detail17trampoline_kernelINS0_14default_configENS1_25partition_config_selectorILNS1_17partition_subalgoE8EiNS0_10empty_typeEbEEZZNS1_14partition_implILS5_8ELb0ES3_jN6thrust23THRUST_200600_302600_NS10device_ptrIiEEPS6_PKS6_NS0_5tupleIJSC_S6_EEENSG_IJSD_SD_EEENS0_18inequality_wrapperINSA_8equal_toIiEEEEPmJS6_EEE10hipError_tPvRmT3_T4_T5_T6_T7_T9_mT8_P12ihipStream_tbDpT10_ENKUlT_T0_E_clISt17integral_constantIbLb1EES16_IbLb0EEEEDaS12_S13_EUlS12_E_NS1_11comp_targetILNS1_3genE9ELNS1_11target_archE1100ELNS1_3gpuE3ELNS1_3repE0EEENS1_30default_config_static_selectorELNS0_4arch9wavefront6targetE1EEEvT1_,comdat
.Lfunc_end1053:
	.size	_ZN7rocprim17ROCPRIM_400000_NS6detail17trampoline_kernelINS0_14default_configENS1_25partition_config_selectorILNS1_17partition_subalgoE8EiNS0_10empty_typeEbEEZZNS1_14partition_implILS5_8ELb0ES3_jN6thrust23THRUST_200600_302600_NS10device_ptrIiEEPS6_PKS6_NS0_5tupleIJSC_S6_EEENSG_IJSD_SD_EEENS0_18inequality_wrapperINSA_8equal_toIiEEEEPmJS6_EEE10hipError_tPvRmT3_T4_T5_T6_T7_T9_mT8_P12ihipStream_tbDpT10_ENKUlT_T0_E_clISt17integral_constantIbLb1EES16_IbLb0EEEEDaS12_S13_EUlS12_E_NS1_11comp_targetILNS1_3genE9ELNS1_11target_archE1100ELNS1_3gpuE3ELNS1_3repE0EEENS1_30default_config_static_selectorELNS0_4arch9wavefront6targetE1EEEvT1_, .Lfunc_end1053-_ZN7rocprim17ROCPRIM_400000_NS6detail17trampoline_kernelINS0_14default_configENS1_25partition_config_selectorILNS1_17partition_subalgoE8EiNS0_10empty_typeEbEEZZNS1_14partition_implILS5_8ELb0ES3_jN6thrust23THRUST_200600_302600_NS10device_ptrIiEEPS6_PKS6_NS0_5tupleIJSC_S6_EEENSG_IJSD_SD_EEENS0_18inequality_wrapperINSA_8equal_toIiEEEEPmJS6_EEE10hipError_tPvRmT3_T4_T5_T6_T7_T9_mT8_P12ihipStream_tbDpT10_ENKUlT_T0_E_clISt17integral_constantIbLb1EES16_IbLb0EEEEDaS12_S13_EUlS12_E_NS1_11comp_targetILNS1_3genE9ELNS1_11target_archE1100ELNS1_3gpuE3ELNS1_3repE0EEENS1_30default_config_static_selectorELNS0_4arch9wavefront6targetE1EEEvT1_
                                        ; -- End function
	.set _ZN7rocprim17ROCPRIM_400000_NS6detail17trampoline_kernelINS0_14default_configENS1_25partition_config_selectorILNS1_17partition_subalgoE8EiNS0_10empty_typeEbEEZZNS1_14partition_implILS5_8ELb0ES3_jN6thrust23THRUST_200600_302600_NS10device_ptrIiEEPS6_PKS6_NS0_5tupleIJSC_S6_EEENSG_IJSD_SD_EEENS0_18inequality_wrapperINSA_8equal_toIiEEEEPmJS6_EEE10hipError_tPvRmT3_T4_T5_T6_T7_T9_mT8_P12ihipStream_tbDpT10_ENKUlT_T0_E_clISt17integral_constantIbLb1EES16_IbLb0EEEEDaS12_S13_EUlS12_E_NS1_11comp_targetILNS1_3genE9ELNS1_11target_archE1100ELNS1_3gpuE3ELNS1_3repE0EEENS1_30default_config_static_selectorELNS0_4arch9wavefront6targetE1EEEvT1_.num_vgpr, 0
	.set _ZN7rocprim17ROCPRIM_400000_NS6detail17trampoline_kernelINS0_14default_configENS1_25partition_config_selectorILNS1_17partition_subalgoE8EiNS0_10empty_typeEbEEZZNS1_14partition_implILS5_8ELb0ES3_jN6thrust23THRUST_200600_302600_NS10device_ptrIiEEPS6_PKS6_NS0_5tupleIJSC_S6_EEENSG_IJSD_SD_EEENS0_18inequality_wrapperINSA_8equal_toIiEEEEPmJS6_EEE10hipError_tPvRmT3_T4_T5_T6_T7_T9_mT8_P12ihipStream_tbDpT10_ENKUlT_T0_E_clISt17integral_constantIbLb1EES16_IbLb0EEEEDaS12_S13_EUlS12_E_NS1_11comp_targetILNS1_3genE9ELNS1_11target_archE1100ELNS1_3gpuE3ELNS1_3repE0EEENS1_30default_config_static_selectorELNS0_4arch9wavefront6targetE1EEEvT1_.num_agpr, 0
	.set _ZN7rocprim17ROCPRIM_400000_NS6detail17trampoline_kernelINS0_14default_configENS1_25partition_config_selectorILNS1_17partition_subalgoE8EiNS0_10empty_typeEbEEZZNS1_14partition_implILS5_8ELb0ES3_jN6thrust23THRUST_200600_302600_NS10device_ptrIiEEPS6_PKS6_NS0_5tupleIJSC_S6_EEENSG_IJSD_SD_EEENS0_18inequality_wrapperINSA_8equal_toIiEEEEPmJS6_EEE10hipError_tPvRmT3_T4_T5_T6_T7_T9_mT8_P12ihipStream_tbDpT10_ENKUlT_T0_E_clISt17integral_constantIbLb1EES16_IbLb0EEEEDaS12_S13_EUlS12_E_NS1_11comp_targetILNS1_3genE9ELNS1_11target_archE1100ELNS1_3gpuE3ELNS1_3repE0EEENS1_30default_config_static_selectorELNS0_4arch9wavefront6targetE1EEEvT1_.numbered_sgpr, 0
	.set _ZN7rocprim17ROCPRIM_400000_NS6detail17trampoline_kernelINS0_14default_configENS1_25partition_config_selectorILNS1_17partition_subalgoE8EiNS0_10empty_typeEbEEZZNS1_14partition_implILS5_8ELb0ES3_jN6thrust23THRUST_200600_302600_NS10device_ptrIiEEPS6_PKS6_NS0_5tupleIJSC_S6_EEENSG_IJSD_SD_EEENS0_18inequality_wrapperINSA_8equal_toIiEEEEPmJS6_EEE10hipError_tPvRmT3_T4_T5_T6_T7_T9_mT8_P12ihipStream_tbDpT10_ENKUlT_T0_E_clISt17integral_constantIbLb1EES16_IbLb0EEEEDaS12_S13_EUlS12_E_NS1_11comp_targetILNS1_3genE9ELNS1_11target_archE1100ELNS1_3gpuE3ELNS1_3repE0EEENS1_30default_config_static_selectorELNS0_4arch9wavefront6targetE1EEEvT1_.num_named_barrier, 0
	.set _ZN7rocprim17ROCPRIM_400000_NS6detail17trampoline_kernelINS0_14default_configENS1_25partition_config_selectorILNS1_17partition_subalgoE8EiNS0_10empty_typeEbEEZZNS1_14partition_implILS5_8ELb0ES3_jN6thrust23THRUST_200600_302600_NS10device_ptrIiEEPS6_PKS6_NS0_5tupleIJSC_S6_EEENSG_IJSD_SD_EEENS0_18inequality_wrapperINSA_8equal_toIiEEEEPmJS6_EEE10hipError_tPvRmT3_T4_T5_T6_T7_T9_mT8_P12ihipStream_tbDpT10_ENKUlT_T0_E_clISt17integral_constantIbLb1EES16_IbLb0EEEEDaS12_S13_EUlS12_E_NS1_11comp_targetILNS1_3genE9ELNS1_11target_archE1100ELNS1_3gpuE3ELNS1_3repE0EEENS1_30default_config_static_selectorELNS0_4arch9wavefront6targetE1EEEvT1_.private_seg_size, 0
	.set _ZN7rocprim17ROCPRIM_400000_NS6detail17trampoline_kernelINS0_14default_configENS1_25partition_config_selectorILNS1_17partition_subalgoE8EiNS0_10empty_typeEbEEZZNS1_14partition_implILS5_8ELb0ES3_jN6thrust23THRUST_200600_302600_NS10device_ptrIiEEPS6_PKS6_NS0_5tupleIJSC_S6_EEENSG_IJSD_SD_EEENS0_18inequality_wrapperINSA_8equal_toIiEEEEPmJS6_EEE10hipError_tPvRmT3_T4_T5_T6_T7_T9_mT8_P12ihipStream_tbDpT10_ENKUlT_T0_E_clISt17integral_constantIbLb1EES16_IbLb0EEEEDaS12_S13_EUlS12_E_NS1_11comp_targetILNS1_3genE9ELNS1_11target_archE1100ELNS1_3gpuE3ELNS1_3repE0EEENS1_30default_config_static_selectorELNS0_4arch9wavefront6targetE1EEEvT1_.uses_vcc, 0
	.set _ZN7rocprim17ROCPRIM_400000_NS6detail17trampoline_kernelINS0_14default_configENS1_25partition_config_selectorILNS1_17partition_subalgoE8EiNS0_10empty_typeEbEEZZNS1_14partition_implILS5_8ELb0ES3_jN6thrust23THRUST_200600_302600_NS10device_ptrIiEEPS6_PKS6_NS0_5tupleIJSC_S6_EEENSG_IJSD_SD_EEENS0_18inequality_wrapperINSA_8equal_toIiEEEEPmJS6_EEE10hipError_tPvRmT3_T4_T5_T6_T7_T9_mT8_P12ihipStream_tbDpT10_ENKUlT_T0_E_clISt17integral_constantIbLb1EES16_IbLb0EEEEDaS12_S13_EUlS12_E_NS1_11comp_targetILNS1_3genE9ELNS1_11target_archE1100ELNS1_3gpuE3ELNS1_3repE0EEENS1_30default_config_static_selectorELNS0_4arch9wavefront6targetE1EEEvT1_.uses_flat_scratch, 0
	.set _ZN7rocprim17ROCPRIM_400000_NS6detail17trampoline_kernelINS0_14default_configENS1_25partition_config_selectorILNS1_17partition_subalgoE8EiNS0_10empty_typeEbEEZZNS1_14partition_implILS5_8ELb0ES3_jN6thrust23THRUST_200600_302600_NS10device_ptrIiEEPS6_PKS6_NS0_5tupleIJSC_S6_EEENSG_IJSD_SD_EEENS0_18inequality_wrapperINSA_8equal_toIiEEEEPmJS6_EEE10hipError_tPvRmT3_T4_T5_T6_T7_T9_mT8_P12ihipStream_tbDpT10_ENKUlT_T0_E_clISt17integral_constantIbLb1EES16_IbLb0EEEEDaS12_S13_EUlS12_E_NS1_11comp_targetILNS1_3genE9ELNS1_11target_archE1100ELNS1_3gpuE3ELNS1_3repE0EEENS1_30default_config_static_selectorELNS0_4arch9wavefront6targetE1EEEvT1_.has_dyn_sized_stack, 0
	.set _ZN7rocprim17ROCPRIM_400000_NS6detail17trampoline_kernelINS0_14default_configENS1_25partition_config_selectorILNS1_17partition_subalgoE8EiNS0_10empty_typeEbEEZZNS1_14partition_implILS5_8ELb0ES3_jN6thrust23THRUST_200600_302600_NS10device_ptrIiEEPS6_PKS6_NS0_5tupleIJSC_S6_EEENSG_IJSD_SD_EEENS0_18inequality_wrapperINSA_8equal_toIiEEEEPmJS6_EEE10hipError_tPvRmT3_T4_T5_T6_T7_T9_mT8_P12ihipStream_tbDpT10_ENKUlT_T0_E_clISt17integral_constantIbLb1EES16_IbLb0EEEEDaS12_S13_EUlS12_E_NS1_11comp_targetILNS1_3genE9ELNS1_11target_archE1100ELNS1_3gpuE3ELNS1_3repE0EEENS1_30default_config_static_selectorELNS0_4arch9wavefront6targetE1EEEvT1_.has_recursion, 0
	.set _ZN7rocprim17ROCPRIM_400000_NS6detail17trampoline_kernelINS0_14default_configENS1_25partition_config_selectorILNS1_17partition_subalgoE8EiNS0_10empty_typeEbEEZZNS1_14partition_implILS5_8ELb0ES3_jN6thrust23THRUST_200600_302600_NS10device_ptrIiEEPS6_PKS6_NS0_5tupleIJSC_S6_EEENSG_IJSD_SD_EEENS0_18inequality_wrapperINSA_8equal_toIiEEEEPmJS6_EEE10hipError_tPvRmT3_T4_T5_T6_T7_T9_mT8_P12ihipStream_tbDpT10_ENKUlT_T0_E_clISt17integral_constantIbLb1EES16_IbLb0EEEEDaS12_S13_EUlS12_E_NS1_11comp_targetILNS1_3genE9ELNS1_11target_archE1100ELNS1_3gpuE3ELNS1_3repE0EEENS1_30default_config_static_selectorELNS0_4arch9wavefront6targetE1EEEvT1_.has_indirect_call, 0
	.section	.AMDGPU.csdata,"",@progbits
; Kernel info:
; codeLenInByte = 0
; TotalNumSgprs: 4
; NumVgprs: 0
; ScratchSize: 0
; MemoryBound: 0
; FloatMode: 240
; IeeeMode: 1
; LDSByteSize: 0 bytes/workgroup (compile time only)
; SGPRBlocks: 0
; VGPRBlocks: 0
; NumSGPRsForWavesPerEU: 4
; NumVGPRsForWavesPerEU: 1
; Occupancy: 10
; WaveLimiterHint : 0
; COMPUTE_PGM_RSRC2:SCRATCH_EN: 0
; COMPUTE_PGM_RSRC2:USER_SGPR: 6
; COMPUTE_PGM_RSRC2:TRAP_HANDLER: 0
; COMPUTE_PGM_RSRC2:TGID_X_EN: 1
; COMPUTE_PGM_RSRC2:TGID_Y_EN: 0
; COMPUTE_PGM_RSRC2:TGID_Z_EN: 0
; COMPUTE_PGM_RSRC2:TIDIG_COMP_CNT: 0
	.section	.text._ZN7rocprim17ROCPRIM_400000_NS6detail17trampoline_kernelINS0_14default_configENS1_25partition_config_selectorILNS1_17partition_subalgoE8EiNS0_10empty_typeEbEEZZNS1_14partition_implILS5_8ELb0ES3_jN6thrust23THRUST_200600_302600_NS10device_ptrIiEEPS6_PKS6_NS0_5tupleIJSC_S6_EEENSG_IJSD_SD_EEENS0_18inequality_wrapperINSA_8equal_toIiEEEEPmJS6_EEE10hipError_tPvRmT3_T4_T5_T6_T7_T9_mT8_P12ihipStream_tbDpT10_ENKUlT_T0_E_clISt17integral_constantIbLb1EES16_IbLb0EEEEDaS12_S13_EUlS12_E_NS1_11comp_targetILNS1_3genE8ELNS1_11target_archE1030ELNS1_3gpuE2ELNS1_3repE0EEENS1_30default_config_static_selectorELNS0_4arch9wavefront6targetE1EEEvT1_,"axG",@progbits,_ZN7rocprim17ROCPRIM_400000_NS6detail17trampoline_kernelINS0_14default_configENS1_25partition_config_selectorILNS1_17partition_subalgoE8EiNS0_10empty_typeEbEEZZNS1_14partition_implILS5_8ELb0ES3_jN6thrust23THRUST_200600_302600_NS10device_ptrIiEEPS6_PKS6_NS0_5tupleIJSC_S6_EEENSG_IJSD_SD_EEENS0_18inequality_wrapperINSA_8equal_toIiEEEEPmJS6_EEE10hipError_tPvRmT3_T4_T5_T6_T7_T9_mT8_P12ihipStream_tbDpT10_ENKUlT_T0_E_clISt17integral_constantIbLb1EES16_IbLb0EEEEDaS12_S13_EUlS12_E_NS1_11comp_targetILNS1_3genE8ELNS1_11target_archE1030ELNS1_3gpuE2ELNS1_3repE0EEENS1_30default_config_static_selectorELNS0_4arch9wavefront6targetE1EEEvT1_,comdat
	.protected	_ZN7rocprim17ROCPRIM_400000_NS6detail17trampoline_kernelINS0_14default_configENS1_25partition_config_selectorILNS1_17partition_subalgoE8EiNS0_10empty_typeEbEEZZNS1_14partition_implILS5_8ELb0ES3_jN6thrust23THRUST_200600_302600_NS10device_ptrIiEEPS6_PKS6_NS0_5tupleIJSC_S6_EEENSG_IJSD_SD_EEENS0_18inequality_wrapperINSA_8equal_toIiEEEEPmJS6_EEE10hipError_tPvRmT3_T4_T5_T6_T7_T9_mT8_P12ihipStream_tbDpT10_ENKUlT_T0_E_clISt17integral_constantIbLb1EES16_IbLb0EEEEDaS12_S13_EUlS12_E_NS1_11comp_targetILNS1_3genE8ELNS1_11target_archE1030ELNS1_3gpuE2ELNS1_3repE0EEENS1_30default_config_static_selectorELNS0_4arch9wavefront6targetE1EEEvT1_ ; -- Begin function _ZN7rocprim17ROCPRIM_400000_NS6detail17trampoline_kernelINS0_14default_configENS1_25partition_config_selectorILNS1_17partition_subalgoE8EiNS0_10empty_typeEbEEZZNS1_14partition_implILS5_8ELb0ES3_jN6thrust23THRUST_200600_302600_NS10device_ptrIiEEPS6_PKS6_NS0_5tupleIJSC_S6_EEENSG_IJSD_SD_EEENS0_18inequality_wrapperINSA_8equal_toIiEEEEPmJS6_EEE10hipError_tPvRmT3_T4_T5_T6_T7_T9_mT8_P12ihipStream_tbDpT10_ENKUlT_T0_E_clISt17integral_constantIbLb1EES16_IbLb0EEEEDaS12_S13_EUlS12_E_NS1_11comp_targetILNS1_3genE8ELNS1_11target_archE1030ELNS1_3gpuE2ELNS1_3repE0EEENS1_30default_config_static_selectorELNS0_4arch9wavefront6targetE1EEEvT1_
	.globl	_ZN7rocprim17ROCPRIM_400000_NS6detail17trampoline_kernelINS0_14default_configENS1_25partition_config_selectorILNS1_17partition_subalgoE8EiNS0_10empty_typeEbEEZZNS1_14partition_implILS5_8ELb0ES3_jN6thrust23THRUST_200600_302600_NS10device_ptrIiEEPS6_PKS6_NS0_5tupleIJSC_S6_EEENSG_IJSD_SD_EEENS0_18inequality_wrapperINSA_8equal_toIiEEEEPmJS6_EEE10hipError_tPvRmT3_T4_T5_T6_T7_T9_mT8_P12ihipStream_tbDpT10_ENKUlT_T0_E_clISt17integral_constantIbLb1EES16_IbLb0EEEEDaS12_S13_EUlS12_E_NS1_11comp_targetILNS1_3genE8ELNS1_11target_archE1030ELNS1_3gpuE2ELNS1_3repE0EEENS1_30default_config_static_selectorELNS0_4arch9wavefront6targetE1EEEvT1_
	.p2align	8
	.type	_ZN7rocprim17ROCPRIM_400000_NS6detail17trampoline_kernelINS0_14default_configENS1_25partition_config_selectorILNS1_17partition_subalgoE8EiNS0_10empty_typeEbEEZZNS1_14partition_implILS5_8ELb0ES3_jN6thrust23THRUST_200600_302600_NS10device_ptrIiEEPS6_PKS6_NS0_5tupleIJSC_S6_EEENSG_IJSD_SD_EEENS0_18inequality_wrapperINSA_8equal_toIiEEEEPmJS6_EEE10hipError_tPvRmT3_T4_T5_T6_T7_T9_mT8_P12ihipStream_tbDpT10_ENKUlT_T0_E_clISt17integral_constantIbLb1EES16_IbLb0EEEEDaS12_S13_EUlS12_E_NS1_11comp_targetILNS1_3genE8ELNS1_11target_archE1030ELNS1_3gpuE2ELNS1_3repE0EEENS1_30default_config_static_selectorELNS0_4arch9wavefront6targetE1EEEvT1_,@function
_ZN7rocprim17ROCPRIM_400000_NS6detail17trampoline_kernelINS0_14default_configENS1_25partition_config_selectorILNS1_17partition_subalgoE8EiNS0_10empty_typeEbEEZZNS1_14partition_implILS5_8ELb0ES3_jN6thrust23THRUST_200600_302600_NS10device_ptrIiEEPS6_PKS6_NS0_5tupleIJSC_S6_EEENSG_IJSD_SD_EEENS0_18inequality_wrapperINSA_8equal_toIiEEEEPmJS6_EEE10hipError_tPvRmT3_T4_T5_T6_T7_T9_mT8_P12ihipStream_tbDpT10_ENKUlT_T0_E_clISt17integral_constantIbLb1EES16_IbLb0EEEEDaS12_S13_EUlS12_E_NS1_11comp_targetILNS1_3genE8ELNS1_11target_archE1030ELNS1_3gpuE2ELNS1_3repE0EEENS1_30default_config_static_selectorELNS0_4arch9wavefront6targetE1EEEvT1_: ; @_ZN7rocprim17ROCPRIM_400000_NS6detail17trampoline_kernelINS0_14default_configENS1_25partition_config_selectorILNS1_17partition_subalgoE8EiNS0_10empty_typeEbEEZZNS1_14partition_implILS5_8ELb0ES3_jN6thrust23THRUST_200600_302600_NS10device_ptrIiEEPS6_PKS6_NS0_5tupleIJSC_S6_EEENSG_IJSD_SD_EEENS0_18inequality_wrapperINSA_8equal_toIiEEEEPmJS6_EEE10hipError_tPvRmT3_T4_T5_T6_T7_T9_mT8_P12ihipStream_tbDpT10_ENKUlT_T0_E_clISt17integral_constantIbLb1EES16_IbLb0EEEEDaS12_S13_EUlS12_E_NS1_11comp_targetILNS1_3genE8ELNS1_11target_archE1030ELNS1_3gpuE2ELNS1_3repE0EEENS1_30default_config_static_selectorELNS0_4arch9wavefront6targetE1EEEvT1_
; %bb.0:
	.section	.rodata,"a",@progbits
	.p2align	6, 0x0
	.amdhsa_kernel _ZN7rocprim17ROCPRIM_400000_NS6detail17trampoline_kernelINS0_14default_configENS1_25partition_config_selectorILNS1_17partition_subalgoE8EiNS0_10empty_typeEbEEZZNS1_14partition_implILS5_8ELb0ES3_jN6thrust23THRUST_200600_302600_NS10device_ptrIiEEPS6_PKS6_NS0_5tupleIJSC_S6_EEENSG_IJSD_SD_EEENS0_18inequality_wrapperINSA_8equal_toIiEEEEPmJS6_EEE10hipError_tPvRmT3_T4_T5_T6_T7_T9_mT8_P12ihipStream_tbDpT10_ENKUlT_T0_E_clISt17integral_constantIbLb1EES16_IbLb0EEEEDaS12_S13_EUlS12_E_NS1_11comp_targetILNS1_3genE8ELNS1_11target_archE1030ELNS1_3gpuE2ELNS1_3repE0EEENS1_30default_config_static_selectorELNS0_4arch9wavefront6targetE1EEEvT1_
		.amdhsa_group_segment_fixed_size 0
		.amdhsa_private_segment_fixed_size 0
		.amdhsa_kernarg_size 112
		.amdhsa_user_sgpr_count 6
		.amdhsa_user_sgpr_private_segment_buffer 1
		.amdhsa_user_sgpr_dispatch_ptr 0
		.amdhsa_user_sgpr_queue_ptr 0
		.amdhsa_user_sgpr_kernarg_segment_ptr 1
		.amdhsa_user_sgpr_dispatch_id 0
		.amdhsa_user_sgpr_flat_scratch_init 0
		.amdhsa_user_sgpr_private_segment_size 0
		.amdhsa_uses_dynamic_stack 0
		.amdhsa_system_sgpr_private_segment_wavefront_offset 0
		.amdhsa_system_sgpr_workgroup_id_x 1
		.amdhsa_system_sgpr_workgroup_id_y 0
		.amdhsa_system_sgpr_workgroup_id_z 0
		.amdhsa_system_sgpr_workgroup_info 0
		.amdhsa_system_vgpr_workitem_id 0
		.amdhsa_next_free_vgpr 1
		.amdhsa_next_free_sgpr 0
		.amdhsa_reserve_vcc 0
		.amdhsa_reserve_flat_scratch 0
		.amdhsa_float_round_mode_32 0
		.amdhsa_float_round_mode_16_64 0
		.amdhsa_float_denorm_mode_32 3
		.amdhsa_float_denorm_mode_16_64 3
		.amdhsa_dx10_clamp 1
		.amdhsa_ieee_mode 1
		.amdhsa_fp16_overflow 0
		.amdhsa_exception_fp_ieee_invalid_op 0
		.amdhsa_exception_fp_denorm_src 0
		.amdhsa_exception_fp_ieee_div_zero 0
		.amdhsa_exception_fp_ieee_overflow 0
		.amdhsa_exception_fp_ieee_underflow 0
		.amdhsa_exception_fp_ieee_inexact 0
		.amdhsa_exception_int_div_zero 0
	.end_amdhsa_kernel
	.section	.text._ZN7rocprim17ROCPRIM_400000_NS6detail17trampoline_kernelINS0_14default_configENS1_25partition_config_selectorILNS1_17partition_subalgoE8EiNS0_10empty_typeEbEEZZNS1_14partition_implILS5_8ELb0ES3_jN6thrust23THRUST_200600_302600_NS10device_ptrIiEEPS6_PKS6_NS0_5tupleIJSC_S6_EEENSG_IJSD_SD_EEENS0_18inequality_wrapperINSA_8equal_toIiEEEEPmJS6_EEE10hipError_tPvRmT3_T4_T5_T6_T7_T9_mT8_P12ihipStream_tbDpT10_ENKUlT_T0_E_clISt17integral_constantIbLb1EES16_IbLb0EEEEDaS12_S13_EUlS12_E_NS1_11comp_targetILNS1_3genE8ELNS1_11target_archE1030ELNS1_3gpuE2ELNS1_3repE0EEENS1_30default_config_static_selectorELNS0_4arch9wavefront6targetE1EEEvT1_,"axG",@progbits,_ZN7rocprim17ROCPRIM_400000_NS6detail17trampoline_kernelINS0_14default_configENS1_25partition_config_selectorILNS1_17partition_subalgoE8EiNS0_10empty_typeEbEEZZNS1_14partition_implILS5_8ELb0ES3_jN6thrust23THRUST_200600_302600_NS10device_ptrIiEEPS6_PKS6_NS0_5tupleIJSC_S6_EEENSG_IJSD_SD_EEENS0_18inequality_wrapperINSA_8equal_toIiEEEEPmJS6_EEE10hipError_tPvRmT3_T4_T5_T6_T7_T9_mT8_P12ihipStream_tbDpT10_ENKUlT_T0_E_clISt17integral_constantIbLb1EES16_IbLb0EEEEDaS12_S13_EUlS12_E_NS1_11comp_targetILNS1_3genE8ELNS1_11target_archE1030ELNS1_3gpuE2ELNS1_3repE0EEENS1_30default_config_static_selectorELNS0_4arch9wavefront6targetE1EEEvT1_,comdat
.Lfunc_end1054:
	.size	_ZN7rocprim17ROCPRIM_400000_NS6detail17trampoline_kernelINS0_14default_configENS1_25partition_config_selectorILNS1_17partition_subalgoE8EiNS0_10empty_typeEbEEZZNS1_14partition_implILS5_8ELb0ES3_jN6thrust23THRUST_200600_302600_NS10device_ptrIiEEPS6_PKS6_NS0_5tupleIJSC_S6_EEENSG_IJSD_SD_EEENS0_18inequality_wrapperINSA_8equal_toIiEEEEPmJS6_EEE10hipError_tPvRmT3_T4_T5_T6_T7_T9_mT8_P12ihipStream_tbDpT10_ENKUlT_T0_E_clISt17integral_constantIbLb1EES16_IbLb0EEEEDaS12_S13_EUlS12_E_NS1_11comp_targetILNS1_3genE8ELNS1_11target_archE1030ELNS1_3gpuE2ELNS1_3repE0EEENS1_30default_config_static_selectorELNS0_4arch9wavefront6targetE1EEEvT1_, .Lfunc_end1054-_ZN7rocprim17ROCPRIM_400000_NS6detail17trampoline_kernelINS0_14default_configENS1_25partition_config_selectorILNS1_17partition_subalgoE8EiNS0_10empty_typeEbEEZZNS1_14partition_implILS5_8ELb0ES3_jN6thrust23THRUST_200600_302600_NS10device_ptrIiEEPS6_PKS6_NS0_5tupleIJSC_S6_EEENSG_IJSD_SD_EEENS0_18inequality_wrapperINSA_8equal_toIiEEEEPmJS6_EEE10hipError_tPvRmT3_T4_T5_T6_T7_T9_mT8_P12ihipStream_tbDpT10_ENKUlT_T0_E_clISt17integral_constantIbLb1EES16_IbLb0EEEEDaS12_S13_EUlS12_E_NS1_11comp_targetILNS1_3genE8ELNS1_11target_archE1030ELNS1_3gpuE2ELNS1_3repE0EEENS1_30default_config_static_selectorELNS0_4arch9wavefront6targetE1EEEvT1_
                                        ; -- End function
	.set _ZN7rocprim17ROCPRIM_400000_NS6detail17trampoline_kernelINS0_14default_configENS1_25partition_config_selectorILNS1_17partition_subalgoE8EiNS0_10empty_typeEbEEZZNS1_14partition_implILS5_8ELb0ES3_jN6thrust23THRUST_200600_302600_NS10device_ptrIiEEPS6_PKS6_NS0_5tupleIJSC_S6_EEENSG_IJSD_SD_EEENS0_18inequality_wrapperINSA_8equal_toIiEEEEPmJS6_EEE10hipError_tPvRmT3_T4_T5_T6_T7_T9_mT8_P12ihipStream_tbDpT10_ENKUlT_T0_E_clISt17integral_constantIbLb1EES16_IbLb0EEEEDaS12_S13_EUlS12_E_NS1_11comp_targetILNS1_3genE8ELNS1_11target_archE1030ELNS1_3gpuE2ELNS1_3repE0EEENS1_30default_config_static_selectorELNS0_4arch9wavefront6targetE1EEEvT1_.num_vgpr, 0
	.set _ZN7rocprim17ROCPRIM_400000_NS6detail17trampoline_kernelINS0_14default_configENS1_25partition_config_selectorILNS1_17partition_subalgoE8EiNS0_10empty_typeEbEEZZNS1_14partition_implILS5_8ELb0ES3_jN6thrust23THRUST_200600_302600_NS10device_ptrIiEEPS6_PKS6_NS0_5tupleIJSC_S6_EEENSG_IJSD_SD_EEENS0_18inequality_wrapperINSA_8equal_toIiEEEEPmJS6_EEE10hipError_tPvRmT3_T4_T5_T6_T7_T9_mT8_P12ihipStream_tbDpT10_ENKUlT_T0_E_clISt17integral_constantIbLb1EES16_IbLb0EEEEDaS12_S13_EUlS12_E_NS1_11comp_targetILNS1_3genE8ELNS1_11target_archE1030ELNS1_3gpuE2ELNS1_3repE0EEENS1_30default_config_static_selectorELNS0_4arch9wavefront6targetE1EEEvT1_.num_agpr, 0
	.set _ZN7rocprim17ROCPRIM_400000_NS6detail17trampoline_kernelINS0_14default_configENS1_25partition_config_selectorILNS1_17partition_subalgoE8EiNS0_10empty_typeEbEEZZNS1_14partition_implILS5_8ELb0ES3_jN6thrust23THRUST_200600_302600_NS10device_ptrIiEEPS6_PKS6_NS0_5tupleIJSC_S6_EEENSG_IJSD_SD_EEENS0_18inequality_wrapperINSA_8equal_toIiEEEEPmJS6_EEE10hipError_tPvRmT3_T4_T5_T6_T7_T9_mT8_P12ihipStream_tbDpT10_ENKUlT_T0_E_clISt17integral_constantIbLb1EES16_IbLb0EEEEDaS12_S13_EUlS12_E_NS1_11comp_targetILNS1_3genE8ELNS1_11target_archE1030ELNS1_3gpuE2ELNS1_3repE0EEENS1_30default_config_static_selectorELNS0_4arch9wavefront6targetE1EEEvT1_.numbered_sgpr, 0
	.set _ZN7rocprim17ROCPRIM_400000_NS6detail17trampoline_kernelINS0_14default_configENS1_25partition_config_selectorILNS1_17partition_subalgoE8EiNS0_10empty_typeEbEEZZNS1_14partition_implILS5_8ELb0ES3_jN6thrust23THRUST_200600_302600_NS10device_ptrIiEEPS6_PKS6_NS0_5tupleIJSC_S6_EEENSG_IJSD_SD_EEENS0_18inequality_wrapperINSA_8equal_toIiEEEEPmJS6_EEE10hipError_tPvRmT3_T4_T5_T6_T7_T9_mT8_P12ihipStream_tbDpT10_ENKUlT_T0_E_clISt17integral_constantIbLb1EES16_IbLb0EEEEDaS12_S13_EUlS12_E_NS1_11comp_targetILNS1_3genE8ELNS1_11target_archE1030ELNS1_3gpuE2ELNS1_3repE0EEENS1_30default_config_static_selectorELNS0_4arch9wavefront6targetE1EEEvT1_.num_named_barrier, 0
	.set _ZN7rocprim17ROCPRIM_400000_NS6detail17trampoline_kernelINS0_14default_configENS1_25partition_config_selectorILNS1_17partition_subalgoE8EiNS0_10empty_typeEbEEZZNS1_14partition_implILS5_8ELb0ES3_jN6thrust23THRUST_200600_302600_NS10device_ptrIiEEPS6_PKS6_NS0_5tupleIJSC_S6_EEENSG_IJSD_SD_EEENS0_18inequality_wrapperINSA_8equal_toIiEEEEPmJS6_EEE10hipError_tPvRmT3_T4_T5_T6_T7_T9_mT8_P12ihipStream_tbDpT10_ENKUlT_T0_E_clISt17integral_constantIbLb1EES16_IbLb0EEEEDaS12_S13_EUlS12_E_NS1_11comp_targetILNS1_3genE8ELNS1_11target_archE1030ELNS1_3gpuE2ELNS1_3repE0EEENS1_30default_config_static_selectorELNS0_4arch9wavefront6targetE1EEEvT1_.private_seg_size, 0
	.set _ZN7rocprim17ROCPRIM_400000_NS6detail17trampoline_kernelINS0_14default_configENS1_25partition_config_selectorILNS1_17partition_subalgoE8EiNS0_10empty_typeEbEEZZNS1_14partition_implILS5_8ELb0ES3_jN6thrust23THRUST_200600_302600_NS10device_ptrIiEEPS6_PKS6_NS0_5tupleIJSC_S6_EEENSG_IJSD_SD_EEENS0_18inequality_wrapperINSA_8equal_toIiEEEEPmJS6_EEE10hipError_tPvRmT3_T4_T5_T6_T7_T9_mT8_P12ihipStream_tbDpT10_ENKUlT_T0_E_clISt17integral_constantIbLb1EES16_IbLb0EEEEDaS12_S13_EUlS12_E_NS1_11comp_targetILNS1_3genE8ELNS1_11target_archE1030ELNS1_3gpuE2ELNS1_3repE0EEENS1_30default_config_static_selectorELNS0_4arch9wavefront6targetE1EEEvT1_.uses_vcc, 0
	.set _ZN7rocprim17ROCPRIM_400000_NS6detail17trampoline_kernelINS0_14default_configENS1_25partition_config_selectorILNS1_17partition_subalgoE8EiNS0_10empty_typeEbEEZZNS1_14partition_implILS5_8ELb0ES3_jN6thrust23THRUST_200600_302600_NS10device_ptrIiEEPS6_PKS6_NS0_5tupleIJSC_S6_EEENSG_IJSD_SD_EEENS0_18inequality_wrapperINSA_8equal_toIiEEEEPmJS6_EEE10hipError_tPvRmT3_T4_T5_T6_T7_T9_mT8_P12ihipStream_tbDpT10_ENKUlT_T0_E_clISt17integral_constantIbLb1EES16_IbLb0EEEEDaS12_S13_EUlS12_E_NS1_11comp_targetILNS1_3genE8ELNS1_11target_archE1030ELNS1_3gpuE2ELNS1_3repE0EEENS1_30default_config_static_selectorELNS0_4arch9wavefront6targetE1EEEvT1_.uses_flat_scratch, 0
	.set _ZN7rocprim17ROCPRIM_400000_NS6detail17trampoline_kernelINS0_14default_configENS1_25partition_config_selectorILNS1_17partition_subalgoE8EiNS0_10empty_typeEbEEZZNS1_14partition_implILS5_8ELb0ES3_jN6thrust23THRUST_200600_302600_NS10device_ptrIiEEPS6_PKS6_NS0_5tupleIJSC_S6_EEENSG_IJSD_SD_EEENS0_18inequality_wrapperINSA_8equal_toIiEEEEPmJS6_EEE10hipError_tPvRmT3_T4_T5_T6_T7_T9_mT8_P12ihipStream_tbDpT10_ENKUlT_T0_E_clISt17integral_constantIbLb1EES16_IbLb0EEEEDaS12_S13_EUlS12_E_NS1_11comp_targetILNS1_3genE8ELNS1_11target_archE1030ELNS1_3gpuE2ELNS1_3repE0EEENS1_30default_config_static_selectorELNS0_4arch9wavefront6targetE1EEEvT1_.has_dyn_sized_stack, 0
	.set _ZN7rocprim17ROCPRIM_400000_NS6detail17trampoline_kernelINS0_14default_configENS1_25partition_config_selectorILNS1_17partition_subalgoE8EiNS0_10empty_typeEbEEZZNS1_14partition_implILS5_8ELb0ES3_jN6thrust23THRUST_200600_302600_NS10device_ptrIiEEPS6_PKS6_NS0_5tupleIJSC_S6_EEENSG_IJSD_SD_EEENS0_18inequality_wrapperINSA_8equal_toIiEEEEPmJS6_EEE10hipError_tPvRmT3_T4_T5_T6_T7_T9_mT8_P12ihipStream_tbDpT10_ENKUlT_T0_E_clISt17integral_constantIbLb1EES16_IbLb0EEEEDaS12_S13_EUlS12_E_NS1_11comp_targetILNS1_3genE8ELNS1_11target_archE1030ELNS1_3gpuE2ELNS1_3repE0EEENS1_30default_config_static_selectorELNS0_4arch9wavefront6targetE1EEEvT1_.has_recursion, 0
	.set _ZN7rocprim17ROCPRIM_400000_NS6detail17trampoline_kernelINS0_14default_configENS1_25partition_config_selectorILNS1_17partition_subalgoE8EiNS0_10empty_typeEbEEZZNS1_14partition_implILS5_8ELb0ES3_jN6thrust23THRUST_200600_302600_NS10device_ptrIiEEPS6_PKS6_NS0_5tupleIJSC_S6_EEENSG_IJSD_SD_EEENS0_18inequality_wrapperINSA_8equal_toIiEEEEPmJS6_EEE10hipError_tPvRmT3_T4_T5_T6_T7_T9_mT8_P12ihipStream_tbDpT10_ENKUlT_T0_E_clISt17integral_constantIbLb1EES16_IbLb0EEEEDaS12_S13_EUlS12_E_NS1_11comp_targetILNS1_3genE8ELNS1_11target_archE1030ELNS1_3gpuE2ELNS1_3repE0EEENS1_30default_config_static_selectorELNS0_4arch9wavefront6targetE1EEEvT1_.has_indirect_call, 0
	.section	.AMDGPU.csdata,"",@progbits
; Kernel info:
; codeLenInByte = 0
; TotalNumSgprs: 4
; NumVgprs: 0
; ScratchSize: 0
; MemoryBound: 0
; FloatMode: 240
; IeeeMode: 1
; LDSByteSize: 0 bytes/workgroup (compile time only)
; SGPRBlocks: 0
; VGPRBlocks: 0
; NumSGPRsForWavesPerEU: 4
; NumVGPRsForWavesPerEU: 1
; Occupancy: 10
; WaveLimiterHint : 0
; COMPUTE_PGM_RSRC2:SCRATCH_EN: 0
; COMPUTE_PGM_RSRC2:USER_SGPR: 6
; COMPUTE_PGM_RSRC2:TRAP_HANDLER: 0
; COMPUTE_PGM_RSRC2:TGID_X_EN: 1
; COMPUTE_PGM_RSRC2:TGID_Y_EN: 0
; COMPUTE_PGM_RSRC2:TGID_Z_EN: 0
; COMPUTE_PGM_RSRC2:TIDIG_COMP_CNT: 0
	.section	.text._ZN7rocprim17ROCPRIM_400000_NS6detail17trampoline_kernelINS0_14default_configENS1_25partition_config_selectorILNS1_17partition_subalgoE8EiNS0_10empty_typeEbEEZZNS1_14partition_implILS5_8ELb0ES3_jN6thrust23THRUST_200600_302600_NS10device_ptrIiEEPS6_PKS6_NS0_5tupleIJSC_S6_EEENSG_IJSD_SD_EEENS0_18inequality_wrapperINSA_8equal_toIiEEEEPmJS6_EEE10hipError_tPvRmT3_T4_T5_T6_T7_T9_mT8_P12ihipStream_tbDpT10_ENKUlT_T0_E_clISt17integral_constantIbLb0EES16_IbLb1EEEEDaS12_S13_EUlS12_E_NS1_11comp_targetILNS1_3genE0ELNS1_11target_archE4294967295ELNS1_3gpuE0ELNS1_3repE0EEENS1_30default_config_static_selectorELNS0_4arch9wavefront6targetE1EEEvT1_,"axG",@progbits,_ZN7rocprim17ROCPRIM_400000_NS6detail17trampoline_kernelINS0_14default_configENS1_25partition_config_selectorILNS1_17partition_subalgoE8EiNS0_10empty_typeEbEEZZNS1_14partition_implILS5_8ELb0ES3_jN6thrust23THRUST_200600_302600_NS10device_ptrIiEEPS6_PKS6_NS0_5tupleIJSC_S6_EEENSG_IJSD_SD_EEENS0_18inequality_wrapperINSA_8equal_toIiEEEEPmJS6_EEE10hipError_tPvRmT3_T4_T5_T6_T7_T9_mT8_P12ihipStream_tbDpT10_ENKUlT_T0_E_clISt17integral_constantIbLb0EES16_IbLb1EEEEDaS12_S13_EUlS12_E_NS1_11comp_targetILNS1_3genE0ELNS1_11target_archE4294967295ELNS1_3gpuE0ELNS1_3repE0EEENS1_30default_config_static_selectorELNS0_4arch9wavefront6targetE1EEEvT1_,comdat
	.protected	_ZN7rocprim17ROCPRIM_400000_NS6detail17trampoline_kernelINS0_14default_configENS1_25partition_config_selectorILNS1_17partition_subalgoE8EiNS0_10empty_typeEbEEZZNS1_14partition_implILS5_8ELb0ES3_jN6thrust23THRUST_200600_302600_NS10device_ptrIiEEPS6_PKS6_NS0_5tupleIJSC_S6_EEENSG_IJSD_SD_EEENS0_18inequality_wrapperINSA_8equal_toIiEEEEPmJS6_EEE10hipError_tPvRmT3_T4_T5_T6_T7_T9_mT8_P12ihipStream_tbDpT10_ENKUlT_T0_E_clISt17integral_constantIbLb0EES16_IbLb1EEEEDaS12_S13_EUlS12_E_NS1_11comp_targetILNS1_3genE0ELNS1_11target_archE4294967295ELNS1_3gpuE0ELNS1_3repE0EEENS1_30default_config_static_selectorELNS0_4arch9wavefront6targetE1EEEvT1_ ; -- Begin function _ZN7rocprim17ROCPRIM_400000_NS6detail17trampoline_kernelINS0_14default_configENS1_25partition_config_selectorILNS1_17partition_subalgoE8EiNS0_10empty_typeEbEEZZNS1_14partition_implILS5_8ELb0ES3_jN6thrust23THRUST_200600_302600_NS10device_ptrIiEEPS6_PKS6_NS0_5tupleIJSC_S6_EEENSG_IJSD_SD_EEENS0_18inequality_wrapperINSA_8equal_toIiEEEEPmJS6_EEE10hipError_tPvRmT3_T4_T5_T6_T7_T9_mT8_P12ihipStream_tbDpT10_ENKUlT_T0_E_clISt17integral_constantIbLb0EES16_IbLb1EEEEDaS12_S13_EUlS12_E_NS1_11comp_targetILNS1_3genE0ELNS1_11target_archE4294967295ELNS1_3gpuE0ELNS1_3repE0EEENS1_30default_config_static_selectorELNS0_4arch9wavefront6targetE1EEEvT1_
	.globl	_ZN7rocprim17ROCPRIM_400000_NS6detail17trampoline_kernelINS0_14default_configENS1_25partition_config_selectorILNS1_17partition_subalgoE8EiNS0_10empty_typeEbEEZZNS1_14partition_implILS5_8ELb0ES3_jN6thrust23THRUST_200600_302600_NS10device_ptrIiEEPS6_PKS6_NS0_5tupleIJSC_S6_EEENSG_IJSD_SD_EEENS0_18inequality_wrapperINSA_8equal_toIiEEEEPmJS6_EEE10hipError_tPvRmT3_T4_T5_T6_T7_T9_mT8_P12ihipStream_tbDpT10_ENKUlT_T0_E_clISt17integral_constantIbLb0EES16_IbLb1EEEEDaS12_S13_EUlS12_E_NS1_11comp_targetILNS1_3genE0ELNS1_11target_archE4294967295ELNS1_3gpuE0ELNS1_3repE0EEENS1_30default_config_static_selectorELNS0_4arch9wavefront6targetE1EEEvT1_
	.p2align	8
	.type	_ZN7rocprim17ROCPRIM_400000_NS6detail17trampoline_kernelINS0_14default_configENS1_25partition_config_selectorILNS1_17partition_subalgoE8EiNS0_10empty_typeEbEEZZNS1_14partition_implILS5_8ELb0ES3_jN6thrust23THRUST_200600_302600_NS10device_ptrIiEEPS6_PKS6_NS0_5tupleIJSC_S6_EEENSG_IJSD_SD_EEENS0_18inequality_wrapperINSA_8equal_toIiEEEEPmJS6_EEE10hipError_tPvRmT3_T4_T5_T6_T7_T9_mT8_P12ihipStream_tbDpT10_ENKUlT_T0_E_clISt17integral_constantIbLb0EES16_IbLb1EEEEDaS12_S13_EUlS12_E_NS1_11comp_targetILNS1_3genE0ELNS1_11target_archE4294967295ELNS1_3gpuE0ELNS1_3repE0EEENS1_30default_config_static_selectorELNS0_4arch9wavefront6targetE1EEEvT1_,@function
_ZN7rocprim17ROCPRIM_400000_NS6detail17trampoline_kernelINS0_14default_configENS1_25partition_config_selectorILNS1_17partition_subalgoE8EiNS0_10empty_typeEbEEZZNS1_14partition_implILS5_8ELb0ES3_jN6thrust23THRUST_200600_302600_NS10device_ptrIiEEPS6_PKS6_NS0_5tupleIJSC_S6_EEENSG_IJSD_SD_EEENS0_18inequality_wrapperINSA_8equal_toIiEEEEPmJS6_EEE10hipError_tPvRmT3_T4_T5_T6_T7_T9_mT8_P12ihipStream_tbDpT10_ENKUlT_T0_E_clISt17integral_constantIbLb0EES16_IbLb1EEEEDaS12_S13_EUlS12_E_NS1_11comp_targetILNS1_3genE0ELNS1_11target_archE4294967295ELNS1_3gpuE0ELNS1_3repE0EEENS1_30default_config_static_selectorELNS0_4arch9wavefront6targetE1EEEvT1_: ; @_ZN7rocprim17ROCPRIM_400000_NS6detail17trampoline_kernelINS0_14default_configENS1_25partition_config_selectorILNS1_17partition_subalgoE8EiNS0_10empty_typeEbEEZZNS1_14partition_implILS5_8ELb0ES3_jN6thrust23THRUST_200600_302600_NS10device_ptrIiEEPS6_PKS6_NS0_5tupleIJSC_S6_EEENSG_IJSD_SD_EEENS0_18inequality_wrapperINSA_8equal_toIiEEEEPmJS6_EEE10hipError_tPvRmT3_T4_T5_T6_T7_T9_mT8_P12ihipStream_tbDpT10_ENKUlT_T0_E_clISt17integral_constantIbLb0EES16_IbLb1EEEEDaS12_S13_EUlS12_E_NS1_11comp_targetILNS1_3genE0ELNS1_11target_archE4294967295ELNS1_3gpuE0ELNS1_3repE0EEENS1_30default_config_static_selectorELNS0_4arch9wavefront6targetE1EEEvT1_
; %bb.0:
	.section	.rodata,"a",@progbits
	.p2align	6, 0x0
	.amdhsa_kernel _ZN7rocprim17ROCPRIM_400000_NS6detail17trampoline_kernelINS0_14default_configENS1_25partition_config_selectorILNS1_17partition_subalgoE8EiNS0_10empty_typeEbEEZZNS1_14partition_implILS5_8ELb0ES3_jN6thrust23THRUST_200600_302600_NS10device_ptrIiEEPS6_PKS6_NS0_5tupleIJSC_S6_EEENSG_IJSD_SD_EEENS0_18inequality_wrapperINSA_8equal_toIiEEEEPmJS6_EEE10hipError_tPvRmT3_T4_T5_T6_T7_T9_mT8_P12ihipStream_tbDpT10_ENKUlT_T0_E_clISt17integral_constantIbLb0EES16_IbLb1EEEEDaS12_S13_EUlS12_E_NS1_11comp_targetILNS1_3genE0ELNS1_11target_archE4294967295ELNS1_3gpuE0ELNS1_3repE0EEENS1_30default_config_static_selectorELNS0_4arch9wavefront6targetE1EEEvT1_
		.amdhsa_group_segment_fixed_size 0
		.amdhsa_private_segment_fixed_size 0
		.amdhsa_kernarg_size 128
		.amdhsa_user_sgpr_count 6
		.amdhsa_user_sgpr_private_segment_buffer 1
		.amdhsa_user_sgpr_dispatch_ptr 0
		.amdhsa_user_sgpr_queue_ptr 0
		.amdhsa_user_sgpr_kernarg_segment_ptr 1
		.amdhsa_user_sgpr_dispatch_id 0
		.amdhsa_user_sgpr_flat_scratch_init 0
		.amdhsa_user_sgpr_private_segment_size 0
		.amdhsa_uses_dynamic_stack 0
		.amdhsa_system_sgpr_private_segment_wavefront_offset 0
		.amdhsa_system_sgpr_workgroup_id_x 1
		.amdhsa_system_sgpr_workgroup_id_y 0
		.amdhsa_system_sgpr_workgroup_id_z 0
		.amdhsa_system_sgpr_workgroup_info 0
		.amdhsa_system_vgpr_workitem_id 0
		.amdhsa_next_free_vgpr 1
		.amdhsa_next_free_sgpr 0
		.amdhsa_reserve_vcc 0
		.amdhsa_reserve_flat_scratch 0
		.amdhsa_float_round_mode_32 0
		.amdhsa_float_round_mode_16_64 0
		.amdhsa_float_denorm_mode_32 3
		.amdhsa_float_denorm_mode_16_64 3
		.amdhsa_dx10_clamp 1
		.amdhsa_ieee_mode 1
		.amdhsa_fp16_overflow 0
		.amdhsa_exception_fp_ieee_invalid_op 0
		.amdhsa_exception_fp_denorm_src 0
		.amdhsa_exception_fp_ieee_div_zero 0
		.amdhsa_exception_fp_ieee_overflow 0
		.amdhsa_exception_fp_ieee_underflow 0
		.amdhsa_exception_fp_ieee_inexact 0
		.amdhsa_exception_int_div_zero 0
	.end_amdhsa_kernel
	.section	.text._ZN7rocprim17ROCPRIM_400000_NS6detail17trampoline_kernelINS0_14default_configENS1_25partition_config_selectorILNS1_17partition_subalgoE8EiNS0_10empty_typeEbEEZZNS1_14partition_implILS5_8ELb0ES3_jN6thrust23THRUST_200600_302600_NS10device_ptrIiEEPS6_PKS6_NS0_5tupleIJSC_S6_EEENSG_IJSD_SD_EEENS0_18inequality_wrapperINSA_8equal_toIiEEEEPmJS6_EEE10hipError_tPvRmT3_T4_T5_T6_T7_T9_mT8_P12ihipStream_tbDpT10_ENKUlT_T0_E_clISt17integral_constantIbLb0EES16_IbLb1EEEEDaS12_S13_EUlS12_E_NS1_11comp_targetILNS1_3genE0ELNS1_11target_archE4294967295ELNS1_3gpuE0ELNS1_3repE0EEENS1_30default_config_static_selectorELNS0_4arch9wavefront6targetE1EEEvT1_,"axG",@progbits,_ZN7rocprim17ROCPRIM_400000_NS6detail17trampoline_kernelINS0_14default_configENS1_25partition_config_selectorILNS1_17partition_subalgoE8EiNS0_10empty_typeEbEEZZNS1_14partition_implILS5_8ELb0ES3_jN6thrust23THRUST_200600_302600_NS10device_ptrIiEEPS6_PKS6_NS0_5tupleIJSC_S6_EEENSG_IJSD_SD_EEENS0_18inequality_wrapperINSA_8equal_toIiEEEEPmJS6_EEE10hipError_tPvRmT3_T4_T5_T6_T7_T9_mT8_P12ihipStream_tbDpT10_ENKUlT_T0_E_clISt17integral_constantIbLb0EES16_IbLb1EEEEDaS12_S13_EUlS12_E_NS1_11comp_targetILNS1_3genE0ELNS1_11target_archE4294967295ELNS1_3gpuE0ELNS1_3repE0EEENS1_30default_config_static_selectorELNS0_4arch9wavefront6targetE1EEEvT1_,comdat
.Lfunc_end1055:
	.size	_ZN7rocprim17ROCPRIM_400000_NS6detail17trampoline_kernelINS0_14default_configENS1_25partition_config_selectorILNS1_17partition_subalgoE8EiNS0_10empty_typeEbEEZZNS1_14partition_implILS5_8ELb0ES3_jN6thrust23THRUST_200600_302600_NS10device_ptrIiEEPS6_PKS6_NS0_5tupleIJSC_S6_EEENSG_IJSD_SD_EEENS0_18inequality_wrapperINSA_8equal_toIiEEEEPmJS6_EEE10hipError_tPvRmT3_T4_T5_T6_T7_T9_mT8_P12ihipStream_tbDpT10_ENKUlT_T0_E_clISt17integral_constantIbLb0EES16_IbLb1EEEEDaS12_S13_EUlS12_E_NS1_11comp_targetILNS1_3genE0ELNS1_11target_archE4294967295ELNS1_3gpuE0ELNS1_3repE0EEENS1_30default_config_static_selectorELNS0_4arch9wavefront6targetE1EEEvT1_, .Lfunc_end1055-_ZN7rocprim17ROCPRIM_400000_NS6detail17trampoline_kernelINS0_14default_configENS1_25partition_config_selectorILNS1_17partition_subalgoE8EiNS0_10empty_typeEbEEZZNS1_14partition_implILS5_8ELb0ES3_jN6thrust23THRUST_200600_302600_NS10device_ptrIiEEPS6_PKS6_NS0_5tupleIJSC_S6_EEENSG_IJSD_SD_EEENS0_18inequality_wrapperINSA_8equal_toIiEEEEPmJS6_EEE10hipError_tPvRmT3_T4_T5_T6_T7_T9_mT8_P12ihipStream_tbDpT10_ENKUlT_T0_E_clISt17integral_constantIbLb0EES16_IbLb1EEEEDaS12_S13_EUlS12_E_NS1_11comp_targetILNS1_3genE0ELNS1_11target_archE4294967295ELNS1_3gpuE0ELNS1_3repE0EEENS1_30default_config_static_selectorELNS0_4arch9wavefront6targetE1EEEvT1_
                                        ; -- End function
	.set _ZN7rocprim17ROCPRIM_400000_NS6detail17trampoline_kernelINS0_14default_configENS1_25partition_config_selectorILNS1_17partition_subalgoE8EiNS0_10empty_typeEbEEZZNS1_14partition_implILS5_8ELb0ES3_jN6thrust23THRUST_200600_302600_NS10device_ptrIiEEPS6_PKS6_NS0_5tupleIJSC_S6_EEENSG_IJSD_SD_EEENS0_18inequality_wrapperINSA_8equal_toIiEEEEPmJS6_EEE10hipError_tPvRmT3_T4_T5_T6_T7_T9_mT8_P12ihipStream_tbDpT10_ENKUlT_T0_E_clISt17integral_constantIbLb0EES16_IbLb1EEEEDaS12_S13_EUlS12_E_NS1_11comp_targetILNS1_3genE0ELNS1_11target_archE4294967295ELNS1_3gpuE0ELNS1_3repE0EEENS1_30default_config_static_selectorELNS0_4arch9wavefront6targetE1EEEvT1_.num_vgpr, 0
	.set _ZN7rocprim17ROCPRIM_400000_NS6detail17trampoline_kernelINS0_14default_configENS1_25partition_config_selectorILNS1_17partition_subalgoE8EiNS0_10empty_typeEbEEZZNS1_14partition_implILS5_8ELb0ES3_jN6thrust23THRUST_200600_302600_NS10device_ptrIiEEPS6_PKS6_NS0_5tupleIJSC_S6_EEENSG_IJSD_SD_EEENS0_18inequality_wrapperINSA_8equal_toIiEEEEPmJS6_EEE10hipError_tPvRmT3_T4_T5_T6_T7_T9_mT8_P12ihipStream_tbDpT10_ENKUlT_T0_E_clISt17integral_constantIbLb0EES16_IbLb1EEEEDaS12_S13_EUlS12_E_NS1_11comp_targetILNS1_3genE0ELNS1_11target_archE4294967295ELNS1_3gpuE0ELNS1_3repE0EEENS1_30default_config_static_selectorELNS0_4arch9wavefront6targetE1EEEvT1_.num_agpr, 0
	.set _ZN7rocprim17ROCPRIM_400000_NS6detail17trampoline_kernelINS0_14default_configENS1_25partition_config_selectorILNS1_17partition_subalgoE8EiNS0_10empty_typeEbEEZZNS1_14partition_implILS5_8ELb0ES3_jN6thrust23THRUST_200600_302600_NS10device_ptrIiEEPS6_PKS6_NS0_5tupleIJSC_S6_EEENSG_IJSD_SD_EEENS0_18inequality_wrapperINSA_8equal_toIiEEEEPmJS6_EEE10hipError_tPvRmT3_T4_T5_T6_T7_T9_mT8_P12ihipStream_tbDpT10_ENKUlT_T0_E_clISt17integral_constantIbLb0EES16_IbLb1EEEEDaS12_S13_EUlS12_E_NS1_11comp_targetILNS1_3genE0ELNS1_11target_archE4294967295ELNS1_3gpuE0ELNS1_3repE0EEENS1_30default_config_static_selectorELNS0_4arch9wavefront6targetE1EEEvT1_.numbered_sgpr, 0
	.set _ZN7rocprim17ROCPRIM_400000_NS6detail17trampoline_kernelINS0_14default_configENS1_25partition_config_selectorILNS1_17partition_subalgoE8EiNS0_10empty_typeEbEEZZNS1_14partition_implILS5_8ELb0ES3_jN6thrust23THRUST_200600_302600_NS10device_ptrIiEEPS6_PKS6_NS0_5tupleIJSC_S6_EEENSG_IJSD_SD_EEENS0_18inequality_wrapperINSA_8equal_toIiEEEEPmJS6_EEE10hipError_tPvRmT3_T4_T5_T6_T7_T9_mT8_P12ihipStream_tbDpT10_ENKUlT_T0_E_clISt17integral_constantIbLb0EES16_IbLb1EEEEDaS12_S13_EUlS12_E_NS1_11comp_targetILNS1_3genE0ELNS1_11target_archE4294967295ELNS1_3gpuE0ELNS1_3repE0EEENS1_30default_config_static_selectorELNS0_4arch9wavefront6targetE1EEEvT1_.num_named_barrier, 0
	.set _ZN7rocprim17ROCPRIM_400000_NS6detail17trampoline_kernelINS0_14default_configENS1_25partition_config_selectorILNS1_17partition_subalgoE8EiNS0_10empty_typeEbEEZZNS1_14partition_implILS5_8ELb0ES3_jN6thrust23THRUST_200600_302600_NS10device_ptrIiEEPS6_PKS6_NS0_5tupleIJSC_S6_EEENSG_IJSD_SD_EEENS0_18inequality_wrapperINSA_8equal_toIiEEEEPmJS6_EEE10hipError_tPvRmT3_T4_T5_T6_T7_T9_mT8_P12ihipStream_tbDpT10_ENKUlT_T0_E_clISt17integral_constantIbLb0EES16_IbLb1EEEEDaS12_S13_EUlS12_E_NS1_11comp_targetILNS1_3genE0ELNS1_11target_archE4294967295ELNS1_3gpuE0ELNS1_3repE0EEENS1_30default_config_static_selectorELNS0_4arch9wavefront6targetE1EEEvT1_.private_seg_size, 0
	.set _ZN7rocprim17ROCPRIM_400000_NS6detail17trampoline_kernelINS0_14default_configENS1_25partition_config_selectorILNS1_17partition_subalgoE8EiNS0_10empty_typeEbEEZZNS1_14partition_implILS5_8ELb0ES3_jN6thrust23THRUST_200600_302600_NS10device_ptrIiEEPS6_PKS6_NS0_5tupleIJSC_S6_EEENSG_IJSD_SD_EEENS0_18inequality_wrapperINSA_8equal_toIiEEEEPmJS6_EEE10hipError_tPvRmT3_T4_T5_T6_T7_T9_mT8_P12ihipStream_tbDpT10_ENKUlT_T0_E_clISt17integral_constantIbLb0EES16_IbLb1EEEEDaS12_S13_EUlS12_E_NS1_11comp_targetILNS1_3genE0ELNS1_11target_archE4294967295ELNS1_3gpuE0ELNS1_3repE0EEENS1_30default_config_static_selectorELNS0_4arch9wavefront6targetE1EEEvT1_.uses_vcc, 0
	.set _ZN7rocprim17ROCPRIM_400000_NS6detail17trampoline_kernelINS0_14default_configENS1_25partition_config_selectorILNS1_17partition_subalgoE8EiNS0_10empty_typeEbEEZZNS1_14partition_implILS5_8ELb0ES3_jN6thrust23THRUST_200600_302600_NS10device_ptrIiEEPS6_PKS6_NS0_5tupleIJSC_S6_EEENSG_IJSD_SD_EEENS0_18inequality_wrapperINSA_8equal_toIiEEEEPmJS6_EEE10hipError_tPvRmT3_T4_T5_T6_T7_T9_mT8_P12ihipStream_tbDpT10_ENKUlT_T0_E_clISt17integral_constantIbLb0EES16_IbLb1EEEEDaS12_S13_EUlS12_E_NS1_11comp_targetILNS1_3genE0ELNS1_11target_archE4294967295ELNS1_3gpuE0ELNS1_3repE0EEENS1_30default_config_static_selectorELNS0_4arch9wavefront6targetE1EEEvT1_.uses_flat_scratch, 0
	.set _ZN7rocprim17ROCPRIM_400000_NS6detail17trampoline_kernelINS0_14default_configENS1_25partition_config_selectorILNS1_17partition_subalgoE8EiNS0_10empty_typeEbEEZZNS1_14partition_implILS5_8ELb0ES3_jN6thrust23THRUST_200600_302600_NS10device_ptrIiEEPS6_PKS6_NS0_5tupleIJSC_S6_EEENSG_IJSD_SD_EEENS0_18inequality_wrapperINSA_8equal_toIiEEEEPmJS6_EEE10hipError_tPvRmT3_T4_T5_T6_T7_T9_mT8_P12ihipStream_tbDpT10_ENKUlT_T0_E_clISt17integral_constantIbLb0EES16_IbLb1EEEEDaS12_S13_EUlS12_E_NS1_11comp_targetILNS1_3genE0ELNS1_11target_archE4294967295ELNS1_3gpuE0ELNS1_3repE0EEENS1_30default_config_static_selectorELNS0_4arch9wavefront6targetE1EEEvT1_.has_dyn_sized_stack, 0
	.set _ZN7rocprim17ROCPRIM_400000_NS6detail17trampoline_kernelINS0_14default_configENS1_25partition_config_selectorILNS1_17partition_subalgoE8EiNS0_10empty_typeEbEEZZNS1_14partition_implILS5_8ELb0ES3_jN6thrust23THRUST_200600_302600_NS10device_ptrIiEEPS6_PKS6_NS0_5tupleIJSC_S6_EEENSG_IJSD_SD_EEENS0_18inequality_wrapperINSA_8equal_toIiEEEEPmJS6_EEE10hipError_tPvRmT3_T4_T5_T6_T7_T9_mT8_P12ihipStream_tbDpT10_ENKUlT_T0_E_clISt17integral_constantIbLb0EES16_IbLb1EEEEDaS12_S13_EUlS12_E_NS1_11comp_targetILNS1_3genE0ELNS1_11target_archE4294967295ELNS1_3gpuE0ELNS1_3repE0EEENS1_30default_config_static_selectorELNS0_4arch9wavefront6targetE1EEEvT1_.has_recursion, 0
	.set _ZN7rocprim17ROCPRIM_400000_NS6detail17trampoline_kernelINS0_14default_configENS1_25partition_config_selectorILNS1_17partition_subalgoE8EiNS0_10empty_typeEbEEZZNS1_14partition_implILS5_8ELb0ES3_jN6thrust23THRUST_200600_302600_NS10device_ptrIiEEPS6_PKS6_NS0_5tupleIJSC_S6_EEENSG_IJSD_SD_EEENS0_18inequality_wrapperINSA_8equal_toIiEEEEPmJS6_EEE10hipError_tPvRmT3_T4_T5_T6_T7_T9_mT8_P12ihipStream_tbDpT10_ENKUlT_T0_E_clISt17integral_constantIbLb0EES16_IbLb1EEEEDaS12_S13_EUlS12_E_NS1_11comp_targetILNS1_3genE0ELNS1_11target_archE4294967295ELNS1_3gpuE0ELNS1_3repE0EEENS1_30default_config_static_selectorELNS0_4arch9wavefront6targetE1EEEvT1_.has_indirect_call, 0
	.section	.AMDGPU.csdata,"",@progbits
; Kernel info:
; codeLenInByte = 0
; TotalNumSgprs: 4
; NumVgprs: 0
; ScratchSize: 0
; MemoryBound: 0
; FloatMode: 240
; IeeeMode: 1
; LDSByteSize: 0 bytes/workgroup (compile time only)
; SGPRBlocks: 0
; VGPRBlocks: 0
; NumSGPRsForWavesPerEU: 4
; NumVGPRsForWavesPerEU: 1
; Occupancy: 10
; WaveLimiterHint : 0
; COMPUTE_PGM_RSRC2:SCRATCH_EN: 0
; COMPUTE_PGM_RSRC2:USER_SGPR: 6
; COMPUTE_PGM_RSRC2:TRAP_HANDLER: 0
; COMPUTE_PGM_RSRC2:TGID_X_EN: 1
; COMPUTE_PGM_RSRC2:TGID_Y_EN: 0
; COMPUTE_PGM_RSRC2:TGID_Z_EN: 0
; COMPUTE_PGM_RSRC2:TIDIG_COMP_CNT: 0
	.section	.text._ZN7rocprim17ROCPRIM_400000_NS6detail17trampoline_kernelINS0_14default_configENS1_25partition_config_selectorILNS1_17partition_subalgoE8EiNS0_10empty_typeEbEEZZNS1_14partition_implILS5_8ELb0ES3_jN6thrust23THRUST_200600_302600_NS10device_ptrIiEEPS6_PKS6_NS0_5tupleIJSC_S6_EEENSG_IJSD_SD_EEENS0_18inequality_wrapperINSA_8equal_toIiEEEEPmJS6_EEE10hipError_tPvRmT3_T4_T5_T6_T7_T9_mT8_P12ihipStream_tbDpT10_ENKUlT_T0_E_clISt17integral_constantIbLb0EES16_IbLb1EEEEDaS12_S13_EUlS12_E_NS1_11comp_targetILNS1_3genE5ELNS1_11target_archE942ELNS1_3gpuE9ELNS1_3repE0EEENS1_30default_config_static_selectorELNS0_4arch9wavefront6targetE1EEEvT1_,"axG",@progbits,_ZN7rocprim17ROCPRIM_400000_NS6detail17trampoline_kernelINS0_14default_configENS1_25partition_config_selectorILNS1_17partition_subalgoE8EiNS0_10empty_typeEbEEZZNS1_14partition_implILS5_8ELb0ES3_jN6thrust23THRUST_200600_302600_NS10device_ptrIiEEPS6_PKS6_NS0_5tupleIJSC_S6_EEENSG_IJSD_SD_EEENS0_18inequality_wrapperINSA_8equal_toIiEEEEPmJS6_EEE10hipError_tPvRmT3_T4_T5_T6_T7_T9_mT8_P12ihipStream_tbDpT10_ENKUlT_T0_E_clISt17integral_constantIbLb0EES16_IbLb1EEEEDaS12_S13_EUlS12_E_NS1_11comp_targetILNS1_3genE5ELNS1_11target_archE942ELNS1_3gpuE9ELNS1_3repE0EEENS1_30default_config_static_selectorELNS0_4arch9wavefront6targetE1EEEvT1_,comdat
	.protected	_ZN7rocprim17ROCPRIM_400000_NS6detail17trampoline_kernelINS0_14default_configENS1_25partition_config_selectorILNS1_17partition_subalgoE8EiNS0_10empty_typeEbEEZZNS1_14partition_implILS5_8ELb0ES3_jN6thrust23THRUST_200600_302600_NS10device_ptrIiEEPS6_PKS6_NS0_5tupleIJSC_S6_EEENSG_IJSD_SD_EEENS0_18inequality_wrapperINSA_8equal_toIiEEEEPmJS6_EEE10hipError_tPvRmT3_T4_T5_T6_T7_T9_mT8_P12ihipStream_tbDpT10_ENKUlT_T0_E_clISt17integral_constantIbLb0EES16_IbLb1EEEEDaS12_S13_EUlS12_E_NS1_11comp_targetILNS1_3genE5ELNS1_11target_archE942ELNS1_3gpuE9ELNS1_3repE0EEENS1_30default_config_static_selectorELNS0_4arch9wavefront6targetE1EEEvT1_ ; -- Begin function _ZN7rocprim17ROCPRIM_400000_NS6detail17trampoline_kernelINS0_14default_configENS1_25partition_config_selectorILNS1_17partition_subalgoE8EiNS0_10empty_typeEbEEZZNS1_14partition_implILS5_8ELb0ES3_jN6thrust23THRUST_200600_302600_NS10device_ptrIiEEPS6_PKS6_NS0_5tupleIJSC_S6_EEENSG_IJSD_SD_EEENS0_18inequality_wrapperINSA_8equal_toIiEEEEPmJS6_EEE10hipError_tPvRmT3_T4_T5_T6_T7_T9_mT8_P12ihipStream_tbDpT10_ENKUlT_T0_E_clISt17integral_constantIbLb0EES16_IbLb1EEEEDaS12_S13_EUlS12_E_NS1_11comp_targetILNS1_3genE5ELNS1_11target_archE942ELNS1_3gpuE9ELNS1_3repE0EEENS1_30default_config_static_selectorELNS0_4arch9wavefront6targetE1EEEvT1_
	.globl	_ZN7rocprim17ROCPRIM_400000_NS6detail17trampoline_kernelINS0_14default_configENS1_25partition_config_selectorILNS1_17partition_subalgoE8EiNS0_10empty_typeEbEEZZNS1_14partition_implILS5_8ELb0ES3_jN6thrust23THRUST_200600_302600_NS10device_ptrIiEEPS6_PKS6_NS0_5tupleIJSC_S6_EEENSG_IJSD_SD_EEENS0_18inequality_wrapperINSA_8equal_toIiEEEEPmJS6_EEE10hipError_tPvRmT3_T4_T5_T6_T7_T9_mT8_P12ihipStream_tbDpT10_ENKUlT_T0_E_clISt17integral_constantIbLb0EES16_IbLb1EEEEDaS12_S13_EUlS12_E_NS1_11comp_targetILNS1_3genE5ELNS1_11target_archE942ELNS1_3gpuE9ELNS1_3repE0EEENS1_30default_config_static_selectorELNS0_4arch9wavefront6targetE1EEEvT1_
	.p2align	8
	.type	_ZN7rocprim17ROCPRIM_400000_NS6detail17trampoline_kernelINS0_14default_configENS1_25partition_config_selectorILNS1_17partition_subalgoE8EiNS0_10empty_typeEbEEZZNS1_14partition_implILS5_8ELb0ES3_jN6thrust23THRUST_200600_302600_NS10device_ptrIiEEPS6_PKS6_NS0_5tupleIJSC_S6_EEENSG_IJSD_SD_EEENS0_18inequality_wrapperINSA_8equal_toIiEEEEPmJS6_EEE10hipError_tPvRmT3_T4_T5_T6_T7_T9_mT8_P12ihipStream_tbDpT10_ENKUlT_T0_E_clISt17integral_constantIbLb0EES16_IbLb1EEEEDaS12_S13_EUlS12_E_NS1_11comp_targetILNS1_3genE5ELNS1_11target_archE942ELNS1_3gpuE9ELNS1_3repE0EEENS1_30default_config_static_selectorELNS0_4arch9wavefront6targetE1EEEvT1_,@function
_ZN7rocprim17ROCPRIM_400000_NS6detail17trampoline_kernelINS0_14default_configENS1_25partition_config_selectorILNS1_17partition_subalgoE8EiNS0_10empty_typeEbEEZZNS1_14partition_implILS5_8ELb0ES3_jN6thrust23THRUST_200600_302600_NS10device_ptrIiEEPS6_PKS6_NS0_5tupleIJSC_S6_EEENSG_IJSD_SD_EEENS0_18inequality_wrapperINSA_8equal_toIiEEEEPmJS6_EEE10hipError_tPvRmT3_T4_T5_T6_T7_T9_mT8_P12ihipStream_tbDpT10_ENKUlT_T0_E_clISt17integral_constantIbLb0EES16_IbLb1EEEEDaS12_S13_EUlS12_E_NS1_11comp_targetILNS1_3genE5ELNS1_11target_archE942ELNS1_3gpuE9ELNS1_3repE0EEENS1_30default_config_static_selectorELNS0_4arch9wavefront6targetE1EEEvT1_: ; @_ZN7rocprim17ROCPRIM_400000_NS6detail17trampoline_kernelINS0_14default_configENS1_25partition_config_selectorILNS1_17partition_subalgoE8EiNS0_10empty_typeEbEEZZNS1_14partition_implILS5_8ELb0ES3_jN6thrust23THRUST_200600_302600_NS10device_ptrIiEEPS6_PKS6_NS0_5tupleIJSC_S6_EEENSG_IJSD_SD_EEENS0_18inequality_wrapperINSA_8equal_toIiEEEEPmJS6_EEE10hipError_tPvRmT3_T4_T5_T6_T7_T9_mT8_P12ihipStream_tbDpT10_ENKUlT_T0_E_clISt17integral_constantIbLb0EES16_IbLb1EEEEDaS12_S13_EUlS12_E_NS1_11comp_targetILNS1_3genE5ELNS1_11target_archE942ELNS1_3gpuE9ELNS1_3repE0EEENS1_30default_config_static_selectorELNS0_4arch9wavefront6targetE1EEEvT1_
; %bb.0:
	.section	.rodata,"a",@progbits
	.p2align	6, 0x0
	.amdhsa_kernel _ZN7rocprim17ROCPRIM_400000_NS6detail17trampoline_kernelINS0_14default_configENS1_25partition_config_selectorILNS1_17partition_subalgoE8EiNS0_10empty_typeEbEEZZNS1_14partition_implILS5_8ELb0ES3_jN6thrust23THRUST_200600_302600_NS10device_ptrIiEEPS6_PKS6_NS0_5tupleIJSC_S6_EEENSG_IJSD_SD_EEENS0_18inequality_wrapperINSA_8equal_toIiEEEEPmJS6_EEE10hipError_tPvRmT3_T4_T5_T6_T7_T9_mT8_P12ihipStream_tbDpT10_ENKUlT_T0_E_clISt17integral_constantIbLb0EES16_IbLb1EEEEDaS12_S13_EUlS12_E_NS1_11comp_targetILNS1_3genE5ELNS1_11target_archE942ELNS1_3gpuE9ELNS1_3repE0EEENS1_30default_config_static_selectorELNS0_4arch9wavefront6targetE1EEEvT1_
		.amdhsa_group_segment_fixed_size 0
		.amdhsa_private_segment_fixed_size 0
		.amdhsa_kernarg_size 128
		.amdhsa_user_sgpr_count 6
		.amdhsa_user_sgpr_private_segment_buffer 1
		.amdhsa_user_sgpr_dispatch_ptr 0
		.amdhsa_user_sgpr_queue_ptr 0
		.amdhsa_user_sgpr_kernarg_segment_ptr 1
		.amdhsa_user_sgpr_dispatch_id 0
		.amdhsa_user_sgpr_flat_scratch_init 0
		.amdhsa_user_sgpr_private_segment_size 0
		.amdhsa_uses_dynamic_stack 0
		.amdhsa_system_sgpr_private_segment_wavefront_offset 0
		.amdhsa_system_sgpr_workgroup_id_x 1
		.amdhsa_system_sgpr_workgroup_id_y 0
		.amdhsa_system_sgpr_workgroup_id_z 0
		.amdhsa_system_sgpr_workgroup_info 0
		.amdhsa_system_vgpr_workitem_id 0
		.amdhsa_next_free_vgpr 1
		.amdhsa_next_free_sgpr 0
		.amdhsa_reserve_vcc 0
		.amdhsa_reserve_flat_scratch 0
		.amdhsa_float_round_mode_32 0
		.amdhsa_float_round_mode_16_64 0
		.amdhsa_float_denorm_mode_32 3
		.amdhsa_float_denorm_mode_16_64 3
		.amdhsa_dx10_clamp 1
		.amdhsa_ieee_mode 1
		.amdhsa_fp16_overflow 0
		.amdhsa_exception_fp_ieee_invalid_op 0
		.amdhsa_exception_fp_denorm_src 0
		.amdhsa_exception_fp_ieee_div_zero 0
		.amdhsa_exception_fp_ieee_overflow 0
		.amdhsa_exception_fp_ieee_underflow 0
		.amdhsa_exception_fp_ieee_inexact 0
		.amdhsa_exception_int_div_zero 0
	.end_amdhsa_kernel
	.section	.text._ZN7rocprim17ROCPRIM_400000_NS6detail17trampoline_kernelINS0_14default_configENS1_25partition_config_selectorILNS1_17partition_subalgoE8EiNS0_10empty_typeEbEEZZNS1_14partition_implILS5_8ELb0ES3_jN6thrust23THRUST_200600_302600_NS10device_ptrIiEEPS6_PKS6_NS0_5tupleIJSC_S6_EEENSG_IJSD_SD_EEENS0_18inequality_wrapperINSA_8equal_toIiEEEEPmJS6_EEE10hipError_tPvRmT3_T4_T5_T6_T7_T9_mT8_P12ihipStream_tbDpT10_ENKUlT_T0_E_clISt17integral_constantIbLb0EES16_IbLb1EEEEDaS12_S13_EUlS12_E_NS1_11comp_targetILNS1_3genE5ELNS1_11target_archE942ELNS1_3gpuE9ELNS1_3repE0EEENS1_30default_config_static_selectorELNS0_4arch9wavefront6targetE1EEEvT1_,"axG",@progbits,_ZN7rocprim17ROCPRIM_400000_NS6detail17trampoline_kernelINS0_14default_configENS1_25partition_config_selectorILNS1_17partition_subalgoE8EiNS0_10empty_typeEbEEZZNS1_14partition_implILS5_8ELb0ES3_jN6thrust23THRUST_200600_302600_NS10device_ptrIiEEPS6_PKS6_NS0_5tupleIJSC_S6_EEENSG_IJSD_SD_EEENS0_18inequality_wrapperINSA_8equal_toIiEEEEPmJS6_EEE10hipError_tPvRmT3_T4_T5_T6_T7_T9_mT8_P12ihipStream_tbDpT10_ENKUlT_T0_E_clISt17integral_constantIbLb0EES16_IbLb1EEEEDaS12_S13_EUlS12_E_NS1_11comp_targetILNS1_3genE5ELNS1_11target_archE942ELNS1_3gpuE9ELNS1_3repE0EEENS1_30default_config_static_selectorELNS0_4arch9wavefront6targetE1EEEvT1_,comdat
.Lfunc_end1056:
	.size	_ZN7rocprim17ROCPRIM_400000_NS6detail17trampoline_kernelINS0_14default_configENS1_25partition_config_selectorILNS1_17partition_subalgoE8EiNS0_10empty_typeEbEEZZNS1_14partition_implILS5_8ELb0ES3_jN6thrust23THRUST_200600_302600_NS10device_ptrIiEEPS6_PKS6_NS0_5tupleIJSC_S6_EEENSG_IJSD_SD_EEENS0_18inequality_wrapperINSA_8equal_toIiEEEEPmJS6_EEE10hipError_tPvRmT3_T4_T5_T6_T7_T9_mT8_P12ihipStream_tbDpT10_ENKUlT_T0_E_clISt17integral_constantIbLb0EES16_IbLb1EEEEDaS12_S13_EUlS12_E_NS1_11comp_targetILNS1_3genE5ELNS1_11target_archE942ELNS1_3gpuE9ELNS1_3repE0EEENS1_30default_config_static_selectorELNS0_4arch9wavefront6targetE1EEEvT1_, .Lfunc_end1056-_ZN7rocprim17ROCPRIM_400000_NS6detail17trampoline_kernelINS0_14default_configENS1_25partition_config_selectorILNS1_17partition_subalgoE8EiNS0_10empty_typeEbEEZZNS1_14partition_implILS5_8ELb0ES3_jN6thrust23THRUST_200600_302600_NS10device_ptrIiEEPS6_PKS6_NS0_5tupleIJSC_S6_EEENSG_IJSD_SD_EEENS0_18inequality_wrapperINSA_8equal_toIiEEEEPmJS6_EEE10hipError_tPvRmT3_T4_T5_T6_T7_T9_mT8_P12ihipStream_tbDpT10_ENKUlT_T0_E_clISt17integral_constantIbLb0EES16_IbLb1EEEEDaS12_S13_EUlS12_E_NS1_11comp_targetILNS1_3genE5ELNS1_11target_archE942ELNS1_3gpuE9ELNS1_3repE0EEENS1_30default_config_static_selectorELNS0_4arch9wavefront6targetE1EEEvT1_
                                        ; -- End function
	.set _ZN7rocprim17ROCPRIM_400000_NS6detail17trampoline_kernelINS0_14default_configENS1_25partition_config_selectorILNS1_17partition_subalgoE8EiNS0_10empty_typeEbEEZZNS1_14partition_implILS5_8ELb0ES3_jN6thrust23THRUST_200600_302600_NS10device_ptrIiEEPS6_PKS6_NS0_5tupleIJSC_S6_EEENSG_IJSD_SD_EEENS0_18inequality_wrapperINSA_8equal_toIiEEEEPmJS6_EEE10hipError_tPvRmT3_T4_T5_T6_T7_T9_mT8_P12ihipStream_tbDpT10_ENKUlT_T0_E_clISt17integral_constantIbLb0EES16_IbLb1EEEEDaS12_S13_EUlS12_E_NS1_11comp_targetILNS1_3genE5ELNS1_11target_archE942ELNS1_3gpuE9ELNS1_3repE0EEENS1_30default_config_static_selectorELNS0_4arch9wavefront6targetE1EEEvT1_.num_vgpr, 0
	.set _ZN7rocprim17ROCPRIM_400000_NS6detail17trampoline_kernelINS0_14default_configENS1_25partition_config_selectorILNS1_17partition_subalgoE8EiNS0_10empty_typeEbEEZZNS1_14partition_implILS5_8ELb0ES3_jN6thrust23THRUST_200600_302600_NS10device_ptrIiEEPS6_PKS6_NS0_5tupleIJSC_S6_EEENSG_IJSD_SD_EEENS0_18inequality_wrapperINSA_8equal_toIiEEEEPmJS6_EEE10hipError_tPvRmT3_T4_T5_T6_T7_T9_mT8_P12ihipStream_tbDpT10_ENKUlT_T0_E_clISt17integral_constantIbLb0EES16_IbLb1EEEEDaS12_S13_EUlS12_E_NS1_11comp_targetILNS1_3genE5ELNS1_11target_archE942ELNS1_3gpuE9ELNS1_3repE0EEENS1_30default_config_static_selectorELNS0_4arch9wavefront6targetE1EEEvT1_.num_agpr, 0
	.set _ZN7rocprim17ROCPRIM_400000_NS6detail17trampoline_kernelINS0_14default_configENS1_25partition_config_selectorILNS1_17partition_subalgoE8EiNS0_10empty_typeEbEEZZNS1_14partition_implILS5_8ELb0ES3_jN6thrust23THRUST_200600_302600_NS10device_ptrIiEEPS6_PKS6_NS0_5tupleIJSC_S6_EEENSG_IJSD_SD_EEENS0_18inequality_wrapperINSA_8equal_toIiEEEEPmJS6_EEE10hipError_tPvRmT3_T4_T5_T6_T7_T9_mT8_P12ihipStream_tbDpT10_ENKUlT_T0_E_clISt17integral_constantIbLb0EES16_IbLb1EEEEDaS12_S13_EUlS12_E_NS1_11comp_targetILNS1_3genE5ELNS1_11target_archE942ELNS1_3gpuE9ELNS1_3repE0EEENS1_30default_config_static_selectorELNS0_4arch9wavefront6targetE1EEEvT1_.numbered_sgpr, 0
	.set _ZN7rocprim17ROCPRIM_400000_NS6detail17trampoline_kernelINS0_14default_configENS1_25partition_config_selectorILNS1_17partition_subalgoE8EiNS0_10empty_typeEbEEZZNS1_14partition_implILS5_8ELb0ES3_jN6thrust23THRUST_200600_302600_NS10device_ptrIiEEPS6_PKS6_NS0_5tupleIJSC_S6_EEENSG_IJSD_SD_EEENS0_18inequality_wrapperINSA_8equal_toIiEEEEPmJS6_EEE10hipError_tPvRmT3_T4_T5_T6_T7_T9_mT8_P12ihipStream_tbDpT10_ENKUlT_T0_E_clISt17integral_constantIbLb0EES16_IbLb1EEEEDaS12_S13_EUlS12_E_NS1_11comp_targetILNS1_3genE5ELNS1_11target_archE942ELNS1_3gpuE9ELNS1_3repE0EEENS1_30default_config_static_selectorELNS0_4arch9wavefront6targetE1EEEvT1_.num_named_barrier, 0
	.set _ZN7rocprim17ROCPRIM_400000_NS6detail17trampoline_kernelINS0_14default_configENS1_25partition_config_selectorILNS1_17partition_subalgoE8EiNS0_10empty_typeEbEEZZNS1_14partition_implILS5_8ELb0ES3_jN6thrust23THRUST_200600_302600_NS10device_ptrIiEEPS6_PKS6_NS0_5tupleIJSC_S6_EEENSG_IJSD_SD_EEENS0_18inequality_wrapperINSA_8equal_toIiEEEEPmJS6_EEE10hipError_tPvRmT3_T4_T5_T6_T7_T9_mT8_P12ihipStream_tbDpT10_ENKUlT_T0_E_clISt17integral_constantIbLb0EES16_IbLb1EEEEDaS12_S13_EUlS12_E_NS1_11comp_targetILNS1_3genE5ELNS1_11target_archE942ELNS1_3gpuE9ELNS1_3repE0EEENS1_30default_config_static_selectorELNS0_4arch9wavefront6targetE1EEEvT1_.private_seg_size, 0
	.set _ZN7rocprim17ROCPRIM_400000_NS6detail17trampoline_kernelINS0_14default_configENS1_25partition_config_selectorILNS1_17partition_subalgoE8EiNS0_10empty_typeEbEEZZNS1_14partition_implILS5_8ELb0ES3_jN6thrust23THRUST_200600_302600_NS10device_ptrIiEEPS6_PKS6_NS0_5tupleIJSC_S6_EEENSG_IJSD_SD_EEENS0_18inequality_wrapperINSA_8equal_toIiEEEEPmJS6_EEE10hipError_tPvRmT3_T4_T5_T6_T7_T9_mT8_P12ihipStream_tbDpT10_ENKUlT_T0_E_clISt17integral_constantIbLb0EES16_IbLb1EEEEDaS12_S13_EUlS12_E_NS1_11comp_targetILNS1_3genE5ELNS1_11target_archE942ELNS1_3gpuE9ELNS1_3repE0EEENS1_30default_config_static_selectorELNS0_4arch9wavefront6targetE1EEEvT1_.uses_vcc, 0
	.set _ZN7rocprim17ROCPRIM_400000_NS6detail17trampoline_kernelINS0_14default_configENS1_25partition_config_selectorILNS1_17partition_subalgoE8EiNS0_10empty_typeEbEEZZNS1_14partition_implILS5_8ELb0ES3_jN6thrust23THRUST_200600_302600_NS10device_ptrIiEEPS6_PKS6_NS0_5tupleIJSC_S6_EEENSG_IJSD_SD_EEENS0_18inequality_wrapperINSA_8equal_toIiEEEEPmJS6_EEE10hipError_tPvRmT3_T4_T5_T6_T7_T9_mT8_P12ihipStream_tbDpT10_ENKUlT_T0_E_clISt17integral_constantIbLb0EES16_IbLb1EEEEDaS12_S13_EUlS12_E_NS1_11comp_targetILNS1_3genE5ELNS1_11target_archE942ELNS1_3gpuE9ELNS1_3repE0EEENS1_30default_config_static_selectorELNS0_4arch9wavefront6targetE1EEEvT1_.uses_flat_scratch, 0
	.set _ZN7rocprim17ROCPRIM_400000_NS6detail17trampoline_kernelINS0_14default_configENS1_25partition_config_selectorILNS1_17partition_subalgoE8EiNS0_10empty_typeEbEEZZNS1_14partition_implILS5_8ELb0ES3_jN6thrust23THRUST_200600_302600_NS10device_ptrIiEEPS6_PKS6_NS0_5tupleIJSC_S6_EEENSG_IJSD_SD_EEENS0_18inequality_wrapperINSA_8equal_toIiEEEEPmJS6_EEE10hipError_tPvRmT3_T4_T5_T6_T7_T9_mT8_P12ihipStream_tbDpT10_ENKUlT_T0_E_clISt17integral_constantIbLb0EES16_IbLb1EEEEDaS12_S13_EUlS12_E_NS1_11comp_targetILNS1_3genE5ELNS1_11target_archE942ELNS1_3gpuE9ELNS1_3repE0EEENS1_30default_config_static_selectorELNS0_4arch9wavefront6targetE1EEEvT1_.has_dyn_sized_stack, 0
	.set _ZN7rocprim17ROCPRIM_400000_NS6detail17trampoline_kernelINS0_14default_configENS1_25partition_config_selectorILNS1_17partition_subalgoE8EiNS0_10empty_typeEbEEZZNS1_14partition_implILS5_8ELb0ES3_jN6thrust23THRUST_200600_302600_NS10device_ptrIiEEPS6_PKS6_NS0_5tupleIJSC_S6_EEENSG_IJSD_SD_EEENS0_18inequality_wrapperINSA_8equal_toIiEEEEPmJS6_EEE10hipError_tPvRmT3_T4_T5_T6_T7_T9_mT8_P12ihipStream_tbDpT10_ENKUlT_T0_E_clISt17integral_constantIbLb0EES16_IbLb1EEEEDaS12_S13_EUlS12_E_NS1_11comp_targetILNS1_3genE5ELNS1_11target_archE942ELNS1_3gpuE9ELNS1_3repE0EEENS1_30default_config_static_selectorELNS0_4arch9wavefront6targetE1EEEvT1_.has_recursion, 0
	.set _ZN7rocprim17ROCPRIM_400000_NS6detail17trampoline_kernelINS0_14default_configENS1_25partition_config_selectorILNS1_17partition_subalgoE8EiNS0_10empty_typeEbEEZZNS1_14partition_implILS5_8ELb0ES3_jN6thrust23THRUST_200600_302600_NS10device_ptrIiEEPS6_PKS6_NS0_5tupleIJSC_S6_EEENSG_IJSD_SD_EEENS0_18inequality_wrapperINSA_8equal_toIiEEEEPmJS6_EEE10hipError_tPvRmT3_T4_T5_T6_T7_T9_mT8_P12ihipStream_tbDpT10_ENKUlT_T0_E_clISt17integral_constantIbLb0EES16_IbLb1EEEEDaS12_S13_EUlS12_E_NS1_11comp_targetILNS1_3genE5ELNS1_11target_archE942ELNS1_3gpuE9ELNS1_3repE0EEENS1_30default_config_static_selectorELNS0_4arch9wavefront6targetE1EEEvT1_.has_indirect_call, 0
	.section	.AMDGPU.csdata,"",@progbits
; Kernel info:
; codeLenInByte = 0
; TotalNumSgprs: 4
; NumVgprs: 0
; ScratchSize: 0
; MemoryBound: 0
; FloatMode: 240
; IeeeMode: 1
; LDSByteSize: 0 bytes/workgroup (compile time only)
; SGPRBlocks: 0
; VGPRBlocks: 0
; NumSGPRsForWavesPerEU: 4
; NumVGPRsForWavesPerEU: 1
; Occupancy: 10
; WaveLimiterHint : 0
; COMPUTE_PGM_RSRC2:SCRATCH_EN: 0
; COMPUTE_PGM_RSRC2:USER_SGPR: 6
; COMPUTE_PGM_RSRC2:TRAP_HANDLER: 0
; COMPUTE_PGM_RSRC2:TGID_X_EN: 1
; COMPUTE_PGM_RSRC2:TGID_Y_EN: 0
; COMPUTE_PGM_RSRC2:TGID_Z_EN: 0
; COMPUTE_PGM_RSRC2:TIDIG_COMP_CNT: 0
	.section	.text._ZN7rocprim17ROCPRIM_400000_NS6detail17trampoline_kernelINS0_14default_configENS1_25partition_config_selectorILNS1_17partition_subalgoE8EiNS0_10empty_typeEbEEZZNS1_14partition_implILS5_8ELb0ES3_jN6thrust23THRUST_200600_302600_NS10device_ptrIiEEPS6_PKS6_NS0_5tupleIJSC_S6_EEENSG_IJSD_SD_EEENS0_18inequality_wrapperINSA_8equal_toIiEEEEPmJS6_EEE10hipError_tPvRmT3_T4_T5_T6_T7_T9_mT8_P12ihipStream_tbDpT10_ENKUlT_T0_E_clISt17integral_constantIbLb0EES16_IbLb1EEEEDaS12_S13_EUlS12_E_NS1_11comp_targetILNS1_3genE4ELNS1_11target_archE910ELNS1_3gpuE8ELNS1_3repE0EEENS1_30default_config_static_selectorELNS0_4arch9wavefront6targetE1EEEvT1_,"axG",@progbits,_ZN7rocprim17ROCPRIM_400000_NS6detail17trampoline_kernelINS0_14default_configENS1_25partition_config_selectorILNS1_17partition_subalgoE8EiNS0_10empty_typeEbEEZZNS1_14partition_implILS5_8ELb0ES3_jN6thrust23THRUST_200600_302600_NS10device_ptrIiEEPS6_PKS6_NS0_5tupleIJSC_S6_EEENSG_IJSD_SD_EEENS0_18inequality_wrapperINSA_8equal_toIiEEEEPmJS6_EEE10hipError_tPvRmT3_T4_T5_T6_T7_T9_mT8_P12ihipStream_tbDpT10_ENKUlT_T0_E_clISt17integral_constantIbLb0EES16_IbLb1EEEEDaS12_S13_EUlS12_E_NS1_11comp_targetILNS1_3genE4ELNS1_11target_archE910ELNS1_3gpuE8ELNS1_3repE0EEENS1_30default_config_static_selectorELNS0_4arch9wavefront6targetE1EEEvT1_,comdat
	.protected	_ZN7rocprim17ROCPRIM_400000_NS6detail17trampoline_kernelINS0_14default_configENS1_25partition_config_selectorILNS1_17partition_subalgoE8EiNS0_10empty_typeEbEEZZNS1_14partition_implILS5_8ELb0ES3_jN6thrust23THRUST_200600_302600_NS10device_ptrIiEEPS6_PKS6_NS0_5tupleIJSC_S6_EEENSG_IJSD_SD_EEENS0_18inequality_wrapperINSA_8equal_toIiEEEEPmJS6_EEE10hipError_tPvRmT3_T4_T5_T6_T7_T9_mT8_P12ihipStream_tbDpT10_ENKUlT_T0_E_clISt17integral_constantIbLb0EES16_IbLb1EEEEDaS12_S13_EUlS12_E_NS1_11comp_targetILNS1_3genE4ELNS1_11target_archE910ELNS1_3gpuE8ELNS1_3repE0EEENS1_30default_config_static_selectorELNS0_4arch9wavefront6targetE1EEEvT1_ ; -- Begin function _ZN7rocprim17ROCPRIM_400000_NS6detail17trampoline_kernelINS0_14default_configENS1_25partition_config_selectorILNS1_17partition_subalgoE8EiNS0_10empty_typeEbEEZZNS1_14partition_implILS5_8ELb0ES3_jN6thrust23THRUST_200600_302600_NS10device_ptrIiEEPS6_PKS6_NS0_5tupleIJSC_S6_EEENSG_IJSD_SD_EEENS0_18inequality_wrapperINSA_8equal_toIiEEEEPmJS6_EEE10hipError_tPvRmT3_T4_T5_T6_T7_T9_mT8_P12ihipStream_tbDpT10_ENKUlT_T0_E_clISt17integral_constantIbLb0EES16_IbLb1EEEEDaS12_S13_EUlS12_E_NS1_11comp_targetILNS1_3genE4ELNS1_11target_archE910ELNS1_3gpuE8ELNS1_3repE0EEENS1_30default_config_static_selectorELNS0_4arch9wavefront6targetE1EEEvT1_
	.globl	_ZN7rocprim17ROCPRIM_400000_NS6detail17trampoline_kernelINS0_14default_configENS1_25partition_config_selectorILNS1_17partition_subalgoE8EiNS0_10empty_typeEbEEZZNS1_14partition_implILS5_8ELb0ES3_jN6thrust23THRUST_200600_302600_NS10device_ptrIiEEPS6_PKS6_NS0_5tupleIJSC_S6_EEENSG_IJSD_SD_EEENS0_18inequality_wrapperINSA_8equal_toIiEEEEPmJS6_EEE10hipError_tPvRmT3_T4_T5_T6_T7_T9_mT8_P12ihipStream_tbDpT10_ENKUlT_T0_E_clISt17integral_constantIbLb0EES16_IbLb1EEEEDaS12_S13_EUlS12_E_NS1_11comp_targetILNS1_3genE4ELNS1_11target_archE910ELNS1_3gpuE8ELNS1_3repE0EEENS1_30default_config_static_selectorELNS0_4arch9wavefront6targetE1EEEvT1_
	.p2align	8
	.type	_ZN7rocprim17ROCPRIM_400000_NS6detail17trampoline_kernelINS0_14default_configENS1_25partition_config_selectorILNS1_17partition_subalgoE8EiNS0_10empty_typeEbEEZZNS1_14partition_implILS5_8ELb0ES3_jN6thrust23THRUST_200600_302600_NS10device_ptrIiEEPS6_PKS6_NS0_5tupleIJSC_S6_EEENSG_IJSD_SD_EEENS0_18inequality_wrapperINSA_8equal_toIiEEEEPmJS6_EEE10hipError_tPvRmT3_T4_T5_T6_T7_T9_mT8_P12ihipStream_tbDpT10_ENKUlT_T0_E_clISt17integral_constantIbLb0EES16_IbLb1EEEEDaS12_S13_EUlS12_E_NS1_11comp_targetILNS1_3genE4ELNS1_11target_archE910ELNS1_3gpuE8ELNS1_3repE0EEENS1_30default_config_static_selectorELNS0_4arch9wavefront6targetE1EEEvT1_,@function
_ZN7rocprim17ROCPRIM_400000_NS6detail17trampoline_kernelINS0_14default_configENS1_25partition_config_selectorILNS1_17partition_subalgoE8EiNS0_10empty_typeEbEEZZNS1_14partition_implILS5_8ELb0ES3_jN6thrust23THRUST_200600_302600_NS10device_ptrIiEEPS6_PKS6_NS0_5tupleIJSC_S6_EEENSG_IJSD_SD_EEENS0_18inequality_wrapperINSA_8equal_toIiEEEEPmJS6_EEE10hipError_tPvRmT3_T4_T5_T6_T7_T9_mT8_P12ihipStream_tbDpT10_ENKUlT_T0_E_clISt17integral_constantIbLb0EES16_IbLb1EEEEDaS12_S13_EUlS12_E_NS1_11comp_targetILNS1_3genE4ELNS1_11target_archE910ELNS1_3gpuE8ELNS1_3repE0EEENS1_30default_config_static_selectorELNS0_4arch9wavefront6targetE1EEEvT1_: ; @_ZN7rocprim17ROCPRIM_400000_NS6detail17trampoline_kernelINS0_14default_configENS1_25partition_config_selectorILNS1_17partition_subalgoE8EiNS0_10empty_typeEbEEZZNS1_14partition_implILS5_8ELb0ES3_jN6thrust23THRUST_200600_302600_NS10device_ptrIiEEPS6_PKS6_NS0_5tupleIJSC_S6_EEENSG_IJSD_SD_EEENS0_18inequality_wrapperINSA_8equal_toIiEEEEPmJS6_EEE10hipError_tPvRmT3_T4_T5_T6_T7_T9_mT8_P12ihipStream_tbDpT10_ENKUlT_T0_E_clISt17integral_constantIbLb0EES16_IbLb1EEEEDaS12_S13_EUlS12_E_NS1_11comp_targetILNS1_3genE4ELNS1_11target_archE910ELNS1_3gpuE8ELNS1_3repE0EEENS1_30default_config_static_selectorELNS0_4arch9wavefront6targetE1EEEvT1_
; %bb.0:
	.section	.rodata,"a",@progbits
	.p2align	6, 0x0
	.amdhsa_kernel _ZN7rocprim17ROCPRIM_400000_NS6detail17trampoline_kernelINS0_14default_configENS1_25partition_config_selectorILNS1_17partition_subalgoE8EiNS0_10empty_typeEbEEZZNS1_14partition_implILS5_8ELb0ES3_jN6thrust23THRUST_200600_302600_NS10device_ptrIiEEPS6_PKS6_NS0_5tupleIJSC_S6_EEENSG_IJSD_SD_EEENS0_18inequality_wrapperINSA_8equal_toIiEEEEPmJS6_EEE10hipError_tPvRmT3_T4_T5_T6_T7_T9_mT8_P12ihipStream_tbDpT10_ENKUlT_T0_E_clISt17integral_constantIbLb0EES16_IbLb1EEEEDaS12_S13_EUlS12_E_NS1_11comp_targetILNS1_3genE4ELNS1_11target_archE910ELNS1_3gpuE8ELNS1_3repE0EEENS1_30default_config_static_selectorELNS0_4arch9wavefront6targetE1EEEvT1_
		.amdhsa_group_segment_fixed_size 0
		.amdhsa_private_segment_fixed_size 0
		.amdhsa_kernarg_size 128
		.amdhsa_user_sgpr_count 6
		.amdhsa_user_sgpr_private_segment_buffer 1
		.amdhsa_user_sgpr_dispatch_ptr 0
		.amdhsa_user_sgpr_queue_ptr 0
		.amdhsa_user_sgpr_kernarg_segment_ptr 1
		.amdhsa_user_sgpr_dispatch_id 0
		.amdhsa_user_sgpr_flat_scratch_init 0
		.amdhsa_user_sgpr_private_segment_size 0
		.amdhsa_uses_dynamic_stack 0
		.amdhsa_system_sgpr_private_segment_wavefront_offset 0
		.amdhsa_system_sgpr_workgroup_id_x 1
		.amdhsa_system_sgpr_workgroup_id_y 0
		.amdhsa_system_sgpr_workgroup_id_z 0
		.amdhsa_system_sgpr_workgroup_info 0
		.amdhsa_system_vgpr_workitem_id 0
		.amdhsa_next_free_vgpr 1
		.amdhsa_next_free_sgpr 0
		.amdhsa_reserve_vcc 0
		.amdhsa_reserve_flat_scratch 0
		.amdhsa_float_round_mode_32 0
		.amdhsa_float_round_mode_16_64 0
		.amdhsa_float_denorm_mode_32 3
		.amdhsa_float_denorm_mode_16_64 3
		.amdhsa_dx10_clamp 1
		.amdhsa_ieee_mode 1
		.amdhsa_fp16_overflow 0
		.amdhsa_exception_fp_ieee_invalid_op 0
		.amdhsa_exception_fp_denorm_src 0
		.amdhsa_exception_fp_ieee_div_zero 0
		.amdhsa_exception_fp_ieee_overflow 0
		.amdhsa_exception_fp_ieee_underflow 0
		.amdhsa_exception_fp_ieee_inexact 0
		.amdhsa_exception_int_div_zero 0
	.end_amdhsa_kernel
	.section	.text._ZN7rocprim17ROCPRIM_400000_NS6detail17trampoline_kernelINS0_14default_configENS1_25partition_config_selectorILNS1_17partition_subalgoE8EiNS0_10empty_typeEbEEZZNS1_14partition_implILS5_8ELb0ES3_jN6thrust23THRUST_200600_302600_NS10device_ptrIiEEPS6_PKS6_NS0_5tupleIJSC_S6_EEENSG_IJSD_SD_EEENS0_18inequality_wrapperINSA_8equal_toIiEEEEPmJS6_EEE10hipError_tPvRmT3_T4_T5_T6_T7_T9_mT8_P12ihipStream_tbDpT10_ENKUlT_T0_E_clISt17integral_constantIbLb0EES16_IbLb1EEEEDaS12_S13_EUlS12_E_NS1_11comp_targetILNS1_3genE4ELNS1_11target_archE910ELNS1_3gpuE8ELNS1_3repE0EEENS1_30default_config_static_selectorELNS0_4arch9wavefront6targetE1EEEvT1_,"axG",@progbits,_ZN7rocprim17ROCPRIM_400000_NS6detail17trampoline_kernelINS0_14default_configENS1_25partition_config_selectorILNS1_17partition_subalgoE8EiNS0_10empty_typeEbEEZZNS1_14partition_implILS5_8ELb0ES3_jN6thrust23THRUST_200600_302600_NS10device_ptrIiEEPS6_PKS6_NS0_5tupleIJSC_S6_EEENSG_IJSD_SD_EEENS0_18inequality_wrapperINSA_8equal_toIiEEEEPmJS6_EEE10hipError_tPvRmT3_T4_T5_T6_T7_T9_mT8_P12ihipStream_tbDpT10_ENKUlT_T0_E_clISt17integral_constantIbLb0EES16_IbLb1EEEEDaS12_S13_EUlS12_E_NS1_11comp_targetILNS1_3genE4ELNS1_11target_archE910ELNS1_3gpuE8ELNS1_3repE0EEENS1_30default_config_static_selectorELNS0_4arch9wavefront6targetE1EEEvT1_,comdat
.Lfunc_end1057:
	.size	_ZN7rocprim17ROCPRIM_400000_NS6detail17trampoline_kernelINS0_14default_configENS1_25partition_config_selectorILNS1_17partition_subalgoE8EiNS0_10empty_typeEbEEZZNS1_14partition_implILS5_8ELb0ES3_jN6thrust23THRUST_200600_302600_NS10device_ptrIiEEPS6_PKS6_NS0_5tupleIJSC_S6_EEENSG_IJSD_SD_EEENS0_18inequality_wrapperINSA_8equal_toIiEEEEPmJS6_EEE10hipError_tPvRmT3_T4_T5_T6_T7_T9_mT8_P12ihipStream_tbDpT10_ENKUlT_T0_E_clISt17integral_constantIbLb0EES16_IbLb1EEEEDaS12_S13_EUlS12_E_NS1_11comp_targetILNS1_3genE4ELNS1_11target_archE910ELNS1_3gpuE8ELNS1_3repE0EEENS1_30default_config_static_selectorELNS0_4arch9wavefront6targetE1EEEvT1_, .Lfunc_end1057-_ZN7rocprim17ROCPRIM_400000_NS6detail17trampoline_kernelINS0_14default_configENS1_25partition_config_selectorILNS1_17partition_subalgoE8EiNS0_10empty_typeEbEEZZNS1_14partition_implILS5_8ELb0ES3_jN6thrust23THRUST_200600_302600_NS10device_ptrIiEEPS6_PKS6_NS0_5tupleIJSC_S6_EEENSG_IJSD_SD_EEENS0_18inequality_wrapperINSA_8equal_toIiEEEEPmJS6_EEE10hipError_tPvRmT3_T4_T5_T6_T7_T9_mT8_P12ihipStream_tbDpT10_ENKUlT_T0_E_clISt17integral_constantIbLb0EES16_IbLb1EEEEDaS12_S13_EUlS12_E_NS1_11comp_targetILNS1_3genE4ELNS1_11target_archE910ELNS1_3gpuE8ELNS1_3repE0EEENS1_30default_config_static_selectorELNS0_4arch9wavefront6targetE1EEEvT1_
                                        ; -- End function
	.set _ZN7rocprim17ROCPRIM_400000_NS6detail17trampoline_kernelINS0_14default_configENS1_25partition_config_selectorILNS1_17partition_subalgoE8EiNS0_10empty_typeEbEEZZNS1_14partition_implILS5_8ELb0ES3_jN6thrust23THRUST_200600_302600_NS10device_ptrIiEEPS6_PKS6_NS0_5tupleIJSC_S6_EEENSG_IJSD_SD_EEENS0_18inequality_wrapperINSA_8equal_toIiEEEEPmJS6_EEE10hipError_tPvRmT3_T4_T5_T6_T7_T9_mT8_P12ihipStream_tbDpT10_ENKUlT_T0_E_clISt17integral_constantIbLb0EES16_IbLb1EEEEDaS12_S13_EUlS12_E_NS1_11comp_targetILNS1_3genE4ELNS1_11target_archE910ELNS1_3gpuE8ELNS1_3repE0EEENS1_30default_config_static_selectorELNS0_4arch9wavefront6targetE1EEEvT1_.num_vgpr, 0
	.set _ZN7rocprim17ROCPRIM_400000_NS6detail17trampoline_kernelINS0_14default_configENS1_25partition_config_selectorILNS1_17partition_subalgoE8EiNS0_10empty_typeEbEEZZNS1_14partition_implILS5_8ELb0ES3_jN6thrust23THRUST_200600_302600_NS10device_ptrIiEEPS6_PKS6_NS0_5tupleIJSC_S6_EEENSG_IJSD_SD_EEENS0_18inequality_wrapperINSA_8equal_toIiEEEEPmJS6_EEE10hipError_tPvRmT3_T4_T5_T6_T7_T9_mT8_P12ihipStream_tbDpT10_ENKUlT_T0_E_clISt17integral_constantIbLb0EES16_IbLb1EEEEDaS12_S13_EUlS12_E_NS1_11comp_targetILNS1_3genE4ELNS1_11target_archE910ELNS1_3gpuE8ELNS1_3repE0EEENS1_30default_config_static_selectorELNS0_4arch9wavefront6targetE1EEEvT1_.num_agpr, 0
	.set _ZN7rocprim17ROCPRIM_400000_NS6detail17trampoline_kernelINS0_14default_configENS1_25partition_config_selectorILNS1_17partition_subalgoE8EiNS0_10empty_typeEbEEZZNS1_14partition_implILS5_8ELb0ES3_jN6thrust23THRUST_200600_302600_NS10device_ptrIiEEPS6_PKS6_NS0_5tupleIJSC_S6_EEENSG_IJSD_SD_EEENS0_18inequality_wrapperINSA_8equal_toIiEEEEPmJS6_EEE10hipError_tPvRmT3_T4_T5_T6_T7_T9_mT8_P12ihipStream_tbDpT10_ENKUlT_T0_E_clISt17integral_constantIbLb0EES16_IbLb1EEEEDaS12_S13_EUlS12_E_NS1_11comp_targetILNS1_3genE4ELNS1_11target_archE910ELNS1_3gpuE8ELNS1_3repE0EEENS1_30default_config_static_selectorELNS0_4arch9wavefront6targetE1EEEvT1_.numbered_sgpr, 0
	.set _ZN7rocprim17ROCPRIM_400000_NS6detail17trampoline_kernelINS0_14default_configENS1_25partition_config_selectorILNS1_17partition_subalgoE8EiNS0_10empty_typeEbEEZZNS1_14partition_implILS5_8ELb0ES3_jN6thrust23THRUST_200600_302600_NS10device_ptrIiEEPS6_PKS6_NS0_5tupleIJSC_S6_EEENSG_IJSD_SD_EEENS0_18inequality_wrapperINSA_8equal_toIiEEEEPmJS6_EEE10hipError_tPvRmT3_T4_T5_T6_T7_T9_mT8_P12ihipStream_tbDpT10_ENKUlT_T0_E_clISt17integral_constantIbLb0EES16_IbLb1EEEEDaS12_S13_EUlS12_E_NS1_11comp_targetILNS1_3genE4ELNS1_11target_archE910ELNS1_3gpuE8ELNS1_3repE0EEENS1_30default_config_static_selectorELNS0_4arch9wavefront6targetE1EEEvT1_.num_named_barrier, 0
	.set _ZN7rocprim17ROCPRIM_400000_NS6detail17trampoline_kernelINS0_14default_configENS1_25partition_config_selectorILNS1_17partition_subalgoE8EiNS0_10empty_typeEbEEZZNS1_14partition_implILS5_8ELb0ES3_jN6thrust23THRUST_200600_302600_NS10device_ptrIiEEPS6_PKS6_NS0_5tupleIJSC_S6_EEENSG_IJSD_SD_EEENS0_18inequality_wrapperINSA_8equal_toIiEEEEPmJS6_EEE10hipError_tPvRmT3_T4_T5_T6_T7_T9_mT8_P12ihipStream_tbDpT10_ENKUlT_T0_E_clISt17integral_constantIbLb0EES16_IbLb1EEEEDaS12_S13_EUlS12_E_NS1_11comp_targetILNS1_3genE4ELNS1_11target_archE910ELNS1_3gpuE8ELNS1_3repE0EEENS1_30default_config_static_selectorELNS0_4arch9wavefront6targetE1EEEvT1_.private_seg_size, 0
	.set _ZN7rocprim17ROCPRIM_400000_NS6detail17trampoline_kernelINS0_14default_configENS1_25partition_config_selectorILNS1_17partition_subalgoE8EiNS0_10empty_typeEbEEZZNS1_14partition_implILS5_8ELb0ES3_jN6thrust23THRUST_200600_302600_NS10device_ptrIiEEPS6_PKS6_NS0_5tupleIJSC_S6_EEENSG_IJSD_SD_EEENS0_18inequality_wrapperINSA_8equal_toIiEEEEPmJS6_EEE10hipError_tPvRmT3_T4_T5_T6_T7_T9_mT8_P12ihipStream_tbDpT10_ENKUlT_T0_E_clISt17integral_constantIbLb0EES16_IbLb1EEEEDaS12_S13_EUlS12_E_NS1_11comp_targetILNS1_3genE4ELNS1_11target_archE910ELNS1_3gpuE8ELNS1_3repE0EEENS1_30default_config_static_selectorELNS0_4arch9wavefront6targetE1EEEvT1_.uses_vcc, 0
	.set _ZN7rocprim17ROCPRIM_400000_NS6detail17trampoline_kernelINS0_14default_configENS1_25partition_config_selectorILNS1_17partition_subalgoE8EiNS0_10empty_typeEbEEZZNS1_14partition_implILS5_8ELb0ES3_jN6thrust23THRUST_200600_302600_NS10device_ptrIiEEPS6_PKS6_NS0_5tupleIJSC_S6_EEENSG_IJSD_SD_EEENS0_18inequality_wrapperINSA_8equal_toIiEEEEPmJS6_EEE10hipError_tPvRmT3_T4_T5_T6_T7_T9_mT8_P12ihipStream_tbDpT10_ENKUlT_T0_E_clISt17integral_constantIbLb0EES16_IbLb1EEEEDaS12_S13_EUlS12_E_NS1_11comp_targetILNS1_3genE4ELNS1_11target_archE910ELNS1_3gpuE8ELNS1_3repE0EEENS1_30default_config_static_selectorELNS0_4arch9wavefront6targetE1EEEvT1_.uses_flat_scratch, 0
	.set _ZN7rocprim17ROCPRIM_400000_NS6detail17trampoline_kernelINS0_14default_configENS1_25partition_config_selectorILNS1_17partition_subalgoE8EiNS0_10empty_typeEbEEZZNS1_14partition_implILS5_8ELb0ES3_jN6thrust23THRUST_200600_302600_NS10device_ptrIiEEPS6_PKS6_NS0_5tupleIJSC_S6_EEENSG_IJSD_SD_EEENS0_18inequality_wrapperINSA_8equal_toIiEEEEPmJS6_EEE10hipError_tPvRmT3_T4_T5_T6_T7_T9_mT8_P12ihipStream_tbDpT10_ENKUlT_T0_E_clISt17integral_constantIbLb0EES16_IbLb1EEEEDaS12_S13_EUlS12_E_NS1_11comp_targetILNS1_3genE4ELNS1_11target_archE910ELNS1_3gpuE8ELNS1_3repE0EEENS1_30default_config_static_selectorELNS0_4arch9wavefront6targetE1EEEvT1_.has_dyn_sized_stack, 0
	.set _ZN7rocprim17ROCPRIM_400000_NS6detail17trampoline_kernelINS0_14default_configENS1_25partition_config_selectorILNS1_17partition_subalgoE8EiNS0_10empty_typeEbEEZZNS1_14partition_implILS5_8ELb0ES3_jN6thrust23THRUST_200600_302600_NS10device_ptrIiEEPS6_PKS6_NS0_5tupleIJSC_S6_EEENSG_IJSD_SD_EEENS0_18inequality_wrapperINSA_8equal_toIiEEEEPmJS6_EEE10hipError_tPvRmT3_T4_T5_T6_T7_T9_mT8_P12ihipStream_tbDpT10_ENKUlT_T0_E_clISt17integral_constantIbLb0EES16_IbLb1EEEEDaS12_S13_EUlS12_E_NS1_11comp_targetILNS1_3genE4ELNS1_11target_archE910ELNS1_3gpuE8ELNS1_3repE0EEENS1_30default_config_static_selectorELNS0_4arch9wavefront6targetE1EEEvT1_.has_recursion, 0
	.set _ZN7rocprim17ROCPRIM_400000_NS6detail17trampoline_kernelINS0_14default_configENS1_25partition_config_selectorILNS1_17partition_subalgoE8EiNS0_10empty_typeEbEEZZNS1_14partition_implILS5_8ELb0ES3_jN6thrust23THRUST_200600_302600_NS10device_ptrIiEEPS6_PKS6_NS0_5tupleIJSC_S6_EEENSG_IJSD_SD_EEENS0_18inequality_wrapperINSA_8equal_toIiEEEEPmJS6_EEE10hipError_tPvRmT3_T4_T5_T6_T7_T9_mT8_P12ihipStream_tbDpT10_ENKUlT_T0_E_clISt17integral_constantIbLb0EES16_IbLb1EEEEDaS12_S13_EUlS12_E_NS1_11comp_targetILNS1_3genE4ELNS1_11target_archE910ELNS1_3gpuE8ELNS1_3repE0EEENS1_30default_config_static_selectorELNS0_4arch9wavefront6targetE1EEEvT1_.has_indirect_call, 0
	.section	.AMDGPU.csdata,"",@progbits
; Kernel info:
; codeLenInByte = 0
; TotalNumSgprs: 4
; NumVgprs: 0
; ScratchSize: 0
; MemoryBound: 0
; FloatMode: 240
; IeeeMode: 1
; LDSByteSize: 0 bytes/workgroup (compile time only)
; SGPRBlocks: 0
; VGPRBlocks: 0
; NumSGPRsForWavesPerEU: 4
; NumVGPRsForWavesPerEU: 1
; Occupancy: 10
; WaveLimiterHint : 0
; COMPUTE_PGM_RSRC2:SCRATCH_EN: 0
; COMPUTE_PGM_RSRC2:USER_SGPR: 6
; COMPUTE_PGM_RSRC2:TRAP_HANDLER: 0
; COMPUTE_PGM_RSRC2:TGID_X_EN: 1
; COMPUTE_PGM_RSRC2:TGID_Y_EN: 0
; COMPUTE_PGM_RSRC2:TGID_Z_EN: 0
; COMPUTE_PGM_RSRC2:TIDIG_COMP_CNT: 0
	.section	.text._ZN7rocprim17ROCPRIM_400000_NS6detail17trampoline_kernelINS0_14default_configENS1_25partition_config_selectorILNS1_17partition_subalgoE8EiNS0_10empty_typeEbEEZZNS1_14partition_implILS5_8ELb0ES3_jN6thrust23THRUST_200600_302600_NS10device_ptrIiEEPS6_PKS6_NS0_5tupleIJSC_S6_EEENSG_IJSD_SD_EEENS0_18inequality_wrapperINSA_8equal_toIiEEEEPmJS6_EEE10hipError_tPvRmT3_T4_T5_T6_T7_T9_mT8_P12ihipStream_tbDpT10_ENKUlT_T0_E_clISt17integral_constantIbLb0EES16_IbLb1EEEEDaS12_S13_EUlS12_E_NS1_11comp_targetILNS1_3genE3ELNS1_11target_archE908ELNS1_3gpuE7ELNS1_3repE0EEENS1_30default_config_static_selectorELNS0_4arch9wavefront6targetE1EEEvT1_,"axG",@progbits,_ZN7rocprim17ROCPRIM_400000_NS6detail17trampoline_kernelINS0_14default_configENS1_25partition_config_selectorILNS1_17partition_subalgoE8EiNS0_10empty_typeEbEEZZNS1_14partition_implILS5_8ELb0ES3_jN6thrust23THRUST_200600_302600_NS10device_ptrIiEEPS6_PKS6_NS0_5tupleIJSC_S6_EEENSG_IJSD_SD_EEENS0_18inequality_wrapperINSA_8equal_toIiEEEEPmJS6_EEE10hipError_tPvRmT3_T4_T5_T6_T7_T9_mT8_P12ihipStream_tbDpT10_ENKUlT_T0_E_clISt17integral_constantIbLb0EES16_IbLb1EEEEDaS12_S13_EUlS12_E_NS1_11comp_targetILNS1_3genE3ELNS1_11target_archE908ELNS1_3gpuE7ELNS1_3repE0EEENS1_30default_config_static_selectorELNS0_4arch9wavefront6targetE1EEEvT1_,comdat
	.protected	_ZN7rocprim17ROCPRIM_400000_NS6detail17trampoline_kernelINS0_14default_configENS1_25partition_config_selectorILNS1_17partition_subalgoE8EiNS0_10empty_typeEbEEZZNS1_14partition_implILS5_8ELb0ES3_jN6thrust23THRUST_200600_302600_NS10device_ptrIiEEPS6_PKS6_NS0_5tupleIJSC_S6_EEENSG_IJSD_SD_EEENS0_18inequality_wrapperINSA_8equal_toIiEEEEPmJS6_EEE10hipError_tPvRmT3_T4_T5_T6_T7_T9_mT8_P12ihipStream_tbDpT10_ENKUlT_T0_E_clISt17integral_constantIbLb0EES16_IbLb1EEEEDaS12_S13_EUlS12_E_NS1_11comp_targetILNS1_3genE3ELNS1_11target_archE908ELNS1_3gpuE7ELNS1_3repE0EEENS1_30default_config_static_selectorELNS0_4arch9wavefront6targetE1EEEvT1_ ; -- Begin function _ZN7rocprim17ROCPRIM_400000_NS6detail17trampoline_kernelINS0_14default_configENS1_25partition_config_selectorILNS1_17partition_subalgoE8EiNS0_10empty_typeEbEEZZNS1_14partition_implILS5_8ELb0ES3_jN6thrust23THRUST_200600_302600_NS10device_ptrIiEEPS6_PKS6_NS0_5tupleIJSC_S6_EEENSG_IJSD_SD_EEENS0_18inequality_wrapperINSA_8equal_toIiEEEEPmJS6_EEE10hipError_tPvRmT3_T4_T5_T6_T7_T9_mT8_P12ihipStream_tbDpT10_ENKUlT_T0_E_clISt17integral_constantIbLb0EES16_IbLb1EEEEDaS12_S13_EUlS12_E_NS1_11comp_targetILNS1_3genE3ELNS1_11target_archE908ELNS1_3gpuE7ELNS1_3repE0EEENS1_30default_config_static_selectorELNS0_4arch9wavefront6targetE1EEEvT1_
	.globl	_ZN7rocprim17ROCPRIM_400000_NS6detail17trampoline_kernelINS0_14default_configENS1_25partition_config_selectorILNS1_17partition_subalgoE8EiNS0_10empty_typeEbEEZZNS1_14partition_implILS5_8ELb0ES3_jN6thrust23THRUST_200600_302600_NS10device_ptrIiEEPS6_PKS6_NS0_5tupleIJSC_S6_EEENSG_IJSD_SD_EEENS0_18inequality_wrapperINSA_8equal_toIiEEEEPmJS6_EEE10hipError_tPvRmT3_T4_T5_T6_T7_T9_mT8_P12ihipStream_tbDpT10_ENKUlT_T0_E_clISt17integral_constantIbLb0EES16_IbLb1EEEEDaS12_S13_EUlS12_E_NS1_11comp_targetILNS1_3genE3ELNS1_11target_archE908ELNS1_3gpuE7ELNS1_3repE0EEENS1_30default_config_static_selectorELNS0_4arch9wavefront6targetE1EEEvT1_
	.p2align	8
	.type	_ZN7rocprim17ROCPRIM_400000_NS6detail17trampoline_kernelINS0_14default_configENS1_25partition_config_selectorILNS1_17partition_subalgoE8EiNS0_10empty_typeEbEEZZNS1_14partition_implILS5_8ELb0ES3_jN6thrust23THRUST_200600_302600_NS10device_ptrIiEEPS6_PKS6_NS0_5tupleIJSC_S6_EEENSG_IJSD_SD_EEENS0_18inequality_wrapperINSA_8equal_toIiEEEEPmJS6_EEE10hipError_tPvRmT3_T4_T5_T6_T7_T9_mT8_P12ihipStream_tbDpT10_ENKUlT_T0_E_clISt17integral_constantIbLb0EES16_IbLb1EEEEDaS12_S13_EUlS12_E_NS1_11comp_targetILNS1_3genE3ELNS1_11target_archE908ELNS1_3gpuE7ELNS1_3repE0EEENS1_30default_config_static_selectorELNS0_4arch9wavefront6targetE1EEEvT1_,@function
_ZN7rocprim17ROCPRIM_400000_NS6detail17trampoline_kernelINS0_14default_configENS1_25partition_config_selectorILNS1_17partition_subalgoE8EiNS0_10empty_typeEbEEZZNS1_14partition_implILS5_8ELb0ES3_jN6thrust23THRUST_200600_302600_NS10device_ptrIiEEPS6_PKS6_NS0_5tupleIJSC_S6_EEENSG_IJSD_SD_EEENS0_18inequality_wrapperINSA_8equal_toIiEEEEPmJS6_EEE10hipError_tPvRmT3_T4_T5_T6_T7_T9_mT8_P12ihipStream_tbDpT10_ENKUlT_T0_E_clISt17integral_constantIbLb0EES16_IbLb1EEEEDaS12_S13_EUlS12_E_NS1_11comp_targetILNS1_3genE3ELNS1_11target_archE908ELNS1_3gpuE7ELNS1_3repE0EEENS1_30default_config_static_selectorELNS0_4arch9wavefront6targetE1EEEvT1_: ; @_ZN7rocprim17ROCPRIM_400000_NS6detail17trampoline_kernelINS0_14default_configENS1_25partition_config_selectorILNS1_17partition_subalgoE8EiNS0_10empty_typeEbEEZZNS1_14partition_implILS5_8ELb0ES3_jN6thrust23THRUST_200600_302600_NS10device_ptrIiEEPS6_PKS6_NS0_5tupleIJSC_S6_EEENSG_IJSD_SD_EEENS0_18inequality_wrapperINSA_8equal_toIiEEEEPmJS6_EEE10hipError_tPvRmT3_T4_T5_T6_T7_T9_mT8_P12ihipStream_tbDpT10_ENKUlT_T0_E_clISt17integral_constantIbLb0EES16_IbLb1EEEEDaS12_S13_EUlS12_E_NS1_11comp_targetILNS1_3genE3ELNS1_11target_archE908ELNS1_3gpuE7ELNS1_3repE0EEENS1_30default_config_static_selectorELNS0_4arch9wavefront6targetE1EEEvT1_
; %bb.0:
	.section	.rodata,"a",@progbits
	.p2align	6, 0x0
	.amdhsa_kernel _ZN7rocprim17ROCPRIM_400000_NS6detail17trampoline_kernelINS0_14default_configENS1_25partition_config_selectorILNS1_17partition_subalgoE8EiNS0_10empty_typeEbEEZZNS1_14partition_implILS5_8ELb0ES3_jN6thrust23THRUST_200600_302600_NS10device_ptrIiEEPS6_PKS6_NS0_5tupleIJSC_S6_EEENSG_IJSD_SD_EEENS0_18inequality_wrapperINSA_8equal_toIiEEEEPmJS6_EEE10hipError_tPvRmT3_T4_T5_T6_T7_T9_mT8_P12ihipStream_tbDpT10_ENKUlT_T0_E_clISt17integral_constantIbLb0EES16_IbLb1EEEEDaS12_S13_EUlS12_E_NS1_11comp_targetILNS1_3genE3ELNS1_11target_archE908ELNS1_3gpuE7ELNS1_3repE0EEENS1_30default_config_static_selectorELNS0_4arch9wavefront6targetE1EEEvT1_
		.amdhsa_group_segment_fixed_size 0
		.amdhsa_private_segment_fixed_size 0
		.amdhsa_kernarg_size 128
		.amdhsa_user_sgpr_count 6
		.amdhsa_user_sgpr_private_segment_buffer 1
		.amdhsa_user_sgpr_dispatch_ptr 0
		.amdhsa_user_sgpr_queue_ptr 0
		.amdhsa_user_sgpr_kernarg_segment_ptr 1
		.amdhsa_user_sgpr_dispatch_id 0
		.amdhsa_user_sgpr_flat_scratch_init 0
		.amdhsa_user_sgpr_private_segment_size 0
		.amdhsa_uses_dynamic_stack 0
		.amdhsa_system_sgpr_private_segment_wavefront_offset 0
		.amdhsa_system_sgpr_workgroup_id_x 1
		.amdhsa_system_sgpr_workgroup_id_y 0
		.amdhsa_system_sgpr_workgroup_id_z 0
		.amdhsa_system_sgpr_workgroup_info 0
		.amdhsa_system_vgpr_workitem_id 0
		.amdhsa_next_free_vgpr 1
		.amdhsa_next_free_sgpr 0
		.amdhsa_reserve_vcc 0
		.amdhsa_reserve_flat_scratch 0
		.amdhsa_float_round_mode_32 0
		.amdhsa_float_round_mode_16_64 0
		.amdhsa_float_denorm_mode_32 3
		.amdhsa_float_denorm_mode_16_64 3
		.amdhsa_dx10_clamp 1
		.amdhsa_ieee_mode 1
		.amdhsa_fp16_overflow 0
		.amdhsa_exception_fp_ieee_invalid_op 0
		.amdhsa_exception_fp_denorm_src 0
		.amdhsa_exception_fp_ieee_div_zero 0
		.amdhsa_exception_fp_ieee_overflow 0
		.amdhsa_exception_fp_ieee_underflow 0
		.amdhsa_exception_fp_ieee_inexact 0
		.amdhsa_exception_int_div_zero 0
	.end_amdhsa_kernel
	.section	.text._ZN7rocprim17ROCPRIM_400000_NS6detail17trampoline_kernelINS0_14default_configENS1_25partition_config_selectorILNS1_17partition_subalgoE8EiNS0_10empty_typeEbEEZZNS1_14partition_implILS5_8ELb0ES3_jN6thrust23THRUST_200600_302600_NS10device_ptrIiEEPS6_PKS6_NS0_5tupleIJSC_S6_EEENSG_IJSD_SD_EEENS0_18inequality_wrapperINSA_8equal_toIiEEEEPmJS6_EEE10hipError_tPvRmT3_T4_T5_T6_T7_T9_mT8_P12ihipStream_tbDpT10_ENKUlT_T0_E_clISt17integral_constantIbLb0EES16_IbLb1EEEEDaS12_S13_EUlS12_E_NS1_11comp_targetILNS1_3genE3ELNS1_11target_archE908ELNS1_3gpuE7ELNS1_3repE0EEENS1_30default_config_static_selectorELNS0_4arch9wavefront6targetE1EEEvT1_,"axG",@progbits,_ZN7rocprim17ROCPRIM_400000_NS6detail17trampoline_kernelINS0_14default_configENS1_25partition_config_selectorILNS1_17partition_subalgoE8EiNS0_10empty_typeEbEEZZNS1_14partition_implILS5_8ELb0ES3_jN6thrust23THRUST_200600_302600_NS10device_ptrIiEEPS6_PKS6_NS0_5tupleIJSC_S6_EEENSG_IJSD_SD_EEENS0_18inequality_wrapperINSA_8equal_toIiEEEEPmJS6_EEE10hipError_tPvRmT3_T4_T5_T6_T7_T9_mT8_P12ihipStream_tbDpT10_ENKUlT_T0_E_clISt17integral_constantIbLb0EES16_IbLb1EEEEDaS12_S13_EUlS12_E_NS1_11comp_targetILNS1_3genE3ELNS1_11target_archE908ELNS1_3gpuE7ELNS1_3repE0EEENS1_30default_config_static_selectorELNS0_4arch9wavefront6targetE1EEEvT1_,comdat
.Lfunc_end1058:
	.size	_ZN7rocprim17ROCPRIM_400000_NS6detail17trampoline_kernelINS0_14default_configENS1_25partition_config_selectorILNS1_17partition_subalgoE8EiNS0_10empty_typeEbEEZZNS1_14partition_implILS5_8ELb0ES3_jN6thrust23THRUST_200600_302600_NS10device_ptrIiEEPS6_PKS6_NS0_5tupleIJSC_S6_EEENSG_IJSD_SD_EEENS0_18inequality_wrapperINSA_8equal_toIiEEEEPmJS6_EEE10hipError_tPvRmT3_T4_T5_T6_T7_T9_mT8_P12ihipStream_tbDpT10_ENKUlT_T0_E_clISt17integral_constantIbLb0EES16_IbLb1EEEEDaS12_S13_EUlS12_E_NS1_11comp_targetILNS1_3genE3ELNS1_11target_archE908ELNS1_3gpuE7ELNS1_3repE0EEENS1_30default_config_static_selectorELNS0_4arch9wavefront6targetE1EEEvT1_, .Lfunc_end1058-_ZN7rocprim17ROCPRIM_400000_NS6detail17trampoline_kernelINS0_14default_configENS1_25partition_config_selectorILNS1_17partition_subalgoE8EiNS0_10empty_typeEbEEZZNS1_14partition_implILS5_8ELb0ES3_jN6thrust23THRUST_200600_302600_NS10device_ptrIiEEPS6_PKS6_NS0_5tupleIJSC_S6_EEENSG_IJSD_SD_EEENS0_18inequality_wrapperINSA_8equal_toIiEEEEPmJS6_EEE10hipError_tPvRmT3_T4_T5_T6_T7_T9_mT8_P12ihipStream_tbDpT10_ENKUlT_T0_E_clISt17integral_constantIbLb0EES16_IbLb1EEEEDaS12_S13_EUlS12_E_NS1_11comp_targetILNS1_3genE3ELNS1_11target_archE908ELNS1_3gpuE7ELNS1_3repE0EEENS1_30default_config_static_selectorELNS0_4arch9wavefront6targetE1EEEvT1_
                                        ; -- End function
	.set _ZN7rocprim17ROCPRIM_400000_NS6detail17trampoline_kernelINS0_14default_configENS1_25partition_config_selectorILNS1_17partition_subalgoE8EiNS0_10empty_typeEbEEZZNS1_14partition_implILS5_8ELb0ES3_jN6thrust23THRUST_200600_302600_NS10device_ptrIiEEPS6_PKS6_NS0_5tupleIJSC_S6_EEENSG_IJSD_SD_EEENS0_18inequality_wrapperINSA_8equal_toIiEEEEPmJS6_EEE10hipError_tPvRmT3_T4_T5_T6_T7_T9_mT8_P12ihipStream_tbDpT10_ENKUlT_T0_E_clISt17integral_constantIbLb0EES16_IbLb1EEEEDaS12_S13_EUlS12_E_NS1_11comp_targetILNS1_3genE3ELNS1_11target_archE908ELNS1_3gpuE7ELNS1_3repE0EEENS1_30default_config_static_selectorELNS0_4arch9wavefront6targetE1EEEvT1_.num_vgpr, 0
	.set _ZN7rocprim17ROCPRIM_400000_NS6detail17trampoline_kernelINS0_14default_configENS1_25partition_config_selectorILNS1_17partition_subalgoE8EiNS0_10empty_typeEbEEZZNS1_14partition_implILS5_8ELb0ES3_jN6thrust23THRUST_200600_302600_NS10device_ptrIiEEPS6_PKS6_NS0_5tupleIJSC_S6_EEENSG_IJSD_SD_EEENS0_18inequality_wrapperINSA_8equal_toIiEEEEPmJS6_EEE10hipError_tPvRmT3_T4_T5_T6_T7_T9_mT8_P12ihipStream_tbDpT10_ENKUlT_T0_E_clISt17integral_constantIbLb0EES16_IbLb1EEEEDaS12_S13_EUlS12_E_NS1_11comp_targetILNS1_3genE3ELNS1_11target_archE908ELNS1_3gpuE7ELNS1_3repE0EEENS1_30default_config_static_selectorELNS0_4arch9wavefront6targetE1EEEvT1_.num_agpr, 0
	.set _ZN7rocprim17ROCPRIM_400000_NS6detail17trampoline_kernelINS0_14default_configENS1_25partition_config_selectorILNS1_17partition_subalgoE8EiNS0_10empty_typeEbEEZZNS1_14partition_implILS5_8ELb0ES3_jN6thrust23THRUST_200600_302600_NS10device_ptrIiEEPS6_PKS6_NS0_5tupleIJSC_S6_EEENSG_IJSD_SD_EEENS0_18inequality_wrapperINSA_8equal_toIiEEEEPmJS6_EEE10hipError_tPvRmT3_T4_T5_T6_T7_T9_mT8_P12ihipStream_tbDpT10_ENKUlT_T0_E_clISt17integral_constantIbLb0EES16_IbLb1EEEEDaS12_S13_EUlS12_E_NS1_11comp_targetILNS1_3genE3ELNS1_11target_archE908ELNS1_3gpuE7ELNS1_3repE0EEENS1_30default_config_static_selectorELNS0_4arch9wavefront6targetE1EEEvT1_.numbered_sgpr, 0
	.set _ZN7rocprim17ROCPRIM_400000_NS6detail17trampoline_kernelINS0_14default_configENS1_25partition_config_selectorILNS1_17partition_subalgoE8EiNS0_10empty_typeEbEEZZNS1_14partition_implILS5_8ELb0ES3_jN6thrust23THRUST_200600_302600_NS10device_ptrIiEEPS6_PKS6_NS0_5tupleIJSC_S6_EEENSG_IJSD_SD_EEENS0_18inequality_wrapperINSA_8equal_toIiEEEEPmJS6_EEE10hipError_tPvRmT3_T4_T5_T6_T7_T9_mT8_P12ihipStream_tbDpT10_ENKUlT_T0_E_clISt17integral_constantIbLb0EES16_IbLb1EEEEDaS12_S13_EUlS12_E_NS1_11comp_targetILNS1_3genE3ELNS1_11target_archE908ELNS1_3gpuE7ELNS1_3repE0EEENS1_30default_config_static_selectorELNS0_4arch9wavefront6targetE1EEEvT1_.num_named_barrier, 0
	.set _ZN7rocprim17ROCPRIM_400000_NS6detail17trampoline_kernelINS0_14default_configENS1_25partition_config_selectorILNS1_17partition_subalgoE8EiNS0_10empty_typeEbEEZZNS1_14partition_implILS5_8ELb0ES3_jN6thrust23THRUST_200600_302600_NS10device_ptrIiEEPS6_PKS6_NS0_5tupleIJSC_S6_EEENSG_IJSD_SD_EEENS0_18inequality_wrapperINSA_8equal_toIiEEEEPmJS6_EEE10hipError_tPvRmT3_T4_T5_T6_T7_T9_mT8_P12ihipStream_tbDpT10_ENKUlT_T0_E_clISt17integral_constantIbLb0EES16_IbLb1EEEEDaS12_S13_EUlS12_E_NS1_11comp_targetILNS1_3genE3ELNS1_11target_archE908ELNS1_3gpuE7ELNS1_3repE0EEENS1_30default_config_static_selectorELNS0_4arch9wavefront6targetE1EEEvT1_.private_seg_size, 0
	.set _ZN7rocprim17ROCPRIM_400000_NS6detail17trampoline_kernelINS0_14default_configENS1_25partition_config_selectorILNS1_17partition_subalgoE8EiNS0_10empty_typeEbEEZZNS1_14partition_implILS5_8ELb0ES3_jN6thrust23THRUST_200600_302600_NS10device_ptrIiEEPS6_PKS6_NS0_5tupleIJSC_S6_EEENSG_IJSD_SD_EEENS0_18inequality_wrapperINSA_8equal_toIiEEEEPmJS6_EEE10hipError_tPvRmT3_T4_T5_T6_T7_T9_mT8_P12ihipStream_tbDpT10_ENKUlT_T0_E_clISt17integral_constantIbLb0EES16_IbLb1EEEEDaS12_S13_EUlS12_E_NS1_11comp_targetILNS1_3genE3ELNS1_11target_archE908ELNS1_3gpuE7ELNS1_3repE0EEENS1_30default_config_static_selectorELNS0_4arch9wavefront6targetE1EEEvT1_.uses_vcc, 0
	.set _ZN7rocprim17ROCPRIM_400000_NS6detail17trampoline_kernelINS0_14default_configENS1_25partition_config_selectorILNS1_17partition_subalgoE8EiNS0_10empty_typeEbEEZZNS1_14partition_implILS5_8ELb0ES3_jN6thrust23THRUST_200600_302600_NS10device_ptrIiEEPS6_PKS6_NS0_5tupleIJSC_S6_EEENSG_IJSD_SD_EEENS0_18inequality_wrapperINSA_8equal_toIiEEEEPmJS6_EEE10hipError_tPvRmT3_T4_T5_T6_T7_T9_mT8_P12ihipStream_tbDpT10_ENKUlT_T0_E_clISt17integral_constantIbLb0EES16_IbLb1EEEEDaS12_S13_EUlS12_E_NS1_11comp_targetILNS1_3genE3ELNS1_11target_archE908ELNS1_3gpuE7ELNS1_3repE0EEENS1_30default_config_static_selectorELNS0_4arch9wavefront6targetE1EEEvT1_.uses_flat_scratch, 0
	.set _ZN7rocprim17ROCPRIM_400000_NS6detail17trampoline_kernelINS0_14default_configENS1_25partition_config_selectorILNS1_17partition_subalgoE8EiNS0_10empty_typeEbEEZZNS1_14partition_implILS5_8ELb0ES3_jN6thrust23THRUST_200600_302600_NS10device_ptrIiEEPS6_PKS6_NS0_5tupleIJSC_S6_EEENSG_IJSD_SD_EEENS0_18inequality_wrapperINSA_8equal_toIiEEEEPmJS6_EEE10hipError_tPvRmT3_T4_T5_T6_T7_T9_mT8_P12ihipStream_tbDpT10_ENKUlT_T0_E_clISt17integral_constantIbLb0EES16_IbLb1EEEEDaS12_S13_EUlS12_E_NS1_11comp_targetILNS1_3genE3ELNS1_11target_archE908ELNS1_3gpuE7ELNS1_3repE0EEENS1_30default_config_static_selectorELNS0_4arch9wavefront6targetE1EEEvT1_.has_dyn_sized_stack, 0
	.set _ZN7rocprim17ROCPRIM_400000_NS6detail17trampoline_kernelINS0_14default_configENS1_25partition_config_selectorILNS1_17partition_subalgoE8EiNS0_10empty_typeEbEEZZNS1_14partition_implILS5_8ELb0ES3_jN6thrust23THRUST_200600_302600_NS10device_ptrIiEEPS6_PKS6_NS0_5tupleIJSC_S6_EEENSG_IJSD_SD_EEENS0_18inequality_wrapperINSA_8equal_toIiEEEEPmJS6_EEE10hipError_tPvRmT3_T4_T5_T6_T7_T9_mT8_P12ihipStream_tbDpT10_ENKUlT_T0_E_clISt17integral_constantIbLb0EES16_IbLb1EEEEDaS12_S13_EUlS12_E_NS1_11comp_targetILNS1_3genE3ELNS1_11target_archE908ELNS1_3gpuE7ELNS1_3repE0EEENS1_30default_config_static_selectorELNS0_4arch9wavefront6targetE1EEEvT1_.has_recursion, 0
	.set _ZN7rocprim17ROCPRIM_400000_NS6detail17trampoline_kernelINS0_14default_configENS1_25partition_config_selectorILNS1_17partition_subalgoE8EiNS0_10empty_typeEbEEZZNS1_14partition_implILS5_8ELb0ES3_jN6thrust23THRUST_200600_302600_NS10device_ptrIiEEPS6_PKS6_NS0_5tupleIJSC_S6_EEENSG_IJSD_SD_EEENS0_18inequality_wrapperINSA_8equal_toIiEEEEPmJS6_EEE10hipError_tPvRmT3_T4_T5_T6_T7_T9_mT8_P12ihipStream_tbDpT10_ENKUlT_T0_E_clISt17integral_constantIbLb0EES16_IbLb1EEEEDaS12_S13_EUlS12_E_NS1_11comp_targetILNS1_3genE3ELNS1_11target_archE908ELNS1_3gpuE7ELNS1_3repE0EEENS1_30default_config_static_selectorELNS0_4arch9wavefront6targetE1EEEvT1_.has_indirect_call, 0
	.section	.AMDGPU.csdata,"",@progbits
; Kernel info:
; codeLenInByte = 0
; TotalNumSgprs: 4
; NumVgprs: 0
; ScratchSize: 0
; MemoryBound: 0
; FloatMode: 240
; IeeeMode: 1
; LDSByteSize: 0 bytes/workgroup (compile time only)
; SGPRBlocks: 0
; VGPRBlocks: 0
; NumSGPRsForWavesPerEU: 4
; NumVGPRsForWavesPerEU: 1
; Occupancy: 10
; WaveLimiterHint : 0
; COMPUTE_PGM_RSRC2:SCRATCH_EN: 0
; COMPUTE_PGM_RSRC2:USER_SGPR: 6
; COMPUTE_PGM_RSRC2:TRAP_HANDLER: 0
; COMPUTE_PGM_RSRC2:TGID_X_EN: 1
; COMPUTE_PGM_RSRC2:TGID_Y_EN: 0
; COMPUTE_PGM_RSRC2:TGID_Z_EN: 0
; COMPUTE_PGM_RSRC2:TIDIG_COMP_CNT: 0
	.section	.text._ZN7rocprim17ROCPRIM_400000_NS6detail17trampoline_kernelINS0_14default_configENS1_25partition_config_selectorILNS1_17partition_subalgoE8EiNS0_10empty_typeEbEEZZNS1_14partition_implILS5_8ELb0ES3_jN6thrust23THRUST_200600_302600_NS10device_ptrIiEEPS6_PKS6_NS0_5tupleIJSC_S6_EEENSG_IJSD_SD_EEENS0_18inequality_wrapperINSA_8equal_toIiEEEEPmJS6_EEE10hipError_tPvRmT3_T4_T5_T6_T7_T9_mT8_P12ihipStream_tbDpT10_ENKUlT_T0_E_clISt17integral_constantIbLb0EES16_IbLb1EEEEDaS12_S13_EUlS12_E_NS1_11comp_targetILNS1_3genE2ELNS1_11target_archE906ELNS1_3gpuE6ELNS1_3repE0EEENS1_30default_config_static_selectorELNS0_4arch9wavefront6targetE1EEEvT1_,"axG",@progbits,_ZN7rocprim17ROCPRIM_400000_NS6detail17trampoline_kernelINS0_14default_configENS1_25partition_config_selectorILNS1_17partition_subalgoE8EiNS0_10empty_typeEbEEZZNS1_14partition_implILS5_8ELb0ES3_jN6thrust23THRUST_200600_302600_NS10device_ptrIiEEPS6_PKS6_NS0_5tupleIJSC_S6_EEENSG_IJSD_SD_EEENS0_18inequality_wrapperINSA_8equal_toIiEEEEPmJS6_EEE10hipError_tPvRmT3_T4_T5_T6_T7_T9_mT8_P12ihipStream_tbDpT10_ENKUlT_T0_E_clISt17integral_constantIbLb0EES16_IbLb1EEEEDaS12_S13_EUlS12_E_NS1_11comp_targetILNS1_3genE2ELNS1_11target_archE906ELNS1_3gpuE6ELNS1_3repE0EEENS1_30default_config_static_selectorELNS0_4arch9wavefront6targetE1EEEvT1_,comdat
	.protected	_ZN7rocprim17ROCPRIM_400000_NS6detail17trampoline_kernelINS0_14default_configENS1_25partition_config_selectorILNS1_17partition_subalgoE8EiNS0_10empty_typeEbEEZZNS1_14partition_implILS5_8ELb0ES3_jN6thrust23THRUST_200600_302600_NS10device_ptrIiEEPS6_PKS6_NS0_5tupleIJSC_S6_EEENSG_IJSD_SD_EEENS0_18inequality_wrapperINSA_8equal_toIiEEEEPmJS6_EEE10hipError_tPvRmT3_T4_T5_T6_T7_T9_mT8_P12ihipStream_tbDpT10_ENKUlT_T0_E_clISt17integral_constantIbLb0EES16_IbLb1EEEEDaS12_S13_EUlS12_E_NS1_11comp_targetILNS1_3genE2ELNS1_11target_archE906ELNS1_3gpuE6ELNS1_3repE0EEENS1_30default_config_static_selectorELNS0_4arch9wavefront6targetE1EEEvT1_ ; -- Begin function _ZN7rocprim17ROCPRIM_400000_NS6detail17trampoline_kernelINS0_14default_configENS1_25partition_config_selectorILNS1_17partition_subalgoE8EiNS0_10empty_typeEbEEZZNS1_14partition_implILS5_8ELb0ES3_jN6thrust23THRUST_200600_302600_NS10device_ptrIiEEPS6_PKS6_NS0_5tupleIJSC_S6_EEENSG_IJSD_SD_EEENS0_18inequality_wrapperINSA_8equal_toIiEEEEPmJS6_EEE10hipError_tPvRmT3_T4_T5_T6_T7_T9_mT8_P12ihipStream_tbDpT10_ENKUlT_T0_E_clISt17integral_constantIbLb0EES16_IbLb1EEEEDaS12_S13_EUlS12_E_NS1_11comp_targetILNS1_3genE2ELNS1_11target_archE906ELNS1_3gpuE6ELNS1_3repE0EEENS1_30default_config_static_selectorELNS0_4arch9wavefront6targetE1EEEvT1_
	.globl	_ZN7rocprim17ROCPRIM_400000_NS6detail17trampoline_kernelINS0_14default_configENS1_25partition_config_selectorILNS1_17partition_subalgoE8EiNS0_10empty_typeEbEEZZNS1_14partition_implILS5_8ELb0ES3_jN6thrust23THRUST_200600_302600_NS10device_ptrIiEEPS6_PKS6_NS0_5tupleIJSC_S6_EEENSG_IJSD_SD_EEENS0_18inequality_wrapperINSA_8equal_toIiEEEEPmJS6_EEE10hipError_tPvRmT3_T4_T5_T6_T7_T9_mT8_P12ihipStream_tbDpT10_ENKUlT_T0_E_clISt17integral_constantIbLb0EES16_IbLb1EEEEDaS12_S13_EUlS12_E_NS1_11comp_targetILNS1_3genE2ELNS1_11target_archE906ELNS1_3gpuE6ELNS1_3repE0EEENS1_30default_config_static_selectorELNS0_4arch9wavefront6targetE1EEEvT1_
	.p2align	8
	.type	_ZN7rocprim17ROCPRIM_400000_NS6detail17trampoline_kernelINS0_14default_configENS1_25partition_config_selectorILNS1_17partition_subalgoE8EiNS0_10empty_typeEbEEZZNS1_14partition_implILS5_8ELb0ES3_jN6thrust23THRUST_200600_302600_NS10device_ptrIiEEPS6_PKS6_NS0_5tupleIJSC_S6_EEENSG_IJSD_SD_EEENS0_18inequality_wrapperINSA_8equal_toIiEEEEPmJS6_EEE10hipError_tPvRmT3_T4_T5_T6_T7_T9_mT8_P12ihipStream_tbDpT10_ENKUlT_T0_E_clISt17integral_constantIbLb0EES16_IbLb1EEEEDaS12_S13_EUlS12_E_NS1_11comp_targetILNS1_3genE2ELNS1_11target_archE906ELNS1_3gpuE6ELNS1_3repE0EEENS1_30default_config_static_selectorELNS0_4arch9wavefront6targetE1EEEvT1_,@function
_ZN7rocprim17ROCPRIM_400000_NS6detail17trampoline_kernelINS0_14default_configENS1_25partition_config_selectorILNS1_17partition_subalgoE8EiNS0_10empty_typeEbEEZZNS1_14partition_implILS5_8ELb0ES3_jN6thrust23THRUST_200600_302600_NS10device_ptrIiEEPS6_PKS6_NS0_5tupleIJSC_S6_EEENSG_IJSD_SD_EEENS0_18inequality_wrapperINSA_8equal_toIiEEEEPmJS6_EEE10hipError_tPvRmT3_T4_T5_T6_T7_T9_mT8_P12ihipStream_tbDpT10_ENKUlT_T0_E_clISt17integral_constantIbLb0EES16_IbLb1EEEEDaS12_S13_EUlS12_E_NS1_11comp_targetILNS1_3genE2ELNS1_11target_archE906ELNS1_3gpuE6ELNS1_3repE0EEENS1_30default_config_static_selectorELNS0_4arch9wavefront6targetE1EEEvT1_: ; @_ZN7rocprim17ROCPRIM_400000_NS6detail17trampoline_kernelINS0_14default_configENS1_25partition_config_selectorILNS1_17partition_subalgoE8EiNS0_10empty_typeEbEEZZNS1_14partition_implILS5_8ELb0ES3_jN6thrust23THRUST_200600_302600_NS10device_ptrIiEEPS6_PKS6_NS0_5tupleIJSC_S6_EEENSG_IJSD_SD_EEENS0_18inequality_wrapperINSA_8equal_toIiEEEEPmJS6_EEE10hipError_tPvRmT3_T4_T5_T6_T7_T9_mT8_P12ihipStream_tbDpT10_ENKUlT_T0_E_clISt17integral_constantIbLb0EES16_IbLb1EEEEDaS12_S13_EUlS12_E_NS1_11comp_targetILNS1_3genE2ELNS1_11target_archE906ELNS1_3gpuE6ELNS1_3repE0EEENS1_30default_config_static_selectorELNS0_4arch9wavefront6targetE1EEEvT1_
; %bb.0:
	s_load_dwordx2 s[40:41], s[4:5], 0x28
	s_load_dwordx4 s[36:39], s[4:5], 0x40
	s_load_dwordx2 s[6:7], s[4:5], 0x50
	s_load_dwordx2 s[44:45], s[4:5], 0x60
	v_cmp_ne_u32_e64 s[2:3], 0, v0
	v_cmp_eq_u32_e64 s[0:1], 0, v0
	s_and_saveexec_b64 s[8:9], s[0:1]
	s_cbranch_execz .LBB1059_4
; %bb.1:
	s_mov_b64 s[12:13], exec
	v_mbcnt_lo_u32_b32 v1, s12, 0
	v_mbcnt_hi_u32_b32 v1, s13, v1
	v_cmp_eq_u32_e32 vcc, 0, v1
                                        ; implicit-def: $vgpr2
	s_and_saveexec_b64 s[10:11], vcc
	s_cbranch_execz .LBB1059_3
; %bb.2:
	s_load_dwordx2 s[14:15], s[4:5], 0x70
	s_bcnt1_i32_b64 s12, s[12:13]
	v_mov_b32_e32 v2, 0
	v_mov_b32_e32 v3, s12
	s_waitcnt lgkmcnt(0)
	global_atomic_add v2, v2, v3, s[14:15] glc
.LBB1059_3:
	s_or_b64 exec, exec, s[10:11]
	s_waitcnt vmcnt(0)
	v_readfirstlane_b32 s10, v2
	v_add_u32_e32 v1, s10, v1
	v_mov_b32_e32 v2, 0
	ds_write_b32 v2, v1
.LBB1059_4:
	s_or_b64 exec, exec, s[8:9]
	v_mov_b32_e32 v2, 0
	s_load_dwordx4 s[8:11], s[4:5], 0x8
	s_load_dword s12, s[4:5], 0x68
	s_waitcnt lgkmcnt(0)
	s_barrier
	ds_read_b32 v1, v2
	s_waitcnt lgkmcnt(0)
	s_barrier
	global_load_dwordx2 v[18:19], v2, s[38:39]
	s_lshl_b64 s[4:5], s[10:11], 2
	s_add_u32 s13, s8, s4
	s_addc_u32 s9, s9, s5
	s_add_i32 s14, s12, -1
	s_lshl_b32 s4, s14, 12
	s_add_i32 s8, s10, s4
	s_lshl_b32 s4, s12, 12
	s_add_u32 s4, s10, s4
	s_addc_u32 s5, s11, 0
	v_mov_b32_e32 v3, s4
	v_readfirstlane_b32 s33, v1
	v_lshlrev_b32_e32 v1, 12, v1
	v_mov_b32_e32 v4, s5
	v_cmp_le_u64_e32 vcc, s[6:7], v[3:4]
	s_cmp_eq_u32 s33, s14
	v_lshlrev_b64 v[1:2], 2, v[1:2]
	s_cselect_b64 s[38:39], -1, 0
	s_and_b64 s[46:47], vcc, s[38:39]
	v_mov_b32_e32 v3, s9
	v_add_co_u32_e32 v21, vcc, s13, v1
	s_xor_b64 s[42:43], s[46:47], -1
	v_addc_co_u32_e32 v22, vcc, v3, v2, vcc
	s_mov_b64 s[4:5], -1
	s_and_b64 vcc, exec, s[42:43]
	v_lshrrev_b32_e32 v20, 3, v0
	s_cbranch_vccz .LBB1059_6
; %bb.5:
	v_lshlrev_b32_e32 v5, 2, v0
	v_add_co_u32_e32 v1, vcc, v21, v5
	v_addc_co_u32_e32 v2, vcc, 0, v22, vcc
	v_add_co_u32_e32 v3, vcc, 0x1000, v1
	v_addc_co_u32_e32 v4, vcc, 0, v2, vcc
	flat_load_dword v6, v[1:2]
	flat_load_dword v7, v[1:2] offset:1024
	flat_load_dword v8, v[1:2] offset:2048
	flat_load_dword v9, v[1:2] offset:3072
	flat_load_dword v10, v[3:4]
	flat_load_dword v11, v[3:4] offset:1024
	flat_load_dword v12, v[3:4] offset:2048
	;; [unrolled: 1-line block ×3, first 2 shown]
	v_add_co_u32_e32 v3, vcc, 0x2000, v1
	v_addc_co_u32_e32 v4, vcc, 0, v2, vcc
	flat_load_dword v14, v[3:4]
	flat_load_dword v15, v[3:4] offset:1024
	flat_load_dword v16, v[3:4] offset:2048
	;; [unrolled: 1-line block ×3, first 2 shown]
	v_add_co_u32_e32 v1, vcc, 0x3000, v1
	v_addc_co_u32_e32 v2, vcc, 0, v2, vcc
	flat_load_dword v3, v[1:2]
	flat_load_dword v4, v[1:2] offset:1024
	flat_load_dword v23, v[1:2] offset:2048
	;; [unrolled: 1-line block ×3, first 2 shown]
	v_or_b32_e32 v2, 0x100, v0
	v_or_b32_e32 v25, 0x200, v0
	;; [unrolled: 1-line block ×9, first 2 shown]
	v_and_b32_e32 v1, 28, v20
	v_or_b32_e32 v33, 0xa00, v0
	v_lshrrev_b32_e32 v2, 3, v2
	v_lshrrev_b32_e32 v25, 3, v25
	;; [unrolled: 1-line block ×9, first 2 shown]
	v_add_u32_e32 v1, v1, v5
	v_lshrrev_b32_e32 v33, 3, v33
	v_and_b32_e32 v2, 60, v2
	v_and_b32_e32 v25, 0x5c, v25
	;; [unrolled: 1-line block ×9, first 2 shown]
	v_add_u32_e32 v2, v2, v5
	v_add_u32_e32 v25, v25, v5
	;; [unrolled: 1-line block ×9, first 2 shown]
	s_mov_b64 s[4:5], 0
	s_waitcnt vmcnt(0) lgkmcnt(0)
	ds_write_b32 v1, v6
	ds_write_b32 v2, v7 offset:1024
	ds_write_b32 v25, v8 offset:2048
	;; [unrolled: 1-line block ×9, first 2 shown]
	v_and_b32_e32 v1, 0x15c, v33
	v_add_u32_e32 v1, v1, v5
	ds_write_b32 v1, v16 offset:10240
	v_or_b32_e32 v1, 0xb00, v0
	v_lshrrev_b32_e32 v1, 3, v1
	v_and_b32_e32 v1, 0x17c, v1
	v_add_u32_e32 v1, v1, v5
	ds_write_b32 v1, v17 offset:11264
	v_or_b32_e32 v1, 0xc00, v0
	v_lshrrev_b32_e32 v1, 3, v1
	;; [unrolled: 5-line block ×5, first 2 shown]
	v_and_b32_e32 v1, 0x1fc, v1
	v_add_u32_e32 v1, v1, v5
	ds_write_b32 v1, v24 offset:15360
	s_waitcnt lgkmcnt(0)
	s_barrier
.LBB1059_6:
	s_andn2_b64 vcc, exec, s[4:5]
	s_sub_i32 s56, s6, s8
	s_cbranch_vccnz .LBB1059_40
; %bb.7:
	v_mov_b32_e32 v1, 0
	v_cmp_gt_u32_e32 vcc, s56, v0
	v_mov_b32_e32 v2, v1
	v_mov_b32_e32 v3, v1
	;; [unrolled: 1-line block ×15, first 2 shown]
	s_and_saveexec_b64 s[4:5], vcc
	s_cbranch_execz .LBB1059_9
; %bb.8:
	v_lshlrev_b32_e32 v2, 2, v0
	v_add_co_u32_e32 v2, vcc, v21, v2
	v_addc_co_u32_e32 v3, vcc, 0, v22, vcc
	flat_load_dword v2, v[2:3]
	v_mov_b32_e32 v3, v1
	v_mov_b32_e32 v4, v1
	;; [unrolled: 1-line block ×15, first 2 shown]
	s_waitcnt vmcnt(0) lgkmcnt(0)
	v_mov_b32_e32 v1, v2
	v_mov_b32_e32 v2, v3
	;; [unrolled: 1-line block ×16, first 2 shown]
.LBB1059_9:
	s_or_b64 exec, exec, s[4:5]
	v_or_b32_e32 v17, 0x100, v0
	v_cmp_gt_u32_e32 vcc, s56, v17
	s_and_saveexec_b64 s[4:5], vcc
	s_cbranch_execz .LBB1059_11
; %bb.10:
	v_lshlrev_b32_e32 v2, 2, v0
	v_add_co_u32_e32 v23, vcc, v21, v2
	v_addc_co_u32_e32 v24, vcc, 0, v22, vcc
	flat_load_dword v2, v[23:24] offset:1024
.LBB1059_11:
	s_or_b64 exec, exec, s[4:5]
	v_or_b32_e32 v23, 0x200, v0
	v_cmp_gt_u32_e32 vcc, s56, v23
	s_and_saveexec_b64 s[4:5], vcc
	s_cbranch_execz .LBB1059_13
; %bb.12:
	v_lshlrev_b32_e32 v3, 2, v0
	v_add_co_u32_e32 v24, vcc, v21, v3
	v_addc_co_u32_e32 v25, vcc, 0, v22, vcc
	flat_load_dword v3, v[24:25] offset:2048
.LBB1059_13:
	;; [unrolled: 11-line block ×3, first 2 shown]
	s_or_b64 exec, exec, s[4:5]
	v_or_b32_e32 v25, 0x400, v0
	v_cmp_gt_u32_e32 vcc, s56, v25
	s_and_saveexec_b64 s[4:5], vcc
	s_cbranch_execz .LBB1059_17
; %bb.16:
	v_lshlrev_b32_e32 v5, 2, v25
	v_add_co_u32_e32 v26, vcc, v21, v5
	v_addc_co_u32_e32 v27, vcc, 0, v22, vcc
	flat_load_dword v5, v[26:27]
.LBB1059_17:
	s_or_b64 exec, exec, s[4:5]
	v_or_b32_e32 v26, 0x500, v0
	v_cmp_gt_u32_e32 vcc, s56, v26
	s_and_saveexec_b64 s[4:5], vcc
	s_cbranch_execz .LBB1059_19
; %bb.18:
	v_lshlrev_b32_e32 v6, 2, v26
	v_add_co_u32_e32 v27, vcc, v21, v6
	v_addc_co_u32_e32 v28, vcc, 0, v22, vcc
	flat_load_dword v6, v[27:28]
.LBB1059_19:
	;; [unrolled: 11-line block ×12, first 2 shown]
	s_or_b64 exec, exec, s[4:5]
	v_and_b32_e32 v20, 28, v20
	v_lshlrev_b32_e32 v37, 2, v0
	v_add_u32_e32 v20, v20, v37
	ds_write_b32 v20, v1
	v_lshrrev_b32_e32 v1, 3, v17
	v_and_b32_e32 v1, 60, v1
	v_add_u32_e32 v1, v1, v37
	s_waitcnt vmcnt(0) lgkmcnt(0)
	ds_write_b32 v1, v2 offset:1024
	v_lshrrev_b32_e32 v1, 3, v23
	v_and_b32_e32 v1, 0x7c, v1
	v_add_u32_e32 v1, v1, v37
	ds_write_b32 v1, v3 offset:2048
	v_lshrrev_b32_e32 v1, 3, v24
	v_and_b32_e32 v1, 0x7c, v1
	v_add_u32_e32 v1, v1, v37
	;; [unrolled: 4-line block ×14, first 2 shown]
	ds_write_b32 v1, v16 offset:15360
	s_waitcnt lgkmcnt(0)
	s_barrier
.LBB1059_40:
	v_lshlrev_b32_e32 v1, 1, v0
	v_and_b32_e32 v1, 0x1fc, v1
	v_lshl_add_u32 v1, v0, 6, v1
	ds_read2_b32 v[15:16], v1 offset1:1
	ds_read2_b32 v[13:14], v1 offset0:2 offset1:3
	ds_read2_b32 v[11:12], v1 offset0:4 offset1:5
	;; [unrolled: 1-line block ×7, first 2 shown]
	s_cmp_lg_u32 s33, 0
	s_cselect_b64 s[48:49], -1, 0
	s_cmp_lg_u64 s[10:11], 0
	s_cselect_b64 s[4:5], -1, 0
	s_or_b64 s[4:5], s[4:5], s[48:49]
	v_lshlrev_b32_e32 v20, 4, v0
	s_mov_b64 s[52:53], 0
	s_and_b64 vcc, exec, s[4:5]
	s_waitcnt vmcnt(0) lgkmcnt(0)
	s_barrier
	s_cbranch_vccz .LBB1059_45
; %bb.41:
	v_add_co_u32_e32 v21, vcc, -4, v21
	v_addc_co_u32_e32 v22, vcc, -1, v22, vcc
	flat_load_dword v21, v[21:22]
	v_lshlrev_b32_e32 v22, 2, v0
	s_and_b64 vcc, exec, s[42:43]
	ds_write_b32 v22, v2
	s_cbranch_vccz .LBB1059_46
; %bb.42:
	s_waitcnt vmcnt(0) lgkmcnt(0)
	v_mov_b32_e32 v23, v21
	s_barrier
	s_and_saveexec_b64 s[4:5], s[2:3]
; %bb.43:
	v_add_u32_e32 v17, -4, v22
	ds_read_b32 v23, v17
; %bb.44:
	s_or_b64 exec, exec, s[4:5]
	v_cmp_ne_u32_e32 vcc, v1, v2
	v_cndmask_b32_e64 v17, 0, 1, vcc
	v_cmp_ne_u32_e32 vcc, v4, v1
	v_cndmask_b32_e64 v54, 0, 1, vcc
	;; [unrolled: 2-line block ×15, first 2 shown]
	s_waitcnt lgkmcnt(0)
	v_cmp_ne_u32_e64 s[50:51], v23, v15
	s_branch .LBB1059_50
.LBB1059_45:
                                        ; implicit-def: $sgpr50_sgpr51
                                        ; implicit-def: $vgpr17
                                        ; implicit-def: $vgpr54
                                        ; implicit-def: $vgpr55
                                        ; implicit-def: $vgpr56
                                        ; implicit-def: $vgpr57
                                        ; implicit-def: $vgpr58
                                        ; implicit-def: $vgpr59
                                        ; implicit-def: $vgpr60
                                        ; implicit-def: $vgpr61
                                        ; implicit-def: $vgpr67
                                        ; implicit-def: $vgpr66
                                        ; implicit-def: $vgpr65
                                        ; implicit-def: $vgpr64
                                        ; implicit-def: $vgpr63
                                        ; implicit-def: $vgpr62
	s_branch .LBB1059_51
.LBB1059_46:
                                        ; implicit-def: $sgpr50_sgpr51
                                        ; implicit-def: $vgpr17
                                        ; implicit-def: $vgpr54
                                        ; implicit-def: $vgpr55
                                        ; implicit-def: $vgpr56
                                        ; implicit-def: $vgpr57
                                        ; implicit-def: $vgpr58
                                        ; implicit-def: $vgpr59
                                        ; implicit-def: $vgpr60
                                        ; implicit-def: $vgpr61
                                        ; implicit-def: $vgpr67
                                        ; implicit-def: $vgpr66
                                        ; implicit-def: $vgpr65
                                        ; implicit-def: $vgpr64
                                        ; implicit-def: $vgpr63
                                        ; implicit-def: $vgpr62
	s_cbranch_execz .LBB1059_50
; %bb.47:
	s_waitcnt vmcnt(0) lgkmcnt(0)
	s_barrier
	s_and_saveexec_b64 s[4:5], s[2:3]
; %bb.48:
	v_add_u32_e32 v17, -4, v22
	ds_read_b32 v21, v17
; %bb.49:
	s_or_b64 exec, exec, s[4:5]
	v_or_b32_e32 v17, 15, v20
	v_cmp_gt_u32_e32 vcc, s56, v17
	v_cmp_ne_u32_e64 s[4:5], v1, v2
	s_and_b64 s[4:5], vcc, s[4:5]
	v_or_b32_e32 v22, 14, v20
	v_cndmask_b32_e64 v17, 0, 1, s[4:5]
	v_cmp_gt_u32_e32 vcc, s56, v22
	v_cmp_ne_u32_e64 s[4:5], v4, v1
	s_and_b64 s[4:5], vcc, s[4:5]
	v_or_b32_e32 v22, 13, v20
	v_cndmask_b32_e64 v54, 0, 1, s[4:5]
	;; [unrolled: 5-line block ×14, first 2 shown]
	v_cmp_gt_u32_e32 vcc, s56, v22
	v_cmp_ne_u32_e64 s[4:5], v15, v16
	s_and_b64 s[4:5], vcc, s[4:5]
	v_cndmask_b32_e64 v67, 0, 1, s[4:5]
	v_cmp_gt_u32_e32 vcc, s56, v20
	s_waitcnt lgkmcnt(0)
	v_cmp_ne_u32_e64 s[4:5], v21, v15
	s_and_b64 s[50:51], vcc, s[4:5]
.LBB1059_50:
	s_mov_b64 s[52:53], -1
	s_cbranch_execnz .LBB1059_59
.LBB1059_51:
	s_waitcnt vmcnt(0) lgkmcnt(0)
	v_lshlrev_b32_e32 v21, 2, v0
	s_and_b64 vcc, exec, s[42:43]
	v_cmp_ne_u32_e64 s[4:5], v1, v2
	v_cmp_ne_u32_e64 s[6:7], v4, v1
	v_cmp_ne_u32_e64 s[8:9], v3, v4
	v_cmp_ne_u32_e64 s[10:11], v6, v3
	v_cmp_ne_u32_e64 s[12:13], v5, v6
	v_cmp_ne_u32_e64 s[14:15], v8, v5
	v_cmp_ne_u32_e64 s[16:17], v7, v8
	v_cmp_ne_u32_e64 s[18:19], v10, v7
	v_cmp_ne_u32_e64 s[20:21], v9, v10
	v_cmp_ne_u32_e64 s[22:23], v12, v9
	v_cmp_ne_u32_e64 s[24:25], v11, v12
	v_cmp_ne_u32_e64 s[26:27], v14, v11
	v_cmp_ne_u32_e64 s[28:29], v13, v14
	v_cmp_ne_u32_e64 s[30:31], v16, v13
	v_cmp_ne_u32_e64 s[34:35], v15, v16
	ds_write_b32 v21, v2
	s_cbranch_vccz .LBB1059_55
; %bb.52:
	s_waitcnt lgkmcnt(0)
	s_barrier
                                        ; implicit-def: $sgpr50_sgpr51
	s_and_saveexec_b64 s[54:55], s[2:3]
	s_xor_b64 s[54:55], exec, s[54:55]
	s_cbranch_execz .LBB1059_54
; %bb.53:
	v_add_u32_e32 v17, -4, v21
	ds_read_b32 v17, v17
	s_or_b64 s[52:53], s[52:53], exec
	s_waitcnt lgkmcnt(0)
	v_cmp_ne_u32_e64 s[50:51], v17, v15
.LBB1059_54:
	s_or_b64 exec, exec, s[54:55]
	v_cndmask_b32_e64 v17, 0, 1, s[4:5]
	v_cndmask_b32_e64 v54, 0, 1, s[6:7]
	;; [unrolled: 1-line block ×15, first 2 shown]
	s_branch .LBB1059_59
.LBB1059_55:
                                        ; implicit-def: $sgpr50_sgpr51
                                        ; implicit-def: $vgpr17
                                        ; implicit-def: $vgpr54
                                        ; implicit-def: $vgpr55
                                        ; implicit-def: $vgpr56
                                        ; implicit-def: $vgpr57
                                        ; implicit-def: $vgpr58
                                        ; implicit-def: $vgpr59
                                        ; implicit-def: $vgpr60
                                        ; implicit-def: $vgpr61
                                        ; implicit-def: $vgpr67
                                        ; implicit-def: $vgpr66
                                        ; implicit-def: $vgpr65
                                        ; implicit-def: $vgpr64
                                        ; implicit-def: $vgpr63
                                        ; implicit-def: $vgpr62
	s_cbranch_execz .LBB1059_59
; %bb.56:
	v_or_b32_e32 v17, 15, v20
	v_cmp_gt_u32_e32 vcc, s56, v17
	v_cmp_ne_u32_e64 s[4:5], v1, v2
	v_or_b32_e32 v17, 14, v20
	s_and_b64 s[6:7], vcc, s[4:5]
	v_cmp_gt_u32_e32 vcc, s56, v17
	v_cmp_ne_u32_e64 s[4:5], v4, v1
	v_or_b32_e32 v17, 13, v20
	s_and_b64 s[8:9], vcc, s[4:5]
	;; [unrolled: 4-line block ×14, first 2 shown]
	v_cmp_gt_u32_e32 vcc, s56, v17
	v_cmp_ne_u32_e64 s[4:5], v15, v16
	s_and_b64 s[4:5], vcc, s[4:5]
	s_waitcnt lgkmcnt(0)
	s_barrier
                                        ; implicit-def: $sgpr50_sgpr51
	s_and_saveexec_b64 s[54:55], s[2:3]
	s_cbranch_execz .LBB1059_58
; %bb.57:
	v_add_u32_e32 v17, -4, v21
	ds_read_b32 v17, v17
	v_cmp_gt_u32_e32 vcc, s56, v20
	s_or_b64 s[52:53], s[52:53], exec
	s_waitcnt lgkmcnt(0)
	v_cmp_ne_u32_e64 s[2:3], v17, v15
	s_and_b64 s[50:51], vcc, s[2:3]
.LBB1059_58:
	s_or_b64 exec, exec, s[54:55]
	v_cndmask_b32_e64 v17, 0, 1, s[6:7]
	v_cndmask_b32_e64 v54, 0, 1, s[8:9]
	v_cndmask_b32_e64 v55, 0, 1, s[10:11]
	v_cndmask_b32_e64 v56, 0, 1, s[12:13]
	v_cndmask_b32_e64 v57, 0, 1, s[14:15]
	v_cndmask_b32_e64 v58, 0, 1, s[16:17]
	v_cndmask_b32_e64 v59, 0, 1, s[18:19]
	v_cndmask_b32_e64 v60, 0, 1, s[20:21]
	v_cndmask_b32_e64 v61, 0, 1, s[22:23]
	v_cndmask_b32_e64 v62, 0, 1, s[24:25]
	v_cndmask_b32_e64 v63, 0, 1, s[26:27]
	v_cndmask_b32_e64 v64, 0, 1, s[28:29]
	v_cndmask_b32_e64 v65, 0, 1, s[30:31]
	v_cndmask_b32_e64 v66, 0, 1, s[34:35]
	v_cndmask_b32_e64 v67, 0, 1, s[4:5]
.LBB1059_59:
	v_mov_b32_e32 v31, 1
	s_and_saveexec_b64 s[2:3], s[52:53]
; %bb.60:
	v_cndmask_b32_e64 v31, 0, 1, s[50:51]
; %bb.61:
	s_or_b64 exec, exec, s[2:3]
	s_andn2_b64 vcc, exec, s[46:47]
	s_cbranch_vccnz .LBB1059_63
; %bb.62:
	v_cmp_gt_u32_e32 vcc, s56, v20
	s_waitcnt vmcnt(0) lgkmcnt(0)
	v_or_b32_e32 v21, 1, v20
	v_cndmask_b32_e32 v31, 0, v31, vcc
	v_cmp_gt_u32_e32 vcc, s56, v21
	v_or_b32_e32 v21, 2, v20
	v_cndmask_b32_e32 v67, 0, v67, vcc
	v_cmp_gt_u32_e32 vcc, s56, v21
	v_or_b32_e32 v21, 3, v20
	v_cndmask_b32_e32 v66, 0, v66, vcc
	v_cmp_gt_u32_e32 vcc, s56, v21
	v_or_b32_e32 v21, 4, v20
	v_cndmask_b32_e32 v65, 0, v65, vcc
	v_cmp_gt_u32_e32 vcc, s56, v21
	v_or_b32_e32 v21, 5, v20
	v_cndmask_b32_e32 v64, 0, v64, vcc
	v_cmp_gt_u32_e32 vcc, s56, v21
	v_or_b32_e32 v21, 6, v20
	v_cndmask_b32_e32 v63, 0, v63, vcc
	v_cmp_gt_u32_e32 vcc, s56, v21
	v_or_b32_e32 v21, 7, v20
	v_cndmask_b32_e32 v62, 0, v62, vcc
	v_cmp_gt_u32_e32 vcc, s56, v21
	v_or_b32_e32 v21, 8, v20
	v_cndmask_b32_e32 v61, 0, v61, vcc
	v_cmp_gt_u32_e32 vcc, s56, v21
	v_or_b32_e32 v21, 9, v20
	v_cndmask_b32_e32 v60, 0, v60, vcc
	v_cmp_gt_u32_e32 vcc, s56, v21
	v_or_b32_e32 v21, 10, v20
	v_cndmask_b32_e32 v59, 0, v59, vcc
	v_cmp_gt_u32_e32 vcc, s56, v21
	v_or_b32_e32 v21, 11, v20
	v_cndmask_b32_e32 v58, 0, v58, vcc
	v_cmp_gt_u32_e32 vcc, s56, v21
	v_or_b32_e32 v21, 12, v20
	v_cndmask_b32_e32 v57, 0, v57, vcc
	v_cmp_gt_u32_e32 vcc, s56, v21
	v_or_b32_e32 v21, 13, v20
	v_cndmask_b32_e32 v56, 0, v56, vcc
	v_cmp_gt_u32_e32 vcc, s56, v21
	v_or_b32_e32 v21, 14, v20
	v_cndmask_b32_e32 v55, 0, v55, vcc
	v_cmp_gt_u32_e32 vcc, s56, v21
	v_or_b32_e32 v20, 15, v20
	v_cndmask_b32_e32 v54, 0, v54, vcc
	v_cmp_gt_u32_e32 vcc, s56, v20
	v_cndmask_b32_e32 v17, 0, v17, vcc
.LBB1059_63:
	v_and_b32_e32 v40, 0xff, v65
	v_and_b32_e32 v42, 0xff, v64
	s_waitcnt vmcnt(0) lgkmcnt(0)
	v_add_u32_sdwa v21, v63, v62 dst_sel:DWORD dst_unused:UNUSED_PAD src0_sel:BYTE_0 src1_sel:BYTE_0
	v_and_b32_e32 v36, 0xff, v67
	v_and_b32_e32 v38, 0xff, v66
	v_add3_u32 v21, v21, v42, v40
	v_and_b32_e32 v34, 0xffff, v31
	v_and_b32_e32 v30, 0xff, v61
	v_add3_u32 v21, v21, v38, v36
	;; [unrolled: 3-line block ×6, first 2 shown]
	v_add3_u32 v47, v21, v43, v20
	v_mbcnt_lo_u32_b32 v20, -1, 0
	v_mbcnt_hi_u32_b32 v44, -1, v20
	v_and_b32_e32 v20, 15, v44
	v_cmp_eq_u32_e64 s[14:15], 0, v20
	v_cmp_lt_u32_e64 s[12:13], 1, v20
	v_cmp_lt_u32_e64 s[10:11], 3, v20
	;; [unrolled: 1-line block ×3, first 2 shown]
	v_and_b32_e32 v20, 16, v44
	v_cmp_eq_u32_e64 s[6:7], 0, v20
	v_or_b32_e32 v20, 63, v0
	v_cmp_lt_u32_e64 s[2:3], 31, v44
	v_lshrrev_b32_e32 v45, 6, v0
	v_cmp_eq_u32_e64 s[4:5], v0, v20
	s_and_b64 vcc, exec, s[48:49]
	s_barrier
	s_cbranch_vccz .LBB1059_85
; %bb.64:
	v_mov_b32_dpp v20, v47 row_shr:1 row_mask:0xf bank_mask:0xf
	v_cndmask_b32_e64 v20, v20, 0, s[14:15]
	v_add_u32_e32 v20, v20, v47
	s_nop 1
	v_mov_b32_dpp v21, v20 row_shr:2 row_mask:0xf bank_mask:0xf
	v_cndmask_b32_e64 v21, 0, v21, s[12:13]
	v_add_u32_e32 v20, v20, v21
	s_nop 1
	;; [unrolled: 4-line block ×4, first 2 shown]
	v_mov_b32_dpp v21, v20 row_bcast:15 row_mask:0xf bank_mask:0xf
	v_cndmask_b32_e64 v21, v21, 0, s[6:7]
	v_add_u32_e32 v20, v20, v21
	s_nop 1
	v_mov_b32_dpp v21, v20 row_bcast:31 row_mask:0xf bank_mask:0xf
	v_cndmask_b32_e64 v21, 0, v21, s[2:3]
	v_add_u32_e32 v20, v20, v21
	s_and_saveexec_b64 s[16:17], s[4:5]
; %bb.65:
	v_lshlrev_b32_e32 v21, 2, v45
	ds_write_b32 v21, v20
; %bb.66:
	s_or_b64 exec, exec, s[16:17]
	v_cmp_gt_u32_e32 vcc, 4, v0
	s_waitcnt lgkmcnt(0)
	s_barrier
	s_and_saveexec_b64 s[16:17], vcc
	s_cbranch_execz .LBB1059_68
; %bb.67:
	v_lshlrev_b32_e32 v21, 2, v0
	ds_read_b32 v22, v21
	v_and_b32_e32 v23, 3, v44
	v_cmp_ne_u32_e32 vcc, 0, v23
	s_waitcnt lgkmcnt(0)
	v_mov_b32_dpp v24, v22 row_shr:1 row_mask:0xf bank_mask:0xf
	v_cndmask_b32_e32 v24, 0, v24, vcc
	v_add_u32_e32 v22, v24, v22
	v_cmp_lt_u32_e32 vcc, 1, v23
	s_nop 0
	v_mov_b32_dpp v24, v22 row_shr:2 row_mask:0xf bank_mask:0xf
	v_cndmask_b32_e32 v23, 0, v24, vcc
	v_add_u32_e32 v22, v22, v23
	ds_write_b32 v21, v22
.LBB1059_68:
	s_or_b64 exec, exec, s[16:17]
	v_cmp_gt_u32_e32 vcc, 64, v0
	v_cmp_lt_u32_e64 s[16:17], 63, v0
	s_waitcnt lgkmcnt(0)
	s_barrier
                                        ; implicit-def: $vgpr46
	s_and_saveexec_b64 s[18:19], s[16:17]
	s_cbranch_execz .LBB1059_70
; %bb.69:
	v_lshl_add_u32 v21, v45, 2, -4
	ds_read_b32 v46, v21
	s_waitcnt lgkmcnt(0)
	v_add_u32_e32 v20, v46, v20
.LBB1059_70:
	s_or_b64 exec, exec, s[18:19]
	v_subrev_co_u32_e64 v21, s[16:17], 1, v44
	v_and_b32_e32 v22, 64, v44
	v_cmp_lt_i32_e64 s[18:19], v21, v22
	v_cndmask_b32_e64 v21, v21, v44, s[18:19]
	v_lshlrev_b32_e32 v21, 2, v21
	ds_bpermute_b32 v48, v21, v20
	s_and_saveexec_b64 s[18:19], vcc
	s_cbranch_execz .LBB1059_90
; %bb.71:
	v_mov_b32_e32 v26, 0
	ds_read_b32 v20, v26 offset:12
	s_and_saveexec_b64 s[20:21], s[16:17]
	s_cbranch_execz .LBB1059_73
; %bb.72:
	s_add_i32 s22, s33, 64
	s_mov_b32 s23, 0
	s_lshl_b64 s[22:23], s[22:23], 3
	s_add_u32 s22, s44, s22
	v_mov_b32_e32 v21, 1
	s_addc_u32 s23, s45, s23
	s_waitcnt lgkmcnt(0)
	global_store_dwordx2 v26, v[20:21], s[22:23]
.LBB1059_73:
	s_or_b64 exec, exec, s[20:21]
	v_xad_u32 v22, v44, -1, s33
	v_add_u32_e32 v25, 64, v22
	v_lshlrev_b64 v[23:24], 3, v[25:26]
	v_mov_b32_e32 v21, s45
	v_add_co_u32_e32 v27, vcc, s44, v23
	v_addc_co_u32_e32 v28, vcc, v21, v24, vcc
	global_load_dwordx2 v[24:25], v[27:28], off glc
	s_waitcnt vmcnt(0)
	v_cmp_eq_u16_sdwa s[22:23], v25, v26 src0_sel:BYTE_0 src1_sel:DWORD
	s_and_saveexec_b64 s[20:21], s[22:23]
	s_cbranch_execz .LBB1059_77
; %bb.74:
	s_mov_b64 s[22:23], 0
	v_mov_b32_e32 v21, 0
.LBB1059_75:                            ; =>This Inner Loop Header: Depth=1
	global_load_dwordx2 v[24:25], v[27:28], off glc
	s_waitcnt vmcnt(0)
	v_cmp_ne_u16_sdwa s[24:25], v25, v21 src0_sel:BYTE_0 src1_sel:DWORD
	s_or_b64 s[22:23], s[24:25], s[22:23]
	s_andn2_b64 exec, exec, s[22:23]
	s_cbranch_execnz .LBB1059_75
; %bb.76:
	s_or_b64 exec, exec, s[22:23]
.LBB1059_77:
	s_or_b64 exec, exec, s[20:21]
	v_and_b32_e32 v50, 63, v44
	v_mov_b32_e32 v49, 2
	v_lshlrev_b64 v[26:27], v44, -1
	v_cmp_ne_u32_e32 vcc, 63, v50
	v_cmp_eq_u16_sdwa s[20:21], v25, v49 src0_sel:BYTE_0 src1_sel:DWORD
	v_addc_co_u32_e32 v28, vcc, 0, v44, vcc
	v_and_b32_e32 v21, s21, v27
	v_lshlrev_b32_e32 v51, 2, v28
	v_or_b32_e32 v21, 0x80000000, v21
	ds_bpermute_b32 v28, v51, v24
	v_and_b32_e32 v23, s20, v26
	v_ffbl_b32_e32 v21, v21
	v_add_u32_e32 v21, 32, v21
	v_ffbl_b32_e32 v23, v23
	v_min_u32_e32 v21, v23, v21
	v_cmp_lt_u32_e32 vcc, v50, v21
	s_waitcnt lgkmcnt(0)
	v_cndmask_b32_e32 v23, 0, v28, vcc
	v_cmp_gt_u32_e32 vcc, 62, v50
	v_add_u32_e32 v23, v23, v24
	v_cndmask_b32_e64 v24, 0, 2, vcc
	v_add_lshl_u32 v52, v24, v44, 2
	ds_bpermute_b32 v24, v52, v23
	v_add_u32_e32 v53, 2, v50
	v_cmp_le_u32_e32 vcc, v53, v21
	v_add_u32_e32 v69, 4, v50
	v_add_u32_e32 v71, 8, v50
	s_waitcnt lgkmcnt(0)
	v_cndmask_b32_e32 v24, 0, v24, vcc
	v_cmp_gt_u32_e32 vcc, 60, v50
	v_add_u32_e32 v23, v23, v24
	v_cndmask_b32_e64 v24, 0, 4, vcc
	v_add_lshl_u32 v68, v24, v44, 2
	ds_bpermute_b32 v24, v68, v23
	v_cmp_le_u32_e32 vcc, v69, v21
	v_add_u32_e32 v73, 16, v50
	v_add_u32_e32 v75, 32, v50
	s_waitcnt lgkmcnt(0)
	v_cndmask_b32_e32 v24, 0, v24, vcc
	v_cmp_gt_u32_e32 vcc, 56, v50
	v_add_u32_e32 v23, v23, v24
	v_cndmask_b32_e64 v24, 0, 8, vcc
	v_add_lshl_u32 v70, v24, v44, 2
	ds_bpermute_b32 v24, v70, v23
	v_cmp_le_u32_e32 vcc, v71, v21
	s_waitcnt lgkmcnt(0)
	v_cndmask_b32_e32 v24, 0, v24, vcc
	v_cmp_gt_u32_e32 vcc, 48, v50
	v_add_u32_e32 v23, v23, v24
	v_cndmask_b32_e64 v24, 0, 16, vcc
	v_add_lshl_u32 v72, v24, v44, 2
	ds_bpermute_b32 v24, v72, v23
	v_cmp_le_u32_e32 vcc, v73, v21
	s_waitcnt lgkmcnt(0)
	v_cndmask_b32_e32 v24, 0, v24, vcc
	v_add_u32_e32 v23, v23, v24
	v_mov_b32_e32 v24, 0x80
	v_lshl_or_b32 v74, v44, 2, v24
	ds_bpermute_b32 v24, v74, v23
	v_cmp_le_u32_e32 vcc, v75, v21
	s_waitcnt lgkmcnt(0)
	v_cndmask_b32_e32 v21, 0, v24, vcc
	v_add_u32_e32 v24, v23, v21
	v_mov_b32_e32 v23, 0
	s_branch .LBB1059_80
.LBB1059_78:                            ;   in Loop: Header=BB1059_80 Depth=1
	s_or_b64 exec, exec, s[20:21]
	v_cmp_eq_u16_sdwa s[20:21], v25, v49 src0_sel:BYTE_0 src1_sel:DWORD
	v_and_b32_e32 v28, s21, v27
	v_or_b32_e32 v28, 0x80000000, v28
	ds_bpermute_b32 v76, v51, v24
	v_and_b32_e32 v29, s20, v26
	v_ffbl_b32_e32 v28, v28
	v_add_u32_e32 v28, 32, v28
	v_ffbl_b32_e32 v29, v29
	v_min_u32_e32 v28, v29, v28
	v_cmp_lt_u32_e32 vcc, v50, v28
	s_waitcnt lgkmcnt(0)
	v_cndmask_b32_e32 v29, 0, v76, vcc
	v_add_u32_e32 v24, v29, v24
	ds_bpermute_b32 v29, v52, v24
	v_cmp_le_u32_e32 vcc, v53, v28
	v_subrev_u32_e32 v22, 64, v22
	s_mov_b64 s[20:21], 0
	s_waitcnt lgkmcnt(0)
	v_cndmask_b32_e32 v29, 0, v29, vcc
	v_add_u32_e32 v24, v24, v29
	ds_bpermute_b32 v29, v68, v24
	v_cmp_le_u32_e32 vcc, v69, v28
	s_waitcnt lgkmcnt(0)
	v_cndmask_b32_e32 v29, 0, v29, vcc
	v_add_u32_e32 v24, v24, v29
	ds_bpermute_b32 v29, v70, v24
	v_cmp_le_u32_e32 vcc, v71, v28
	;; [unrolled: 5-line block ×4, first 2 shown]
	s_waitcnt lgkmcnt(0)
	v_cndmask_b32_e32 v28, 0, v29, vcc
	v_add3_u32 v24, v28, v21, v24
.LBB1059_79:                            ;   in Loop: Header=BB1059_80 Depth=1
	s_and_b64 vcc, exec, s[20:21]
	s_cbranch_vccnz .LBB1059_86
.LBB1059_80:                            ; =>This Loop Header: Depth=1
                                        ;     Child Loop BB1059_83 Depth 2
	v_cmp_ne_u16_sdwa s[20:21], v25, v49 src0_sel:BYTE_0 src1_sel:DWORD
	v_mov_b32_e32 v21, v24
	s_cmp_lg_u64 s[20:21], exec
	s_mov_b64 s[20:21], -1
                                        ; implicit-def: $vgpr24
                                        ; implicit-def: $vgpr25
	s_cbranch_scc1 .LBB1059_79
; %bb.81:                               ;   in Loop: Header=BB1059_80 Depth=1
	v_lshlrev_b64 v[24:25], 3, v[22:23]
	v_mov_b32_e32 v29, s45
	v_add_co_u32_e32 v28, vcc, s44, v24
	v_addc_co_u32_e32 v29, vcc, v29, v25, vcc
	global_load_dwordx2 v[24:25], v[28:29], off glc
	s_waitcnt vmcnt(0)
	v_cmp_eq_u16_sdwa s[22:23], v25, v23 src0_sel:BYTE_0 src1_sel:DWORD
	s_and_saveexec_b64 s[20:21], s[22:23]
	s_cbranch_execz .LBB1059_78
; %bb.82:                               ;   in Loop: Header=BB1059_80 Depth=1
	s_mov_b64 s[22:23], 0
.LBB1059_83:                            ;   Parent Loop BB1059_80 Depth=1
                                        ; =>  This Inner Loop Header: Depth=2
	global_load_dwordx2 v[24:25], v[28:29], off glc
	s_waitcnt vmcnt(0)
	v_cmp_ne_u16_sdwa s[24:25], v25, v23 src0_sel:BYTE_0 src1_sel:DWORD
	s_or_b64 s[22:23], s[24:25], s[22:23]
	s_andn2_b64 exec, exec, s[22:23]
	s_cbranch_execnz .LBB1059_83
; %bb.84:                               ;   in Loop: Header=BB1059_80 Depth=1
	s_or_b64 exec, exec, s[22:23]
	s_branch .LBB1059_78
.LBB1059_85:
                                        ; implicit-def: $vgpr21
                                        ; implicit-def: $vgpr46
	s_cbranch_execnz .LBB1059_91
	s_branch .LBB1059_100
.LBB1059_86:
	s_and_saveexec_b64 s[20:21], s[16:17]
	s_cbranch_execz .LBB1059_88
; %bb.87:
	s_add_i32 s22, s33, 64
	s_mov_b32 s23, 0
	s_lshl_b64 s[22:23], s[22:23], 3
	s_add_u32 s22, s44, s22
	v_add_u32_e32 v22, v21, v20
	v_mov_b32_e32 v23, 2
	s_addc_u32 s23, s45, s23
	v_mov_b32_e32 v24, 0
	global_store_dwordx2 v24, v[22:23], s[22:23]
	ds_write_b64 v24, v[20:21] offset:16896
.LBB1059_88:
	s_or_b64 exec, exec, s[20:21]
	s_and_b64 exec, exec, s[0:1]
; %bb.89:
	v_mov_b32_e32 v20, 0
	ds_write_b32 v20, v21 offset:12
.LBB1059_90:
	s_or_b64 exec, exec, s[18:19]
	v_mov_b32_e32 v20, 0
	s_waitcnt vmcnt(0) lgkmcnt(0)
	s_barrier
	ds_read_b32 v22, v20 offset:12
	s_waitcnt lgkmcnt(0)
	s_barrier
	ds_read_b64 v[20:21], v20 offset:16896
	v_cndmask_b32_e64 v23, v48, v46, s[16:17]
	v_cndmask_b32_e64 v23, v23, 0, s[0:1]
	v_add_u32_e32 v46, v22, v23
	s_branch .LBB1059_100
.LBB1059_91:
	s_waitcnt lgkmcnt(0)
	v_mov_b32_dpp v20, v47 row_shr:1 row_mask:0xf bank_mask:0xf
	v_cndmask_b32_e64 v20, v20, 0, s[14:15]
	v_add_u32_e32 v20, v20, v47
	s_nop 1
	v_mov_b32_dpp v21, v20 row_shr:2 row_mask:0xf bank_mask:0xf
	v_cndmask_b32_e64 v21, 0, v21, s[12:13]
	v_add_u32_e32 v20, v20, v21
	s_nop 1
	;; [unrolled: 4-line block ×4, first 2 shown]
	v_mov_b32_dpp v21, v20 row_bcast:15 row_mask:0xf bank_mask:0xf
	v_cndmask_b32_e64 v21, v21, 0, s[6:7]
	v_add_u32_e32 v20, v20, v21
	s_nop 1
	v_mov_b32_dpp v21, v20 row_bcast:31 row_mask:0xf bank_mask:0xf
	v_cndmask_b32_e64 v21, 0, v21, s[2:3]
	v_add_u32_e32 v20, v20, v21
	s_and_saveexec_b64 s[2:3], s[4:5]
; %bb.92:
	v_lshlrev_b32_e32 v21, 2, v45
	ds_write_b32 v21, v20
; %bb.93:
	s_or_b64 exec, exec, s[2:3]
	v_cmp_gt_u32_e32 vcc, 4, v0
	s_waitcnt lgkmcnt(0)
	s_barrier
	s_and_saveexec_b64 s[2:3], vcc
	s_cbranch_execz .LBB1059_95
; %bb.94:
	v_lshlrev_b32_e32 v21, 2, v0
	ds_read_b32 v22, v21
	v_and_b32_e32 v23, 3, v44
	v_cmp_ne_u32_e32 vcc, 0, v23
	s_waitcnt lgkmcnt(0)
	v_mov_b32_dpp v24, v22 row_shr:1 row_mask:0xf bank_mask:0xf
	v_cndmask_b32_e32 v24, 0, v24, vcc
	v_add_u32_e32 v22, v24, v22
	v_cmp_lt_u32_e32 vcc, 1, v23
	s_nop 0
	v_mov_b32_dpp v24, v22 row_shr:2 row_mask:0xf bank_mask:0xf
	v_cndmask_b32_e32 v23, 0, v24, vcc
	v_add_u32_e32 v22, v22, v23
	ds_write_b32 v21, v22
.LBB1059_95:
	s_or_b64 exec, exec, s[2:3]
	v_cmp_lt_u32_e32 vcc, 63, v0
	v_mov_b32_e32 v21, 0
	v_mov_b32_e32 v22, 0
	s_waitcnt lgkmcnt(0)
	s_barrier
	s_and_saveexec_b64 s[2:3], vcc
; %bb.96:
	v_lshl_add_u32 v22, v45, 2, -4
	ds_read_b32 v22, v22
; %bb.97:
	s_or_b64 exec, exec, s[2:3]
	v_subrev_co_u32_e32 v23, vcc, 1, v44
	v_and_b32_e32 v24, 64, v44
	v_cmp_lt_i32_e64 s[2:3], v23, v24
	v_cndmask_b32_e64 v23, v23, v44, s[2:3]
	s_waitcnt lgkmcnt(0)
	v_add_u32_e32 v20, v22, v20
	v_lshlrev_b32_e32 v23, 2, v23
	ds_bpermute_b32 v23, v23, v20
	ds_read_b32 v20, v21 offset:12
	s_and_saveexec_b64 s[2:3], s[0:1]
	s_cbranch_execz .LBB1059_99
; %bb.98:
	v_mov_b32_e32 v24, 0
	v_mov_b32_e32 v21, 2
	s_waitcnt lgkmcnt(0)
	global_store_dwordx2 v24, v[20:21], s[44:45] offset:512
.LBB1059_99:
	s_or_b64 exec, exec, s[2:3]
	s_waitcnt lgkmcnt(1)
	v_cndmask_b32_e32 v21, v23, v22, vcc
	v_cndmask_b32_e64 v46, v21, 0, s[0:1]
	s_waitcnt vmcnt(0) lgkmcnt(0)
	s_barrier
	v_mov_b32_e32 v21, 0
.LBB1059_100:
	v_add_u32_e32 v52, v46, v34
	v_add_u32_e32 v50, v52, v36
	;; [unrolled: 1-line block ×5, first 2 shown]
	v_add_u32_sdwa v40, v42, v63 dst_sel:DWORD dst_unused:UNUSED_PAD src0_sel:DWORD src1_sel:BYTE_0
	v_add_u32_sdwa v38, v40, v62 dst_sel:DWORD dst_unused:UNUSED_PAD src0_sel:DWORD src1_sel:BYTE_0
	v_add_u32_e32 v36, v38, v30
	v_add_u32_e32 v34, v36, v32
	;; [unrolled: 1-line block ×6, first 2 shown]
	s_movk_i32 s4, 0x101
	v_add_u32_e32 v24, v26, v41
	s_waitcnt lgkmcnt(0)
	v_cmp_gt_u32_e32 vcc, s4, v20
	v_add_u32_e32 v22, v24, v43
	s_mov_b64 s[2:3], -1
	v_and_b32_e32 v68, 1, v31
	s_cbranch_vccnz .LBB1059_104
; %bb.101:
	s_and_b64 vcc, exec, s[2:3]
	s_cbranch_vccnz .LBB1059_137
.LBB1059_102:
	s_and_b64 s[0:1], s[0:1], s[38:39]
	s_and_saveexec_b64 s[2:3], s[0:1]
	s_cbranch_execnz .LBB1059_173
.LBB1059_103:
	s_endpgm
.LBB1059_104:
	v_lshlrev_b64 v[69:70], 2, v[18:19]
	v_mov_b32_e32 v25, s41
	v_add_co_u32_e32 v69, vcc, s40, v69
	v_add_u32_e32 v23, v21, v20
	v_addc_co_u32_e32 v70, vcc, v25, v70, vcc
	v_cmp_lt_u32_e32 vcc, v46, v23
	s_or_b64 s[2:3], s[42:43], vcc
	v_cmp_eq_u32_e32 vcc, 1, v68
	s_and_b64 s[4:5], s[2:3], vcc
	s_and_saveexec_b64 s[2:3], s[4:5]
	s_cbranch_execz .LBB1059_106
; %bb.105:
	v_mov_b32_e32 v47, 0
	v_lshlrev_b64 v[71:72], 2, v[46:47]
	v_add_co_u32_e32 v71, vcc, v69, v71
	v_addc_co_u32_e32 v72, vcc, v70, v72, vcc
	global_store_dword v[71:72], v15, off
.LBB1059_106:
	s_or_b64 exec, exec, s[2:3]
	v_cmp_lt_u32_e32 vcc, v52, v23
	v_and_b32_e32 v25, 1, v67
	s_or_b64 s[2:3], s[42:43], vcc
	v_cmp_eq_u32_e32 vcc, 1, v25
	s_and_b64 s[4:5], s[2:3], vcc
	s_and_saveexec_b64 s[2:3], s[4:5]
	s_cbranch_execz .LBB1059_108
; %bb.107:
	v_mov_b32_e32 v53, 0
	v_lshlrev_b64 v[71:72], 2, v[52:53]
	v_add_co_u32_e32 v71, vcc, v69, v71
	v_addc_co_u32_e32 v72, vcc, v70, v72, vcc
	global_store_dword v[71:72], v16, off
.LBB1059_108:
	s_or_b64 exec, exec, s[2:3]
	v_cmp_lt_u32_e32 vcc, v50, v23
	v_and_b32_e32 v25, 1, v66
	;; [unrolled: 15-line block ×15, first 2 shown]
	s_or_b64 s[2:3], s[42:43], vcc
	v_cmp_eq_u32_e32 vcc, 1, v23
	s_and_b64 s[4:5], s[2:3], vcc
	s_and_saveexec_b64 s[2:3], s[4:5]
	s_cbranch_execz .LBB1059_136
; %bb.135:
	v_mov_b32_e32 v23, 0
	v_lshlrev_b64 v[71:72], 2, v[22:23]
	v_add_co_u32_e32 v69, vcc, v69, v71
	v_addc_co_u32_e32 v70, vcc, v70, v72, vcc
	global_store_dword v[69:70], v2, off
.LBB1059_136:
	s_or_b64 exec, exec, s[2:3]
	s_branch .LBB1059_102
.LBB1059_137:
	v_cmp_eq_u32_e32 vcc, 1, v68
	s_and_saveexec_b64 s[2:3], vcc
; %bb.138:
	v_sub_u32_e32 v23, v46, v21
	v_lshlrev_b32_e32 v23, 2, v23
	ds_write_b32 v23, v15
; %bb.139:
	s_or_b64 exec, exec, s[2:3]
	v_and_b32_e32 v15, 1, v67
	v_cmp_eq_u32_e32 vcc, 1, v15
	s_and_saveexec_b64 s[2:3], vcc
; %bb.140:
	v_sub_u32_e32 v15, v52, v21
	v_lshlrev_b32_e32 v15, 2, v15
	ds_write_b32 v15, v16
; %bb.141:
	s_or_b64 exec, exec, s[2:3]
	v_and_b32_e32 v15, 1, v66
	;; [unrolled: 9-line block ×15, first 2 shown]
	v_cmp_eq_u32_e32 vcc, 1, v1
	s_and_saveexec_b64 s[2:3], vcc
; %bb.168:
	v_sub_u32_e32 v1, v22, v21
	v_lshlrev_b32_e32 v1, 2, v1
	ds_write_b32 v1, v2
; %bb.169:
	s_or_b64 exec, exec, s[2:3]
	v_cmp_lt_u32_e32 vcc, v0, v20
	s_waitcnt vmcnt(0) lgkmcnt(0)
	s_barrier
	s_and_saveexec_b64 s[4:5], vcc
	s_cbranch_execz .LBB1059_172
; %bb.170:
	v_mov_b32_e32 v1, 0
	v_lshlrev_b64 v[4:5], 2, v[18:19]
	v_mov_b32_e32 v2, v21
	v_mov_b32_e32 v3, v1
	;; [unrolled: 1-line block ×3, first 2 shown]
	v_add_co_u32_e32 v4, vcc, s40, v4
	v_lshlrev_b64 v[2:3], 2, v[2:3]
	v_addc_co_u32_e32 v5, vcc, v6, v5, vcc
	v_add_co_u32_e32 v2, vcc, v4, v2
	v_addc_co_u32_e32 v3, vcc, v5, v3, vcc
	v_lshlrev_b32_e32 v4, 2, v0
	s_mov_b64 s[6:7], 0
.LBB1059_171:                           ; =>This Inner Loop Header: Depth=1
	ds_read_b32 v7, v4
	v_lshlrev_b64 v[5:6], 2, v[0:1]
	v_add_u32_e32 v0, 0x100, v0
	v_cmp_ge_u32_e32 vcc, v0, v20
	v_add_co_u32_e64 v5, s[2:3], v2, v5
	v_add_u32_e32 v4, 0x400, v4
	v_addc_co_u32_e64 v6, s[2:3], v3, v6, s[2:3]
	s_or_b64 s[6:7], vcc, s[6:7]
	s_waitcnt lgkmcnt(0)
	global_store_dword v[5:6], v7, off
	s_andn2_b64 exec, exec, s[6:7]
	s_cbranch_execnz .LBB1059_171
.LBB1059_172:
	s_or_b64 exec, exec, s[4:5]
	s_and_b64 s[0:1], s[0:1], s[38:39]
	s_and_saveexec_b64 s[2:3], s[0:1]
	s_cbranch_execz .LBB1059_103
.LBB1059_173:
	v_add_co_u32_e32 v0, vcc, v18, v20
	v_addc_co_u32_e32 v1, vcc, 0, v19, vcc
	v_add_co_u32_e32 v0, vcc, v0, v21
	v_mov_b32_e32 v2, 0
	v_addc_co_u32_e32 v1, vcc, 0, v1, vcc
	global_store_dwordx2 v2, v[0:1], s[36:37]
	s_endpgm
	.section	.rodata,"a",@progbits
	.p2align	6, 0x0
	.amdhsa_kernel _ZN7rocprim17ROCPRIM_400000_NS6detail17trampoline_kernelINS0_14default_configENS1_25partition_config_selectorILNS1_17partition_subalgoE8EiNS0_10empty_typeEbEEZZNS1_14partition_implILS5_8ELb0ES3_jN6thrust23THRUST_200600_302600_NS10device_ptrIiEEPS6_PKS6_NS0_5tupleIJSC_S6_EEENSG_IJSD_SD_EEENS0_18inequality_wrapperINSA_8equal_toIiEEEEPmJS6_EEE10hipError_tPvRmT3_T4_T5_T6_T7_T9_mT8_P12ihipStream_tbDpT10_ENKUlT_T0_E_clISt17integral_constantIbLb0EES16_IbLb1EEEEDaS12_S13_EUlS12_E_NS1_11comp_targetILNS1_3genE2ELNS1_11target_archE906ELNS1_3gpuE6ELNS1_3repE0EEENS1_30default_config_static_selectorELNS0_4arch9wavefront6targetE1EEEvT1_
		.amdhsa_group_segment_fixed_size 16904
		.amdhsa_private_segment_fixed_size 0
		.amdhsa_kernarg_size 128
		.amdhsa_user_sgpr_count 6
		.amdhsa_user_sgpr_private_segment_buffer 1
		.amdhsa_user_sgpr_dispatch_ptr 0
		.amdhsa_user_sgpr_queue_ptr 0
		.amdhsa_user_sgpr_kernarg_segment_ptr 1
		.amdhsa_user_sgpr_dispatch_id 0
		.amdhsa_user_sgpr_flat_scratch_init 0
		.amdhsa_user_sgpr_private_segment_size 0
		.amdhsa_uses_dynamic_stack 0
		.amdhsa_system_sgpr_private_segment_wavefront_offset 0
		.amdhsa_system_sgpr_workgroup_id_x 1
		.amdhsa_system_sgpr_workgroup_id_y 0
		.amdhsa_system_sgpr_workgroup_id_z 0
		.amdhsa_system_sgpr_workgroup_info 0
		.amdhsa_system_vgpr_workitem_id 0
		.amdhsa_next_free_vgpr 77
		.amdhsa_next_free_sgpr 98
		.amdhsa_reserve_vcc 1
		.amdhsa_reserve_flat_scratch 0
		.amdhsa_float_round_mode_32 0
		.amdhsa_float_round_mode_16_64 0
		.amdhsa_float_denorm_mode_32 3
		.amdhsa_float_denorm_mode_16_64 3
		.amdhsa_dx10_clamp 1
		.amdhsa_ieee_mode 1
		.amdhsa_fp16_overflow 0
		.amdhsa_exception_fp_ieee_invalid_op 0
		.amdhsa_exception_fp_denorm_src 0
		.amdhsa_exception_fp_ieee_div_zero 0
		.amdhsa_exception_fp_ieee_overflow 0
		.amdhsa_exception_fp_ieee_underflow 0
		.amdhsa_exception_fp_ieee_inexact 0
		.amdhsa_exception_int_div_zero 0
	.end_amdhsa_kernel
	.section	.text._ZN7rocprim17ROCPRIM_400000_NS6detail17trampoline_kernelINS0_14default_configENS1_25partition_config_selectorILNS1_17partition_subalgoE8EiNS0_10empty_typeEbEEZZNS1_14partition_implILS5_8ELb0ES3_jN6thrust23THRUST_200600_302600_NS10device_ptrIiEEPS6_PKS6_NS0_5tupleIJSC_S6_EEENSG_IJSD_SD_EEENS0_18inequality_wrapperINSA_8equal_toIiEEEEPmJS6_EEE10hipError_tPvRmT3_T4_T5_T6_T7_T9_mT8_P12ihipStream_tbDpT10_ENKUlT_T0_E_clISt17integral_constantIbLb0EES16_IbLb1EEEEDaS12_S13_EUlS12_E_NS1_11comp_targetILNS1_3genE2ELNS1_11target_archE906ELNS1_3gpuE6ELNS1_3repE0EEENS1_30default_config_static_selectorELNS0_4arch9wavefront6targetE1EEEvT1_,"axG",@progbits,_ZN7rocprim17ROCPRIM_400000_NS6detail17trampoline_kernelINS0_14default_configENS1_25partition_config_selectorILNS1_17partition_subalgoE8EiNS0_10empty_typeEbEEZZNS1_14partition_implILS5_8ELb0ES3_jN6thrust23THRUST_200600_302600_NS10device_ptrIiEEPS6_PKS6_NS0_5tupleIJSC_S6_EEENSG_IJSD_SD_EEENS0_18inequality_wrapperINSA_8equal_toIiEEEEPmJS6_EEE10hipError_tPvRmT3_T4_T5_T6_T7_T9_mT8_P12ihipStream_tbDpT10_ENKUlT_T0_E_clISt17integral_constantIbLb0EES16_IbLb1EEEEDaS12_S13_EUlS12_E_NS1_11comp_targetILNS1_3genE2ELNS1_11target_archE906ELNS1_3gpuE6ELNS1_3repE0EEENS1_30default_config_static_selectorELNS0_4arch9wavefront6targetE1EEEvT1_,comdat
.Lfunc_end1059:
	.size	_ZN7rocprim17ROCPRIM_400000_NS6detail17trampoline_kernelINS0_14default_configENS1_25partition_config_selectorILNS1_17partition_subalgoE8EiNS0_10empty_typeEbEEZZNS1_14partition_implILS5_8ELb0ES3_jN6thrust23THRUST_200600_302600_NS10device_ptrIiEEPS6_PKS6_NS0_5tupleIJSC_S6_EEENSG_IJSD_SD_EEENS0_18inequality_wrapperINSA_8equal_toIiEEEEPmJS6_EEE10hipError_tPvRmT3_T4_T5_T6_T7_T9_mT8_P12ihipStream_tbDpT10_ENKUlT_T0_E_clISt17integral_constantIbLb0EES16_IbLb1EEEEDaS12_S13_EUlS12_E_NS1_11comp_targetILNS1_3genE2ELNS1_11target_archE906ELNS1_3gpuE6ELNS1_3repE0EEENS1_30default_config_static_selectorELNS0_4arch9wavefront6targetE1EEEvT1_, .Lfunc_end1059-_ZN7rocprim17ROCPRIM_400000_NS6detail17trampoline_kernelINS0_14default_configENS1_25partition_config_selectorILNS1_17partition_subalgoE8EiNS0_10empty_typeEbEEZZNS1_14partition_implILS5_8ELb0ES3_jN6thrust23THRUST_200600_302600_NS10device_ptrIiEEPS6_PKS6_NS0_5tupleIJSC_S6_EEENSG_IJSD_SD_EEENS0_18inequality_wrapperINSA_8equal_toIiEEEEPmJS6_EEE10hipError_tPvRmT3_T4_T5_T6_T7_T9_mT8_P12ihipStream_tbDpT10_ENKUlT_T0_E_clISt17integral_constantIbLb0EES16_IbLb1EEEEDaS12_S13_EUlS12_E_NS1_11comp_targetILNS1_3genE2ELNS1_11target_archE906ELNS1_3gpuE6ELNS1_3repE0EEENS1_30default_config_static_selectorELNS0_4arch9wavefront6targetE1EEEvT1_
                                        ; -- End function
	.set _ZN7rocprim17ROCPRIM_400000_NS6detail17trampoline_kernelINS0_14default_configENS1_25partition_config_selectorILNS1_17partition_subalgoE8EiNS0_10empty_typeEbEEZZNS1_14partition_implILS5_8ELb0ES3_jN6thrust23THRUST_200600_302600_NS10device_ptrIiEEPS6_PKS6_NS0_5tupleIJSC_S6_EEENSG_IJSD_SD_EEENS0_18inequality_wrapperINSA_8equal_toIiEEEEPmJS6_EEE10hipError_tPvRmT3_T4_T5_T6_T7_T9_mT8_P12ihipStream_tbDpT10_ENKUlT_T0_E_clISt17integral_constantIbLb0EES16_IbLb1EEEEDaS12_S13_EUlS12_E_NS1_11comp_targetILNS1_3genE2ELNS1_11target_archE906ELNS1_3gpuE6ELNS1_3repE0EEENS1_30default_config_static_selectorELNS0_4arch9wavefront6targetE1EEEvT1_.num_vgpr, 77
	.set _ZN7rocprim17ROCPRIM_400000_NS6detail17trampoline_kernelINS0_14default_configENS1_25partition_config_selectorILNS1_17partition_subalgoE8EiNS0_10empty_typeEbEEZZNS1_14partition_implILS5_8ELb0ES3_jN6thrust23THRUST_200600_302600_NS10device_ptrIiEEPS6_PKS6_NS0_5tupleIJSC_S6_EEENSG_IJSD_SD_EEENS0_18inequality_wrapperINSA_8equal_toIiEEEEPmJS6_EEE10hipError_tPvRmT3_T4_T5_T6_T7_T9_mT8_P12ihipStream_tbDpT10_ENKUlT_T0_E_clISt17integral_constantIbLb0EES16_IbLb1EEEEDaS12_S13_EUlS12_E_NS1_11comp_targetILNS1_3genE2ELNS1_11target_archE906ELNS1_3gpuE6ELNS1_3repE0EEENS1_30default_config_static_selectorELNS0_4arch9wavefront6targetE1EEEvT1_.num_agpr, 0
	.set _ZN7rocprim17ROCPRIM_400000_NS6detail17trampoline_kernelINS0_14default_configENS1_25partition_config_selectorILNS1_17partition_subalgoE8EiNS0_10empty_typeEbEEZZNS1_14partition_implILS5_8ELb0ES3_jN6thrust23THRUST_200600_302600_NS10device_ptrIiEEPS6_PKS6_NS0_5tupleIJSC_S6_EEENSG_IJSD_SD_EEENS0_18inequality_wrapperINSA_8equal_toIiEEEEPmJS6_EEE10hipError_tPvRmT3_T4_T5_T6_T7_T9_mT8_P12ihipStream_tbDpT10_ENKUlT_T0_E_clISt17integral_constantIbLb0EES16_IbLb1EEEEDaS12_S13_EUlS12_E_NS1_11comp_targetILNS1_3genE2ELNS1_11target_archE906ELNS1_3gpuE6ELNS1_3repE0EEENS1_30default_config_static_selectorELNS0_4arch9wavefront6targetE1EEEvT1_.numbered_sgpr, 57
	.set _ZN7rocprim17ROCPRIM_400000_NS6detail17trampoline_kernelINS0_14default_configENS1_25partition_config_selectorILNS1_17partition_subalgoE8EiNS0_10empty_typeEbEEZZNS1_14partition_implILS5_8ELb0ES3_jN6thrust23THRUST_200600_302600_NS10device_ptrIiEEPS6_PKS6_NS0_5tupleIJSC_S6_EEENSG_IJSD_SD_EEENS0_18inequality_wrapperINSA_8equal_toIiEEEEPmJS6_EEE10hipError_tPvRmT3_T4_T5_T6_T7_T9_mT8_P12ihipStream_tbDpT10_ENKUlT_T0_E_clISt17integral_constantIbLb0EES16_IbLb1EEEEDaS12_S13_EUlS12_E_NS1_11comp_targetILNS1_3genE2ELNS1_11target_archE906ELNS1_3gpuE6ELNS1_3repE0EEENS1_30default_config_static_selectorELNS0_4arch9wavefront6targetE1EEEvT1_.num_named_barrier, 0
	.set _ZN7rocprim17ROCPRIM_400000_NS6detail17trampoline_kernelINS0_14default_configENS1_25partition_config_selectorILNS1_17partition_subalgoE8EiNS0_10empty_typeEbEEZZNS1_14partition_implILS5_8ELb0ES3_jN6thrust23THRUST_200600_302600_NS10device_ptrIiEEPS6_PKS6_NS0_5tupleIJSC_S6_EEENSG_IJSD_SD_EEENS0_18inequality_wrapperINSA_8equal_toIiEEEEPmJS6_EEE10hipError_tPvRmT3_T4_T5_T6_T7_T9_mT8_P12ihipStream_tbDpT10_ENKUlT_T0_E_clISt17integral_constantIbLb0EES16_IbLb1EEEEDaS12_S13_EUlS12_E_NS1_11comp_targetILNS1_3genE2ELNS1_11target_archE906ELNS1_3gpuE6ELNS1_3repE0EEENS1_30default_config_static_selectorELNS0_4arch9wavefront6targetE1EEEvT1_.private_seg_size, 0
	.set _ZN7rocprim17ROCPRIM_400000_NS6detail17trampoline_kernelINS0_14default_configENS1_25partition_config_selectorILNS1_17partition_subalgoE8EiNS0_10empty_typeEbEEZZNS1_14partition_implILS5_8ELb0ES3_jN6thrust23THRUST_200600_302600_NS10device_ptrIiEEPS6_PKS6_NS0_5tupleIJSC_S6_EEENSG_IJSD_SD_EEENS0_18inequality_wrapperINSA_8equal_toIiEEEEPmJS6_EEE10hipError_tPvRmT3_T4_T5_T6_T7_T9_mT8_P12ihipStream_tbDpT10_ENKUlT_T0_E_clISt17integral_constantIbLb0EES16_IbLb1EEEEDaS12_S13_EUlS12_E_NS1_11comp_targetILNS1_3genE2ELNS1_11target_archE906ELNS1_3gpuE6ELNS1_3repE0EEENS1_30default_config_static_selectorELNS0_4arch9wavefront6targetE1EEEvT1_.uses_vcc, 1
	.set _ZN7rocprim17ROCPRIM_400000_NS6detail17trampoline_kernelINS0_14default_configENS1_25partition_config_selectorILNS1_17partition_subalgoE8EiNS0_10empty_typeEbEEZZNS1_14partition_implILS5_8ELb0ES3_jN6thrust23THRUST_200600_302600_NS10device_ptrIiEEPS6_PKS6_NS0_5tupleIJSC_S6_EEENSG_IJSD_SD_EEENS0_18inequality_wrapperINSA_8equal_toIiEEEEPmJS6_EEE10hipError_tPvRmT3_T4_T5_T6_T7_T9_mT8_P12ihipStream_tbDpT10_ENKUlT_T0_E_clISt17integral_constantIbLb0EES16_IbLb1EEEEDaS12_S13_EUlS12_E_NS1_11comp_targetILNS1_3genE2ELNS1_11target_archE906ELNS1_3gpuE6ELNS1_3repE0EEENS1_30default_config_static_selectorELNS0_4arch9wavefront6targetE1EEEvT1_.uses_flat_scratch, 0
	.set _ZN7rocprim17ROCPRIM_400000_NS6detail17trampoline_kernelINS0_14default_configENS1_25partition_config_selectorILNS1_17partition_subalgoE8EiNS0_10empty_typeEbEEZZNS1_14partition_implILS5_8ELb0ES3_jN6thrust23THRUST_200600_302600_NS10device_ptrIiEEPS6_PKS6_NS0_5tupleIJSC_S6_EEENSG_IJSD_SD_EEENS0_18inequality_wrapperINSA_8equal_toIiEEEEPmJS6_EEE10hipError_tPvRmT3_T4_T5_T6_T7_T9_mT8_P12ihipStream_tbDpT10_ENKUlT_T0_E_clISt17integral_constantIbLb0EES16_IbLb1EEEEDaS12_S13_EUlS12_E_NS1_11comp_targetILNS1_3genE2ELNS1_11target_archE906ELNS1_3gpuE6ELNS1_3repE0EEENS1_30default_config_static_selectorELNS0_4arch9wavefront6targetE1EEEvT1_.has_dyn_sized_stack, 0
	.set _ZN7rocprim17ROCPRIM_400000_NS6detail17trampoline_kernelINS0_14default_configENS1_25partition_config_selectorILNS1_17partition_subalgoE8EiNS0_10empty_typeEbEEZZNS1_14partition_implILS5_8ELb0ES3_jN6thrust23THRUST_200600_302600_NS10device_ptrIiEEPS6_PKS6_NS0_5tupleIJSC_S6_EEENSG_IJSD_SD_EEENS0_18inequality_wrapperINSA_8equal_toIiEEEEPmJS6_EEE10hipError_tPvRmT3_T4_T5_T6_T7_T9_mT8_P12ihipStream_tbDpT10_ENKUlT_T0_E_clISt17integral_constantIbLb0EES16_IbLb1EEEEDaS12_S13_EUlS12_E_NS1_11comp_targetILNS1_3genE2ELNS1_11target_archE906ELNS1_3gpuE6ELNS1_3repE0EEENS1_30default_config_static_selectorELNS0_4arch9wavefront6targetE1EEEvT1_.has_recursion, 0
	.set _ZN7rocprim17ROCPRIM_400000_NS6detail17trampoline_kernelINS0_14default_configENS1_25partition_config_selectorILNS1_17partition_subalgoE8EiNS0_10empty_typeEbEEZZNS1_14partition_implILS5_8ELb0ES3_jN6thrust23THRUST_200600_302600_NS10device_ptrIiEEPS6_PKS6_NS0_5tupleIJSC_S6_EEENSG_IJSD_SD_EEENS0_18inequality_wrapperINSA_8equal_toIiEEEEPmJS6_EEE10hipError_tPvRmT3_T4_T5_T6_T7_T9_mT8_P12ihipStream_tbDpT10_ENKUlT_T0_E_clISt17integral_constantIbLb0EES16_IbLb1EEEEDaS12_S13_EUlS12_E_NS1_11comp_targetILNS1_3genE2ELNS1_11target_archE906ELNS1_3gpuE6ELNS1_3repE0EEENS1_30default_config_static_selectorELNS0_4arch9wavefront6targetE1EEEvT1_.has_indirect_call, 0
	.section	.AMDGPU.csdata,"",@progbits
; Kernel info:
; codeLenInByte = 8020
; TotalNumSgprs: 61
; NumVgprs: 77
; ScratchSize: 0
; MemoryBound: 0
; FloatMode: 240
; IeeeMode: 1
; LDSByteSize: 16904 bytes/workgroup (compile time only)
; SGPRBlocks: 12
; VGPRBlocks: 19
; NumSGPRsForWavesPerEU: 102
; NumVGPRsForWavesPerEU: 77
; Occupancy: 3
; WaveLimiterHint : 1
; COMPUTE_PGM_RSRC2:SCRATCH_EN: 0
; COMPUTE_PGM_RSRC2:USER_SGPR: 6
; COMPUTE_PGM_RSRC2:TRAP_HANDLER: 0
; COMPUTE_PGM_RSRC2:TGID_X_EN: 1
; COMPUTE_PGM_RSRC2:TGID_Y_EN: 0
; COMPUTE_PGM_RSRC2:TGID_Z_EN: 0
; COMPUTE_PGM_RSRC2:TIDIG_COMP_CNT: 0
	.section	.text._ZN7rocprim17ROCPRIM_400000_NS6detail17trampoline_kernelINS0_14default_configENS1_25partition_config_selectorILNS1_17partition_subalgoE8EiNS0_10empty_typeEbEEZZNS1_14partition_implILS5_8ELb0ES3_jN6thrust23THRUST_200600_302600_NS10device_ptrIiEEPS6_PKS6_NS0_5tupleIJSC_S6_EEENSG_IJSD_SD_EEENS0_18inequality_wrapperINSA_8equal_toIiEEEEPmJS6_EEE10hipError_tPvRmT3_T4_T5_T6_T7_T9_mT8_P12ihipStream_tbDpT10_ENKUlT_T0_E_clISt17integral_constantIbLb0EES16_IbLb1EEEEDaS12_S13_EUlS12_E_NS1_11comp_targetILNS1_3genE10ELNS1_11target_archE1200ELNS1_3gpuE4ELNS1_3repE0EEENS1_30default_config_static_selectorELNS0_4arch9wavefront6targetE1EEEvT1_,"axG",@progbits,_ZN7rocprim17ROCPRIM_400000_NS6detail17trampoline_kernelINS0_14default_configENS1_25partition_config_selectorILNS1_17partition_subalgoE8EiNS0_10empty_typeEbEEZZNS1_14partition_implILS5_8ELb0ES3_jN6thrust23THRUST_200600_302600_NS10device_ptrIiEEPS6_PKS6_NS0_5tupleIJSC_S6_EEENSG_IJSD_SD_EEENS0_18inequality_wrapperINSA_8equal_toIiEEEEPmJS6_EEE10hipError_tPvRmT3_T4_T5_T6_T7_T9_mT8_P12ihipStream_tbDpT10_ENKUlT_T0_E_clISt17integral_constantIbLb0EES16_IbLb1EEEEDaS12_S13_EUlS12_E_NS1_11comp_targetILNS1_3genE10ELNS1_11target_archE1200ELNS1_3gpuE4ELNS1_3repE0EEENS1_30default_config_static_selectorELNS0_4arch9wavefront6targetE1EEEvT1_,comdat
	.protected	_ZN7rocprim17ROCPRIM_400000_NS6detail17trampoline_kernelINS0_14default_configENS1_25partition_config_selectorILNS1_17partition_subalgoE8EiNS0_10empty_typeEbEEZZNS1_14partition_implILS5_8ELb0ES3_jN6thrust23THRUST_200600_302600_NS10device_ptrIiEEPS6_PKS6_NS0_5tupleIJSC_S6_EEENSG_IJSD_SD_EEENS0_18inequality_wrapperINSA_8equal_toIiEEEEPmJS6_EEE10hipError_tPvRmT3_T4_T5_T6_T7_T9_mT8_P12ihipStream_tbDpT10_ENKUlT_T0_E_clISt17integral_constantIbLb0EES16_IbLb1EEEEDaS12_S13_EUlS12_E_NS1_11comp_targetILNS1_3genE10ELNS1_11target_archE1200ELNS1_3gpuE4ELNS1_3repE0EEENS1_30default_config_static_selectorELNS0_4arch9wavefront6targetE1EEEvT1_ ; -- Begin function _ZN7rocprim17ROCPRIM_400000_NS6detail17trampoline_kernelINS0_14default_configENS1_25partition_config_selectorILNS1_17partition_subalgoE8EiNS0_10empty_typeEbEEZZNS1_14partition_implILS5_8ELb0ES3_jN6thrust23THRUST_200600_302600_NS10device_ptrIiEEPS6_PKS6_NS0_5tupleIJSC_S6_EEENSG_IJSD_SD_EEENS0_18inequality_wrapperINSA_8equal_toIiEEEEPmJS6_EEE10hipError_tPvRmT3_T4_T5_T6_T7_T9_mT8_P12ihipStream_tbDpT10_ENKUlT_T0_E_clISt17integral_constantIbLb0EES16_IbLb1EEEEDaS12_S13_EUlS12_E_NS1_11comp_targetILNS1_3genE10ELNS1_11target_archE1200ELNS1_3gpuE4ELNS1_3repE0EEENS1_30default_config_static_selectorELNS0_4arch9wavefront6targetE1EEEvT1_
	.globl	_ZN7rocprim17ROCPRIM_400000_NS6detail17trampoline_kernelINS0_14default_configENS1_25partition_config_selectorILNS1_17partition_subalgoE8EiNS0_10empty_typeEbEEZZNS1_14partition_implILS5_8ELb0ES3_jN6thrust23THRUST_200600_302600_NS10device_ptrIiEEPS6_PKS6_NS0_5tupleIJSC_S6_EEENSG_IJSD_SD_EEENS0_18inequality_wrapperINSA_8equal_toIiEEEEPmJS6_EEE10hipError_tPvRmT3_T4_T5_T6_T7_T9_mT8_P12ihipStream_tbDpT10_ENKUlT_T0_E_clISt17integral_constantIbLb0EES16_IbLb1EEEEDaS12_S13_EUlS12_E_NS1_11comp_targetILNS1_3genE10ELNS1_11target_archE1200ELNS1_3gpuE4ELNS1_3repE0EEENS1_30default_config_static_selectorELNS0_4arch9wavefront6targetE1EEEvT1_
	.p2align	8
	.type	_ZN7rocprim17ROCPRIM_400000_NS6detail17trampoline_kernelINS0_14default_configENS1_25partition_config_selectorILNS1_17partition_subalgoE8EiNS0_10empty_typeEbEEZZNS1_14partition_implILS5_8ELb0ES3_jN6thrust23THRUST_200600_302600_NS10device_ptrIiEEPS6_PKS6_NS0_5tupleIJSC_S6_EEENSG_IJSD_SD_EEENS0_18inequality_wrapperINSA_8equal_toIiEEEEPmJS6_EEE10hipError_tPvRmT3_T4_T5_T6_T7_T9_mT8_P12ihipStream_tbDpT10_ENKUlT_T0_E_clISt17integral_constantIbLb0EES16_IbLb1EEEEDaS12_S13_EUlS12_E_NS1_11comp_targetILNS1_3genE10ELNS1_11target_archE1200ELNS1_3gpuE4ELNS1_3repE0EEENS1_30default_config_static_selectorELNS0_4arch9wavefront6targetE1EEEvT1_,@function
_ZN7rocprim17ROCPRIM_400000_NS6detail17trampoline_kernelINS0_14default_configENS1_25partition_config_selectorILNS1_17partition_subalgoE8EiNS0_10empty_typeEbEEZZNS1_14partition_implILS5_8ELb0ES3_jN6thrust23THRUST_200600_302600_NS10device_ptrIiEEPS6_PKS6_NS0_5tupleIJSC_S6_EEENSG_IJSD_SD_EEENS0_18inequality_wrapperINSA_8equal_toIiEEEEPmJS6_EEE10hipError_tPvRmT3_T4_T5_T6_T7_T9_mT8_P12ihipStream_tbDpT10_ENKUlT_T0_E_clISt17integral_constantIbLb0EES16_IbLb1EEEEDaS12_S13_EUlS12_E_NS1_11comp_targetILNS1_3genE10ELNS1_11target_archE1200ELNS1_3gpuE4ELNS1_3repE0EEENS1_30default_config_static_selectorELNS0_4arch9wavefront6targetE1EEEvT1_: ; @_ZN7rocprim17ROCPRIM_400000_NS6detail17trampoline_kernelINS0_14default_configENS1_25partition_config_selectorILNS1_17partition_subalgoE8EiNS0_10empty_typeEbEEZZNS1_14partition_implILS5_8ELb0ES3_jN6thrust23THRUST_200600_302600_NS10device_ptrIiEEPS6_PKS6_NS0_5tupleIJSC_S6_EEENSG_IJSD_SD_EEENS0_18inequality_wrapperINSA_8equal_toIiEEEEPmJS6_EEE10hipError_tPvRmT3_T4_T5_T6_T7_T9_mT8_P12ihipStream_tbDpT10_ENKUlT_T0_E_clISt17integral_constantIbLb0EES16_IbLb1EEEEDaS12_S13_EUlS12_E_NS1_11comp_targetILNS1_3genE10ELNS1_11target_archE1200ELNS1_3gpuE4ELNS1_3repE0EEENS1_30default_config_static_selectorELNS0_4arch9wavefront6targetE1EEEvT1_
; %bb.0:
	.section	.rodata,"a",@progbits
	.p2align	6, 0x0
	.amdhsa_kernel _ZN7rocprim17ROCPRIM_400000_NS6detail17trampoline_kernelINS0_14default_configENS1_25partition_config_selectorILNS1_17partition_subalgoE8EiNS0_10empty_typeEbEEZZNS1_14partition_implILS5_8ELb0ES3_jN6thrust23THRUST_200600_302600_NS10device_ptrIiEEPS6_PKS6_NS0_5tupleIJSC_S6_EEENSG_IJSD_SD_EEENS0_18inequality_wrapperINSA_8equal_toIiEEEEPmJS6_EEE10hipError_tPvRmT3_T4_T5_T6_T7_T9_mT8_P12ihipStream_tbDpT10_ENKUlT_T0_E_clISt17integral_constantIbLb0EES16_IbLb1EEEEDaS12_S13_EUlS12_E_NS1_11comp_targetILNS1_3genE10ELNS1_11target_archE1200ELNS1_3gpuE4ELNS1_3repE0EEENS1_30default_config_static_selectorELNS0_4arch9wavefront6targetE1EEEvT1_
		.amdhsa_group_segment_fixed_size 0
		.amdhsa_private_segment_fixed_size 0
		.amdhsa_kernarg_size 128
		.amdhsa_user_sgpr_count 6
		.amdhsa_user_sgpr_private_segment_buffer 1
		.amdhsa_user_sgpr_dispatch_ptr 0
		.amdhsa_user_sgpr_queue_ptr 0
		.amdhsa_user_sgpr_kernarg_segment_ptr 1
		.amdhsa_user_sgpr_dispatch_id 0
		.amdhsa_user_sgpr_flat_scratch_init 0
		.amdhsa_user_sgpr_private_segment_size 0
		.amdhsa_uses_dynamic_stack 0
		.amdhsa_system_sgpr_private_segment_wavefront_offset 0
		.amdhsa_system_sgpr_workgroup_id_x 1
		.amdhsa_system_sgpr_workgroup_id_y 0
		.amdhsa_system_sgpr_workgroup_id_z 0
		.amdhsa_system_sgpr_workgroup_info 0
		.amdhsa_system_vgpr_workitem_id 0
		.amdhsa_next_free_vgpr 1
		.amdhsa_next_free_sgpr 0
		.amdhsa_reserve_vcc 0
		.amdhsa_reserve_flat_scratch 0
		.amdhsa_float_round_mode_32 0
		.amdhsa_float_round_mode_16_64 0
		.amdhsa_float_denorm_mode_32 3
		.amdhsa_float_denorm_mode_16_64 3
		.amdhsa_dx10_clamp 1
		.amdhsa_ieee_mode 1
		.amdhsa_fp16_overflow 0
		.amdhsa_exception_fp_ieee_invalid_op 0
		.amdhsa_exception_fp_denorm_src 0
		.amdhsa_exception_fp_ieee_div_zero 0
		.amdhsa_exception_fp_ieee_overflow 0
		.amdhsa_exception_fp_ieee_underflow 0
		.amdhsa_exception_fp_ieee_inexact 0
		.amdhsa_exception_int_div_zero 0
	.end_amdhsa_kernel
	.section	.text._ZN7rocprim17ROCPRIM_400000_NS6detail17trampoline_kernelINS0_14default_configENS1_25partition_config_selectorILNS1_17partition_subalgoE8EiNS0_10empty_typeEbEEZZNS1_14partition_implILS5_8ELb0ES3_jN6thrust23THRUST_200600_302600_NS10device_ptrIiEEPS6_PKS6_NS0_5tupleIJSC_S6_EEENSG_IJSD_SD_EEENS0_18inequality_wrapperINSA_8equal_toIiEEEEPmJS6_EEE10hipError_tPvRmT3_T4_T5_T6_T7_T9_mT8_P12ihipStream_tbDpT10_ENKUlT_T0_E_clISt17integral_constantIbLb0EES16_IbLb1EEEEDaS12_S13_EUlS12_E_NS1_11comp_targetILNS1_3genE10ELNS1_11target_archE1200ELNS1_3gpuE4ELNS1_3repE0EEENS1_30default_config_static_selectorELNS0_4arch9wavefront6targetE1EEEvT1_,"axG",@progbits,_ZN7rocprim17ROCPRIM_400000_NS6detail17trampoline_kernelINS0_14default_configENS1_25partition_config_selectorILNS1_17partition_subalgoE8EiNS0_10empty_typeEbEEZZNS1_14partition_implILS5_8ELb0ES3_jN6thrust23THRUST_200600_302600_NS10device_ptrIiEEPS6_PKS6_NS0_5tupleIJSC_S6_EEENSG_IJSD_SD_EEENS0_18inequality_wrapperINSA_8equal_toIiEEEEPmJS6_EEE10hipError_tPvRmT3_T4_T5_T6_T7_T9_mT8_P12ihipStream_tbDpT10_ENKUlT_T0_E_clISt17integral_constantIbLb0EES16_IbLb1EEEEDaS12_S13_EUlS12_E_NS1_11comp_targetILNS1_3genE10ELNS1_11target_archE1200ELNS1_3gpuE4ELNS1_3repE0EEENS1_30default_config_static_selectorELNS0_4arch9wavefront6targetE1EEEvT1_,comdat
.Lfunc_end1060:
	.size	_ZN7rocprim17ROCPRIM_400000_NS6detail17trampoline_kernelINS0_14default_configENS1_25partition_config_selectorILNS1_17partition_subalgoE8EiNS0_10empty_typeEbEEZZNS1_14partition_implILS5_8ELb0ES3_jN6thrust23THRUST_200600_302600_NS10device_ptrIiEEPS6_PKS6_NS0_5tupleIJSC_S6_EEENSG_IJSD_SD_EEENS0_18inequality_wrapperINSA_8equal_toIiEEEEPmJS6_EEE10hipError_tPvRmT3_T4_T5_T6_T7_T9_mT8_P12ihipStream_tbDpT10_ENKUlT_T0_E_clISt17integral_constantIbLb0EES16_IbLb1EEEEDaS12_S13_EUlS12_E_NS1_11comp_targetILNS1_3genE10ELNS1_11target_archE1200ELNS1_3gpuE4ELNS1_3repE0EEENS1_30default_config_static_selectorELNS0_4arch9wavefront6targetE1EEEvT1_, .Lfunc_end1060-_ZN7rocprim17ROCPRIM_400000_NS6detail17trampoline_kernelINS0_14default_configENS1_25partition_config_selectorILNS1_17partition_subalgoE8EiNS0_10empty_typeEbEEZZNS1_14partition_implILS5_8ELb0ES3_jN6thrust23THRUST_200600_302600_NS10device_ptrIiEEPS6_PKS6_NS0_5tupleIJSC_S6_EEENSG_IJSD_SD_EEENS0_18inequality_wrapperINSA_8equal_toIiEEEEPmJS6_EEE10hipError_tPvRmT3_T4_T5_T6_T7_T9_mT8_P12ihipStream_tbDpT10_ENKUlT_T0_E_clISt17integral_constantIbLb0EES16_IbLb1EEEEDaS12_S13_EUlS12_E_NS1_11comp_targetILNS1_3genE10ELNS1_11target_archE1200ELNS1_3gpuE4ELNS1_3repE0EEENS1_30default_config_static_selectorELNS0_4arch9wavefront6targetE1EEEvT1_
                                        ; -- End function
	.set _ZN7rocprim17ROCPRIM_400000_NS6detail17trampoline_kernelINS0_14default_configENS1_25partition_config_selectorILNS1_17partition_subalgoE8EiNS0_10empty_typeEbEEZZNS1_14partition_implILS5_8ELb0ES3_jN6thrust23THRUST_200600_302600_NS10device_ptrIiEEPS6_PKS6_NS0_5tupleIJSC_S6_EEENSG_IJSD_SD_EEENS0_18inequality_wrapperINSA_8equal_toIiEEEEPmJS6_EEE10hipError_tPvRmT3_T4_T5_T6_T7_T9_mT8_P12ihipStream_tbDpT10_ENKUlT_T0_E_clISt17integral_constantIbLb0EES16_IbLb1EEEEDaS12_S13_EUlS12_E_NS1_11comp_targetILNS1_3genE10ELNS1_11target_archE1200ELNS1_3gpuE4ELNS1_3repE0EEENS1_30default_config_static_selectorELNS0_4arch9wavefront6targetE1EEEvT1_.num_vgpr, 0
	.set _ZN7rocprim17ROCPRIM_400000_NS6detail17trampoline_kernelINS0_14default_configENS1_25partition_config_selectorILNS1_17partition_subalgoE8EiNS0_10empty_typeEbEEZZNS1_14partition_implILS5_8ELb0ES3_jN6thrust23THRUST_200600_302600_NS10device_ptrIiEEPS6_PKS6_NS0_5tupleIJSC_S6_EEENSG_IJSD_SD_EEENS0_18inequality_wrapperINSA_8equal_toIiEEEEPmJS6_EEE10hipError_tPvRmT3_T4_T5_T6_T7_T9_mT8_P12ihipStream_tbDpT10_ENKUlT_T0_E_clISt17integral_constantIbLb0EES16_IbLb1EEEEDaS12_S13_EUlS12_E_NS1_11comp_targetILNS1_3genE10ELNS1_11target_archE1200ELNS1_3gpuE4ELNS1_3repE0EEENS1_30default_config_static_selectorELNS0_4arch9wavefront6targetE1EEEvT1_.num_agpr, 0
	.set _ZN7rocprim17ROCPRIM_400000_NS6detail17trampoline_kernelINS0_14default_configENS1_25partition_config_selectorILNS1_17partition_subalgoE8EiNS0_10empty_typeEbEEZZNS1_14partition_implILS5_8ELb0ES3_jN6thrust23THRUST_200600_302600_NS10device_ptrIiEEPS6_PKS6_NS0_5tupleIJSC_S6_EEENSG_IJSD_SD_EEENS0_18inequality_wrapperINSA_8equal_toIiEEEEPmJS6_EEE10hipError_tPvRmT3_T4_T5_T6_T7_T9_mT8_P12ihipStream_tbDpT10_ENKUlT_T0_E_clISt17integral_constantIbLb0EES16_IbLb1EEEEDaS12_S13_EUlS12_E_NS1_11comp_targetILNS1_3genE10ELNS1_11target_archE1200ELNS1_3gpuE4ELNS1_3repE0EEENS1_30default_config_static_selectorELNS0_4arch9wavefront6targetE1EEEvT1_.numbered_sgpr, 0
	.set _ZN7rocprim17ROCPRIM_400000_NS6detail17trampoline_kernelINS0_14default_configENS1_25partition_config_selectorILNS1_17partition_subalgoE8EiNS0_10empty_typeEbEEZZNS1_14partition_implILS5_8ELb0ES3_jN6thrust23THRUST_200600_302600_NS10device_ptrIiEEPS6_PKS6_NS0_5tupleIJSC_S6_EEENSG_IJSD_SD_EEENS0_18inequality_wrapperINSA_8equal_toIiEEEEPmJS6_EEE10hipError_tPvRmT3_T4_T5_T6_T7_T9_mT8_P12ihipStream_tbDpT10_ENKUlT_T0_E_clISt17integral_constantIbLb0EES16_IbLb1EEEEDaS12_S13_EUlS12_E_NS1_11comp_targetILNS1_3genE10ELNS1_11target_archE1200ELNS1_3gpuE4ELNS1_3repE0EEENS1_30default_config_static_selectorELNS0_4arch9wavefront6targetE1EEEvT1_.num_named_barrier, 0
	.set _ZN7rocprim17ROCPRIM_400000_NS6detail17trampoline_kernelINS0_14default_configENS1_25partition_config_selectorILNS1_17partition_subalgoE8EiNS0_10empty_typeEbEEZZNS1_14partition_implILS5_8ELb0ES3_jN6thrust23THRUST_200600_302600_NS10device_ptrIiEEPS6_PKS6_NS0_5tupleIJSC_S6_EEENSG_IJSD_SD_EEENS0_18inequality_wrapperINSA_8equal_toIiEEEEPmJS6_EEE10hipError_tPvRmT3_T4_T5_T6_T7_T9_mT8_P12ihipStream_tbDpT10_ENKUlT_T0_E_clISt17integral_constantIbLb0EES16_IbLb1EEEEDaS12_S13_EUlS12_E_NS1_11comp_targetILNS1_3genE10ELNS1_11target_archE1200ELNS1_3gpuE4ELNS1_3repE0EEENS1_30default_config_static_selectorELNS0_4arch9wavefront6targetE1EEEvT1_.private_seg_size, 0
	.set _ZN7rocprim17ROCPRIM_400000_NS6detail17trampoline_kernelINS0_14default_configENS1_25partition_config_selectorILNS1_17partition_subalgoE8EiNS0_10empty_typeEbEEZZNS1_14partition_implILS5_8ELb0ES3_jN6thrust23THRUST_200600_302600_NS10device_ptrIiEEPS6_PKS6_NS0_5tupleIJSC_S6_EEENSG_IJSD_SD_EEENS0_18inequality_wrapperINSA_8equal_toIiEEEEPmJS6_EEE10hipError_tPvRmT3_T4_T5_T6_T7_T9_mT8_P12ihipStream_tbDpT10_ENKUlT_T0_E_clISt17integral_constantIbLb0EES16_IbLb1EEEEDaS12_S13_EUlS12_E_NS1_11comp_targetILNS1_3genE10ELNS1_11target_archE1200ELNS1_3gpuE4ELNS1_3repE0EEENS1_30default_config_static_selectorELNS0_4arch9wavefront6targetE1EEEvT1_.uses_vcc, 0
	.set _ZN7rocprim17ROCPRIM_400000_NS6detail17trampoline_kernelINS0_14default_configENS1_25partition_config_selectorILNS1_17partition_subalgoE8EiNS0_10empty_typeEbEEZZNS1_14partition_implILS5_8ELb0ES3_jN6thrust23THRUST_200600_302600_NS10device_ptrIiEEPS6_PKS6_NS0_5tupleIJSC_S6_EEENSG_IJSD_SD_EEENS0_18inequality_wrapperINSA_8equal_toIiEEEEPmJS6_EEE10hipError_tPvRmT3_T4_T5_T6_T7_T9_mT8_P12ihipStream_tbDpT10_ENKUlT_T0_E_clISt17integral_constantIbLb0EES16_IbLb1EEEEDaS12_S13_EUlS12_E_NS1_11comp_targetILNS1_3genE10ELNS1_11target_archE1200ELNS1_3gpuE4ELNS1_3repE0EEENS1_30default_config_static_selectorELNS0_4arch9wavefront6targetE1EEEvT1_.uses_flat_scratch, 0
	.set _ZN7rocprim17ROCPRIM_400000_NS6detail17trampoline_kernelINS0_14default_configENS1_25partition_config_selectorILNS1_17partition_subalgoE8EiNS0_10empty_typeEbEEZZNS1_14partition_implILS5_8ELb0ES3_jN6thrust23THRUST_200600_302600_NS10device_ptrIiEEPS6_PKS6_NS0_5tupleIJSC_S6_EEENSG_IJSD_SD_EEENS0_18inequality_wrapperINSA_8equal_toIiEEEEPmJS6_EEE10hipError_tPvRmT3_T4_T5_T6_T7_T9_mT8_P12ihipStream_tbDpT10_ENKUlT_T0_E_clISt17integral_constantIbLb0EES16_IbLb1EEEEDaS12_S13_EUlS12_E_NS1_11comp_targetILNS1_3genE10ELNS1_11target_archE1200ELNS1_3gpuE4ELNS1_3repE0EEENS1_30default_config_static_selectorELNS0_4arch9wavefront6targetE1EEEvT1_.has_dyn_sized_stack, 0
	.set _ZN7rocprim17ROCPRIM_400000_NS6detail17trampoline_kernelINS0_14default_configENS1_25partition_config_selectorILNS1_17partition_subalgoE8EiNS0_10empty_typeEbEEZZNS1_14partition_implILS5_8ELb0ES3_jN6thrust23THRUST_200600_302600_NS10device_ptrIiEEPS6_PKS6_NS0_5tupleIJSC_S6_EEENSG_IJSD_SD_EEENS0_18inequality_wrapperINSA_8equal_toIiEEEEPmJS6_EEE10hipError_tPvRmT3_T4_T5_T6_T7_T9_mT8_P12ihipStream_tbDpT10_ENKUlT_T0_E_clISt17integral_constantIbLb0EES16_IbLb1EEEEDaS12_S13_EUlS12_E_NS1_11comp_targetILNS1_3genE10ELNS1_11target_archE1200ELNS1_3gpuE4ELNS1_3repE0EEENS1_30default_config_static_selectorELNS0_4arch9wavefront6targetE1EEEvT1_.has_recursion, 0
	.set _ZN7rocprim17ROCPRIM_400000_NS6detail17trampoline_kernelINS0_14default_configENS1_25partition_config_selectorILNS1_17partition_subalgoE8EiNS0_10empty_typeEbEEZZNS1_14partition_implILS5_8ELb0ES3_jN6thrust23THRUST_200600_302600_NS10device_ptrIiEEPS6_PKS6_NS0_5tupleIJSC_S6_EEENSG_IJSD_SD_EEENS0_18inequality_wrapperINSA_8equal_toIiEEEEPmJS6_EEE10hipError_tPvRmT3_T4_T5_T6_T7_T9_mT8_P12ihipStream_tbDpT10_ENKUlT_T0_E_clISt17integral_constantIbLb0EES16_IbLb1EEEEDaS12_S13_EUlS12_E_NS1_11comp_targetILNS1_3genE10ELNS1_11target_archE1200ELNS1_3gpuE4ELNS1_3repE0EEENS1_30default_config_static_selectorELNS0_4arch9wavefront6targetE1EEEvT1_.has_indirect_call, 0
	.section	.AMDGPU.csdata,"",@progbits
; Kernel info:
; codeLenInByte = 0
; TotalNumSgprs: 4
; NumVgprs: 0
; ScratchSize: 0
; MemoryBound: 0
; FloatMode: 240
; IeeeMode: 1
; LDSByteSize: 0 bytes/workgroup (compile time only)
; SGPRBlocks: 0
; VGPRBlocks: 0
; NumSGPRsForWavesPerEU: 4
; NumVGPRsForWavesPerEU: 1
; Occupancy: 10
; WaveLimiterHint : 0
; COMPUTE_PGM_RSRC2:SCRATCH_EN: 0
; COMPUTE_PGM_RSRC2:USER_SGPR: 6
; COMPUTE_PGM_RSRC2:TRAP_HANDLER: 0
; COMPUTE_PGM_RSRC2:TGID_X_EN: 1
; COMPUTE_PGM_RSRC2:TGID_Y_EN: 0
; COMPUTE_PGM_RSRC2:TGID_Z_EN: 0
; COMPUTE_PGM_RSRC2:TIDIG_COMP_CNT: 0
	.section	.text._ZN7rocprim17ROCPRIM_400000_NS6detail17trampoline_kernelINS0_14default_configENS1_25partition_config_selectorILNS1_17partition_subalgoE8EiNS0_10empty_typeEbEEZZNS1_14partition_implILS5_8ELb0ES3_jN6thrust23THRUST_200600_302600_NS10device_ptrIiEEPS6_PKS6_NS0_5tupleIJSC_S6_EEENSG_IJSD_SD_EEENS0_18inequality_wrapperINSA_8equal_toIiEEEEPmJS6_EEE10hipError_tPvRmT3_T4_T5_T6_T7_T9_mT8_P12ihipStream_tbDpT10_ENKUlT_T0_E_clISt17integral_constantIbLb0EES16_IbLb1EEEEDaS12_S13_EUlS12_E_NS1_11comp_targetILNS1_3genE9ELNS1_11target_archE1100ELNS1_3gpuE3ELNS1_3repE0EEENS1_30default_config_static_selectorELNS0_4arch9wavefront6targetE1EEEvT1_,"axG",@progbits,_ZN7rocprim17ROCPRIM_400000_NS6detail17trampoline_kernelINS0_14default_configENS1_25partition_config_selectorILNS1_17partition_subalgoE8EiNS0_10empty_typeEbEEZZNS1_14partition_implILS5_8ELb0ES3_jN6thrust23THRUST_200600_302600_NS10device_ptrIiEEPS6_PKS6_NS0_5tupleIJSC_S6_EEENSG_IJSD_SD_EEENS0_18inequality_wrapperINSA_8equal_toIiEEEEPmJS6_EEE10hipError_tPvRmT3_T4_T5_T6_T7_T9_mT8_P12ihipStream_tbDpT10_ENKUlT_T0_E_clISt17integral_constantIbLb0EES16_IbLb1EEEEDaS12_S13_EUlS12_E_NS1_11comp_targetILNS1_3genE9ELNS1_11target_archE1100ELNS1_3gpuE3ELNS1_3repE0EEENS1_30default_config_static_selectorELNS0_4arch9wavefront6targetE1EEEvT1_,comdat
	.protected	_ZN7rocprim17ROCPRIM_400000_NS6detail17trampoline_kernelINS0_14default_configENS1_25partition_config_selectorILNS1_17partition_subalgoE8EiNS0_10empty_typeEbEEZZNS1_14partition_implILS5_8ELb0ES3_jN6thrust23THRUST_200600_302600_NS10device_ptrIiEEPS6_PKS6_NS0_5tupleIJSC_S6_EEENSG_IJSD_SD_EEENS0_18inequality_wrapperINSA_8equal_toIiEEEEPmJS6_EEE10hipError_tPvRmT3_T4_T5_T6_T7_T9_mT8_P12ihipStream_tbDpT10_ENKUlT_T0_E_clISt17integral_constantIbLb0EES16_IbLb1EEEEDaS12_S13_EUlS12_E_NS1_11comp_targetILNS1_3genE9ELNS1_11target_archE1100ELNS1_3gpuE3ELNS1_3repE0EEENS1_30default_config_static_selectorELNS0_4arch9wavefront6targetE1EEEvT1_ ; -- Begin function _ZN7rocprim17ROCPRIM_400000_NS6detail17trampoline_kernelINS0_14default_configENS1_25partition_config_selectorILNS1_17partition_subalgoE8EiNS0_10empty_typeEbEEZZNS1_14partition_implILS5_8ELb0ES3_jN6thrust23THRUST_200600_302600_NS10device_ptrIiEEPS6_PKS6_NS0_5tupleIJSC_S6_EEENSG_IJSD_SD_EEENS0_18inequality_wrapperINSA_8equal_toIiEEEEPmJS6_EEE10hipError_tPvRmT3_T4_T5_T6_T7_T9_mT8_P12ihipStream_tbDpT10_ENKUlT_T0_E_clISt17integral_constantIbLb0EES16_IbLb1EEEEDaS12_S13_EUlS12_E_NS1_11comp_targetILNS1_3genE9ELNS1_11target_archE1100ELNS1_3gpuE3ELNS1_3repE0EEENS1_30default_config_static_selectorELNS0_4arch9wavefront6targetE1EEEvT1_
	.globl	_ZN7rocprim17ROCPRIM_400000_NS6detail17trampoline_kernelINS0_14default_configENS1_25partition_config_selectorILNS1_17partition_subalgoE8EiNS0_10empty_typeEbEEZZNS1_14partition_implILS5_8ELb0ES3_jN6thrust23THRUST_200600_302600_NS10device_ptrIiEEPS6_PKS6_NS0_5tupleIJSC_S6_EEENSG_IJSD_SD_EEENS0_18inequality_wrapperINSA_8equal_toIiEEEEPmJS6_EEE10hipError_tPvRmT3_T4_T5_T6_T7_T9_mT8_P12ihipStream_tbDpT10_ENKUlT_T0_E_clISt17integral_constantIbLb0EES16_IbLb1EEEEDaS12_S13_EUlS12_E_NS1_11comp_targetILNS1_3genE9ELNS1_11target_archE1100ELNS1_3gpuE3ELNS1_3repE0EEENS1_30default_config_static_selectorELNS0_4arch9wavefront6targetE1EEEvT1_
	.p2align	8
	.type	_ZN7rocprim17ROCPRIM_400000_NS6detail17trampoline_kernelINS0_14default_configENS1_25partition_config_selectorILNS1_17partition_subalgoE8EiNS0_10empty_typeEbEEZZNS1_14partition_implILS5_8ELb0ES3_jN6thrust23THRUST_200600_302600_NS10device_ptrIiEEPS6_PKS6_NS0_5tupleIJSC_S6_EEENSG_IJSD_SD_EEENS0_18inequality_wrapperINSA_8equal_toIiEEEEPmJS6_EEE10hipError_tPvRmT3_T4_T5_T6_T7_T9_mT8_P12ihipStream_tbDpT10_ENKUlT_T0_E_clISt17integral_constantIbLb0EES16_IbLb1EEEEDaS12_S13_EUlS12_E_NS1_11comp_targetILNS1_3genE9ELNS1_11target_archE1100ELNS1_3gpuE3ELNS1_3repE0EEENS1_30default_config_static_selectorELNS0_4arch9wavefront6targetE1EEEvT1_,@function
_ZN7rocprim17ROCPRIM_400000_NS6detail17trampoline_kernelINS0_14default_configENS1_25partition_config_selectorILNS1_17partition_subalgoE8EiNS0_10empty_typeEbEEZZNS1_14partition_implILS5_8ELb0ES3_jN6thrust23THRUST_200600_302600_NS10device_ptrIiEEPS6_PKS6_NS0_5tupleIJSC_S6_EEENSG_IJSD_SD_EEENS0_18inequality_wrapperINSA_8equal_toIiEEEEPmJS6_EEE10hipError_tPvRmT3_T4_T5_T6_T7_T9_mT8_P12ihipStream_tbDpT10_ENKUlT_T0_E_clISt17integral_constantIbLb0EES16_IbLb1EEEEDaS12_S13_EUlS12_E_NS1_11comp_targetILNS1_3genE9ELNS1_11target_archE1100ELNS1_3gpuE3ELNS1_3repE0EEENS1_30default_config_static_selectorELNS0_4arch9wavefront6targetE1EEEvT1_: ; @_ZN7rocprim17ROCPRIM_400000_NS6detail17trampoline_kernelINS0_14default_configENS1_25partition_config_selectorILNS1_17partition_subalgoE8EiNS0_10empty_typeEbEEZZNS1_14partition_implILS5_8ELb0ES3_jN6thrust23THRUST_200600_302600_NS10device_ptrIiEEPS6_PKS6_NS0_5tupleIJSC_S6_EEENSG_IJSD_SD_EEENS0_18inequality_wrapperINSA_8equal_toIiEEEEPmJS6_EEE10hipError_tPvRmT3_T4_T5_T6_T7_T9_mT8_P12ihipStream_tbDpT10_ENKUlT_T0_E_clISt17integral_constantIbLb0EES16_IbLb1EEEEDaS12_S13_EUlS12_E_NS1_11comp_targetILNS1_3genE9ELNS1_11target_archE1100ELNS1_3gpuE3ELNS1_3repE0EEENS1_30default_config_static_selectorELNS0_4arch9wavefront6targetE1EEEvT1_
; %bb.0:
	.section	.rodata,"a",@progbits
	.p2align	6, 0x0
	.amdhsa_kernel _ZN7rocprim17ROCPRIM_400000_NS6detail17trampoline_kernelINS0_14default_configENS1_25partition_config_selectorILNS1_17partition_subalgoE8EiNS0_10empty_typeEbEEZZNS1_14partition_implILS5_8ELb0ES3_jN6thrust23THRUST_200600_302600_NS10device_ptrIiEEPS6_PKS6_NS0_5tupleIJSC_S6_EEENSG_IJSD_SD_EEENS0_18inequality_wrapperINSA_8equal_toIiEEEEPmJS6_EEE10hipError_tPvRmT3_T4_T5_T6_T7_T9_mT8_P12ihipStream_tbDpT10_ENKUlT_T0_E_clISt17integral_constantIbLb0EES16_IbLb1EEEEDaS12_S13_EUlS12_E_NS1_11comp_targetILNS1_3genE9ELNS1_11target_archE1100ELNS1_3gpuE3ELNS1_3repE0EEENS1_30default_config_static_selectorELNS0_4arch9wavefront6targetE1EEEvT1_
		.amdhsa_group_segment_fixed_size 0
		.amdhsa_private_segment_fixed_size 0
		.amdhsa_kernarg_size 128
		.amdhsa_user_sgpr_count 6
		.amdhsa_user_sgpr_private_segment_buffer 1
		.amdhsa_user_sgpr_dispatch_ptr 0
		.amdhsa_user_sgpr_queue_ptr 0
		.amdhsa_user_sgpr_kernarg_segment_ptr 1
		.amdhsa_user_sgpr_dispatch_id 0
		.amdhsa_user_sgpr_flat_scratch_init 0
		.amdhsa_user_sgpr_private_segment_size 0
		.amdhsa_uses_dynamic_stack 0
		.amdhsa_system_sgpr_private_segment_wavefront_offset 0
		.amdhsa_system_sgpr_workgroup_id_x 1
		.amdhsa_system_sgpr_workgroup_id_y 0
		.amdhsa_system_sgpr_workgroup_id_z 0
		.amdhsa_system_sgpr_workgroup_info 0
		.amdhsa_system_vgpr_workitem_id 0
		.amdhsa_next_free_vgpr 1
		.amdhsa_next_free_sgpr 0
		.amdhsa_reserve_vcc 0
		.amdhsa_reserve_flat_scratch 0
		.amdhsa_float_round_mode_32 0
		.amdhsa_float_round_mode_16_64 0
		.amdhsa_float_denorm_mode_32 3
		.amdhsa_float_denorm_mode_16_64 3
		.amdhsa_dx10_clamp 1
		.amdhsa_ieee_mode 1
		.amdhsa_fp16_overflow 0
		.amdhsa_exception_fp_ieee_invalid_op 0
		.amdhsa_exception_fp_denorm_src 0
		.amdhsa_exception_fp_ieee_div_zero 0
		.amdhsa_exception_fp_ieee_overflow 0
		.amdhsa_exception_fp_ieee_underflow 0
		.amdhsa_exception_fp_ieee_inexact 0
		.amdhsa_exception_int_div_zero 0
	.end_amdhsa_kernel
	.section	.text._ZN7rocprim17ROCPRIM_400000_NS6detail17trampoline_kernelINS0_14default_configENS1_25partition_config_selectorILNS1_17partition_subalgoE8EiNS0_10empty_typeEbEEZZNS1_14partition_implILS5_8ELb0ES3_jN6thrust23THRUST_200600_302600_NS10device_ptrIiEEPS6_PKS6_NS0_5tupleIJSC_S6_EEENSG_IJSD_SD_EEENS0_18inequality_wrapperINSA_8equal_toIiEEEEPmJS6_EEE10hipError_tPvRmT3_T4_T5_T6_T7_T9_mT8_P12ihipStream_tbDpT10_ENKUlT_T0_E_clISt17integral_constantIbLb0EES16_IbLb1EEEEDaS12_S13_EUlS12_E_NS1_11comp_targetILNS1_3genE9ELNS1_11target_archE1100ELNS1_3gpuE3ELNS1_3repE0EEENS1_30default_config_static_selectorELNS0_4arch9wavefront6targetE1EEEvT1_,"axG",@progbits,_ZN7rocprim17ROCPRIM_400000_NS6detail17trampoline_kernelINS0_14default_configENS1_25partition_config_selectorILNS1_17partition_subalgoE8EiNS0_10empty_typeEbEEZZNS1_14partition_implILS5_8ELb0ES3_jN6thrust23THRUST_200600_302600_NS10device_ptrIiEEPS6_PKS6_NS0_5tupleIJSC_S6_EEENSG_IJSD_SD_EEENS0_18inequality_wrapperINSA_8equal_toIiEEEEPmJS6_EEE10hipError_tPvRmT3_T4_T5_T6_T7_T9_mT8_P12ihipStream_tbDpT10_ENKUlT_T0_E_clISt17integral_constantIbLb0EES16_IbLb1EEEEDaS12_S13_EUlS12_E_NS1_11comp_targetILNS1_3genE9ELNS1_11target_archE1100ELNS1_3gpuE3ELNS1_3repE0EEENS1_30default_config_static_selectorELNS0_4arch9wavefront6targetE1EEEvT1_,comdat
.Lfunc_end1061:
	.size	_ZN7rocprim17ROCPRIM_400000_NS6detail17trampoline_kernelINS0_14default_configENS1_25partition_config_selectorILNS1_17partition_subalgoE8EiNS0_10empty_typeEbEEZZNS1_14partition_implILS5_8ELb0ES3_jN6thrust23THRUST_200600_302600_NS10device_ptrIiEEPS6_PKS6_NS0_5tupleIJSC_S6_EEENSG_IJSD_SD_EEENS0_18inequality_wrapperINSA_8equal_toIiEEEEPmJS6_EEE10hipError_tPvRmT3_T4_T5_T6_T7_T9_mT8_P12ihipStream_tbDpT10_ENKUlT_T0_E_clISt17integral_constantIbLb0EES16_IbLb1EEEEDaS12_S13_EUlS12_E_NS1_11comp_targetILNS1_3genE9ELNS1_11target_archE1100ELNS1_3gpuE3ELNS1_3repE0EEENS1_30default_config_static_selectorELNS0_4arch9wavefront6targetE1EEEvT1_, .Lfunc_end1061-_ZN7rocprim17ROCPRIM_400000_NS6detail17trampoline_kernelINS0_14default_configENS1_25partition_config_selectorILNS1_17partition_subalgoE8EiNS0_10empty_typeEbEEZZNS1_14partition_implILS5_8ELb0ES3_jN6thrust23THRUST_200600_302600_NS10device_ptrIiEEPS6_PKS6_NS0_5tupleIJSC_S6_EEENSG_IJSD_SD_EEENS0_18inequality_wrapperINSA_8equal_toIiEEEEPmJS6_EEE10hipError_tPvRmT3_T4_T5_T6_T7_T9_mT8_P12ihipStream_tbDpT10_ENKUlT_T0_E_clISt17integral_constantIbLb0EES16_IbLb1EEEEDaS12_S13_EUlS12_E_NS1_11comp_targetILNS1_3genE9ELNS1_11target_archE1100ELNS1_3gpuE3ELNS1_3repE0EEENS1_30default_config_static_selectorELNS0_4arch9wavefront6targetE1EEEvT1_
                                        ; -- End function
	.set _ZN7rocprim17ROCPRIM_400000_NS6detail17trampoline_kernelINS0_14default_configENS1_25partition_config_selectorILNS1_17partition_subalgoE8EiNS0_10empty_typeEbEEZZNS1_14partition_implILS5_8ELb0ES3_jN6thrust23THRUST_200600_302600_NS10device_ptrIiEEPS6_PKS6_NS0_5tupleIJSC_S6_EEENSG_IJSD_SD_EEENS0_18inequality_wrapperINSA_8equal_toIiEEEEPmJS6_EEE10hipError_tPvRmT3_T4_T5_T6_T7_T9_mT8_P12ihipStream_tbDpT10_ENKUlT_T0_E_clISt17integral_constantIbLb0EES16_IbLb1EEEEDaS12_S13_EUlS12_E_NS1_11comp_targetILNS1_3genE9ELNS1_11target_archE1100ELNS1_3gpuE3ELNS1_3repE0EEENS1_30default_config_static_selectorELNS0_4arch9wavefront6targetE1EEEvT1_.num_vgpr, 0
	.set _ZN7rocprim17ROCPRIM_400000_NS6detail17trampoline_kernelINS0_14default_configENS1_25partition_config_selectorILNS1_17partition_subalgoE8EiNS0_10empty_typeEbEEZZNS1_14partition_implILS5_8ELb0ES3_jN6thrust23THRUST_200600_302600_NS10device_ptrIiEEPS6_PKS6_NS0_5tupleIJSC_S6_EEENSG_IJSD_SD_EEENS0_18inequality_wrapperINSA_8equal_toIiEEEEPmJS6_EEE10hipError_tPvRmT3_T4_T5_T6_T7_T9_mT8_P12ihipStream_tbDpT10_ENKUlT_T0_E_clISt17integral_constantIbLb0EES16_IbLb1EEEEDaS12_S13_EUlS12_E_NS1_11comp_targetILNS1_3genE9ELNS1_11target_archE1100ELNS1_3gpuE3ELNS1_3repE0EEENS1_30default_config_static_selectorELNS0_4arch9wavefront6targetE1EEEvT1_.num_agpr, 0
	.set _ZN7rocprim17ROCPRIM_400000_NS6detail17trampoline_kernelINS0_14default_configENS1_25partition_config_selectorILNS1_17partition_subalgoE8EiNS0_10empty_typeEbEEZZNS1_14partition_implILS5_8ELb0ES3_jN6thrust23THRUST_200600_302600_NS10device_ptrIiEEPS6_PKS6_NS0_5tupleIJSC_S6_EEENSG_IJSD_SD_EEENS0_18inequality_wrapperINSA_8equal_toIiEEEEPmJS6_EEE10hipError_tPvRmT3_T4_T5_T6_T7_T9_mT8_P12ihipStream_tbDpT10_ENKUlT_T0_E_clISt17integral_constantIbLb0EES16_IbLb1EEEEDaS12_S13_EUlS12_E_NS1_11comp_targetILNS1_3genE9ELNS1_11target_archE1100ELNS1_3gpuE3ELNS1_3repE0EEENS1_30default_config_static_selectorELNS0_4arch9wavefront6targetE1EEEvT1_.numbered_sgpr, 0
	.set _ZN7rocprim17ROCPRIM_400000_NS6detail17trampoline_kernelINS0_14default_configENS1_25partition_config_selectorILNS1_17partition_subalgoE8EiNS0_10empty_typeEbEEZZNS1_14partition_implILS5_8ELb0ES3_jN6thrust23THRUST_200600_302600_NS10device_ptrIiEEPS6_PKS6_NS0_5tupleIJSC_S6_EEENSG_IJSD_SD_EEENS0_18inequality_wrapperINSA_8equal_toIiEEEEPmJS6_EEE10hipError_tPvRmT3_T4_T5_T6_T7_T9_mT8_P12ihipStream_tbDpT10_ENKUlT_T0_E_clISt17integral_constantIbLb0EES16_IbLb1EEEEDaS12_S13_EUlS12_E_NS1_11comp_targetILNS1_3genE9ELNS1_11target_archE1100ELNS1_3gpuE3ELNS1_3repE0EEENS1_30default_config_static_selectorELNS0_4arch9wavefront6targetE1EEEvT1_.num_named_barrier, 0
	.set _ZN7rocprim17ROCPRIM_400000_NS6detail17trampoline_kernelINS0_14default_configENS1_25partition_config_selectorILNS1_17partition_subalgoE8EiNS0_10empty_typeEbEEZZNS1_14partition_implILS5_8ELb0ES3_jN6thrust23THRUST_200600_302600_NS10device_ptrIiEEPS6_PKS6_NS0_5tupleIJSC_S6_EEENSG_IJSD_SD_EEENS0_18inequality_wrapperINSA_8equal_toIiEEEEPmJS6_EEE10hipError_tPvRmT3_T4_T5_T6_T7_T9_mT8_P12ihipStream_tbDpT10_ENKUlT_T0_E_clISt17integral_constantIbLb0EES16_IbLb1EEEEDaS12_S13_EUlS12_E_NS1_11comp_targetILNS1_3genE9ELNS1_11target_archE1100ELNS1_3gpuE3ELNS1_3repE0EEENS1_30default_config_static_selectorELNS0_4arch9wavefront6targetE1EEEvT1_.private_seg_size, 0
	.set _ZN7rocprim17ROCPRIM_400000_NS6detail17trampoline_kernelINS0_14default_configENS1_25partition_config_selectorILNS1_17partition_subalgoE8EiNS0_10empty_typeEbEEZZNS1_14partition_implILS5_8ELb0ES3_jN6thrust23THRUST_200600_302600_NS10device_ptrIiEEPS6_PKS6_NS0_5tupleIJSC_S6_EEENSG_IJSD_SD_EEENS0_18inequality_wrapperINSA_8equal_toIiEEEEPmJS6_EEE10hipError_tPvRmT3_T4_T5_T6_T7_T9_mT8_P12ihipStream_tbDpT10_ENKUlT_T0_E_clISt17integral_constantIbLb0EES16_IbLb1EEEEDaS12_S13_EUlS12_E_NS1_11comp_targetILNS1_3genE9ELNS1_11target_archE1100ELNS1_3gpuE3ELNS1_3repE0EEENS1_30default_config_static_selectorELNS0_4arch9wavefront6targetE1EEEvT1_.uses_vcc, 0
	.set _ZN7rocprim17ROCPRIM_400000_NS6detail17trampoline_kernelINS0_14default_configENS1_25partition_config_selectorILNS1_17partition_subalgoE8EiNS0_10empty_typeEbEEZZNS1_14partition_implILS5_8ELb0ES3_jN6thrust23THRUST_200600_302600_NS10device_ptrIiEEPS6_PKS6_NS0_5tupleIJSC_S6_EEENSG_IJSD_SD_EEENS0_18inequality_wrapperINSA_8equal_toIiEEEEPmJS6_EEE10hipError_tPvRmT3_T4_T5_T6_T7_T9_mT8_P12ihipStream_tbDpT10_ENKUlT_T0_E_clISt17integral_constantIbLb0EES16_IbLb1EEEEDaS12_S13_EUlS12_E_NS1_11comp_targetILNS1_3genE9ELNS1_11target_archE1100ELNS1_3gpuE3ELNS1_3repE0EEENS1_30default_config_static_selectorELNS0_4arch9wavefront6targetE1EEEvT1_.uses_flat_scratch, 0
	.set _ZN7rocprim17ROCPRIM_400000_NS6detail17trampoline_kernelINS0_14default_configENS1_25partition_config_selectorILNS1_17partition_subalgoE8EiNS0_10empty_typeEbEEZZNS1_14partition_implILS5_8ELb0ES3_jN6thrust23THRUST_200600_302600_NS10device_ptrIiEEPS6_PKS6_NS0_5tupleIJSC_S6_EEENSG_IJSD_SD_EEENS0_18inequality_wrapperINSA_8equal_toIiEEEEPmJS6_EEE10hipError_tPvRmT3_T4_T5_T6_T7_T9_mT8_P12ihipStream_tbDpT10_ENKUlT_T0_E_clISt17integral_constantIbLb0EES16_IbLb1EEEEDaS12_S13_EUlS12_E_NS1_11comp_targetILNS1_3genE9ELNS1_11target_archE1100ELNS1_3gpuE3ELNS1_3repE0EEENS1_30default_config_static_selectorELNS0_4arch9wavefront6targetE1EEEvT1_.has_dyn_sized_stack, 0
	.set _ZN7rocprim17ROCPRIM_400000_NS6detail17trampoline_kernelINS0_14default_configENS1_25partition_config_selectorILNS1_17partition_subalgoE8EiNS0_10empty_typeEbEEZZNS1_14partition_implILS5_8ELb0ES3_jN6thrust23THRUST_200600_302600_NS10device_ptrIiEEPS6_PKS6_NS0_5tupleIJSC_S6_EEENSG_IJSD_SD_EEENS0_18inequality_wrapperINSA_8equal_toIiEEEEPmJS6_EEE10hipError_tPvRmT3_T4_T5_T6_T7_T9_mT8_P12ihipStream_tbDpT10_ENKUlT_T0_E_clISt17integral_constantIbLb0EES16_IbLb1EEEEDaS12_S13_EUlS12_E_NS1_11comp_targetILNS1_3genE9ELNS1_11target_archE1100ELNS1_3gpuE3ELNS1_3repE0EEENS1_30default_config_static_selectorELNS0_4arch9wavefront6targetE1EEEvT1_.has_recursion, 0
	.set _ZN7rocprim17ROCPRIM_400000_NS6detail17trampoline_kernelINS0_14default_configENS1_25partition_config_selectorILNS1_17partition_subalgoE8EiNS0_10empty_typeEbEEZZNS1_14partition_implILS5_8ELb0ES3_jN6thrust23THRUST_200600_302600_NS10device_ptrIiEEPS6_PKS6_NS0_5tupleIJSC_S6_EEENSG_IJSD_SD_EEENS0_18inequality_wrapperINSA_8equal_toIiEEEEPmJS6_EEE10hipError_tPvRmT3_T4_T5_T6_T7_T9_mT8_P12ihipStream_tbDpT10_ENKUlT_T0_E_clISt17integral_constantIbLb0EES16_IbLb1EEEEDaS12_S13_EUlS12_E_NS1_11comp_targetILNS1_3genE9ELNS1_11target_archE1100ELNS1_3gpuE3ELNS1_3repE0EEENS1_30default_config_static_selectorELNS0_4arch9wavefront6targetE1EEEvT1_.has_indirect_call, 0
	.section	.AMDGPU.csdata,"",@progbits
; Kernel info:
; codeLenInByte = 0
; TotalNumSgprs: 4
; NumVgprs: 0
; ScratchSize: 0
; MemoryBound: 0
; FloatMode: 240
; IeeeMode: 1
; LDSByteSize: 0 bytes/workgroup (compile time only)
; SGPRBlocks: 0
; VGPRBlocks: 0
; NumSGPRsForWavesPerEU: 4
; NumVGPRsForWavesPerEU: 1
; Occupancy: 10
; WaveLimiterHint : 0
; COMPUTE_PGM_RSRC2:SCRATCH_EN: 0
; COMPUTE_PGM_RSRC2:USER_SGPR: 6
; COMPUTE_PGM_RSRC2:TRAP_HANDLER: 0
; COMPUTE_PGM_RSRC2:TGID_X_EN: 1
; COMPUTE_PGM_RSRC2:TGID_Y_EN: 0
; COMPUTE_PGM_RSRC2:TGID_Z_EN: 0
; COMPUTE_PGM_RSRC2:TIDIG_COMP_CNT: 0
	.section	.text._ZN7rocprim17ROCPRIM_400000_NS6detail17trampoline_kernelINS0_14default_configENS1_25partition_config_selectorILNS1_17partition_subalgoE8EiNS0_10empty_typeEbEEZZNS1_14partition_implILS5_8ELb0ES3_jN6thrust23THRUST_200600_302600_NS10device_ptrIiEEPS6_PKS6_NS0_5tupleIJSC_S6_EEENSG_IJSD_SD_EEENS0_18inequality_wrapperINSA_8equal_toIiEEEEPmJS6_EEE10hipError_tPvRmT3_T4_T5_T6_T7_T9_mT8_P12ihipStream_tbDpT10_ENKUlT_T0_E_clISt17integral_constantIbLb0EES16_IbLb1EEEEDaS12_S13_EUlS12_E_NS1_11comp_targetILNS1_3genE8ELNS1_11target_archE1030ELNS1_3gpuE2ELNS1_3repE0EEENS1_30default_config_static_selectorELNS0_4arch9wavefront6targetE1EEEvT1_,"axG",@progbits,_ZN7rocprim17ROCPRIM_400000_NS6detail17trampoline_kernelINS0_14default_configENS1_25partition_config_selectorILNS1_17partition_subalgoE8EiNS0_10empty_typeEbEEZZNS1_14partition_implILS5_8ELb0ES3_jN6thrust23THRUST_200600_302600_NS10device_ptrIiEEPS6_PKS6_NS0_5tupleIJSC_S6_EEENSG_IJSD_SD_EEENS0_18inequality_wrapperINSA_8equal_toIiEEEEPmJS6_EEE10hipError_tPvRmT3_T4_T5_T6_T7_T9_mT8_P12ihipStream_tbDpT10_ENKUlT_T0_E_clISt17integral_constantIbLb0EES16_IbLb1EEEEDaS12_S13_EUlS12_E_NS1_11comp_targetILNS1_3genE8ELNS1_11target_archE1030ELNS1_3gpuE2ELNS1_3repE0EEENS1_30default_config_static_selectorELNS0_4arch9wavefront6targetE1EEEvT1_,comdat
	.protected	_ZN7rocprim17ROCPRIM_400000_NS6detail17trampoline_kernelINS0_14default_configENS1_25partition_config_selectorILNS1_17partition_subalgoE8EiNS0_10empty_typeEbEEZZNS1_14partition_implILS5_8ELb0ES3_jN6thrust23THRUST_200600_302600_NS10device_ptrIiEEPS6_PKS6_NS0_5tupleIJSC_S6_EEENSG_IJSD_SD_EEENS0_18inequality_wrapperINSA_8equal_toIiEEEEPmJS6_EEE10hipError_tPvRmT3_T4_T5_T6_T7_T9_mT8_P12ihipStream_tbDpT10_ENKUlT_T0_E_clISt17integral_constantIbLb0EES16_IbLb1EEEEDaS12_S13_EUlS12_E_NS1_11comp_targetILNS1_3genE8ELNS1_11target_archE1030ELNS1_3gpuE2ELNS1_3repE0EEENS1_30default_config_static_selectorELNS0_4arch9wavefront6targetE1EEEvT1_ ; -- Begin function _ZN7rocprim17ROCPRIM_400000_NS6detail17trampoline_kernelINS0_14default_configENS1_25partition_config_selectorILNS1_17partition_subalgoE8EiNS0_10empty_typeEbEEZZNS1_14partition_implILS5_8ELb0ES3_jN6thrust23THRUST_200600_302600_NS10device_ptrIiEEPS6_PKS6_NS0_5tupleIJSC_S6_EEENSG_IJSD_SD_EEENS0_18inequality_wrapperINSA_8equal_toIiEEEEPmJS6_EEE10hipError_tPvRmT3_T4_T5_T6_T7_T9_mT8_P12ihipStream_tbDpT10_ENKUlT_T0_E_clISt17integral_constantIbLb0EES16_IbLb1EEEEDaS12_S13_EUlS12_E_NS1_11comp_targetILNS1_3genE8ELNS1_11target_archE1030ELNS1_3gpuE2ELNS1_3repE0EEENS1_30default_config_static_selectorELNS0_4arch9wavefront6targetE1EEEvT1_
	.globl	_ZN7rocprim17ROCPRIM_400000_NS6detail17trampoline_kernelINS0_14default_configENS1_25partition_config_selectorILNS1_17partition_subalgoE8EiNS0_10empty_typeEbEEZZNS1_14partition_implILS5_8ELb0ES3_jN6thrust23THRUST_200600_302600_NS10device_ptrIiEEPS6_PKS6_NS0_5tupleIJSC_S6_EEENSG_IJSD_SD_EEENS0_18inequality_wrapperINSA_8equal_toIiEEEEPmJS6_EEE10hipError_tPvRmT3_T4_T5_T6_T7_T9_mT8_P12ihipStream_tbDpT10_ENKUlT_T0_E_clISt17integral_constantIbLb0EES16_IbLb1EEEEDaS12_S13_EUlS12_E_NS1_11comp_targetILNS1_3genE8ELNS1_11target_archE1030ELNS1_3gpuE2ELNS1_3repE0EEENS1_30default_config_static_selectorELNS0_4arch9wavefront6targetE1EEEvT1_
	.p2align	8
	.type	_ZN7rocprim17ROCPRIM_400000_NS6detail17trampoline_kernelINS0_14default_configENS1_25partition_config_selectorILNS1_17partition_subalgoE8EiNS0_10empty_typeEbEEZZNS1_14partition_implILS5_8ELb0ES3_jN6thrust23THRUST_200600_302600_NS10device_ptrIiEEPS6_PKS6_NS0_5tupleIJSC_S6_EEENSG_IJSD_SD_EEENS0_18inequality_wrapperINSA_8equal_toIiEEEEPmJS6_EEE10hipError_tPvRmT3_T4_T5_T6_T7_T9_mT8_P12ihipStream_tbDpT10_ENKUlT_T0_E_clISt17integral_constantIbLb0EES16_IbLb1EEEEDaS12_S13_EUlS12_E_NS1_11comp_targetILNS1_3genE8ELNS1_11target_archE1030ELNS1_3gpuE2ELNS1_3repE0EEENS1_30default_config_static_selectorELNS0_4arch9wavefront6targetE1EEEvT1_,@function
_ZN7rocprim17ROCPRIM_400000_NS6detail17trampoline_kernelINS0_14default_configENS1_25partition_config_selectorILNS1_17partition_subalgoE8EiNS0_10empty_typeEbEEZZNS1_14partition_implILS5_8ELb0ES3_jN6thrust23THRUST_200600_302600_NS10device_ptrIiEEPS6_PKS6_NS0_5tupleIJSC_S6_EEENSG_IJSD_SD_EEENS0_18inequality_wrapperINSA_8equal_toIiEEEEPmJS6_EEE10hipError_tPvRmT3_T4_T5_T6_T7_T9_mT8_P12ihipStream_tbDpT10_ENKUlT_T0_E_clISt17integral_constantIbLb0EES16_IbLb1EEEEDaS12_S13_EUlS12_E_NS1_11comp_targetILNS1_3genE8ELNS1_11target_archE1030ELNS1_3gpuE2ELNS1_3repE0EEENS1_30default_config_static_selectorELNS0_4arch9wavefront6targetE1EEEvT1_: ; @_ZN7rocprim17ROCPRIM_400000_NS6detail17trampoline_kernelINS0_14default_configENS1_25partition_config_selectorILNS1_17partition_subalgoE8EiNS0_10empty_typeEbEEZZNS1_14partition_implILS5_8ELb0ES3_jN6thrust23THRUST_200600_302600_NS10device_ptrIiEEPS6_PKS6_NS0_5tupleIJSC_S6_EEENSG_IJSD_SD_EEENS0_18inequality_wrapperINSA_8equal_toIiEEEEPmJS6_EEE10hipError_tPvRmT3_T4_T5_T6_T7_T9_mT8_P12ihipStream_tbDpT10_ENKUlT_T0_E_clISt17integral_constantIbLb0EES16_IbLb1EEEEDaS12_S13_EUlS12_E_NS1_11comp_targetILNS1_3genE8ELNS1_11target_archE1030ELNS1_3gpuE2ELNS1_3repE0EEENS1_30default_config_static_selectorELNS0_4arch9wavefront6targetE1EEEvT1_
; %bb.0:
	.section	.rodata,"a",@progbits
	.p2align	6, 0x0
	.amdhsa_kernel _ZN7rocprim17ROCPRIM_400000_NS6detail17trampoline_kernelINS0_14default_configENS1_25partition_config_selectorILNS1_17partition_subalgoE8EiNS0_10empty_typeEbEEZZNS1_14partition_implILS5_8ELb0ES3_jN6thrust23THRUST_200600_302600_NS10device_ptrIiEEPS6_PKS6_NS0_5tupleIJSC_S6_EEENSG_IJSD_SD_EEENS0_18inequality_wrapperINSA_8equal_toIiEEEEPmJS6_EEE10hipError_tPvRmT3_T4_T5_T6_T7_T9_mT8_P12ihipStream_tbDpT10_ENKUlT_T0_E_clISt17integral_constantIbLb0EES16_IbLb1EEEEDaS12_S13_EUlS12_E_NS1_11comp_targetILNS1_3genE8ELNS1_11target_archE1030ELNS1_3gpuE2ELNS1_3repE0EEENS1_30default_config_static_selectorELNS0_4arch9wavefront6targetE1EEEvT1_
		.amdhsa_group_segment_fixed_size 0
		.amdhsa_private_segment_fixed_size 0
		.amdhsa_kernarg_size 128
		.amdhsa_user_sgpr_count 6
		.amdhsa_user_sgpr_private_segment_buffer 1
		.amdhsa_user_sgpr_dispatch_ptr 0
		.amdhsa_user_sgpr_queue_ptr 0
		.amdhsa_user_sgpr_kernarg_segment_ptr 1
		.amdhsa_user_sgpr_dispatch_id 0
		.amdhsa_user_sgpr_flat_scratch_init 0
		.amdhsa_user_sgpr_private_segment_size 0
		.amdhsa_uses_dynamic_stack 0
		.amdhsa_system_sgpr_private_segment_wavefront_offset 0
		.amdhsa_system_sgpr_workgroup_id_x 1
		.amdhsa_system_sgpr_workgroup_id_y 0
		.amdhsa_system_sgpr_workgroup_id_z 0
		.amdhsa_system_sgpr_workgroup_info 0
		.amdhsa_system_vgpr_workitem_id 0
		.amdhsa_next_free_vgpr 1
		.amdhsa_next_free_sgpr 0
		.amdhsa_reserve_vcc 0
		.amdhsa_reserve_flat_scratch 0
		.amdhsa_float_round_mode_32 0
		.amdhsa_float_round_mode_16_64 0
		.amdhsa_float_denorm_mode_32 3
		.amdhsa_float_denorm_mode_16_64 3
		.amdhsa_dx10_clamp 1
		.amdhsa_ieee_mode 1
		.amdhsa_fp16_overflow 0
		.amdhsa_exception_fp_ieee_invalid_op 0
		.amdhsa_exception_fp_denorm_src 0
		.amdhsa_exception_fp_ieee_div_zero 0
		.amdhsa_exception_fp_ieee_overflow 0
		.amdhsa_exception_fp_ieee_underflow 0
		.amdhsa_exception_fp_ieee_inexact 0
		.amdhsa_exception_int_div_zero 0
	.end_amdhsa_kernel
	.section	.text._ZN7rocprim17ROCPRIM_400000_NS6detail17trampoline_kernelINS0_14default_configENS1_25partition_config_selectorILNS1_17partition_subalgoE8EiNS0_10empty_typeEbEEZZNS1_14partition_implILS5_8ELb0ES3_jN6thrust23THRUST_200600_302600_NS10device_ptrIiEEPS6_PKS6_NS0_5tupleIJSC_S6_EEENSG_IJSD_SD_EEENS0_18inequality_wrapperINSA_8equal_toIiEEEEPmJS6_EEE10hipError_tPvRmT3_T4_T5_T6_T7_T9_mT8_P12ihipStream_tbDpT10_ENKUlT_T0_E_clISt17integral_constantIbLb0EES16_IbLb1EEEEDaS12_S13_EUlS12_E_NS1_11comp_targetILNS1_3genE8ELNS1_11target_archE1030ELNS1_3gpuE2ELNS1_3repE0EEENS1_30default_config_static_selectorELNS0_4arch9wavefront6targetE1EEEvT1_,"axG",@progbits,_ZN7rocprim17ROCPRIM_400000_NS6detail17trampoline_kernelINS0_14default_configENS1_25partition_config_selectorILNS1_17partition_subalgoE8EiNS0_10empty_typeEbEEZZNS1_14partition_implILS5_8ELb0ES3_jN6thrust23THRUST_200600_302600_NS10device_ptrIiEEPS6_PKS6_NS0_5tupleIJSC_S6_EEENSG_IJSD_SD_EEENS0_18inequality_wrapperINSA_8equal_toIiEEEEPmJS6_EEE10hipError_tPvRmT3_T4_T5_T6_T7_T9_mT8_P12ihipStream_tbDpT10_ENKUlT_T0_E_clISt17integral_constantIbLb0EES16_IbLb1EEEEDaS12_S13_EUlS12_E_NS1_11comp_targetILNS1_3genE8ELNS1_11target_archE1030ELNS1_3gpuE2ELNS1_3repE0EEENS1_30default_config_static_selectorELNS0_4arch9wavefront6targetE1EEEvT1_,comdat
.Lfunc_end1062:
	.size	_ZN7rocprim17ROCPRIM_400000_NS6detail17trampoline_kernelINS0_14default_configENS1_25partition_config_selectorILNS1_17partition_subalgoE8EiNS0_10empty_typeEbEEZZNS1_14partition_implILS5_8ELb0ES3_jN6thrust23THRUST_200600_302600_NS10device_ptrIiEEPS6_PKS6_NS0_5tupleIJSC_S6_EEENSG_IJSD_SD_EEENS0_18inequality_wrapperINSA_8equal_toIiEEEEPmJS6_EEE10hipError_tPvRmT3_T4_T5_T6_T7_T9_mT8_P12ihipStream_tbDpT10_ENKUlT_T0_E_clISt17integral_constantIbLb0EES16_IbLb1EEEEDaS12_S13_EUlS12_E_NS1_11comp_targetILNS1_3genE8ELNS1_11target_archE1030ELNS1_3gpuE2ELNS1_3repE0EEENS1_30default_config_static_selectorELNS0_4arch9wavefront6targetE1EEEvT1_, .Lfunc_end1062-_ZN7rocprim17ROCPRIM_400000_NS6detail17trampoline_kernelINS0_14default_configENS1_25partition_config_selectorILNS1_17partition_subalgoE8EiNS0_10empty_typeEbEEZZNS1_14partition_implILS5_8ELb0ES3_jN6thrust23THRUST_200600_302600_NS10device_ptrIiEEPS6_PKS6_NS0_5tupleIJSC_S6_EEENSG_IJSD_SD_EEENS0_18inequality_wrapperINSA_8equal_toIiEEEEPmJS6_EEE10hipError_tPvRmT3_T4_T5_T6_T7_T9_mT8_P12ihipStream_tbDpT10_ENKUlT_T0_E_clISt17integral_constantIbLb0EES16_IbLb1EEEEDaS12_S13_EUlS12_E_NS1_11comp_targetILNS1_3genE8ELNS1_11target_archE1030ELNS1_3gpuE2ELNS1_3repE0EEENS1_30default_config_static_selectorELNS0_4arch9wavefront6targetE1EEEvT1_
                                        ; -- End function
	.set _ZN7rocprim17ROCPRIM_400000_NS6detail17trampoline_kernelINS0_14default_configENS1_25partition_config_selectorILNS1_17partition_subalgoE8EiNS0_10empty_typeEbEEZZNS1_14partition_implILS5_8ELb0ES3_jN6thrust23THRUST_200600_302600_NS10device_ptrIiEEPS6_PKS6_NS0_5tupleIJSC_S6_EEENSG_IJSD_SD_EEENS0_18inequality_wrapperINSA_8equal_toIiEEEEPmJS6_EEE10hipError_tPvRmT3_T4_T5_T6_T7_T9_mT8_P12ihipStream_tbDpT10_ENKUlT_T0_E_clISt17integral_constantIbLb0EES16_IbLb1EEEEDaS12_S13_EUlS12_E_NS1_11comp_targetILNS1_3genE8ELNS1_11target_archE1030ELNS1_3gpuE2ELNS1_3repE0EEENS1_30default_config_static_selectorELNS0_4arch9wavefront6targetE1EEEvT1_.num_vgpr, 0
	.set _ZN7rocprim17ROCPRIM_400000_NS6detail17trampoline_kernelINS0_14default_configENS1_25partition_config_selectorILNS1_17partition_subalgoE8EiNS0_10empty_typeEbEEZZNS1_14partition_implILS5_8ELb0ES3_jN6thrust23THRUST_200600_302600_NS10device_ptrIiEEPS6_PKS6_NS0_5tupleIJSC_S6_EEENSG_IJSD_SD_EEENS0_18inequality_wrapperINSA_8equal_toIiEEEEPmJS6_EEE10hipError_tPvRmT3_T4_T5_T6_T7_T9_mT8_P12ihipStream_tbDpT10_ENKUlT_T0_E_clISt17integral_constantIbLb0EES16_IbLb1EEEEDaS12_S13_EUlS12_E_NS1_11comp_targetILNS1_3genE8ELNS1_11target_archE1030ELNS1_3gpuE2ELNS1_3repE0EEENS1_30default_config_static_selectorELNS0_4arch9wavefront6targetE1EEEvT1_.num_agpr, 0
	.set _ZN7rocprim17ROCPRIM_400000_NS6detail17trampoline_kernelINS0_14default_configENS1_25partition_config_selectorILNS1_17partition_subalgoE8EiNS0_10empty_typeEbEEZZNS1_14partition_implILS5_8ELb0ES3_jN6thrust23THRUST_200600_302600_NS10device_ptrIiEEPS6_PKS6_NS0_5tupleIJSC_S6_EEENSG_IJSD_SD_EEENS0_18inequality_wrapperINSA_8equal_toIiEEEEPmJS6_EEE10hipError_tPvRmT3_T4_T5_T6_T7_T9_mT8_P12ihipStream_tbDpT10_ENKUlT_T0_E_clISt17integral_constantIbLb0EES16_IbLb1EEEEDaS12_S13_EUlS12_E_NS1_11comp_targetILNS1_3genE8ELNS1_11target_archE1030ELNS1_3gpuE2ELNS1_3repE0EEENS1_30default_config_static_selectorELNS0_4arch9wavefront6targetE1EEEvT1_.numbered_sgpr, 0
	.set _ZN7rocprim17ROCPRIM_400000_NS6detail17trampoline_kernelINS0_14default_configENS1_25partition_config_selectorILNS1_17partition_subalgoE8EiNS0_10empty_typeEbEEZZNS1_14partition_implILS5_8ELb0ES3_jN6thrust23THRUST_200600_302600_NS10device_ptrIiEEPS6_PKS6_NS0_5tupleIJSC_S6_EEENSG_IJSD_SD_EEENS0_18inequality_wrapperINSA_8equal_toIiEEEEPmJS6_EEE10hipError_tPvRmT3_T4_T5_T6_T7_T9_mT8_P12ihipStream_tbDpT10_ENKUlT_T0_E_clISt17integral_constantIbLb0EES16_IbLb1EEEEDaS12_S13_EUlS12_E_NS1_11comp_targetILNS1_3genE8ELNS1_11target_archE1030ELNS1_3gpuE2ELNS1_3repE0EEENS1_30default_config_static_selectorELNS0_4arch9wavefront6targetE1EEEvT1_.num_named_barrier, 0
	.set _ZN7rocprim17ROCPRIM_400000_NS6detail17trampoline_kernelINS0_14default_configENS1_25partition_config_selectorILNS1_17partition_subalgoE8EiNS0_10empty_typeEbEEZZNS1_14partition_implILS5_8ELb0ES3_jN6thrust23THRUST_200600_302600_NS10device_ptrIiEEPS6_PKS6_NS0_5tupleIJSC_S6_EEENSG_IJSD_SD_EEENS0_18inequality_wrapperINSA_8equal_toIiEEEEPmJS6_EEE10hipError_tPvRmT3_T4_T5_T6_T7_T9_mT8_P12ihipStream_tbDpT10_ENKUlT_T0_E_clISt17integral_constantIbLb0EES16_IbLb1EEEEDaS12_S13_EUlS12_E_NS1_11comp_targetILNS1_3genE8ELNS1_11target_archE1030ELNS1_3gpuE2ELNS1_3repE0EEENS1_30default_config_static_selectorELNS0_4arch9wavefront6targetE1EEEvT1_.private_seg_size, 0
	.set _ZN7rocprim17ROCPRIM_400000_NS6detail17trampoline_kernelINS0_14default_configENS1_25partition_config_selectorILNS1_17partition_subalgoE8EiNS0_10empty_typeEbEEZZNS1_14partition_implILS5_8ELb0ES3_jN6thrust23THRUST_200600_302600_NS10device_ptrIiEEPS6_PKS6_NS0_5tupleIJSC_S6_EEENSG_IJSD_SD_EEENS0_18inequality_wrapperINSA_8equal_toIiEEEEPmJS6_EEE10hipError_tPvRmT3_T4_T5_T6_T7_T9_mT8_P12ihipStream_tbDpT10_ENKUlT_T0_E_clISt17integral_constantIbLb0EES16_IbLb1EEEEDaS12_S13_EUlS12_E_NS1_11comp_targetILNS1_3genE8ELNS1_11target_archE1030ELNS1_3gpuE2ELNS1_3repE0EEENS1_30default_config_static_selectorELNS0_4arch9wavefront6targetE1EEEvT1_.uses_vcc, 0
	.set _ZN7rocprim17ROCPRIM_400000_NS6detail17trampoline_kernelINS0_14default_configENS1_25partition_config_selectorILNS1_17partition_subalgoE8EiNS0_10empty_typeEbEEZZNS1_14partition_implILS5_8ELb0ES3_jN6thrust23THRUST_200600_302600_NS10device_ptrIiEEPS6_PKS6_NS0_5tupleIJSC_S6_EEENSG_IJSD_SD_EEENS0_18inequality_wrapperINSA_8equal_toIiEEEEPmJS6_EEE10hipError_tPvRmT3_T4_T5_T6_T7_T9_mT8_P12ihipStream_tbDpT10_ENKUlT_T0_E_clISt17integral_constantIbLb0EES16_IbLb1EEEEDaS12_S13_EUlS12_E_NS1_11comp_targetILNS1_3genE8ELNS1_11target_archE1030ELNS1_3gpuE2ELNS1_3repE0EEENS1_30default_config_static_selectorELNS0_4arch9wavefront6targetE1EEEvT1_.uses_flat_scratch, 0
	.set _ZN7rocprim17ROCPRIM_400000_NS6detail17trampoline_kernelINS0_14default_configENS1_25partition_config_selectorILNS1_17partition_subalgoE8EiNS0_10empty_typeEbEEZZNS1_14partition_implILS5_8ELb0ES3_jN6thrust23THRUST_200600_302600_NS10device_ptrIiEEPS6_PKS6_NS0_5tupleIJSC_S6_EEENSG_IJSD_SD_EEENS0_18inequality_wrapperINSA_8equal_toIiEEEEPmJS6_EEE10hipError_tPvRmT3_T4_T5_T6_T7_T9_mT8_P12ihipStream_tbDpT10_ENKUlT_T0_E_clISt17integral_constantIbLb0EES16_IbLb1EEEEDaS12_S13_EUlS12_E_NS1_11comp_targetILNS1_3genE8ELNS1_11target_archE1030ELNS1_3gpuE2ELNS1_3repE0EEENS1_30default_config_static_selectorELNS0_4arch9wavefront6targetE1EEEvT1_.has_dyn_sized_stack, 0
	.set _ZN7rocprim17ROCPRIM_400000_NS6detail17trampoline_kernelINS0_14default_configENS1_25partition_config_selectorILNS1_17partition_subalgoE8EiNS0_10empty_typeEbEEZZNS1_14partition_implILS5_8ELb0ES3_jN6thrust23THRUST_200600_302600_NS10device_ptrIiEEPS6_PKS6_NS0_5tupleIJSC_S6_EEENSG_IJSD_SD_EEENS0_18inequality_wrapperINSA_8equal_toIiEEEEPmJS6_EEE10hipError_tPvRmT3_T4_T5_T6_T7_T9_mT8_P12ihipStream_tbDpT10_ENKUlT_T0_E_clISt17integral_constantIbLb0EES16_IbLb1EEEEDaS12_S13_EUlS12_E_NS1_11comp_targetILNS1_3genE8ELNS1_11target_archE1030ELNS1_3gpuE2ELNS1_3repE0EEENS1_30default_config_static_selectorELNS0_4arch9wavefront6targetE1EEEvT1_.has_recursion, 0
	.set _ZN7rocprim17ROCPRIM_400000_NS6detail17trampoline_kernelINS0_14default_configENS1_25partition_config_selectorILNS1_17partition_subalgoE8EiNS0_10empty_typeEbEEZZNS1_14partition_implILS5_8ELb0ES3_jN6thrust23THRUST_200600_302600_NS10device_ptrIiEEPS6_PKS6_NS0_5tupleIJSC_S6_EEENSG_IJSD_SD_EEENS0_18inequality_wrapperINSA_8equal_toIiEEEEPmJS6_EEE10hipError_tPvRmT3_T4_T5_T6_T7_T9_mT8_P12ihipStream_tbDpT10_ENKUlT_T0_E_clISt17integral_constantIbLb0EES16_IbLb1EEEEDaS12_S13_EUlS12_E_NS1_11comp_targetILNS1_3genE8ELNS1_11target_archE1030ELNS1_3gpuE2ELNS1_3repE0EEENS1_30default_config_static_selectorELNS0_4arch9wavefront6targetE1EEEvT1_.has_indirect_call, 0
	.section	.AMDGPU.csdata,"",@progbits
; Kernel info:
; codeLenInByte = 0
; TotalNumSgprs: 4
; NumVgprs: 0
; ScratchSize: 0
; MemoryBound: 0
; FloatMode: 240
; IeeeMode: 1
; LDSByteSize: 0 bytes/workgroup (compile time only)
; SGPRBlocks: 0
; VGPRBlocks: 0
; NumSGPRsForWavesPerEU: 4
; NumVGPRsForWavesPerEU: 1
; Occupancy: 10
; WaveLimiterHint : 0
; COMPUTE_PGM_RSRC2:SCRATCH_EN: 0
; COMPUTE_PGM_RSRC2:USER_SGPR: 6
; COMPUTE_PGM_RSRC2:TRAP_HANDLER: 0
; COMPUTE_PGM_RSRC2:TGID_X_EN: 1
; COMPUTE_PGM_RSRC2:TGID_Y_EN: 0
; COMPUTE_PGM_RSRC2:TGID_Z_EN: 0
; COMPUTE_PGM_RSRC2:TIDIG_COMP_CNT: 0
	.section	.AMDGPU.gpr_maximums,"",@progbits
	.set amdgpu.max_num_vgpr, 0
	.set amdgpu.max_num_agpr, 0
	.set amdgpu.max_num_sgpr, 0
	.section	.AMDGPU.csdata,"",@progbits
	.type	__hip_cuid_984a815bc554982d,@object ; @__hip_cuid_984a815bc554982d
	.section	.bss,"aw",@nobits
	.globl	__hip_cuid_984a815bc554982d
__hip_cuid_984a815bc554982d:
	.byte	0                               ; 0x0
	.size	__hip_cuid_984a815bc554982d, 1

	.ident	"AMD clang version 22.0.0git (https://github.com/RadeonOpenCompute/llvm-project roc-7.2.4 26084 f58b06dce1f9c15707c5f808fd002e18c2accf7e)"
	.section	".note.GNU-stack","",@progbits
	.addrsig
	.addrsig_sym __hip_cuid_984a815bc554982d
	.amdgpu_metadata
---
amdhsa.kernels:
  - .args:
      - .offset:         0
        .size:           4
        .value_kind:     by_value
      - .address_space:  global
        .offset:         8
        .size:           8
        .value_kind:     global_buffer
      - .address_space:  global
        .offset:         16
        .size:           8
        .value_kind:     global_buffer
    .group_segment_fixed_size: 0
    .kernarg_segment_align: 8
    .kernarg_segment_size: 24
    .language:       OpenCL C
    .language_version:
      - 2
      - 0
    .max_flat_workgroup_size: 256
    .name:           _Z12UniqueKerneliPiS_
    .private_segment_fixed_size: 0
    .sgpr_count:     16
    .sgpr_spill_count: 0
    .symbol:         _Z12UniqueKerneliPiS_.kd
    .uniform_work_group_size: 1
    .uses_dynamic_stack: false
    .vgpr_count:     3
    .vgpr_spill_count: 0
    .wavefront_size: 64
  - .args:
      - .offset:         0
        .size:           16
        .value_kind:     by_value
      - .offset:         16
        .size:           8
        .value_kind:     by_value
      - .offset:         24
        .size:           8
        .value_kind:     by_value
    .group_segment_fixed_size: 0
    .kernarg_segment_align: 8
    .kernarg_segment_size: 32
    .language:       OpenCL C
    .language_version:
      - 2
      - 0
    .max_flat_workgroup_size: 256
    .name:           _ZN6thrust23THRUST_200600_302600_NS11hip_rocprim14__parallel_for6kernelILj256ENS1_20__uninitialized_fill7functorINS0_10device_ptrIiEEiEEmLj1EEEvT0_T1_SA_
    .private_segment_fixed_size: 0
    .sgpr_count:     20
    .sgpr_spill_count: 0
    .symbol:         _ZN6thrust23THRUST_200600_302600_NS11hip_rocprim14__parallel_for6kernelILj256ENS1_20__uninitialized_fill7functorINS0_10device_ptrIiEEiEEmLj1EEEvT0_T1_SA_.kd
    .uniform_work_group_size: 1
    .uses_dynamic_stack: false
    .vgpr_count:     4
    .vgpr_spill_count: 0
    .wavefront_size: 64
  - .args:
      - .offset:         0
        .size:           16
        .value_kind:     by_value
      - .offset:         16
        .size:           8
        .value_kind:     by_value
      - .offset:         24
        .size:           8
        .value_kind:     by_value
    .group_segment_fixed_size: 0
    .kernarg_segment_align: 8
    .kernarg_segment_size: 32
    .language:       OpenCL C
    .language_version:
      - 2
      - 0
    .max_flat_workgroup_size: 256
    .name:           _ZN6thrust23THRUST_200600_302600_NS11hip_rocprim14__parallel_for6kernelILj256ENS1_20__uninitialized_fill7functorINS0_10device_ptrIdEEdEEmLj1EEEvT0_T1_SA_
    .private_segment_fixed_size: 0
    .sgpr_count:     20
    .sgpr_spill_count: 0
    .symbol:         _ZN6thrust23THRUST_200600_302600_NS11hip_rocprim14__parallel_for6kernelILj256ENS1_20__uninitialized_fill7functorINS0_10device_ptrIdEEdEEmLj1EEEvT0_T1_SA_.kd
    .uniform_work_group_size: 1
    .uses_dynamic_stack: false
    .vgpr_count:     5
    .vgpr_spill_count: 0
    .wavefront_size: 64
  - .args:
      - .address_space:  global
        .offset:         0
        .size:           8
        .value_kind:     global_buffer
      - .offset:         8
        .size:           4
        .value_kind:     by_value
      - .offset:         12
        .size:           1
        .value_kind:     by_value
      - .offset:         16
        .size:           4
        .value_kind:     by_value
      - .address_space:  global
        .offset:         24
        .size:           8
        .value_kind:     global_buffer
      - .offset:         32
        .size:           4
        .value_kind:     hidden_block_count_x
      - .offset:         36
        .size:           4
        .value_kind:     hidden_block_count_y
      - .offset:         40
        .size:           4
        .value_kind:     hidden_block_count_z
      - .offset:         44
        .size:           2
        .value_kind:     hidden_group_size_x
      - .offset:         46
        .size:           2
        .value_kind:     hidden_group_size_y
      - .offset:         48
        .size:           2
        .value_kind:     hidden_group_size_z
      - .offset:         50
        .size:           2
        .value_kind:     hidden_remainder_x
      - .offset:         52
        .size:           2
        .value_kind:     hidden_remainder_y
      - .offset:         54
        .size:           2
        .value_kind:     hidden_remainder_z
      - .offset:         72
        .size:           8
        .value_kind:     hidden_global_offset_x
      - .offset:         80
        .size:           8
        .value_kind:     hidden_global_offset_y
      - .offset:         88
        .size:           8
        .value_kind:     hidden_global_offset_z
      - .offset:         96
        .size:           2
        .value_kind:     hidden_grid_dims
    .group_segment_fixed_size: 0
    .kernarg_segment_align: 8
    .kernarg_segment_size: 288
    .language:       OpenCL C
    .language_version:
      - 2
      - 0
    .max_flat_workgroup_size: 256
    .name:           _ZN7rocprim17ROCPRIM_400000_NS6detail31init_lookback_scan_state_kernelINS1_19lookback_scan_stateIjLb0ELb1EEENS1_16block_id_wrapperIjLb0EEEEEvT_jT0_jPNS7_10value_typeE
    .private_segment_fixed_size: 0
    .sgpr_count:     13
    .sgpr_spill_count: 0
    .symbol:         _ZN7rocprim17ROCPRIM_400000_NS6detail31init_lookback_scan_state_kernelINS1_19lookback_scan_stateIjLb0ELb1EEENS1_16block_id_wrapperIjLb0EEEEEvT_jT0_jPNS7_10value_typeE.kd
    .uniform_work_group_size: 1
    .uses_dynamic_stack: false
    .vgpr_count:     6
    .vgpr_spill_count: 0
    .wavefront_size: 64
  - .args:
      - .offset:         0
        .size:           112
        .value_kind:     by_value
    .group_segment_fixed_size: 0
    .kernarg_segment_align: 8
    .kernarg_segment_size: 112
    .language:       OpenCL C
    .language_version:
      - 2
      - 0
    .max_flat_workgroup_size: 512
    .name:           _ZN7rocprim17ROCPRIM_400000_NS6detail17trampoline_kernelINS0_14default_configENS1_25partition_config_selectorILNS1_17partition_subalgoE8EdNS0_10empty_typeEbEEZZNS1_14partition_implILS5_8ELb0ES3_jN6thrust23THRUST_200600_302600_NS6detail15normal_iteratorINSA_10device_ptrIdEEEEPS6_PKS6_NS0_5tupleIJSF_S6_EEENSJ_IJSG_SG_EEENS0_18inequality_wrapperINSA_8equal_toIdEEEEPmJS6_EEE10hipError_tPvRmT3_T4_T5_T6_T7_T9_mT8_P12ihipStream_tbDpT10_ENKUlT_T0_E_clISt17integral_constantIbLb0EES1A_EEDaS15_S16_EUlS15_E_NS1_11comp_targetILNS1_3genE0ELNS1_11target_archE4294967295ELNS1_3gpuE0ELNS1_3repE0EEENS1_30default_config_static_selectorELNS0_4arch9wavefront6targetE1EEEvT1_
    .private_segment_fixed_size: 0
    .sgpr_count:     4
    .sgpr_spill_count: 0
    .symbol:         _ZN7rocprim17ROCPRIM_400000_NS6detail17trampoline_kernelINS0_14default_configENS1_25partition_config_selectorILNS1_17partition_subalgoE8EdNS0_10empty_typeEbEEZZNS1_14partition_implILS5_8ELb0ES3_jN6thrust23THRUST_200600_302600_NS6detail15normal_iteratorINSA_10device_ptrIdEEEEPS6_PKS6_NS0_5tupleIJSF_S6_EEENSJ_IJSG_SG_EEENS0_18inequality_wrapperINSA_8equal_toIdEEEEPmJS6_EEE10hipError_tPvRmT3_T4_T5_T6_T7_T9_mT8_P12ihipStream_tbDpT10_ENKUlT_T0_E_clISt17integral_constantIbLb0EES1A_EEDaS15_S16_EUlS15_E_NS1_11comp_targetILNS1_3genE0ELNS1_11target_archE4294967295ELNS1_3gpuE0ELNS1_3repE0EEENS1_30default_config_static_selectorELNS0_4arch9wavefront6targetE1EEEvT1_.kd
    .uniform_work_group_size: 1
    .uses_dynamic_stack: false
    .vgpr_count:     0
    .vgpr_spill_count: 0
    .wavefront_size: 64
  - .args:
      - .offset:         0
        .size:           112
        .value_kind:     by_value
    .group_segment_fixed_size: 0
    .kernarg_segment_align: 8
    .kernarg_segment_size: 112
    .language:       OpenCL C
    .language_version:
      - 2
      - 0
    .max_flat_workgroup_size: 512
    .name:           _ZN7rocprim17ROCPRIM_400000_NS6detail17trampoline_kernelINS0_14default_configENS1_25partition_config_selectorILNS1_17partition_subalgoE8EdNS0_10empty_typeEbEEZZNS1_14partition_implILS5_8ELb0ES3_jN6thrust23THRUST_200600_302600_NS6detail15normal_iteratorINSA_10device_ptrIdEEEEPS6_PKS6_NS0_5tupleIJSF_S6_EEENSJ_IJSG_SG_EEENS0_18inequality_wrapperINSA_8equal_toIdEEEEPmJS6_EEE10hipError_tPvRmT3_T4_T5_T6_T7_T9_mT8_P12ihipStream_tbDpT10_ENKUlT_T0_E_clISt17integral_constantIbLb0EES1A_EEDaS15_S16_EUlS15_E_NS1_11comp_targetILNS1_3genE5ELNS1_11target_archE942ELNS1_3gpuE9ELNS1_3repE0EEENS1_30default_config_static_selectorELNS0_4arch9wavefront6targetE1EEEvT1_
    .private_segment_fixed_size: 0
    .sgpr_count:     4
    .sgpr_spill_count: 0
    .symbol:         _ZN7rocprim17ROCPRIM_400000_NS6detail17trampoline_kernelINS0_14default_configENS1_25partition_config_selectorILNS1_17partition_subalgoE8EdNS0_10empty_typeEbEEZZNS1_14partition_implILS5_8ELb0ES3_jN6thrust23THRUST_200600_302600_NS6detail15normal_iteratorINSA_10device_ptrIdEEEEPS6_PKS6_NS0_5tupleIJSF_S6_EEENSJ_IJSG_SG_EEENS0_18inequality_wrapperINSA_8equal_toIdEEEEPmJS6_EEE10hipError_tPvRmT3_T4_T5_T6_T7_T9_mT8_P12ihipStream_tbDpT10_ENKUlT_T0_E_clISt17integral_constantIbLb0EES1A_EEDaS15_S16_EUlS15_E_NS1_11comp_targetILNS1_3genE5ELNS1_11target_archE942ELNS1_3gpuE9ELNS1_3repE0EEENS1_30default_config_static_selectorELNS0_4arch9wavefront6targetE1EEEvT1_.kd
    .uniform_work_group_size: 1
    .uses_dynamic_stack: false
    .vgpr_count:     0
    .vgpr_spill_count: 0
    .wavefront_size: 64
  - .args:
      - .offset:         0
        .size:           112
        .value_kind:     by_value
    .group_segment_fixed_size: 0
    .kernarg_segment_align: 8
    .kernarg_segment_size: 112
    .language:       OpenCL C
    .language_version:
      - 2
      - 0
    .max_flat_workgroup_size: 256
    .name:           _ZN7rocprim17ROCPRIM_400000_NS6detail17trampoline_kernelINS0_14default_configENS1_25partition_config_selectorILNS1_17partition_subalgoE8EdNS0_10empty_typeEbEEZZNS1_14partition_implILS5_8ELb0ES3_jN6thrust23THRUST_200600_302600_NS6detail15normal_iteratorINSA_10device_ptrIdEEEEPS6_PKS6_NS0_5tupleIJSF_S6_EEENSJ_IJSG_SG_EEENS0_18inequality_wrapperINSA_8equal_toIdEEEEPmJS6_EEE10hipError_tPvRmT3_T4_T5_T6_T7_T9_mT8_P12ihipStream_tbDpT10_ENKUlT_T0_E_clISt17integral_constantIbLb0EES1A_EEDaS15_S16_EUlS15_E_NS1_11comp_targetILNS1_3genE4ELNS1_11target_archE910ELNS1_3gpuE8ELNS1_3repE0EEENS1_30default_config_static_selectorELNS0_4arch9wavefront6targetE1EEEvT1_
    .private_segment_fixed_size: 0
    .sgpr_count:     4
    .sgpr_spill_count: 0
    .symbol:         _ZN7rocprim17ROCPRIM_400000_NS6detail17trampoline_kernelINS0_14default_configENS1_25partition_config_selectorILNS1_17partition_subalgoE8EdNS0_10empty_typeEbEEZZNS1_14partition_implILS5_8ELb0ES3_jN6thrust23THRUST_200600_302600_NS6detail15normal_iteratorINSA_10device_ptrIdEEEEPS6_PKS6_NS0_5tupleIJSF_S6_EEENSJ_IJSG_SG_EEENS0_18inequality_wrapperINSA_8equal_toIdEEEEPmJS6_EEE10hipError_tPvRmT3_T4_T5_T6_T7_T9_mT8_P12ihipStream_tbDpT10_ENKUlT_T0_E_clISt17integral_constantIbLb0EES1A_EEDaS15_S16_EUlS15_E_NS1_11comp_targetILNS1_3genE4ELNS1_11target_archE910ELNS1_3gpuE8ELNS1_3repE0EEENS1_30default_config_static_selectorELNS0_4arch9wavefront6targetE1EEEvT1_.kd
    .uniform_work_group_size: 1
    .uses_dynamic_stack: false
    .vgpr_count:     0
    .vgpr_spill_count: 0
    .wavefront_size: 64
  - .args:
      - .offset:         0
        .size:           112
        .value_kind:     by_value
    .group_segment_fixed_size: 0
    .kernarg_segment_align: 8
    .kernarg_segment_size: 112
    .language:       OpenCL C
    .language_version:
      - 2
      - 0
    .max_flat_workgroup_size: 512
    .name:           _ZN7rocprim17ROCPRIM_400000_NS6detail17trampoline_kernelINS0_14default_configENS1_25partition_config_selectorILNS1_17partition_subalgoE8EdNS0_10empty_typeEbEEZZNS1_14partition_implILS5_8ELb0ES3_jN6thrust23THRUST_200600_302600_NS6detail15normal_iteratorINSA_10device_ptrIdEEEEPS6_PKS6_NS0_5tupleIJSF_S6_EEENSJ_IJSG_SG_EEENS0_18inequality_wrapperINSA_8equal_toIdEEEEPmJS6_EEE10hipError_tPvRmT3_T4_T5_T6_T7_T9_mT8_P12ihipStream_tbDpT10_ENKUlT_T0_E_clISt17integral_constantIbLb0EES1A_EEDaS15_S16_EUlS15_E_NS1_11comp_targetILNS1_3genE3ELNS1_11target_archE908ELNS1_3gpuE7ELNS1_3repE0EEENS1_30default_config_static_selectorELNS0_4arch9wavefront6targetE1EEEvT1_
    .private_segment_fixed_size: 0
    .sgpr_count:     4
    .sgpr_spill_count: 0
    .symbol:         _ZN7rocprim17ROCPRIM_400000_NS6detail17trampoline_kernelINS0_14default_configENS1_25partition_config_selectorILNS1_17partition_subalgoE8EdNS0_10empty_typeEbEEZZNS1_14partition_implILS5_8ELb0ES3_jN6thrust23THRUST_200600_302600_NS6detail15normal_iteratorINSA_10device_ptrIdEEEEPS6_PKS6_NS0_5tupleIJSF_S6_EEENSJ_IJSG_SG_EEENS0_18inequality_wrapperINSA_8equal_toIdEEEEPmJS6_EEE10hipError_tPvRmT3_T4_T5_T6_T7_T9_mT8_P12ihipStream_tbDpT10_ENKUlT_T0_E_clISt17integral_constantIbLb0EES1A_EEDaS15_S16_EUlS15_E_NS1_11comp_targetILNS1_3genE3ELNS1_11target_archE908ELNS1_3gpuE7ELNS1_3repE0EEENS1_30default_config_static_selectorELNS0_4arch9wavefront6targetE1EEEvT1_.kd
    .uniform_work_group_size: 1
    .uses_dynamic_stack: false
    .vgpr_count:     0
    .vgpr_spill_count: 0
    .wavefront_size: 64
  - .args:
      - .offset:         0
        .size:           112
        .value_kind:     by_value
    .group_segment_fixed_size: 14344
    .kernarg_segment_align: 8
    .kernarg_segment_size: 112
    .language:       OpenCL C
    .language_version:
      - 2
      - 0
    .max_flat_workgroup_size: 256
    .name:           _ZN7rocprim17ROCPRIM_400000_NS6detail17trampoline_kernelINS0_14default_configENS1_25partition_config_selectorILNS1_17partition_subalgoE8EdNS0_10empty_typeEbEEZZNS1_14partition_implILS5_8ELb0ES3_jN6thrust23THRUST_200600_302600_NS6detail15normal_iteratorINSA_10device_ptrIdEEEEPS6_PKS6_NS0_5tupleIJSF_S6_EEENSJ_IJSG_SG_EEENS0_18inequality_wrapperINSA_8equal_toIdEEEEPmJS6_EEE10hipError_tPvRmT3_T4_T5_T6_T7_T9_mT8_P12ihipStream_tbDpT10_ENKUlT_T0_E_clISt17integral_constantIbLb0EES1A_EEDaS15_S16_EUlS15_E_NS1_11comp_targetILNS1_3genE2ELNS1_11target_archE906ELNS1_3gpuE6ELNS1_3repE0EEENS1_30default_config_static_selectorELNS0_4arch9wavefront6targetE1EEEvT1_
    .private_segment_fixed_size: 0
    .sgpr_count:     44
    .sgpr_spill_count: 0
    .symbol:         _ZN7rocprim17ROCPRIM_400000_NS6detail17trampoline_kernelINS0_14default_configENS1_25partition_config_selectorILNS1_17partition_subalgoE8EdNS0_10empty_typeEbEEZZNS1_14partition_implILS5_8ELb0ES3_jN6thrust23THRUST_200600_302600_NS6detail15normal_iteratorINSA_10device_ptrIdEEEEPS6_PKS6_NS0_5tupleIJSF_S6_EEENSJ_IJSG_SG_EEENS0_18inequality_wrapperINSA_8equal_toIdEEEEPmJS6_EEE10hipError_tPvRmT3_T4_T5_T6_T7_T9_mT8_P12ihipStream_tbDpT10_ENKUlT_T0_E_clISt17integral_constantIbLb0EES1A_EEDaS15_S16_EUlS15_E_NS1_11comp_targetILNS1_3genE2ELNS1_11target_archE906ELNS1_3gpuE6ELNS1_3repE0EEENS1_30default_config_static_selectorELNS0_4arch9wavefront6targetE1EEEvT1_.kd
    .uniform_work_group_size: 1
    .uses_dynamic_stack: false
    .vgpr_count:     58
    .vgpr_spill_count: 0
    .wavefront_size: 64
  - .args:
      - .offset:         0
        .size:           112
        .value_kind:     by_value
    .group_segment_fixed_size: 0
    .kernarg_segment_align: 8
    .kernarg_segment_size: 112
    .language:       OpenCL C
    .language_version:
      - 2
      - 0
    .max_flat_workgroup_size: 384
    .name:           _ZN7rocprim17ROCPRIM_400000_NS6detail17trampoline_kernelINS0_14default_configENS1_25partition_config_selectorILNS1_17partition_subalgoE8EdNS0_10empty_typeEbEEZZNS1_14partition_implILS5_8ELb0ES3_jN6thrust23THRUST_200600_302600_NS6detail15normal_iteratorINSA_10device_ptrIdEEEEPS6_PKS6_NS0_5tupleIJSF_S6_EEENSJ_IJSG_SG_EEENS0_18inequality_wrapperINSA_8equal_toIdEEEEPmJS6_EEE10hipError_tPvRmT3_T4_T5_T6_T7_T9_mT8_P12ihipStream_tbDpT10_ENKUlT_T0_E_clISt17integral_constantIbLb0EES1A_EEDaS15_S16_EUlS15_E_NS1_11comp_targetILNS1_3genE10ELNS1_11target_archE1200ELNS1_3gpuE4ELNS1_3repE0EEENS1_30default_config_static_selectorELNS0_4arch9wavefront6targetE1EEEvT1_
    .private_segment_fixed_size: 0
    .sgpr_count:     4
    .sgpr_spill_count: 0
    .symbol:         _ZN7rocprim17ROCPRIM_400000_NS6detail17trampoline_kernelINS0_14default_configENS1_25partition_config_selectorILNS1_17partition_subalgoE8EdNS0_10empty_typeEbEEZZNS1_14partition_implILS5_8ELb0ES3_jN6thrust23THRUST_200600_302600_NS6detail15normal_iteratorINSA_10device_ptrIdEEEEPS6_PKS6_NS0_5tupleIJSF_S6_EEENSJ_IJSG_SG_EEENS0_18inequality_wrapperINSA_8equal_toIdEEEEPmJS6_EEE10hipError_tPvRmT3_T4_T5_T6_T7_T9_mT8_P12ihipStream_tbDpT10_ENKUlT_T0_E_clISt17integral_constantIbLb0EES1A_EEDaS15_S16_EUlS15_E_NS1_11comp_targetILNS1_3genE10ELNS1_11target_archE1200ELNS1_3gpuE4ELNS1_3repE0EEENS1_30default_config_static_selectorELNS0_4arch9wavefront6targetE1EEEvT1_.kd
    .uniform_work_group_size: 1
    .uses_dynamic_stack: false
    .vgpr_count:     0
    .vgpr_spill_count: 0
    .wavefront_size: 64
  - .args:
      - .offset:         0
        .size:           112
        .value_kind:     by_value
    .group_segment_fixed_size: 0
    .kernarg_segment_align: 8
    .kernarg_segment_size: 112
    .language:       OpenCL C
    .language_version:
      - 2
      - 0
    .max_flat_workgroup_size: 512
    .name:           _ZN7rocprim17ROCPRIM_400000_NS6detail17trampoline_kernelINS0_14default_configENS1_25partition_config_selectorILNS1_17partition_subalgoE8EdNS0_10empty_typeEbEEZZNS1_14partition_implILS5_8ELb0ES3_jN6thrust23THRUST_200600_302600_NS6detail15normal_iteratorINSA_10device_ptrIdEEEEPS6_PKS6_NS0_5tupleIJSF_S6_EEENSJ_IJSG_SG_EEENS0_18inequality_wrapperINSA_8equal_toIdEEEEPmJS6_EEE10hipError_tPvRmT3_T4_T5_T6_T7_T9_mT8_P12ihipStream_tbDpT10_ENKUlT_T0_E_clISt17integral_constantIbLb0EES1A_EEDaS15_S16_EUlS15_E_NS1_11comp_targetILNS1_3genE9ELNS1_11target_archE1100ELNS1_3gpuE3ELNS1_3repE0EEENS1_30default_config_static_selectorELNS0_4arch9wavefront6targetE1EEEvT1_
    .private_segment_fixed_size: 0
    .sgpr_count:     4
    .sgpr_spill_count: 0
    .symbol:         _ZN7rocprim17ROCPRIM_400000_NS6detail17trampoline_kernelINS0_14default_configENS1_25partition_config_selectorILNS1_17partition_subalgoE8EdNS0_10empty_typeEbEEZZNS1_14partition_implILS5_8ELb0ES3_jN6thrust23THRUST_200600_302600_NS6detail15normal_iteratorINSA_10device_ptrIdEEEEPS6_PKS6_NS0_5tupleIJSF_S6_EEENSJ_IJSG_SG_EEENS0_18inequality_wrapperINSA_8equal_toIdEEEEPmJS6_EEE10hipError_tPvRmT3_T4_T5_T6_T7_T9_mT8_P12ihipStream_tbDpT10_ENKUlT_T0_E_clISt17integral_constantIbLb0EES1A_EEDaS15_S16_EUlS15_E_NS1_11comp_targetILNS1_3genE9ELNS1_11target_archE1100ELNS1_3gpuE3ELNS1_3repE0EEENS1_30default_config_static_selectorELNS0_4arch9wavefront6targetE1EEEvT1_.kd
    .uniform_work_group_size: 1
    .uses_dynamic_stack: false
    .vgpr_count:     0
    .vgpr_spill_count: 0
    .wavefront_size: 64
  - .args:
      - .offset:         0
        .size:           112
        .value_kind:     by_value
    .group_segment_fixed_size: 0
    .kernarg_segment_align: 8
    .kernarg_segment_size: 112
    .language:       OpenCL C
    .language_version:
      - 2
      - 0
    .max_flat_workgroup_size: 512
    .name:           _ZN7rocprim17ROCPRIM_400000_NS6detail17trampoline_kernelINS0_14default_configENS1_25partition_config_selectorILNS1_17partition_subalgoE8EdNS0_10empty_typeEbEEZZNS1_14partition_implILS5_8ELb0ES3_jN6thrust23THRUST_200600_302600_NS6detail15normal_iteratorINSA_10device_ptrIdEEEEPS6_PKS6_NS0_5tupleIJSF_S6_EEENSJ_IJSG_SG_EEENS0_18inequality_wrapperINSA_8equal_toIdEEEEPmJS6_EEE10hipError_tPvRmT3_T4_T5_T6_T7_T9_mT8_P12ihipStream_tbDpT10_ENKUlT_T0_E_clISt17integral_constantIbLb0EES1A_EEDaS15_S16_EUlS15_E_NS1_11comp_targetILNS1_3genE8ELNS1_11target_archE1030ELNS1_3gpuE2ELNS1_3repE0EEENS1_30default_config_static_selectorELNS0_4arch9wavefront6targetE1EEEvT1_
    .private_segment_fixed_size: 0
    .sgpr_count:     4
    .sgpr_spill_count: 0
    .symbol:         _ZN7rocprim17ROCPRIM_400000_NS6detail17trampoline_kernelINS0_14default_configENS1_25partition_config_selectorILNS1_17partition_subalgoE8EdNS0_10empty_typeEbEEZZNS1_14partition_implILS5_8ELb0ES3_jN6thrust23THRUST_200600_302600_NS6detail15normal_iteratorINSA_10device_ptrIdEEEEPS6_PKS6_NS0_5tupleIJSF_S6_EEENSJ_IJSG_SG_EEENS0_18inequality_wrapperINSA_8equal_toIdEEEEPmJS6_EEE10hipError_tPvRmT3_T4_T5_T6_T7_T9_mT8_P12ihipStream_tbDpT10_ENKUlT_T0_E_clISt17integral_constantIbLb0EES1A_EEDaS15_S16_EUlS15_E_NS1_11comp_targetILNS1_3genE8ELNS1_11target_archE1030ELNS1_3gpuE2ELNS1_3repE0EEENS1_30default_config_static_selectorELNS0_4arch9wavefront6targetE1EEEvT1_.kd
    .uniform_work_group_size: 1
    .uses_dynamic_stack: false
    .vgpr_count:     0
    .vgpr_spill_count: 0
    .wavefront_size: 64
  - .args:
      - .offset:         0
        .size:           40
        .value_kind:     by_value
    .group_segment_fixed_size: 0
    .kernarg_segment_align: 8
    .kernarg_segment_size: 40
    .language:       OpenCL C
    .language_version:
      - 2
      - 0
    .max_flat_workgroup_size: 128
    .name:           _ZN7rocprim17ROCPRIM_400000_NS6detail17trampoline_kernelINS0_14default_configENS1_25transform_config_selectorImLb1EEEZNS1_14transform_implILb1ES3_S5_PmS7_NS0_8identityIvEEEE10hipError_tT2_T3_mT4_P12ihipStream_tbEUlT_E_NS1_11comp_targetILNS1_3genE0ELNS1_11target_archE4294967295ELNS1_3gpuE0ELNS1_3repE0EEENS1_30default_config_static_selectorELNS0_4arch9wavefront6targetE1EEEvT1_
    .private_segment_fixed_size: 0
    .sgpr_count:     4
    .sgpr_spill_count: 0
    .symbol:         _ZN7rocprim17ROCPRIM_400000_NS6detail17trampoline_kernelINS0_14default_configENS1_25transform_config_selectorImLb1EEEZNS1_14transform_implILb1ES3_S5_PmS7_NS0_8identityIvEEEE10hipError_tT2_T3_mT4_P12ihipStream_tbEUlT_E_NS1_11comp_targetILNS1_3genE0ELNS1_11target_archE4294967295ELNS1_3gpuE0ELNS1_3repE0EEENS1_30default_config_static_selectorELNS0_4arch9wavefront6targetE1EEEvT1_.kd
    .uniform_work_group_size: 1
    .uses_dynamic_stack: false
    .vgpr_count:     0
    .vgpr_spill_count: 0
    .wavefront_size: 64
  - .args:
      - .offset:         0
        .size:           40
        .value_kind:     by_value
    .group_segment_fixed_size: 0
    .kernarg_segment_align: 8
    .kernarg_segment_size: 40
    .language:       OpenCL C
    .language_version:
      - 2
      - 0
    .max_flat_workgroup_size: 1024
    .name:           _ZN7rocprim17ROCPRIM_400000_NS6detail17trampoline_kernelINS0_14default_configENS1_25transform_config_selectorImLb1EEEZNS1_14transform_implILb1ES3_S5_PmS7_NS0_8identityIvEEEE10hipError_tT2_T3_mT4_P12ihipStream_tbEUlT_E_NS1_11comp_targetILNS1_3genE10ELNS1_11target_archE1201ELNS1_3gpuE5ELNS1_3repE0EEENS1_30default_config_static_selectorELNS0_4arch9wavefront6targetE1EEEvT1_
    .private_segment_fixed_size: 0
    .sgpr_count:     4
    .sgpr_spill_count: 0
    .symbol:         _ZN7rocprim17ROCPRIM_400000_NS6detail17trampoline_kernelINS0_14default_configENS1_25transform_config_selectorImLb1EEEZNS1_14transform_implILb1ES3_S5_PmS7_NS0_8identityIvEEEE10hipError_tT2_T3_mT4_P12ihipStream_tbEUlT_E_NS1_11comp_targetILNS1_3genE10ELNS1_11target_archE1201ELNS1_3gpuE5ELNS1_3repE0EEENS1_30default_config_static_selectorELNS0_4arch9wavefront6targetE1EEEvT1_.kd
    .uniform_work_group_size: 1
    .uses_dynamic_stack: false
    .vgpr_count:     0
    .vgpr_spill_count: 0
    .wavefront_size: 64
  - .args:
      - .offset:         0
        .size:           40
        .value_kind:     by_value
    .group_segment_fixed_size: 0
    .kernarg_segment_align: 8
    .kernarg_segment_size: 40
    .language:       OpenCL C
    .language_version:
      - 2
      - 0
    .max_flat_workgroup_size: 512
    .name:           _ZN7rocprim17ROCPRIM_400000_NS6detail17trampoline_kernelINS0_14default_configENS1_25transform_config_selectorImLb1EEEZNS1_14transform_implILb1ES3_S5_PmS7_NS0_8identityIvEEEE10hipError_tT2_T3_mT4_P12ihipStream_tbEUlT_E_NS1_11comp_targetILNS1_3genE5ELNS1_11target_archE942ELNS1_3gpuE9ELNS1_3repE0EEENS1_30default_config_static_selectorELNS0_4arch9wavefront6targetE1EEEvT1_
    .private_segment_fixed_size: 0
    .sgpr_count:     4
    .sgpr_spill_count: 0
    .symbol:         _ZN7rocprim17ROCPRIM_400000_NS6detail17trampoline_kernelINS0_14default_configENS1_25transform_config_selectorImLb1EEEZNS1_14transform_implILb1ES3_S5_PmS7_NS0_8identityIvEEEE10hipError_tT2_T3_mT4_P12ihipStream_tbEUlT_E_NS1_11comp_targetILNS1_3genE5ELNS1_11target_archE942ELNS1_3gpuE9ELNS1_3repE0EEENS1_30default_config_static_selectorELNS0_4arch9wavefront6targetE1EEEvT1_.kd
    .uniform_work_group_size: 1
    .uses_dynamic_stack: false
    .vgpr_count:     0
    .vgpr_spill_count: 0
    .wavefront_size: 64
  - .args:
      - .offset:         0
        .size:           40
        .value_kind:     by_value
    .group_segment_fixed_size: 0
    .kernarg_segment_align: 8
    .kernarg_segment_size: 40
    .language:       OpenCL C
    .language_version:
      - 2
      - 0
    .max_flat_workgroup_size: 1024
    .name:           _ZN7rocprim17ROCPRIM_400000_NS6detail17trampoline_kernelINS0_14default_configENS1_25transform_config_selectorImLb1EEEZNS1_14transform_implILb1ES3_S5_PmS7_NS0_8identityIvEEEE10hipError_tT2_T3_mT4_P12ihipStream_tbEUlT_E_NS1_11comp_targetILNS1_3genE4ELNS1_11target_archE910ELNS1_3gpuE8ELNS1_3repE0EEENS1_30default_config_static_selectorELNS0_4arch9wavefront6targetE1EEEvT1_
    .private_segment_fixed_size: 0
    .sgpr_count:     4
    .sgpr_spill_count: 0
    .symbol:         _ZN7rocprim17ROCPRIM_400000_NS6detail17trampoline_kernelINS0_14default_configENS1_25transform_config_selectorImLb1EEEZNS1_14transform_implILb1ES3_S5_PmS7_NS0_8identityIvEEEE10hipError_tT2_T3_mT4_P12ihipStream_tbEUlT_E_NS1_11comp_targetILNS1_3genE4ELNS1_11target_archE910ELNS1_3gpuE8ELNS1_3repE0EEENS1_30default_config_static_selectorELNS0_4arch9wavefront6targetE1EEEvT1_.kd
    .uniform_work_group_size: 1
    .uses_dynamic_stack: false
    .vgpr_count:     0
    .vgpr_spill_count: 0
    .wavefront_size: 64
  - .args:
      - .offset:         0
        .size:           40
        .value_kind:     by_value
    .group_segment_fixed_size: 0
    .kernarg_segment_align: 8
    .kernarg_segment_size: 40
    .language:       OpenCL C
    .language_version:
      - 2
      - 0
    .max_flat_workgroup_size: 128
    .name:           _ZN7rocprim17ROCPRIM_400000_NS6detail17trampoline_kernelINS0_14default_configENS1_25transform_config_selectorImLb1EEEZNS1_14transform_implILb1ES3_S5_PmS7_NS0_8identityIvEEEE10hipError_tT2_T3_mT4_P12ihipStream_tbEUlT_E_NS1_11comp_targetILNS1_3genE3ELNS1_11target_archE908ELNS1_3gpuE7ELNS1_3repE0EEENS1_30default_config_static_selectorELNS0_4arch9wavefront6targetE1EEEvT1_
    .private_segment_fixed_size: 0
    .sgpr_count:     4
    .sgpr_spill_count: 0
    .symbol:         _ZN7rocprim17ROCPRIM_400000_NS6detail17trampoline_kernelINS0_14default_configENS1_25transform_config_selectorImLb1EEEZNS1_14transform_implILb1ES3_S5_PmS7_NS0_8identityIvEEEE10hipError_tT2_T3_mT4_P12ihipStream_tbEUlT_E_NS1_11comp_targetILNS1_3genE3ELNS1_11target_archE908ELNS1_3gpuE7ELNS1_3repE0EEENS1_30default_config_static_selectorELNS0_4arch9wavefront6targetE1EEEvT1_.kd
    .uniform_work_group_size: 1
    .uses_dynamic_stack: false
    .vgpr_count:     0
    .vgpr_spill_count: 0
    .wavefront_size: 64
  - .args:
      - .offset:         0
        .size:           40
        .value_kind:     by_value
      - .offset:         40
        .size:           4
        .value_kind:     hidden_block_count_x
      - .offset:         44
        .size:           4
        .value_kind:     hidden_block_count_y
      - .offset:         48
        .size:           4
        .value_kind:     hidden_block_count_z
      - .offset:         52
        .size:           2
        .value_kind:     hidden_group_size_x
      - .offset:         54
        .size:           2
        .value_kind:     hidden_group_size_y
      - .offset:         56
        .size:           2
        .value_kind:     hidden_group_size_z
      - .offset:         58
        .size:           2
        .value_kind:     hidden_remainder_x
      - .offset:         60
        .size:           2
        .value_kind:     hidden_remainder_y
      - .offset:         62
        .size:           2
        .value_kind:     hidden_remainder_z
      - .offset:         80
        .size:           8
        .value_kind:     hidden_global_offset_x
      - .offset:         88
        .size:           8
        .value_kind:     hidden_global_offset_y
      - .offset:         96
        .size:           8
        .value_kind:     hidden_global_offset_z
      - .offset:         104
        .size:           2
        .value_kind:     hidden_grid_dims
    .group_segment_fixed_size: 0
    .kernarg_segment_align: 8
    .kernarg_segment_size: 296
    .language:       OpenCL C
    .language_version:
      - 2
      - 0
    .max_flat_workgroup_size: 512
    .name:           _ZN7rocprim17ROCPRIM_400000_NS6detail17trampoline_kernelINS0_14default_configENS1_25transform_config_selectorImLb1EEEZNS1_14transform_implILb1ES3_S5_PmS7_NS0_8identityIvEEEE10hipError_tT2_T3_mT4_P12ihipStream_tbEUlT_E_NS1_11comp_targetILNS1_3genE2ELNS1_11target_archE906ELNS1_3gpuE6ELNS1_3repE0EEENS1_30default_config_static_selectorELNS0_4arch9wavefront6targetE1EEEvT1_
    .private_segment_fixed_size: 0
    .sgpr_count:     16
    .sgpr_spill_count: 0
    .symbol:         _ZN7rocprim17ROCPRIM_400000_NS6detail17trampoline_kernelINS0_14default_configENS1_25transform_config_selectorImLb1EEEZNS1_14transform_implILb1ES3_S5_PmS7_NS0_8identityIvEEEE10hipError_tT2_T3_mT4_P12ihipStream_tbEUlT_E_NS1_11comp_targetILNS1_3genE2ELNS1_11target_archE906ELNS1_3gpuE6ELNS1_3repE0EEENS1_30default_config_static_selectorELNS0_4arch9wavefront6targetE1EEEvT1_.kd
    .uniform_work_group_size: 1
    .uses_dynamic_stack: false
    .vgpr_count:     3
    .vgpr_spill_count: 0
    .wavefront_size: 64
  - .args:
      - .offset:         0
        .size:           40
        .value_kind:     by_value
    .group_segment_fixed_size: 0
    .kernarg_segment_align: 8
    .kernarg_segment_size: 40
    .language:       OpenCL C
    .language_version:
      - 2
      - 0
    .max_flat_workgroup_size: 1024
    .name:           _ZN7rocprim17ROCPRIM_400000_NS6detail17trampoline_kernelINS0_14default_configENS1_25transform_config_selectorImLb1EEEZNS1_14transform_implILb1ES3_S5_PmS7_NS0_8identityIvEEEE10hipError_tT2_T3_mT4_P12ihipStream_tbEUlT_E_NS1_11comp_targetILNS1_3genE9ELNS1_11target_archE1100ELNS1_3gpuE3ELNS1_3repE0EEENS1_30default_config_static_selectorELNS0_4arch9wavefront6targetE1EEEvT1_
    .private_segment_fixed_size: 0
    .sgpr_count:     4
    .sgpr_spill_count: 0
    .symbol:         _ZN7rocprim17ROCPRIM_400000_NS6detail17trampoline_kernelINS0_14default_configENS1_25transform_config_selectorImLb1EEEZNS1_14transform_implILb1ES3_S5_PmS7_NS0_8identityIvEEEE10hipError_tT2_T3_mT4_P12ihipStream_tbEUlT_E_NS1_11comp_targetILNS1_3genE9ELNS1_11target_archE1100ELNS1_3gpuE3ELNS1_3repE0EEENS1_30default_config_static_selectorELNS0_4arch9wavefront6targetE1EEEvT1_.kd
    .uniform_work_group_size: 1
    .uses_dynamic_stack: false
    .vgpr_count:     0
    .vgpr_spill_count: 0
    .wavefront_size: 64
  - .args:
      - .offset:         0
        .size:           40
        .value_kind:     by_value
    .group_segment_fixed_size: 0
    .kernarg_segment_align: 8
    .kernarg_segment_size: 40
    .language:       OpenCL C
    .language_version:
      - 2
      - 0
    .max_flat_workgroup_size: 1024
    .name:           _ZN7rocprim17ROCPRIM_400000_NS6detail17trampoline_kernelINS0_14default_configENS1_25transform_config_selectorImLb1EEEZNS1_14transform_implILb1ES3_S5_PmS7_NS0_8identityIvEEEE10hipError_tT2_T3_mT4_P12ihipStream_tbEUlT_E_NS1_11comp_targetILNS1_3genE8ELNS1_11target_archE1030ELNS1_3gpuE2ELNS1_3repE0EEENS1_30default_config_static_selectorELNS0_4arch9wavefront6targetE1EEEvT1_
    .private_segment_fixed_size: 0
    .sgpr_count:     4
    .sgpr_spill_count: 0
    .symbol:         _ZN7rocprim17ROCPRIM_400000_NS6detail17trampoline_kernelINS0_14default_configENS1_25transform_config_selectorImLb1EEEZNS1_14transform_implILb1ES3_S5_PmS7_NS0_8identityIvEEEE10hipError_tT2_T3_mT4_P12ihipStream_tbEUlT_E_NS1_11comp_targetILNS1_3genE8ELNS1_11target_archE1030ELNS1_3gpuE2ELNS1_3repE0EEENS1_30default_config_static_selectorELNS0_4arch9wavefront6targetE1EEEvT1_.kd
    .uniform_work_group_size: 1
    .uses_dynamic_stack: false
    .vgpr_count:     0
    .vgpr_spill_count: 0
    .wavefront_size: 64
  - .args:
      - .address_space:  global
        .offset:         0
        .size:           8
        .value_kind:     global_buffer
      - .offset:         8
        .size:           4
        .value_kind:     by_value
      - .address_space:  global
        .offset:         16
        .size:           8
        .value_kind:     global_buffer
      - .offset:         24
        .size:           4
        .value_kind:     by_value
      - .address_space:  global
        .offset:         32
        .size:           8
        .value_kind:     global_buffer
      - .offset:         40
        .size:           4
        .value_kind:     hidden_block_count_x
      - .offset:         44
        .size:           4
        .value_kind:     hidden_block_count_y
      - .offset:         48
        .size:           4
        .value_kind:     hidden_block_count_z
      - .offset:         52
        .size:           2
        .value_kind:     hidden_group_size_x
      - .offset:         54
        .size:           2
        .value_kind:     hidden_group_size_y
      - .offset:         56
        .size:           2
        .value_kind:     hidden_group_size_z
      - .offset:         58
        .size:           2
        .value_kind:     hidden_remainder_x
      - .offset:         60
        .size:           2
        .value_kind:     hidden_remainder_y
      - .offset:         62
        .size:           2
        .value_kind:     hidden_remainder_z
      - .offset:         80
        .size:           8
        .value_kind:     hidden_global_offset_x
      - .offset:         88
        .size:           8
        .value_kind:     hidden_global_offset_y
      - .offset:         96
        .size:           8
        .value_kind:     hidden_global_offset_z
      - .offset:         104
        .size:           2
        .value_kind:     hidden_grid_dims
    .group_segment_fixed_size: 0
    .kernarg_segment_align: 8
    .kernarg_segment_size: 296
    .language:       OpenCL C
    .language_version:
      - 2
      - 0
    .max_flat_workgroup_size: 256
    .name:           _ZN7rocprim17ROCPRIM_400000_NS6detail31init_lookback_scan_state_kernelINS1_19lookback_scan_stateIjLb1ELb1EEENS1_16block_id_wrapperIjLb1EEEEEvT_jT0_jPNS7_10value_typeE
    .private_segment_fixed_size: 0
    .sgpr_count:     18
    .sgpr_spill_count: 0
    .symbol:         _ZN7rocprim17ROCPRIM_400000_NS6detail31init_lookback_scan_state_kernelINS1_19lookback_scan_stateIjLb1ELb1EEENS1_16block_id_wrapperIjLb1EEEEEvT_jT0_jPNS7_10value_typeE.kd
    .uniform_work_group_size: 1
    .uses_dynamic_stack: false
    .vgpr_count:     6
    .vgpr_spill_count: 0
    .wavefront_size: 64
  - .args:
      - .offset:         0
        .size:           128
        .value_kind:     by_value
    .group_segment_fixed_size: 0
    .kernarg_segment_align: 8
    .kernarg_segment_size: 128
    .language:       OpenCL C
    .language_version:
      - 2
      - 0
    .max_flat_workgroup_size: 512
    .name:           _ZN7rocprim17ROCPRIM_400000_NS6detail17trampoline_kernelINS0_14default_configENS1_25partition_config_selectorILNS1_17partition_subalgoE8EdNS0_10empty_typeEbEEZZNS1_14partition_implILS5_8ELb0ES3_jN6thrust23THRUST_200600_302600_NS6detail15normal_iteratorINSA_10device_ptrIdEEEEPS6_PKS6_NS0_5tupleIJSF_S6_EEENSJ_IJSG_SG_EEENS0_18inequality_wrapperINSA_8equal_toIdEEEEPmJS6_EEE10hipError_tPvRmT3_T4_T5_T6_T7_T9_mT8_P12ihipStream_tbDpT10_ENKUlT_T0_E_clISt17integral_constantIbLb1EES1A_EEDaS15_S16_EUlS15_E_NS1_11comp_targetILNS1_3genE0ELNS1_11target_archE4294967295ELNS1_3gpuE0ELNS1_3repE0EEENS1_30default_config_static_selectorELNS0_4arch9wavefront6targetE1EEEvT1_
    .private_segment_fixed_size: 0
    .sgpr_count:     4
    .sgpr_spill_count: 0
    .symbol:         _ZN7rocprim17ROCPRIM_400000_NS6detail17trampoline_kernelINS0_14default_configENS1_25partition_config_selectorILNS1_17partition_subalgoE8EdNS0_10empty_typeEbEEZZNS1_14partition_implILS5_8ELb0ES3_jN6thrust23THRUST_200600_302600_NS6detail15normal_iteratorINSA_10device_ptrIdEEEEPS6_PKS6_NS0_5tupleIJSF_S6_EEENSJ_IJSG_SG_EEENS0_18inequality_wrapperINSA_8equal_toIdEEEEPmJS6_EEE10hipError_tPvRmT3_T4_T5_T6_T7_T9_mT8_P12ihipStream_tbDpT10_ENKUlT_T0_E_clISt17integral_constantIbLb1EES1A_EEDaS15_S16_EUlS15_E_NS1_11comp_targetILNS1_3genE0ELNS1_11target_archE4294967295ELNS1_3gpuE0ELNS1_3repE0EEENS1_30default_config_static_selectorELNS0_4arch9wavefront6targetE1EEEvT1_.kd
    .uniform_work_group_size: 1
    .uses_dynamic_stack: false
    .vgpr_count:     0
    .vgpr_spill_count: 0
    .wavefront_size: 64
  - .args:
      - .offset:         0
        .size:           128
        .value_kind:     by_value
    .group_segment_fixed_size: 0
    .kernarg_segment_align: 8
    .kernarg_segment_size: 128
    .language:       OpenCL C
    .language_version:
      - 2
      - 0
    .max_flat_workgroup_size: 512
    .name:           _ZN7rocprim17ROCPRIM_400000_NS6detail17trampoline_kernelINS0_14default_configENS1_25partition_config_selectorILNS1_17partition_subalgoE8EdNS0_10empty_typeEbEEZZNS1_14partition_implILS5_8ELb0ES3_jN6thrust23THRUST_200600_302600_NS6detail15normal_iteratorINSA_10device_ptrIdEEEEPS6_PKS6_NS0_5tupleIJSF_S6_EEENSJ_IJSG_SG_EEENS0_18inequality_wrapperINSA_8equal_toIdEEEEPmJS6_EEE10hipError_tPvRmT3_T4_T5_T6_T7_T9_mT8_P12ihipStream_tbDpT10_ENKUlT_T0_E_clISt17integral_constantIbLb1EES1A_EEDaS15_S16_EUlS15_E_NS1_11comp_targetILNS1_3genE5ELNS1_11target_archE942ELNS1_3gpuE9ELNS1_3repE0EEENS1_30default_config_static_selectorELNS0_4arch9wavefront6targetE1EEEvT1_
    .private_segment_fixed_size: 0
    .sgpr_count:     4
    .sgpr_spill_count: 0
    .symbol:         _ZN7rocprim17ROCPRIM_400000_NS6detail17trampoline_kernelINS0_14default_configENS1_25partition_config_selectorILNS1_17partition_subalgoE8EdNS0_10empty_typeEbEEZZNS1_14partition_implILS5_8ELb0ES3_jN6thrust23THRUST_200600_302600_NS6detail15normal_iteratorINSA_10device_ptrIdEEEEPS6_PKS6_NS0_5tupleIJSF_S6_EEENSJ_IJSG_SG_EEENS0_18inequality_wrapperINSA_8equal_toIdEEEEPmJS6_EEE10hipError_tPvRmT3_T4_T5_T6_T7_T9_mT8_P12ihipStream_tbDpT10_ENKUlT_T0_E_clISt17integral_constantIbLb1EES1A_EEDaS15_S16_EUlS15_E_NS1_11comp_targetILNS1_3genE5ELNS1_11target_archE942ELNS1_3gpuE9ELNS1_3repE0EEENS1_30default_config_static_selectorELNS0_4arch9wavefront6targetE1EEEvT1_.kd
    .uniform_work_group_size: 1
    .uses_dynamic_stack: false
    .vgpr_count:     0
    .vgpr_spill_count: 0
    .wavefront_size: 64
  - .args:
      - .offset:         0
        .size:           128
        .value_kind:     by_value
    .group_segment_fixed_size: 0
    .kernarg_segment_align: 8
    .kernarg_segment_size: 128
    .language:       OpenCL C
    .language_version:
      - 2
      - 0
    .max_flat_workgroup_size: 256
    .name:           _ZN7rocprim17ROCPRIM_400000_NS6detail17trampoline_kernelINS0_14default_configENS1_25partition_config_selectorILNS1_17partition_subalgoE8EdNS0_10empty_typeEbEEZZNS1_14partition_implILS5_8ELb0ES3_jN6thrust23THRUST_200600_302600_NS6detail15normal_iteratorINSA_10device_ptrIdEEEEPS6_PKS6_NS0_5tupleIJSF_S6_EEENSJ_IJSG_SG_EEENS0_18inequality_wrapperINSA_8equal_toIdEEEEPmJS6_EEE10hipError_tPvRmT3_T4_T5_T6_T7_T9_mT8_P12ihipStream_tbDpT10_ENKUlT_T0_E_clISt17integral_constantIbLb1EES1A_EEDaS15_S16_EUlS15_E_NS1_11comp_targetILNS1_3genE4ELNS1_11target_archE910ELNS1_3gpuE8ELNS1_3repE0EEENS1_30default_config_static_selectorELNS0_4arch9wavefront6targetE1EEEvT1_
    .private_segment_fixed_size: 0
    .sgpr_count:     4
    .sgpr_spill_count: 0
    .symbol:         _ZN7rocprim17ROCPRIM_400000_NS6detail17trampoline_kernelINS0_14default_configENS1_25partition_config_selectorILNS1_17partition_subalgoE8EdNS0_10empty_typeEbEEZZNS1_14partition_implILS5_8ELb0ES3_jN6thrust23THRUST_200600_302600_NS6detail15normal_iteratorINSA_10device_ptrIdEEEEPS6_PKS6_NS0_5tupleIJSF_S6_EEENSJ_IJSG_SG_EEENS0_18inequality_wrapperINSA_8equal_toIdEEEEPmJS6_EEE10hipError_tPvRmT3_T4_T5_T6_T7_T9_mT8_P12ihipStream_tbDpT10_ENKUlT_T0_E_clISt17integral_constantIbLb1EES1A_EEDaS15_S16_EUlS15_E_NS1_11comp_targetILNS1_3genE4ELNS1_11target_archE910ELNS1_3gpuE8ELNS1_3repE0EEENS1_30default_config_static_selectorELNS0_4arch9wavefront6targetE1EEEvT1_.kd
    .uniform_work_group_size: 1
    .uses_dynamic_stack: false
    .vgpr_count:     0
    .vgpr_spill_count: 0
    .wavefront_size: 64
  - .args:
      - .offset:         0
        .size:           128
        .value_kind:     by_value
    .group_segment_fixed_size: 0
    .kernarg_segment_align: 8
    .kernarg_segment_size: 128
    .language:       OpenCL C
    .language_version:
      - 2
      - 0
    .max_flat_workgroup_size: 512
    .name:           _ZN7rocprim17ROCPRIM_400000_NS6detail17trampoline_kernelINS0_14default_configENS1_25partition_config_selectorILNS1_17partition_subalgoE8EdNS0_10empty_typeEbEEZZNS1_14partition_implILS5_8ELb0ES3_jN6thrust23THRUST_200600_302600_NS6detail15normal_iteratorINSA_10device_ptrIdEEEEPS6_PKS6_NS0_5tupleIJSF_S6_EEENSJ_IJSG_SG_EEENS0_18inequality_wrapperINSA_8equal_toIdEEEEPmJS6_EEE10hipError_tPvRmT3_T4_T5_T6_T7_T9_mT8_P12ihipStream_tbDpT10_ENKUlT_T0_E_clISt17integral_constantIbLb1EES1A_EEDaS15_S16_EUlS15_E_NS1_11comp_targetILNS1_3genE3ELNS1_11target_archE908ELNS1_3gpuE7ELNS1_3repE0EEENS1_30default_config_static_selectorELNS0_4arch9wavefront6targetE1EEEvT1_
    .private_segment_fixed_size: 0
    .sgpr_count:     4
    .sgpr_spill_count: 0
    .symbol:         _ZN7rocprim17ROCPRIM_400000_NS6detail17trampoline_kernelINS0_14default_configENS1_25partition_config_selectorILNS1_17partition_subalgoE8EdNS0_10empty_typeEbEEZZNS1_14partition_implILS5_8ELb0ES3_jN6thrust23THRUST_200600_302600_NS6detail15normal_iteratorINSA_10device_ptrIdEEEEPS6_PKS6_NS0_5tupleIJSF_S6_EEENSJ_IJSG_SG_EEENS0_18inequality_wrapperINSA_8equal_toIdEEEEPmJS6_EEE10hipError_tPvRmT3_T4_T5_T6_T7_T9_mT8_P12ihipStream_tbDpT10_ENKUlT_T0_E_clISt17integral_constantIbLb1EES1A_EEDaS15_S16_EUlS15_E_NS1_11comp_targetILNS1_3genE3ELNS1_11target_archE908ELNS1_3gpuE7ELNS1_3repE0EEENS1_30default_config_static_selectorELNS0_4arch9wavefront6targetE1EEEvT1_.kd
    .uniform_work_group_size: 1
    .uses_dynamic_stack: false
    .vgpr_count:     0
    .vgpr_spill_count: 0
    .wavefront_size: 64
  - .args:
      - .offset:         0
        .size:           128
        .value_kind:     by_value
    .group_segment_fixed_size: 0
    .kernarg_segment_align: 8
    .kernarg_segment_size: 128
    .language:       OpenCL C
    .language_version:
      - 2
      - 0
    .max_flat_workgroup_size: 256
    .name:           _ZN7rocprim17ROCPRIM_400000_NS6detail17trampoline_kernelINS0_14default_configENS1_25partition_config_selectorILNS1_17partition_subalgoE8EdNS0_10empty_typeEbEEZZNS1_14partition_implILS5_8ELb0ES3_jN6thrust23THRUST_200600_302600_NS6detail15normal_iteratorINSA_10device_ptrIdEEEEPS6_PKS6_NS0_5tupleIJSF_S6_EEENSJ_IJSG_SG_EEENS0_18inequality_wrapperINSA_8equal_toIdEEEEPmJS6_EEE10hipError_tPvRmT3_T4_T5_T6_T7_T9_mT8_P12ihipStream_tbDpT10_ENKUlT_T0_E_clISt17integral_constantIbLb1EES1A_EEDaS15_S16_EUlS15_E_NS1_11comp_targetILNS1_3genE2ELNS1_11target_archE906ELNS1_3gpuE6ELNS1_3repE0EEENS1_30default_config_static_selectorELNS0_4arch9wavefront6targetE1EEEvT1_
    .private_segment_fixed_size: 0
    .sgpr_count:     4
    .sgpr_spill_count: 0
    .symbol:         _ZN7rocprim17ROCPRIM_400000_NS6detail17trampoline_kernelINS0_14default_configENS1_25partition_config_selectorILNS1_17partition_subalgoE8EdNS0_10empty_typeEbEEZZNS1_14partition_implILS5_8ELb0ES3_jN6thrust23THRUST_200600_302600_NS6detail15normal_iteratorINSA_10device_ptrIdEEEEPS6_PKS6_NS0_5tupleIJSF_S6_EEENSJ_IJSG_SG_EEENS0_18inequality_wrapperINSA_8equal_toIdEEEEPmJS6_EEE10hipError_tPvRmT3_T4_T5_T6_T7_T9_mT8_P12ihipStream_tbDpT10_ENKUlT_T0_E_clISt17integral_constantIbLb1EES1A_EEDaS15_S16_EUlS15_E_NS1_11comp_targetILNS1_3genE2ELNS1_11target_archE906ELNS1_3gpuE6ELNS1_3repE0EEENS1_30default_config_static_selectorELNS0_4arch9wavefront6targetE1EEEvT1_.kd
    .uniform_work_group_size: 1
    .uses_dynamic_stack: false
    .vgpr_count:     0
    .vgpr_spill_count: 0
    .wavefront_size: 64
  - .args:
      - .offset:         0
        .size:           128
        .value_kind:     by_value
    .group_segment_fixed_size: 0
    .kernarg_segment_align: 8
    .kernarg_segment_size: 128
    .language:       OpenCL C
    .language_version:
      - 2
      - 0
    .max_flat_workgroup_size: 384
    .name:           _ZN7rocprim17ROCPRIM_400000_NS6detail17trampoline_kernelINS0_14default_configENS1_25partition_config_selectorILNS1_17partition_subalgoE8EdNS0_10empty_typeEbEEZZNS1_14partition_implILS5_8ELb0ES3_jN6thrust23THRUST_200600_302600_NS6detail15normal_iteratorINSA_10device_ptrIdEEEEPS6_PKS6_NS0_5tupleIJSF_S6_EEENSJ_IJSG_SG_EEENS0_18inequality_wrapperINSA_8equal_toIdEEEEPmJS6_EEE10hipError_tPvRmT3_T4_T5_T6_T7_T9_mT8_P12ihipStream_tbDpT10_ENKUlT_T0_E_clISt17integral_constantIbLb1EES1A_EEDaS15_S16_EUlS15_E_NS1_11comp_targetILNS1_3genE10ELNS1_11target_archE1200ELNS1_3gpuE4ELNS1_3repE0EEENS1_30default_config_static_selectorELNS0_4arch9wavefront6targetE1EEEvT1_
    .private_segment_fixed_size: 0
    .sgpr_count:     4
    .sgpr_spill_count: 0
    .symbol:         _ZN7rocprim17ROCPRIM_400000_NS6detail17trampoline_kernelINS0_14default_configENS1_25partition_config_selectorILNS1_17partition_subalgoE8EdNS0_10empty_typeEbEEZZNS1_14partition_implILS5_8ELb0ES3_jN6thrust23THRUST_200600_302600_NS6detail15normal_iteratorINSA_10device_ptrIdEEEEPS6_PKS6_NS0_5tupleIJSF_S6_EEENSJ_IJSG_SG_EEENS0_18inequality_wrapperINSA_8equal_toIdEEEEPmJS6_EEE10hipError_tPvRmT3_T4_T5_T6_T7_T9_mT8_P12ihipStream_tbDpT10_ENKUlT_T0_E_clISt17integral_constantIbLb1EES1A_EEDaS15_S16_EUlS15_E_NS1_11comp_targetILNS1_3genE10ELNS1_11target_archE1200ELNS1_3gpuE4ELNS1_3repE0EEENS1_30default_config_static_selectorELNS0_4arch9wavefront6targetE1EEEvT1_.kd
    .uniform_work_group_size: 1
    .uses_dynamic_stack: false
    .vgpr_count:     0
    .vgpr_spill_count: 0
    .wavefront_size: 64
  - .args:
      - .offset:         0
        .size:           128
        .value_kind:     by_value
    .group_segment_fixed_size: 0
    .kernarg_segment_align: 8
    .kernarg_segment_size: 128
    .language:       OpenCL C
    .language_version:
      - 2
      - 0
    .max_flat_workgroup_size: 512
    .name:           _ZN7rocprim17ROCPRIM_400000_NS6detail17trampoline_kernelINS0_14default_configENS1_25partition_config_selectorILNS1_17partition_subalgoE8EdNS0_10empty_typeEbEEZZNS1_14partition_implILS5_8ELb0ES3_jN6thrust23THRUST_200600_302600_NS6detail15normal_iteratorINSA_10device_ptrIdEEEEPS6_PKS6_NS0_5tupleIJSF_S6_EEENSJ_IJSG_SG_EEENS0_18inequality_wrapperINSA_8equal_toIdEEEEPmJS6_EEE10hipError_tPvRmT3_T4_T5_T6_T7_T9_mT8_P12ihipStream_tbDpT10_ENKUlT_T0_E_clISt17integral_constantIbLb1EES1A_EEDaS15_S16_EUlS15_E_NS1_11comp_targetILNS1_3genE9ELNS1_11target_archE1100ELNS1_3gpuE3ELNS1_3repE0EEENS1_30default_config_static_selectorELNS0_4arch9wavefront6targetE1EEEvT1_
    .private_segment_fixed_size: 0
    .sgpr_count:     4
    .sgpr_spill_count: 0
    .symbol:         _ZN7rocprim17ROCPRIM_400000_NS6detail17trampoline_kernelINS0_14default_configENS1_25partition_config_selectorILNS1_17partition_subalgoE8EdNS0_10empty_typeEbEEZZNS1_14partition_implILS5_8ELb0ES3_jN6thrust23THRUST_200600_302600_NS6detail15normal_iteratorINSA_10device_ptrIdEEEEPS6_PKS6_NS0_5tupleIJSF_S6_EEENSJ_IJSG_SG_EEENS0_18inequality_wrapperINSA_8equal_toIdEEEEPmJS6_EEE10hipError_tPvRmT3_T4_T5_T6_T7_T9_mT8_P12ihipStream_tbDpT10_ENKUlT_T0_E_clISt17integral_constantIbLb1EES1A_EEDaS15_S16_EUlS15_E_NS1_11comp_targetILNS1_3genE9ELNS1_11target_archE1100ELNS1_3gpuE3ELNS1_3repE0EEENS1_30default_config_static_selectorELNS0_4arch9wavefront6targetE1EEEvT1_.kd
    .uniform_work_group_size: 1
    .uses_dynamic_stack: false
    .vgpr_count:     0
    .vgpr_spill_count: 0
    .wavefront_size: 64
  - .args:
      - .offset:         0
        .size:           128
        .value_kind:     by_value
    .group_segment_fixed_size: 0
    .kernarg_segment_align: 8
    .kernarg_segment_size: 128
    .language:       OpenCL C
    .language_version:
      - 2
      - 0
    .max_flat_workgroup_size: 512
    .name:           _ZN7rocprim17ROCPRIM_400000_NS6detail17trampoline_kernelINS0_14default_configENS1_25partition_config_selectorILNS1_17partition_subalgoE8EdNS0_10empty_typeEbEEZZNS1_14partition_implILS5_8ELb0ES3_jN6thrust23THRUST_200600_302600_NS6detail15normal_iteratorINSA_10device_ptrIdEEEEPS6_PKS6_NS0_5tupleIJSF_S6_EEENSJ_IJSG_SG_EEENS0_18inequality_wrapperINSA_8equal_toIdEEEEPmJS6_EEE10hipError_tPvRmT3_T4_T5_T6_T7_T9_mT8_P12ihipStream_tbDpT10_ENKUlT_T0_E_clISt17integral_constantIbLb1EES1A_EEDaS15_S16_EUlS15_E_NS1_11comp_targetILNS1_3genE8ELNS1_11target_archE1030ELNS1_3gpuE2ELNS1_3repE0EEENS1_30default_config_static_selectorELNS0_4arch9wavefront6targetE1EEEvT1_
    .private_segment_fixed_size: 0
    .sgpr_count:     4
    .sgpr_spill_count: 0
    .symbol:         _ZN7rocprim17ROCPRIM_400000_NS6detail17trampoline_kernelINS0_14default_configENS1_25partition_config_selectorILNS1_17partition_subalgoE8EdNS0_10empty_typeEbEEZZNS1_14partition_implILS5_8ELb0ES3_jN6thrust23THRUST_200600_302600_NS6detail15normal_iteratorINSA_10device_ptrIdEEEEPS6_PKS6_NS0_5tupleIJSF_S6_EEENSJ_IJSG_SG_EEENS0_18inequality_wrapperINSA_8equal_toIdEEEEPmJS6_EEE10hipError_tPvRmT3_T4_T5_T6_T7_T9_mT8_P12ihipStream_tbDpT10_ENKUlT_T0_E_clISt17integral_constantIbLb1EES1A_EEDaS15_S16_EUlS15_E_NS1_11comp_targetILNS1_3genE8ELNS1_11target_archE1030ELNS1_3gpuE2ELNS1_3repE0EEENS1_30default_config_static_selectorELNS0_4arch9wavefront6targetE1EEEvT1_.kd
    .uniform_work_group_size: 1
    .uses_dynamic_stack: false
    .vgpr_count:     0
    .vgpr_spill_count: 0
    .wavefront_size: 64
  - .args:
      - .address_space:  global
        .offset:         0
        .size:           8
        .value_kind:     global_buffer
      - .offset:         8
        .size:           4
        .value_kind:     by_value
      - .offset:         12
        .size:           1
        .value_kind:     by_value
      - .offset:         16
        .size:           4
        .value_kind:     by_value
      - .address_space:  global
        .offset:         24
        .size:           8
        .value_kind:     global_buffer
      - .offset:         32
        .size:           4
        .value_kind:     hidden_block_count_x
      - .offset:         36
        .size:           4
        .value_kind:     hidden_block_count_y
      - .offset:         40
        .size:           4
        .value_kind:     hidden_block_count_z
      - .offset:         44
        .size:           2
        .value_kind:     hidden_group_size_x
      - .offset:         46
        .size:           2
        .value_kind:     hidden_group_size_y
      - .offset:         48
        .size:           2
        .value_kind:     hidden_group_size_z
      - .offset:         50
        .size:           2
        .value_kind:     hidden_remainder_x
      - .offset:         52
        .size:           2
        .value_kind:     hidden_remainder_y
      - .offset:         54
        .size:           2
        .value_kind:     hidden_remainder_z
      - .offset:         72
        .size:           8
        .value_kind:     hidden_global_offset_x
      - .offset:         80
        .size:           8
        .value_kind:     hidden_global_offset_y
      - .offset:         88
        .size:           8
        .value_kind:     hidden_global_offset_z
      - .offset:         96
        .size:           2
        .value_kind:     hidden_grid_dims
    .group_segment_fixed_size: 0
    .kernarg_segment_align: 8
    .kernarg_segment_size: 288
    .language:       OpenCL C
    .language_version:
      - 2
      - 0
    .max_flat_workgroup_size: 256
    .name:           _ZN7rocprim17ROCPRIM_400000_NS6detail31init_lookback_scan_state_kernelINS1_19lookback_scan_stateIjLb1ELb1EEENS1_16block_id_wrapperIjLb0EEEEEvT_jT0_jPNS7_10value_typeE
    .private_segment_fixed_size: 0
    .sgpr_count:     16
    .sgpr_spill_count: 0
    .symbol:         _ZN7rocprim17ROCPRIM_400000_NS6detail31init_lookback_scan_state_kernelINS1_19lookback_scan_stateIjLb1ELb1EEENS1_16block_id_wrapperIjLb0EEEEEvT_jT0_jPNS7_10value_typeE.kd
    .uniform_work_group_size: 1
    .uses_dynamic_stack: false
    .vgpr_count:     6
    .vgpr_spill_count: 0
    .wavefront_size: 64
  - .args:
      - .offset:         0
        .size:           112
        .value_kind:     by_value
    .group_segment_fixed_size: 0
    .kernarg_segment_align: 8
    .kernarg_segment_size: 112
    .language:       OpenCL C
    .language_version:
      - 2
      - 0
    .max_flat_workgroup_size: 512
    .name:           _ZN7rocprim17ROCPRIM_400000_NS6detail17trampoline_kernelINS0_14default_configENS1_25partition_config_selectorILNS1_17partition_subalgoE8EdNS0_10empty_typeEbEEZZNS1_14partition_implILS5_8ELb0ES3_jN6thrust23THRUST_200600_302600_NS6detail15normal_iteratorINSA_10device_ptrIdEEEEPS6_PKS6_NS0_5tupleIJSF_S6_EEENSJ_IJSG_SG_EEENS0_18inequality_wrapperINSA_8equal_toIdEEEEPmJS6_EEE10hipError_tPvRmT3_T4_T5_T6_T7_T9_mT8_P12ihipStream_tbDpT10_ENKUlT_T0_E_clISt17integral_constantIbLb1EES19_IbLb0EEEEDaS15_S16_EUlS15_E_NS1_11comp_targetILNS1_3genE0ELNS1_11target_archE4294967295ELNS1_3gpuE0ELNS1_3repE0EEENS1_30default_config_static_selectorELNS0_4arch9wavefront6targetE1EEEvT1_
    .private_segment_fixed_size: 0
    .sgpr_count:     4
    .sgpr_spill_count: 0
    .symbol:         _ZN7rocprim17ROCPRIM_400000_NS6detail17trampoline_kernelINS0_14default_configENS1_25partition_config_selectorILNS1_17partition_subalgoE8EdNS0_10empty_typeEbEEZZNS1_14partition_implILS5_8ELb0ES3_jN6thrust23THRUST_200600_302600_NS6detail15normal_iteratorINSA_10device_ptrIdEEEEPS6_PKS6_NS0_5tupleIJSF_S6_EEENSJ_IJSG_SG_EEENS0_18inequality_wrapperINSA_8equal_toIdEEEEPmJS6_EEE10hipError_tPvRmT3_T4_T5_T6_T7_T9_mT8_P12ihipStream_tbDpT10_ENKUlT_T0_E_clISt17integral_constantIbLb1EES19_IbLb0EEEEDaS15_S16_EUlS15_E_NS1_11comp_targetILNS1_3genE0ELNS1_11target_archE4294967295ELNS1_3gpuE0ELNS1_3repE0EEENS1_30default_config_static_selectorELNS0_4arch9wavefront6targetE1EEEvT1_.kd
    .uniform_work_group_size: 1
    .uses_dynamic_stack: false
    .vgpr_count:     0
    .vgpr_spill_count: 0
    .wavefront_size: 64
  - .args:
      - .offset:         0
        .size:           112
        .value_kind:     by_value
    .group_segment_fixed_size: 0
    .kernarg_segment_align: 8
    .kernarg_segment_size: 112
    .language:       OpenCL C
    .language_version:
      - 2
      - 0
    .max_flat_workgroup_size: 512
    .name:           _ZN7rocprim17ROCPRIM_400000_NS6detail17trampoline_kernelINS0_14default_configENS1_25partition_config_selectorILNS1_17partition_subalgoE8EdNS0_10empty_typeEbEEZZNS1_14partition_implILS5_8ELb0ES3_jN6thrust23THRUST_200600_302600_NS6detail15normal_iteratorINSA_10device_ptrIdEEEEPS6_PKS6_NS0_5tupleIJSF_S6_EEENSJ_IJSG_SG_EEENS0_18inequality_wrapperINSA_8equal_toIdEEEEPmJS6_EEE10hipError_tPvRmT3_T4_T5_T6_T7_T9_mT8_P12ihipStream_tbDpT10_ENKUlT_T0_E_clISt17integral_constantIbLb1EES19_IbLb0EEEEDaS15_S16_EUlS15_E_NS1_11comp_targetILNS1_3genE5ELNS1_11target_archE942ELNS1_3gpuE9ELNS1_3repE0EEENS1_30default_config_static_selectorELNS0_4arch9wavefront6targetE1EEEvT1_
    .private_segment_fixed_size: 0
    .sgpr_count:     4
    .sgpr_spill_count: 0
    .symbol:         _ZN7rocprim17ROCPRIM_400000_NS6detail17trampoline_kernelINS0_14default_configENS1_25partition_config_selectorILNS1_17partition_subalgoE8EdNS0_10empty_typeEbEEZZNS1_14partition_implILS5_8ELb0ES3_jN6thrust23THRUST_200600_302600_NS6detail15normal_iteratorINSA_10device_ptrIdEEEEPS6_PKS6_NS0_5tupleIJSF_S6_EEENSJ_IJSG_SG_EEENS0_18inequality_wrapperINSA_8equal_toIdEEEEPmJS6_EEE10hipError_tPvRmT3_T4_T5_T6_T7_T9_mT8_P12ihipStream_tbDpT10_ENKUlT_T0_E_clISt17integral_constantIbLb1EES19_IbLb0EEEEDaS15_S16_EUlS15_E_NS1_11comp_targetILNS1_3genE5ELNS1_11target_archE942ELNS1_3gpuE9ELNS1_3repE0EEENS1_30default_config_static_selectorELNS0_4arch9wavefront6targetE1EEEvT1_.kd
    .uniform_work_group_size: 1
    .uses_dynamic_stack: false
    .vgpr_count:     0
    .vgpr_spill_count: 0
    .wavefront_size: 64
  - .args:
      - .offset:         0
        .size:           112
        .value_kind:     by_value
    .group_segment_fixed_size: 0
    .kernarg_segment_align: 8
    .kernarg_segment_size: 112
    .language:       OpenCL C
    .language_version:
      - 2
      - 0
    .max_flat_workgroup_size: 256
    .name:           _ZN7rocprim17ROCPRIM_400000_NS6detail17trampoline_kernelINS0_14default_configENS1_25partition_config_selectorILNS1_17partition_subalgoE8EdNS0_10empty_typeEbEEZZNS1_14partition_implILS5_8ELb0ES3_jN6thrust23THRUST_200600_302600_NS6detail15normal_iteratorINSA_10device_ptrIdEEEEPS6_PKS6_NS0_5tupleIJSF_S6_EEENSJ_IJSG_SG_EEENS0_18inequality_wrapperINSA_8equal_toIdEEEEPmJS6_EEE10hipError_tPvRmT3_T4_T5_T6_T7_T9_mT8_P12ihipStream_tbDpT10_ENKUlT_T0_E_clISt17integral_constantIbLb1EES19_IbLb0EEEEDaS15_S16_EUlS15_E_NS1_11comp_targetILNS1_3genE4ELNS1_11target_archE910ELNS1_3gpuE8ELNS1_3repE0EEENS1_30default_config_static_selectorELNS0_4arch9wavefront6targetE1EEEvT1_
    .private_segment_fixed_size: 0
    .sgpr_count:     4
    .sgpr_spill_count: 0
    .symbol:         _ZN7rocprim17ROCPRIM_400000_NS6detail17trampoline_kernelINS0_14default_configENS1_25partition_config_selectorILNS1_17partition_subalgoE8EdNS0_10empty_typeEbEEZZNS1_14partition_implILS5_8ELb0ES3_jN6thrust23THRUST_200600_302600_NS6detail15normal_iteratorINSA_10device_ptrIdEEEEPS6_PKS6_NS0_5tupleIJSF_S6_EEENSJ_IJSG_SG_EEENS0_18inequality_wrapperINSA_8equal_toIdEEEEPmJS6_EEE10hipError_tPvRmT3_T4_T5_T6_T7_T9_mT8_P12ihipStream_tbDpT10_ENKUlT_T0_E_clISt17integral_constantIbLb1EES19_IbLb0EEEEDaS15_S16_EUlS15_E_NS1_11comp_targetILNS1_3genE4ELNS1_11target_archE910ELNS1_3gpuE8ELNS1_3repE0EEENS1_30default_config_static_selectorELNS0_4arch9wavefront6targetE1EEEvT1_.kd
    .uniform_work_group_size: 1
    .uses_dynamic_stack: false
    .vgpr_count:     0
    .vgpr_spill_count: 0
    .wavefront_size: 64
  - .args:
      - .offset:         0
        .size:           112
        .value_kind:     by_value
    .group_segment_fixed_size: 0
    .kernarg_segment_align: 8
    .kernarg_segment_size: 112
    .language:       OpenCL C
    .language_version:
      - 2
      - 0
    .max_flat_workgroup_size: 512
    .name:           _ZN7rocprim17ROCPRIM_400000_NS6detail17trampoline_kernelINS0_14default_configENS1_25partition_config_selectorILNS1_17partition_subalgoE8EdNS0_10empty_typeEbEEZZNS1_14partition_implILS5_8ELb0ES3_jN6thrust23THRUST_200600_302600_NS6detail15normal_iteratorINSA_10device_ptrIdEEEEPS6_PKS6_NS0_5tupleIJSF_S6_EEENSJ_IJSG_SG_EEENS0_18inequality_wrapperINSA_8equal_toIdEEEEPmJS6_EEE10hipError_tPvRmT3_T4_T5_T6_T7_T9_mT8_P12ihipStream_tbDpT10_ENKUlT_T0_E_clISt17integral_constantIbLb1EES19_IbLb0EEEEDaS15_S16_EUlS15_E_NS1_11comp_targetILNS1_3genE3ELNS1_11target_archE908ELNS1_3gpuE7ELNS1_3repE0EEENS1_30default_config_static_selectorELNS0_4arch9wavefront6targetE1EEEvT1_
    .private_segment_fixed_size: 0
    .sgpr_count:     4
    .sgpr_spill_count: 0
    .symbol:         _ZN7rocprim17ROCPRIM_400000_NS6detail17trampoline_kernelINS0_14default_configENS1_25partition_config_selectorILNS1_17partition_subalgoE8EdNS0_10empty_typeEbEEZZNS1_14partition_implILS5_8ELb0ES3_jN6thrust23THRUST_200600_302600_NS6detail15normal_iteratorINSA_10device_ptrIdEEEEPS6_PKS6_NS0_5tupleIJSF_S6_EEENSJ_IJSG_SG_EEENS0_18inequality_wrapperINSA_8equal_toIdEEEEPmJS6_EEE10hipError_tPvRmT3_T4_T5_T6_T7_T9_mT8_P12ihipStream_tbDpT10_ENKUlT_T0_E_clISt17integral_constantIbLb1EES19_IbLb0EEEEDaS15_S16_EUlS15_E_NS1_11comp_targetILNS1_3genE3ELNS1_11target_archE908ELNS1_3gpuE7ELNS1_3repE0EEENS1_30default_config_static_selectorELNS0_4arch9wavefront6targetE1EEEvT1_.kd
    .uniform_work_group_size: 1
    .uses_dynamic_stack: false
    .vgpr_count:     0
    .vgpr_spill_count: 0
    .wavefront_size: 64
  - .args:
      - .offset:         0
        .size:           112
        .value_kind:     by_value
    .group_segment_fixed_size: 0
    .kernarg_segment_align: 8
    .kernarg_segment_size: 112
    .language:       OpenCL C
    .language_version:
      - 2
      - 0
    .max_flat_workgroup_size: 256
    .name:           _ZN7rocprim17ROCPRIM_400000_NS6detail17trampoline_kernelINS0_14default_configENS1_25partition_config_selectorILNS1_17partition_subalgoE8EdNS0_10empty_typeEbEEZZNS1_14partition_implILS5_8ELb0ES3_jN6thrust23THRUST_200600_302600_NS6detail15normal_iteratorINSA_10device_ptrIdEEEEPS6_PKS6_NS0_5tupleIJSF_S6_EEENSJ_IJSG_SG_EEENS0_18inequality_wrapperINSA_8equal_toIdEEEEPmJS6_EEE10hipError_tPvRmT3_T4_T5_T6_T7_T9_mT8_P12ihipStream_tbDpT10_ENKUlT_T0_E_clISt17integral_constantIbLb1EES19_IbLb0EEEEDaS15_S16_EUlS15_E_NS1_11comp_targetILNS1_3genE2ELNS1_11target_archE906ELNS1_3gpuE6ELNS1_3repE0EEENS1_30default_config_static_selectorELNS0_4arch9wavefront6targetE1EEEvT1_
    .private_segment_fixed_size: 0
    .sgpr_count:     4
    .sgpr_spill_count: 0
    .symbol:         _ZN7rocprim17ROCPRIM_400000_NS6detail17trampoline_kernelINS0_14default_configENS1_25partition_config_selectorILNS1_17partition_subalgoE8EdNS0_10empty_typeEbEEZZNS1_14partition_implILS5_8ELb0ES3_jN6thrust23THRUST_200600_302600_NS6detail15normal_iteratorINSA_10device_ptrIdEEEEPS6_PKS6_NS0_5tupleIJSF_S6_EEENSJ_IJSG_SG_EEENS0_18inequality_wrapperINSA_8equal_toIdEEEEPmJS6_EEE10hipError_tPvRmT3_T4_T5_T6_T7_T9_mT8_P12ihipStream_tbDpT10_ENKUlT_T0_E_clISt17integral_constantIbLb1EES19_IbLb0EEEEDaS15_S16_EUlS15_E_NS1_11comp_targetILNS1_3genE2ELNS1_11target_archE906ELNS1_3gpuE6ELNS1_3repE0EEENS1_30default_config_static_selectorELNS0_4arch9wavefront6targetE1EEEvT1_.kd
    .uniform_work_group_size: 1
    .uses_dynamic_stack: false
    .vgpr_count:     0
    .vgpr_spill_count: 0
    .wavefront_size: 64
  - .args:
      - .offset:         0
        .size:           112
        .value_kind:     by_value
    .group_segment_fixed_size: 0
    .kernarg_segment_align: 8
    .kernarg_segment_size: 112
    .language:       OpenCL C
    .language_version:
      - 2
      - 0
    .max_flat_workgroup_size: 384
    .name:           _ZN7rocprim17ROCPRIM_400000_NS6detail17trampoline_kernelINS0_14default_configENS1_25partition_config_selectorILNS1_17partition_subalgoE8EdNS0_10empty_typeEbEEZZNS1_14partition_implILS5_8ELb0ES3_jN6thrust23THRUST_200600_302600_NS6detail15normal_iteratorINSA_10device_ptrIdEEEEPS6_PKS6_NS0_5tupleIJSF_S6_EEENSJ_IJSG_SG_EEENS0_18inequality_wrapperINSA_8equal_toIdEEEEPmJS6_EEE10hipError_tPvRmT3_T4_T5_T6_T7_T9_mT8_P12ihipStream_tbDpT10_ENKUlT_T0_E_clISt17integral_constantIbLb1EES19_IbLb0EEEEDaS15_S16_EUlS15_E_NS1_11comp_targetILNS1_3genE10ELNS1_11target_archE1200ELNS1_3gpuE4ELNS1_3repE0EEENS1_30default_config_static_selectorELNS0_4arch9wavefront6targetE1EEEvT1_
    .private_segment_fixed_size: 0
    .sgpr_count:     4
    .sgpr_spill_count: 0
    .symbol:         _ZN7rocprim17ROCPRIM_400000_NS6detail17trampoline_kernelINS0_14default_configENS1_25partition_config_selectorILNS1_17partition_subalgoE8EdNS0_10empty_typeEbEEZZNS1_14partition_implILS5_8ELb0ES3_jN6thrust23THRUST_200600_302600_NS6detail15normal_iteratorINSA_10device_ptrIdEEEEPS6_PKS6_NS0_5tupleIJSF_S6_EEENSJ_IJSG_SG_EEENS0_18inequality_wrapperINSA_8equal_toIdEEEEPmJS6_EEE10hipError_tPvRmT3_T4_T5_T6_T7_T9_mT8_P12ihipStream_tbDpT10_ENKUlT_T0_E_clISt17integral_constantIbLb1EES19_IbLb0EEEEDaS15_S16_EUlS15_E_NS1_11comp_targetILNS1_3genE10ELNS1_11target_archE1200ELNS1_3gpuE4ELNS1_3repE0EEENS1_30default_config_static_selectorELNS0_4arch9wavefront6targetE1EEEvT1_.kd
    .uniform_work_group_size: 1
    .uses_dynamic_stack: false
    .vgpr_count:     0
    .vgpr_spill_count: 0
    .wavefront_size: 64
  - .args:
      - .offset:         0
        .size:           112
        .value_kind:     by_value
    .group_segment_fixed_size: 0
    .kernarg_segment_align: 8
    .kernarg_segment_size: 112
    .language:       OpenCL C
    .language_version:
      - 2
      - 0
    .max_flat_workgroup_size: 512
    .name:           _ZN7rocprim17ROCPRIM_400000_NS6detail17trampoline_kernelINS0_14default_configENS1_25partition_config_selectorILNS1_17partition_subalgoE8EdNS0_10empty_typeEbEEZZNS1_14partition_implILS5_8ELb0ES3_jN6thrust23THRUST_200600_302600_NS6detail15normal_iteratorINSA_10device_ptrIdEEEEPS6_PKS6_NS0_5tupleIJSF_S6_EEENSJ_IJSG_SG_EEENS0_18inequality_wrapperINSA_8equal_toIdEEEEPmJS6_EEE10hipError_tPvRmT3_T4_T5_T6_T7_T9_mT8_P12ihipStream_tbDpT10_ENKUlT_T0_E_clISt17integral_constantIbLb1EES19_IbLb0EEEEDaS15_S16_EUlS15_E_NS1_11comp_targetILNS1_3genE9ELNS1_11target_archE1100ELNS1_3gpuE3ELNS1_3repE0EEENS1_30default_config_static_selectorELNS0_4arch9wavefront6targetE1EEEvT1_
    .private_segment_fixed_size: 0
    .sgpr_count:     4
    .sgpr_spill_count: 0
    .symbol:         _ZN7rocprim17ROCPRIM_400000_NS6detail17trampoline_kernelINS0_14default_configENS1_25partition_config_selectorILNS1_17partition_subalgoE8EdNS0_10empty_typeEbEEZZNS1_14partition_implILS5_8ELb0ES3_jN6thrust23THRUST_200600_302600_NS6detail15normal_iteratorINSA_10device_ptrIdEEEEPS6_PKS6_NS0_5tupleIJSF_S6_EEENSJ_IJSG_SG_EEENS0_18inequality_wrapperINSA_8equal_toIdEEEEPmJS6_EEE10hipError_tPvRmT3_T4_T5_T6_T7_T9_mT8_P12ihipStream_tbDpT10_ENKUlT_T0_E_clISt17integral_constantIbLb1EES19_IbLb0EEEEDaS15_S16_EUlS15_E_NS1_11comp_targetILNS1_3genE9ELNS1_11target_archE1100ELNS1_3gpuE3ELNS1_3repE0EEENS1_30default_config_static_selectorELNS0_4arch9wavefront6targetE1EEEvT1_.kd
    .uniform_work_group_size: 1
    .uses_dynamic_stack: false
    .vgpr_count:     0
    .vgpr_spill_count: 0
    .wavefront_size: 64
  - .args:
      - .offset:         0
        .size:           112
        .value_kind:     by_value
    .group_segment_fixed_size: 0
    .kernarg_segment_align: 8
    .kernarg_segment_size: 112
    .language:       OpenCL C
    .language_version:
      - 2
      - 0
    .max_flat_workgroup_size: 512
    .name:           _ZN7rocprim17ROCPRIM_400000_NS6detail17trampoline_kernelINS0_14default_configENS1_25partition_config_selectorILNS1_17partition_subalgoE8EdNS0_10empty_typeEbEEZZNS1_14partition_implILS5_8ELb0ES3_jN6thrust23THRUST_200600_302600_NS6detail15normal_iteratorINSA_10device_ptrIdEEEEPS6_PKS6_NS0_5tupleIJSF_S6_EEENSJ_IJSG_SG_EEENS0_18inequality_wrapperINSA_8equal_toIdEEEEPmJS6_EEE10hipError_tPvRmT3_T4_T5_T6_T7_T9_mT8_P12ihipStream_tbDpT10_ENKUlT_T0_E_clISt17integral_constantIbLb1EES19_IbLb0EEEEDaS15_S16_EUlS15_E_NS1_11comp_targetILNS1_3genE8ELNS1_11target_archE1030ELNS1_3gpuE2ELNS1_3repE0EEENS1_30default_config_static_selectorELNS0_4arch9wavefront6targetE1EEEvT1_
    .private_segment_fixed_size: 0
    .sgpr_count:     4
    .sgpr_spill_count: 0
    .symbol:         _ZN7rocprim17ROCPRIM_400000_NS6detail17trampoline_kernelINS0_14default_configENS1_25partition_config_selectorILNS1_17partition_subalgoE8EdNS0_10empty_typeEbEEZZNS1_14partition_implILS5_8ELb0ES3_jN6thrust23THRUST_200600_302600_NS6detail15normal_iteratorINSA_10device_ptrIdEEEEPS6_PKS6_NS0_5tupleIJSF_S6_EEENSJ_IJSG_SG_EEENS0_18inequality_wrapperINSA_8equal_toIdEEEEPmJS6_EEE10hipError_tPvRmT3_T4_T5_T6_T7_T9_mT8_P12ihipStream_tbDpT10_ENKUlT_T0_E_clISt17integral_constantIbLb1EES19_IbLb0EEEEDaS15_S16_EUlS15_E_NS1_11comp_targetILNS1_3genE8ELNS1_11target_archE1030ELNS1_3gpuE2ELNS1_3repE0EEENS1_30default_config_static_selectorELNS0_4arch9wavefront6targetE1EEEvT1_.kd
    .uniform_work_group_size: 1
    .uses_dynamic_stack: false
    .vgpr_count:     0
    .vgpr_spill_count: 0
    .wavefront_size: 64
  - .args:
      - .address_space:  global
        .offset:         0
        .size:           8
        .value_kind:     global_buffer
      - .offset:         8
        .size:           4
        .value_kind:     by_value
      - .address_space:  global
        .offset:         16
        .size:           8
        .value_kind:     global_buffer
      - .offset:         24
        .size:           4
        .value_kind:     by_value
      - .address_space:  global
        .offset:         32
        .size:           8
        .value_kind:     global_buffer
      - .offset:         40
        .size:           4
        .value_kind:     hidden_block_count_x
      - .offset:         44
        .size:           4
        .value_kind:     hidden_block_count_y
      - .offset:         48
        .size:           4
        .value_kind:     hidden_block_count_z
      - .offset:         52
        .size:           2
        .value_kind:     hidden_group_size_x
      - .offset:         54
        .size:           2
        .value_kind:     hidden_group_size_y
      - .offset:         56
        .size:           2
        .value_kind:     hidden_group_size_z
      - .offset:         58
        .size:           2
        .value_kind:     hidden_remainder_x
      - .offset:         60
        .size:           2
        .value_kind:     hidden_remainder_y
      - .offset:         62
        .size:           2
        .value_kind:     hidden_remainder_z
      - .offset:         80
        .size:           8
        .value_kind:     hidden_global_offset_x
      - .offset:         88
        .size:           8
        .value_kind:     hidden_global_offset_y
      - .offset:         96
        .size:           8
        .value_kind:     hidden_global_offset_z
      - .offset:         104
        .size:           2
        .value_kind:     hidden_grid_dims
    .group_segment_fixed_size: 0
    .kernarg_segment_align: 8
    .kernarg_segment_size: 296
    .language:       OpenCL C
    .language_version:
      - 2
      - 0
    .max_flat_workgroup_size: 256
    .name:           _ZN7rocprim17ROCPRIM_400000_NS6detail31init_lookback_scan_state_kernelINS1_19lookback_scan_stateIjLb0ELb1EEENS1_16block_id_wrapperIjLb1EEEEEvT_jT0_jPNS7_10value_typeE
    .private_segment_fixed_size: 0
    .sgpr_count:     15
    .sgpr_spill_count: 0
    .symbol:         _ZN7rocprim17ROCPRIM_400000_NS6detail31init_lookback_scan_state_kernelINS1_19lookback_scan_stateIjLb0ELb1EEENS1_16block_id_wrapperIjLb1EEEEEvT_jT0_jPNS7_10value_typeE.kd
    .uniform_work_group_size: 1
    .uses_dynamic_stack: false
    .vgpr_count:     6
    .vgpr_spill_count: 0
    .wavefront_size: 64
  - .args:
      - .offset:         0
        .size:           128
        .value_kind:     by_value
    .group_segment_fixed_size: 0
    .kernarg_segment_align: 8
    .kernarg_segment_size: 128
    .language:       OpenCL C
    .language_version:
      - 2
      - 0
    .max_flat_workgroup_size: 512
    .name:           _ZN7rocprim17ROCPRIM_400000_NS6detail17trampoline_kernelINS0_14default_configENS1_25partition_config_selectorILNS1_17partition_subalgoE8EdNS0_10empty_typeEbEEZZNS1_14partition_implILS5_8ELb0ES3_jN6thrust23THRUST_200600_302600_NS6detail15normal_iteratorINSA_10device_ptrIdEEEEPS6_PKS6_NS0_5tupleIJSF_S6_EEENSJ_IJSG_SG_EEENS0_18inequality_wrapperINSA_8equal_toIdEEEEPmJS6_EEE10hipError_tPvRmT3_T4_T5_T6_T7_T9_mT8_P12ihipStream_tbDpT10_ENKUlT_T0_E_clISt17integral_constantIbLb0EES19_IbLb1EEEEDaS15_S16_EUlS15_E_NS1_11comp_targetILNS1_3genE0ELNS1_11target_archE4294967295ELNS1_3gpuE0ELNS1_3repE0EEENS1_30default_config_static_selectorELNS0_4arch9wavefront6targetE1EEEvT1_
    .private_segment_fixed_size: 0
    .sgpr_count:     4
    .sgpr_spill_count: 0
    .symbol:         _ZN7rocprim17ROCPRIM_400000_NS6detail17trampoline_kernelINS0_14default_configENS1_25partition_config_selectorILNS1_17partition_subalgoE8EdNS0_10empty_typeEbEEZZNS1_14partition_implILS5_8ELb0ES3_jN6thrust23THRUST_200600_302600_NS6detail15normal_iteratorINSA_10device_ptrIdEEEEPS6_PKS6_NS0_5tupleIJSF_S6_EEENSJ_IJSG_SG_EEENS0_18inequality_wrapperINSA_8equal_toIdEEEEPmJS6_EEE10hipError_tPvRmT3_T4_T5_T6_T7_T9_mT8_P12ihipStream_tbDpT10_ENKUlT_T0_E_clISt17integral_constantIbLb0EES19_IbLb1EEEEDaS15_S16_EUlS15_E_NS1_11comp_targetILNS1_3genE0ELNS1_11target_archE4294967295ELNS1_3gpuE0ELNS1_3repE0EEENS1_30default_config_static_selectorELNS0_4arch9wavefront6targetE1EEEvT1_.kd
    .uniform_work_group_size: 1
    .uses_dynamic_stack: false
    .vgpr_count:     0
    .vgpr_spill_count: 0
    .wavefront_size: 64
  - .args:
      - .offset:         0
        .size:           128
        .value_kind:     by_value
    .group_segment_fixed_size: 0
    .kernarg_segment_align: 8
    .kernarg_segment_size: 128
    .language:       OpenCL C
    .language_version:
      - 2
      - 0
    .max_flat_workgroup_size: 512
    .name:           _ZN7rocprim17ROCPRIM_400000_NS6detail17trampoline_kernelINS0_14default_configENS1_25partition_config_selectorILNS1_17partition_subalgoE8EdNS0_10empty_typeEbEEZZNS1_14partition_implILS5_8ELb0ES3_jN6thrust23THRUST_200600_302600_NS6detail15normal_iteratorINSA_10device_ptrIdEEEEPS6_PKS6_NS0_5tupleIJSF_S6_EEENSJ_IJSG_SG_EEENS0_18inequality_wrapperINSA_8equal_toIdEEEEPmJS6_EEE10hipError_tPvRmT3_T4_T5_T6_T7_T9_mT8_P12ihipStream_tbDpT10_ENKUlT_T0_E_clISt17integral_constantIbLb0EES19_IbLb1EEEEDaS15_S16_EUlS15_E_NS1_11comp_targetILNS1_3genE5ELNS1_11target_archE942ELNS1_3gpuE9ELNS1_3repE0EEENS1_30default_config_static_selectorELNS0_4arch9wavefront6targetE1EEEvT1_
    .private_segment_fixed_size: 0
    .sgpr_count:     4
    .sgpr_spill_count: 0
    .symbol:         _ZN7rocprim17ROCPRIM_400000_NS6detail17trampoline_kernelINS0_14default_configENS1_25partition_config_selectorILNS1_17partition_subalgoE8EdNS0_10empty_typeEbEEZZNS1_14partition_implILS5_8ELb0ES3_jN6thrust23THRUST_200600_302600_NS6detail15normal_iteratorINSA_10device_ptrIdEEEEPS6_PKS6_NS0_5tupleIJSF_S6_EEENSJ_IJSG_SG_EEENS0_18inequality_wrapperINSA_8equal_toIdEEEEPmJS6_EEE10hipError_tPvRmT3_T4_T5_T6_T7_T9_mT8_P12ihipStream_tbDpT10_ENKUlT_T0_E_clISt17integral_constantIbLb0EES19_IbLb1EEEEDaS15_S16_EUlS15_E_NS1_11comp_targetILNS1_3genE5ELNS1_11target_archE942ELNS1_3gpuE9ELNS1_3repE0EEENS1_30default_config_static_selectorELNS0_4arch9wavefront6targetE1EEEvT1_.kd
    .uniform_work_group_size: 1
    .uses_dynamic_stack: false
    .vgpr_count:     0
    .vgpr_spill_count: 0
    .wavefront_size: 64
  - .args:
      - .offset:         0
        .size:           128
        .value_kind:     by_value
    .group_segment_fixed_size: 0
    .kernarg_segment_align: 8
    .kernarg_segment_size: 128
    .language:       OpenCL C
    .language_version:
      - 2
      - 0
    .max_flat_workgroup_size: 256
    .name:           _ZN7rocprim17ROCPRIM_400000_NS6detail17trampoline_kernelINS0_14default_configENS1_25partition_config_selectorILNS1_17partition_subalgoE8EdNS0_10empty_typeEbEEZZNS1_14partition_implILS5_8ELb0ES3_jN6thrust23THRUST_200600_302600_NS6detail15normal_iteratorINSA_10device_ptrIdEEEEPS6_PKS6_NS0_5tupleIJSF_S6_EEENSJ_IJSG_SG_EEENS0_18inequality_wrapperINSA_8equal_toIdEEEEPmJS6_EEE10hipError_tPvRmT3_T4_T5_T6_T7_T9_mT8_P12ihipStream_tbDpT10_ENKUlT_T0_E_clISt17integral_constantIbLb0EES19_IbLb1EEEEDaS15_S16_EUlS15_E_NS1_11comp_targetILNS1_3genE4ELNS1_11target_archE910ELNS1_3gpuE8ELNS1_3repE0EEENS1_30default_config_static_selectorELNS0_4arch9wavefront6targetE1EEEvT1_
    .private_segment_fixed_size: 0
    .sgpr_count:     4
    .sgpr_spill_count: 0
    .symbol:         _ZN7rocprim17ROCPRIM_400000_NS6detail17trampoline_kernelINS0_14default_configENS1_25partition_config_selectorILNS1_17partition_subalgoE8EdNS0_10empty_typeEbEEZZNS1_14partition_implILS5_8ELb0ES3_jN6thrust23THRUST_200600_302600_NS6detail15normal_iteratorINSA_10device_ptrIdEEEEPS6_PKS6_NS0_5tupleIJSF_S6_EEENSJ_IJSG_SG_EEENS0_18inequality_wrapperINSA_8equal_toIdEEEEPmJS6_EEE10hipError_tPvRmT3_T4_T5_T6_T7_T9_mT8_P12ihipStream_tbDpT10_ENKUlT_T0_E_clISt17integral_constantIbLb0EES19_IbLb1EEEEDaS15_S16_EUlS15_E_NS1_11comp_targetILNS1_3genE4ELNS1_11target_archE910ELNS1_3gpuE8ELNS1_3repE0EEENS1_30default_config_static_selectorELNS0_4arch9wavefront6targetE1EEEvT1_.kd
    .uniform_work_group_size: 1
    .uses_dynamic_stack: false
    .vgpr_count:     0
    .vgpr_spill_count: 0
    .wavefront_size: 64
  - .args:
      - .offset:         0
        .size:           128
        .value_kind:     by_value
    .group_segment_fixed_size: 0
    .kernarg_segment_align: 8
    .kernarg_segment_size: 128
    .language:       OpenCL C
    .language_version:
      - 2
      - 0
    .max_flat_workgroup_size: 512
    .name:           _ZN7rocprim17ROCPRIM_400000_NS6detail17trampoline_kernelINS0_14default_configENS1_25partition_config_selectorILNS1_17partition_subalgoE8EdNS0_10empty_typeEbEEZZNS1_14partition_implILS5_8ELb0ES3_jN6thrust23THRUST_200600_302600_NS6detail15normal_iteratorINSA_10device_ptrIdEEEEPS6_PKS6_NS0_5tupleIJSF_S6_EEENSJ_IJSG_SG_EEENS0_18inequality_wrapperINSA_8equal_toIdEEEEPmJS6_EEE10hipError_tPvRmT3_T4_T5_T6_T7_T9_mT8_P12ihipStream_tbDpT10_ENKUlT_T0_E_clISt17integral_constantIbLb0EES19_IbLb1EEEEDaS15_S16_EUlS15_E_NS1_11comp_targetILNS1_3genE3ELNS1_11target_archE908ELNS1_3gpuE7ELNS1_3repE0EEENS1_30default_config_static_selectorELNS0_4arch9wavefront6targetE1EEEvT1_
    .private_segment_fixed_size: 0
    .sgpr_count:     4
    .sgpr_spill_count: 0
    .symbol:         _ZN7rocprim17ROCPRIM_400000_NS6detail17trampoline_kernelINS0_14default_configENS1_25partition_config_selectorILNS1_17partition_subalgoE8EdNS0_10empty_typeEbEEZZNS1_14partition_implILS5_8ELb0ES3_jN6thrust23THRUST_200600_302600_NS6detail15normal_iteratorINSA_10device_ptrIdEEEEPS6_PKS6_NS0_5tupleIJSF_S6_EEENSJ_IJSG_SG_EEENS0_18inequality_wrapperINSA_8equal_toIdEEEEPmJS6_EEE10hipError_tPvRmT3_T4_T5_T6_T7_T9_mT8_P12ihipStream_tbDpT10_ENKUlT_T0_E_clISt17integral_constantIbLb0EES19_IbLb1EEEEDaS15_S16_EUlS15_E_NS1_11comp_targetILNS1_3genE3ELNS1_11target_archE908ELNS1_3gpuE7ELNS1_3repE0EEENS1_30default_config_static_selectorELNS0_4arch9wavefront6targetE1EEEvT1_.kd
    .uniform_work_group_size: 1
    .uses_dynamic_stack: false
    .vgpr_count:     0
    .vgpr_spill_count: 0
    .wavefront_size: 64
  - .args:
      - .offset:         0
        .size:           128
        .value_kind:     by_value
    .group_segment_fixed_size: 14344
    .kernarg_segment_align: 8
    .kernarg_segment_size: 128
    .language:       OpenCL C
    .language_version:
      - 2
      - 0
    .max_flat_workgroup_size: 256
    .name:           _ZN7rocprim17ROCPRIM_400000_NS6detail17trampoline_kernelINS0_14default_configENS1_25partition_config_selectorILNS1_17partition_subalgoE8EdNS0_10empty_typeEbEEZZNS1_14partition_implILS5_8ELb0ES3_jN6thrust23THRUST_200600_302600_NS6detail15normal_iteratorINSA_10device_ptrIdEEEEPS6_PKS6_NS0_5tupleIJSF_S6_EEENSJ_IJSG_SG_EEENS0_18inequality_wrapperINSA_8equal_toIdEEEEPmJS6_EEE10hipError_tPvRmT3_T4_T5_T6_T7_T9_mT8_P12ihipStream_tbDpT10_ENKUlT_T0_E_clISt17integral_constantIbLb0EES19_IbLb1EEEEDaS15_S16_EUlS15_E_NS1_11comp_targetILNS1_3genE2ELNS1_11target_archE906ELNS1_3gpuE6ELNS1_3repE0EEENS1_30default_config_static_selectorELNS0_4arch9wavefront6targetE1EEEvT1_
    .private_segment_fixed_size: 0
    .sgpr_count:     43
    .sgpr_spill_count: 0
    .symbol:         _ZN7rocprim17ROCPRIM_400000_NS6detail17trampoline_kernelINS0_14default_configENS1_25partition_config_selectorILNS1_17partition_subalgoE8EdNS0_10empty_typeEbEEZZNS1_14partition_implILS5_8ELb0ES3_jN6thrust23THRUST_200600_302600_NS6detail15normal_iteratorINSA_10device_ptrIdEEEEPS6_PKS6_NS0_5tupleIJSF_S6_EEENSJ_IJSG_SG_EEENS0_18inequality_wrapperINSA_8equal_toIdEEEEPmJS6_EEE10hipError_tPvRmT3_T4_T5_T6_T7_T9_mT8_P12ihipStream_tbDpT10_ENKUlT_T0_E_clISt17integral_constantIbLb0EES19_IbLb1EEEEDaS15_S16_EUlS15_E_NS1_11comp_targetILNS1_3genE2ELNS1_11target_archE906ELNS1_3gpuE6ELNS1_3repE0EEENS1_30default_config_static_selectorELNS0_4arch9wavefront6targetE1EEEvT1_.kd
    .uniform_work_group_size: 1
    .uses_dynamic_stack: false
    .vgpr_count:     60
    .vgpr_spill_count: 0
    .wavefront_size: 64
  - .args:
      - .offset:         0
        .size:           128
        .value_kind:     by_value
    .group_segment_fixed_size: 0
    .kernarg_segment_align: 8
    .kernarg_segment_size: 128
    .language:       OpenCL C
    .language_version:
      - 2
      - 0
    .max_flat_workgroup_size: 384
    .name:           _ZN7rocprim17ROCPRIM_400000_NS6detail17trampoline_kernelINS0_14default_configENS1_25partition_config_selectorILNS1_17partition_subalgoE8EdNS0_10empty_typeEbEEZZNS1_14partition_implILS5_8ELb0ES3_jN6thrust23THRUST_200600_302600_NS6detail15normal_iteratorINSA_10device_ptrIdEEEEPS6_PKS6_NS0_5tupleIJSF_S6_EEENSJ_IJSG_SG_EEENS0_18inequality_wrapperINSA_8equal_toIdEEEEPmJS6_EEE10hipError_tPvRmT3_T4_T5_T6_T7_T9_mT8_P12ihipStream_tbDpT10_ENKUlT_T0_E_clISt17integral_constantIbLb0EES19_IbLb1EEEEDaS15_S16_EUlS15_E_NS1_11comp_targetILNS1_3genE10ELNS1_11target_archE1200ELNS1_3gpuE4ELNS1_3repE0EEENS1_30default_config_static_selectorELNS0_4arch9wavefront6targetE1EEEvT1_
    .private_segment_fixed_size: 0
    .sgpr_count:     4
    .sgpr_spill_count: 0
    .symbol:         _ZN7rocprim17ROCPRIM_400000_NS6detail17trampoline_kernelINS0_14default_configENS1_25partition_config_selectorILNS1_17partition_subalgoE8EdNS0_10empty_typeEbEEZZNS1_14partition_implILS5_8ELb0ES3_jN6thrust23THRUST_200600_302600_NS6detail15normal_iteratorINSA_10device_ptrIdEEEEPS6_PKS6_NS0_5tupleIJSF_S6_EEENSJ_IJSG_SG_EEENS0_18inequality_wrapperINSA_8equal_toIdEEEEPmJS6_EEE10hipError_tPvRmT3_T4_T5_T6_T7_T9_mT8_P12ihipStream_tbDpT10_ENKUlT_T0_E_clISt17integral_constantIbLb0EES19_IbLb1EEEEDaS15_S16_EUlS15_E_NS1_11comp_targetILNS1_3genE10ELNS1_11target_archE1200ELNS1_3gpuE4ELNS1_3repE0EEENS1_30default_config_static_selectorELNS0_4arch9wavefront6targetE1EEEvT1_.kd
    .uniform_work_group_size: 1
    .uses_dynamic_stack: false
    .vgpr_count:     0
    .vgpr_spill_count: 0
    .wavefront_size: 64
  - .args:
      - .offset:         0
        .size:           128
        .value_kind:     by_value
    .group_segment_fixed_size: 0
    .kernarg_segment_align: 8
    .kernarg_segment_size: 128
    .language:       OpenCL C
    .language_version:
      - 2
      - 0
    .max_flat_workgroup_size: 512
    .name:           _ZN7rocprim17ROCPRIM_400000_NS6detail17trampoline_kernelINS0_14default_configENS1_25partition_config_selectorILNS1_17partition_subalgoE8EdNS0_10empty_typeEbEEZZNS1_14partition_implILS5_8ELb0ES3_jN6thrust23THRUST_200600_302600_NS6detail15normal_iteratorINSA_10device_ptrIdEEEEPS6_PKS6_NS0_5tupleIJSF_S6_EEENSJ_IJSG_SG_EEENS0_18inequality_wrapperINSA_8equal_toIdEEEEPmJS6_EEE10hipError_tPvRmT3_T4_T5_T6_T7_T9_mT8_P12ihipStream_tbDpT10_ENKUlT_T0_E_clISt17integral_constantIbLb0EES19_IbLb1EEEEDaS15_S16_EUlS15_E_NS1_11comp_targetILNS1_3genE9ELNS1_11target_archE1100ELNS1_3gpuE3ELNS1_3repE0EEENS1_30default_config_static_selectorELNS0_4arch9wavefront6targetE1EEEvT1_
    .private_segment_fixed_size: 0
    .sgpr_count:     4
    .sgpr_spill_count: 0
    .symbol:         _ZN7rocprim17ROCPRIM_400000_NS6detail17trampoline_kernelINS0_14default_configENS1_25partition_config_selectorILNS1_17partition_subalgoE8EdNS0_10empty_typeEbEEZZNS1_14partition_implILS5_8ELb0ES3_jN6thrust23THRUST_200600_302600_NS6detail15normal_iteratorINSA_10device_ptrIdEEEEPS6_PKS6_NS0_5tupleIJSF_S6_EEENSJ_IJSG_SG_EEENS0_18inequality_wrapperINSA_8equal_toIdEEEEPmJS6_EEE10hipError_tPvRmT3_T4_T5_T6_T7_T9_mT8_P12ihipStream_tbDpT10_ENKUlT_T0_E_clISt17integral_constantIbLb0EES19_IbLb1EEEEDaS15_S16_EUlS15_E_NS1_11comp_targetILNS1_3genE9ELNS1_11target_archE1100ELNS1_3gpuE3ELNS1_3repE0EEENS1_30default_config_static_selectorELNS0_4arch9wavefront6targetE1EEEvT1_.kd
    .uniform_work_group_size: 1
    .uses_dynamic_stack: false
    .vgpr_count:     0
    .vgpr_spill_count: 0
    .wavefront_size: 64
  - .args:
      - .offset:         0
        .size:           128
        .value_kind:     by_value
    .group_segment_fixed_size: 0
    .kernarg_segment_align: 8
    .kernarg_segment_size: 128
    .language:       OpenCL C
    .language_version:
      - 2
      - 0
    .max_flat_workgroup_size: 512
    .name:           _ZN7rocprim17ROCPRIM_400000_NS6detail17trampoline_kernelINS0_14default_configENS1_25partition_config_selectorILNS1_17partition_subalgoE8EdNS0_10empty_typeEbEEZZNS1_14partition_implILS5_8ELb0ES3_jN6thrust23THRUST_200600_302600_NS6detail15normal_iteratorINSA_10device_ptrIdEEEEPS6_PKS6_NS0_5tupleIJSF_S6_EEENSJ_IJSG_SG_EEENS0_18inequality_wrapperINSA_8equal_toIdEEEEPmJS6_EEE10hipError_tPvRmT3_T4_T5_T6_T7_T9_mT8_P12ihipStream_tbDpT10_ENKUlT_T0_E_clISt17integral_constantIbLb0EES19_IbLb1EEEEDaS15_S16_EUlS15_E_NS1_11comp_targetILNS1_3genE8ELNS1_11target_archE1030ELNS1_3gpuE2ELNS1_3repE0EEENS1_30default_config_static_selectorELNS0_4arch9wavefront6targetE1EEEvT1_
    .private_segment_fixed_size: 0
    .sgpr_count:     4
    .sgpr_spill_count: 0
    .symbol:         _ZN7rocprim17ROCPRIM_400000_NS6detail17trampoline_kernelINS0_14default_configENS1_25partition_config_selectorILNS1_17partition_subalgoE8EdNS0_10empty_typeEbEEZZNS1_14partition_implILS5_8ELb0ES3_jN6thrust23THRUST_200600_302600_NS6detail15normal_iteratorINSA_10device_ptrIdEEEEPS6_PKS6_NS0_5tupleIJSF_S6_EEENSJ_IJSG_SG_EEENS0_18inequality_wrapperINSA_8equal_toIdEEEEPmJS6_EEE10hipError_tPvRmT3_T4_T5_T6_T7_T9_mT8_P12ihipStream_tbDpT10_ENKUlT_T0_E_clISt17integral_constantIbLb0EES19_IbLb1EEEEDaS15_S16_EUlS15_E_NS1_11comp_targetILNS1_3genE8ELNS1_11target_archE1030ELNS1_3gpuE2ELNS1_3repE0EEENS1_30default_config_static_selectorELNS0_4arch9wavefront6targetE1EEEvT1_.kd
    .uniform_work_group_size: 1
    .uses_dynamic_stack: false
    .vgpr_count:     0
    .vgpr_spill_count: 0
    .wavefront_size: 64
  - .args:
      - .offset:         0
        .size:           112
        .value_kind:     by_value
    .group_segment_fixed_size: 0
    .kernarg_segment_align: 8
    .kernarg_segment_size: 112
    .language:       OpenCL C
    .language_version:
      - 2
      - 0
    .max_flat_workgroup_size: 512
    .name:           _ZN7rocprim17ROCPRIM_400000_NS6detail17trampoline_kernelINS0_14default_configENS1_25partition_config_selectorILNS1_17partition_subalgoE8EdNS0_10empty_typeEbEEZZNS1_14partition_implILS5_8ELb0ES3_jN6thrust23THRUST_200600_302600_NS6detail15normal_iteratorINSA_10device_ptrIdEEEEPS6_PKS6_NS0_5tupleIJSF_S6_EEENSJ_IJSG_SG_EEENS0_18inequality_wrapperI22is_equal_div_10_uniqueIdEEEPmJS6_EEE10hipError_tPvRmT3_T4_T5_T6_T7_T9_mT8_P12ihipStream_tbDpT10_ENKUlT_T0_E_clISt17integral_constantIbLb0EES1A_EEDaS15_S16_EUlS15_E_NS1_11comp_targetILNS1_3genE0ELNS1_11target_archE4294967295ELNS1_3gpuE0ELNS1_3repE0EEENS1_30default_config_static_selectorELNS0_4arch9wavefront6targetE1EEEvT1_
    .private_segment_fixed_size: 0
    .sgpr_count:     4
    .sgpr_spill_count: 0
    .symbol:         _ZN7rocprim17ROCPRIM_400000_NS6detail17trampoline_kernelINS0_14default_configENS1_25partition_config_selectorILNS1_17partition_subalgoE8EdNS0_10empty_typeEbEEZZNS1_14partition_implILS5_8ELb0ES3_jN6thrust23THRUST_200600_302600_NS6detail15normal_iteratorINSA_10device_ptrIdEEEEPS6_PKS6_NS0_5tupleIJSF_S6_EEENSJ_IJSG_SG_EEENS0_18inequality_wrapperI22is_equal_div_10_uniqueIdEEEPmJS6_EEE10hipError_tPvRmT3_T4_T5_T6_T7_T9_mT8_P12ihipStream_tbDpT10_ENKUlT_T0_E_clISt17integral_constantIbLb0EES1A_EEDaS15_S16_EUlS15_E_NS1_11comp_targetILNS1_3genE0ELNS1_11target_archE4294967295ELNS1_3gpuE0ELNS1_3repE0EEENS1_30default_config_static_selectorELNS0_4arch9wavefront6targetE1EEEvT1_.kd
    .uniform_work_group_size: 1
    .uses_dynamic_stack: false
    .vgpr_count:     0
    .vgpr_spill_count: 0
    .wavefront_size: 64
  - .args:
      - .offset:         0
        .size:           112
        .value_kind:     by_value
    .group_segment_fixed_size: 0
    .kernarg_segment_align: 8
    .kernarg_segment_size: 112
    .language:       OpenCL C
    .language_version:
      - 2
      - 0
    .max_flat_workgroup_size: 512
    .name:           _ZN7rocprim17ROCPRIM_400000_NS6detail17trampoline_kernelINS0_14default_configENS1_25partition_config_selectorILNS1_17partition_subalgoE8EdNS0_10empty_typeEbEEZZNS1_14partition_implILS5_8ELb0ES3_jN6thrust23THRUST_200600_302600_NS6detail15normal_iteratorINSA_10device_ptrIdEEEEPS6_PKS6_NS0_5tupleIJSF_S6_EEENSJ_IJSG_SG_EEENS0_18inequality_wrapperI22is_equal_div_10_uniqueIdEEEPmJS6_EEE10hipError_tPvRmT3_T4_T5_T6_T7_T9_mT8_P12ihipStream_tbDpT10_ENKUlT_T0_E_clISt17integral_constantIbLb0EES1A_EEDaS15_S16_EUlS15_E_NS1_11comp_targetILNS1_3genE5ELNS1_11target_archE942ELNS1_3gpuE9ELNS1_3repE0EEENS1_30default_config_static_selectorELNS0_4arch9wavefront6targetE1EEEvT1_
    .private_segment_fixed_size: 0
    .sgpr_count:     4
    .sgpr_spill_count: 0
    .symbol:         _ZN7rocprim17ROCPRIM_400000_NS6detail17trampoline_kernelINS0_14default_configENS1_25partition_config_selectorILNS1_17partition_subalgoE8EdNS0_10empty_typeEbEEZZNS1_14partition_implILS5_8ELb0ES3_jN6thrust23THRUST_200600_302600_NS6detail15normal_iteratorINSA_10device_ptrIdEEEEPS6_PKS6_NS0_5tupleIJSF_S6_EEENSJ_IJSG_SG_EEENS0_18inequality_wrapperI22is_equal_div_10_uniqueIdEEEPmJS6_EEE10hipError_tPvRmT3_T4_T5_T6_T7_T9_mT8_P12ihipStream_tbDpT10_ENKUlT_T0_E_clISt17integral_constantIbLb0EES1A_EEDaS15_S16_EUlS15_E_NS1_11comp_targetILNS1_3genE5ELNS1_11target_archE942ELNS1_3gpuE9ELNS1_3repE0EEENS1_30default_config_static_selectorELNS0_4arch9wavefront6targetE1EEEvT1_.kd
    .uniform_work_group_size: 1
    .uses_dynamic_stack: false
    .vgpr_count:     0
    .vgpr_spill_count: 0
    .wavefront_size: 64
  - .args:
      - .offset:         0
        .size:           112
        .value_kind:     by_value
    .group_segment_fixed_size: 0
    .kernarg_segment_align: 8
    .kernarg_segment_size: 112
    .language:       OpenCL C
    .language_version:
      - 2
      - 0
    .max_flat_workgroup_size: 256
    .name:           _ZN7rocprim17ROCPRIM_400000_NS6detail17trampoline_kernelINS0_14default_configENS1_25partition_config_selectorILNS1_17partition_subalgoE8EdNS0_10empty_typeEbEEZZNS1_14partition_implILS5_8ELb0ES3_jN6thrust23THRUST_200600_302600_NS6detail15normal_iteratorINSA_10device_ptrIdEEEEPS6_PKS6_NS0_5tupleIJSF_S6_EEENSJ_IJSG_SG_EEENS0_18inequality_wrapperI22is_equal_div_10_uniqueIdEEEPmJS6_EEE10hipError_tPvRmT3_T4_T5_T6_T7_T9_mT8_P12ihipStream_tbDpT10_ENKUlT_T0_E_clISt17integral_constantIbLb0EES1A_EEDaS15_S16_EUlS15_E_NS1_11comp_targetILNS1_3genE4ELNS1_11target_archE910ELNS1_3gpuE8ELNS1_3repE0EEENS1_30default_config_static_selectorELNS0_4arch9wavefront6targetE1EEEvT1_
    .private_segment_fixed_size: 0
    .sgpr_count:     4
    .sgpr_spill_count: 0
    .symbol:         _ZN7rocprim17ROCPRIM_400000_NS6detail17trampoline_kernelINS0_14default_configENS1_25partition_config_selectorILNS1_17partition_subalgoE8EdNS0_10empty_typeEbEEZZNS1_14partition_implILS5_8ELb0ES3_jN6thrust23THRUST_200600_302600_NS6detail15normal_iteratorINSA_10device_ptrIdEEEEPS6_PKS6_NS0_5tupleIJSF_S6_EEENSJ_IJSG_SG_EEENS0_18inequality_wrapperI22is_equal_div_10_uniqueIdEEEPmJS6_EEE10hipError_tPvRmT3_T4_T5_T6_T7_T9_mT8_P12ihipStream_tbDpT10_ENKUlT_T0_E_clISt17integral_constantIbLb0EES1A_EEDaS15_S16_EUlS15_E_NS1_11comp_targetILNS1_3genE4ELNS1_11target_archE910ELNS1_3gpuE8ELNS1_3repE0EEENS1_30default_config_static_selectorELNS0_4arch9wavefront6targetE1EEEvT1_.kd
    .uniform_work_group_size: 1
    .uses_dynamic_stack: false
    .vgpr_count:     0
    .vgpr_spill_count: 0
    .wavefront_size: 64
  - .args:
      - .offset:         0
        .size:           112
        .value_kind:     by_value
    .group_segment_fixed_size: 0
    .kernarg_segment_align: 8
    .kernarg_segment_size: 112
    .language:       OpenCL C
    .language_version:
      - 2
      - 0
    .max_flat_workgroup_size: 512
    .name:           _ZN7rocprim17ROCPRIM_400000_NS6detail17trampoline_kernelINS0_14default_configENS1_25partition_config_selectorILNS1_17partition_subalgoE8EdNS0_10empty_typeEbEEZZNS1_14partition_implILS5_8ELb0ES3_jN6thrust23THRUST_200600_302600_NS6detail15normal_iteratorINSA_10device_ptrIdEEEEPS6_PKS6_NS0_5tupleIJSF_S6_EEENSJ_IJSG_SG_EEENS0_18inequality_wrapperI22is_equal_div_10_uniqueIdEEEPmJS6_EEE10hipError_tPvRmT3_T4_T5_T6_T7_T9_mT8_P12ihipStream_tbDpT10_ENKUlT_T0_E_clISt17integral_constantIbLb0EES1A_EEDaS15_S16_EUlS15_E_NS1_11comp_targetILNS1_3genE3ELNS1_11target_archE908ELNS1_3gpuE7ELNS1_3repE0EEENS1_30default_config_static_selectorELNS0_4arch9wavefront6targetE1EEEvT1_
    .private_segment_fixed_size: 0
    .sgpr_count:     4
    .sgpr_spill_count: 0
    .symbol:         _ZN7rocprim17ROCPRIM_400000_NS6detail17trampoline_kernelINS0_14default_configENS1_25partition_config_selectorILNS1_17partition_subalgoE8EdNS0_10empty_typeEbEEZZNS1_14partition_implILS5_8ELb0ES3_jN6thrust23THRUST_200600_302600_NS6detail15normal_iteratorINSA_10device_ptrIdEEEEPS6_PKS6_NS0_5tupleIJSF_S6_EEENSJ_IJSG_SG_EEENS0_18inequality_wrapperI22is_equal_div_10_uniqueIdEEEPmJS6_EEE10hipError_tPvRmT3_T4_T5_T6_T7_T9_mT8_P12ihipStream_tbDpT10_ENKUlT_T0_E_clISt17integral_constantIbLb0EES1A_EEDaS15_S16_EUlS15_E_NS1_11comp_targetILNS1_3genE3ELNS1_11target_archE908ELNS1_3gpuE7ELNS1_3repE0EEENS1_30default_config_static_selectorELNS0_4arch9wavefront6targetE1EEEvT1_.kd
    .uniform_work_group_size: 1
    .uses_dynamic_stack: false
    .vgpr_count:     0
    .vgpr_spill_count: 0
    .wavefront_size: 64
  - .args:
      - .offset:         0
        .size:           112
        .value_kind:     by_value
    .group_segment_fixed_size: 14344
    .kernarg_segment_align: 8
    .kernarg_segment_size: 112
    .language:       OpenCL C
    .language_version:
      - 2
      - 0
    .max_flat_workgroup_size: 256
    .name:           _ZN7rocprim17ROCPRIM_400000_NS6detail17trampoline_kernelINS0_14default_configENS1_25partition_config_selectorILNS1_17partition_subalgoE8EdNS0_10empty_typeEbEEZZNS1_14partition_implILS5_8ELb0ES3_jN6thrust23THRUST_200600_302600_NS6detail15normal_iteratorINSA_10device_ptrIdEEEEPS6_PKS6_NS0_5tupleIJSF_S6_EEENSJ_IJSG_SG_EEENS0_18inequality_wrapperI22is_equal_div_10_uniqueIdEEEPmJS6_EEE10hipError_tPvRmT3_T4_T5_T6_T7_T9_mT8_P12ihipStream_tbDpT10_ENKUlT_T0_E_clISt17integral_constantIbLb0EES1A_EEDaS15_S16_EUlS15_E_NS1_11comp_targetILNS1_3genE2ELNS1_11target_archE906ELNS1_3gpuE6ELNS1_3repE0EEENS1_30default_config_static_selectorELNS0_4arch9wavefront6targetE1EEEvT1_
    .private_segment_fixed_size: 0
    .sgpr_count:     44
    .sgpr_spill_count: 0
    .symbol:         _ZN7rocprim17ROCPRIM_400000_NS6detail17trampoline_kernelINS0_14default_configENS1_25partition_config_selectorILNS1_17partition_subalgoE8EdNS0_10empty_typeEbEEZZNS1_14partition_implILS5_8ELb0ES3_jN6thrust23THRUST_200600_302600_NS6detail15normal_iteratorINSA_10device_ptrIdEEEEPS6_PKS6_NS0_5tupleIJSF_S6_EEENSJ_IJSG_SG_EEENS0_18inequality_wrapperI22is_equal_div_10_uniqueIdEEEPmJS6_EEE10hipError_tPvRmT3_T4_T5_T6_T7_T9_mT8_P12ihipStream_tbDpT10_ENKUlT_T0_E_clISt17integral_constantIbLb0EES1A_EEDaS15_S16_EUlS15_E_NS1_11comp_targetILNS1_3genE2ELNS1_11target_archE906ELNS1_3gpuE6ELNS1_3repE0EEENS1_30default_config_static_selectorELNS0_4arch9wavefront6targetE1EEEvT1_.kd
    .uniform_work_group_size: 1
    .uses_dynamic_stack: false
    .vgpr_count:     58
    .vgpr_spill_count: 0
    .wavefront_size: 64
  - .args:
      - .offset:         0
        .size:           112
        .value_kind:     by_value
    .group_segment_fixed_size: 0
    .kernarg_segment_align: 8
    .kernarg_segment_size: 112
    .language:       OpenCL C
    .language_version:
      - 2
      - 0
    .max_flat_workgroup_size: 384
    .name:           _ZN7rocprim17ROCPRIM_400000_NS6detail17trampoline_kernelINS0_14default_configENS1_25partition_config_selectorILNS1_17partition_subalgoE8EdNS0_10empty_typeEbEEZZNS1_14partition_implILS5_8ELb0ES3_jN6thrust23THRUST_200600_302600_NS6detail15normal_iteratorINSA_10device_ptrIdEEEEPS6_PKS6_NS0_5tupleIJSF_S6_EEENSJ_IJSG_SG_EEENS0_18inequality_wrapperI22is_equal_div_10_uniqueIdEEEPmJS6_EEE10hipError_tPvRmT3_T4_T5_T6_T7_T9_mT8_P12ihipStream_tbDpT10_ENKUlT_T0_E_clISt17integral_constantIbLb0EES1A_EEDaS15_S16_EUlS15_E_NS1_11comp_targetILNS1_3genE10ELNS1_11target_archE1200ELNS1_3gpuE4ELNS1_3repE0EEENS1_30default_config_static_selectorELNS0_4arch9wavefront6targetE1EEEvT1_
    .private_segment_fixed_size: 0
    .sgpr_count:     4
    .sgpr_spill_count: 0
    .symbol:         _ZN7rocprim17ROCPRIM_400000_NS6detail17trampoline_kernelINS0_14default_configENS1_25partition_config_selectorILNS1_17partition_subalgoE8EdNS0_10empty_typeEbEEZZNS1_14partition_implILS5_8ELb0ES3_jN6thrust23THRUST_200600_302600_NS6detail15normal_iteratorINSA_10device_ptrIdEEEEPS6_PKS6_NS0_5tupleIJSF_S6_EEENSJ_IJSG_SG_EEENS0_18inequality_wrapperI22is_equal_div_10_uniqueIdEEEPmJS6_EEE10hipError_tPvRmT3_T4_T5_T6_T7_T9_mT8_P12ihipStream_tbDpT10_ENKUlT_T0_E_clISt17integral_constantIbLb0EES1A_EEDaS15_S16_EUlS15_E_NS1_11comp_targetILNS1_3genE10ELNS1_11target_archE1200ELNS1_3gpuE4ELNS1_3repE0EEENS1_30default_config_static_selectorELNS0_4arch9wavefront6targetE1EEEvT1_.kd
    .uniform_work_group_size: 1
    .uses_dynamic_stack: false
    .vgpr_count:     0
    .vgpr_spill_count: 0
    .wavefront_size: 64
  - .args:
      - .offset:         0
        .size:           112
        .value_kind:     by_value
    .group_segment_fixed_size: 0
    .kernarg_segment_align: 8
    .kernarg_segment_size: 112
    .language:       OpenCL C
    .language_version:
      - 2
      - 0
    .max_flat_workgroup_size: 512
    .name:           _ZN7rocprim17ROCPRIM_400000_NS6detail17trampoline_kernelINS0_14default_configENS1_25partition_config_selectorILNS1_17partition_subalgoE8EdNS0_10empty_typeEbEEZZNS1_14partition_implILS5_8ELb0ES3_jN6thrust23THRUST_200600_302600_NS6detail15normal_iteratorINSA_10device_ptrIdEEEEPS6_PKS6_NS0_5tupleIJSF_S6_EEENSJ_IJSG_SG_EEENS0_18inequality_wrapperI22is_equal_div_10_uniqueIdEEEPmJS6_EEE10hipError_tPvRmT3_T4_T5_T6_T7_T9_mT8_P12ihipStream_tbDpT10_ENKUlT_T0_E_clISt17integral_constantIbLb0EES1A_EEDaS15_S16_EUlS15_E_NS1_11comp_targetILNS1_3genE9ELNS1_11target_archE1100ELNS1_3gpuE3ELNS1_3repE0EEENS1_30default_config_static_selectorELNS0_4arch9wavefront6targetE1EEEvT1_
    .private_segment_fixed_size: 0
    .sgpr_count:     4
    .sgpr_spill_count: 0
    .symbol:         _ZN7rocprim17ROCPRIM_400000_NS6detail17trampoline_kernelINS0_14default_configENS1_25partition_config_selectorILNS1_17partition_subalgoE8EdNS0_10empty_typeEbEEZZNS1_14partition_implILS5_8ELb0ES3_jN6thrust23THRUST_200600_302600_NS6detail15normal_iteratorINSA_10device_ptrIdEEEEPS6_PKS6_NS0_5tupleIJSF_S6_EEENSJ_IJSG_SG_EEENS0_18inequality_wrapperI22is_equal_div_10_uniqueIdEEEPmJS6_EEE10hipError_tPvRmT3_T4_T5_T6_T7_T9_mT8_P12ihipStream_tbDpT10_ENKUlT_T0_E_clISt17integral_constantIbLb0EES1A_EEDaS15_S16_EUlS15_E_NS1_11comp_targetILNS1_3genE9ELNS1_11target_archE1100ELNS1_3gpuE3ELNS1_3repE0EEENS1_30default_config_static_selectorELNS0_4arch9wavefront6targetE1EEEvT1_.kd
    .uniform_work_group_size: 1
    .uses_dynamic_stack: false
    .vgpr_count:     0
    .vgpr_spill_count: 0
    .wavefront_size: 64
  - .args:
      - .offset:         0
        .size:           112
        .value_kind:     by_value
    .group_segment_fixed_size: 0
    .kernarg_segment_align: 8
    .kernarg_segment_size: 112
    .language:       OpenCL C
    .language_version:
      - 2
      - 0
    .max_flat_workgroup_size: 512
    .name:           _ZN7rocprim17ROCPRIM_400000_NS6detail17trampoline_kernelINS0_14default_configENS1_25partition_config_selectorILNS1_17partition_subalgoE8EdNS0_10empty_typeEbEEZZNS1_14partition_implILS5_8ELb0ES3_jN6thrust23THRUST_200600_302600_NS6detail15normal_iteratorINSA_10device_ptrIdEEEEPS6_PKS6_NS0_5tupleIJSF_S6_EEENSJ_IJSG_SG_EEENS0_18inequality_wrapperI22is_equal_div_10_uniqueIdEEEPmJS6_EEE10hipError_tPvRmT3_T4_T5_T6_T7_T9_mT8_P12ihipStream_tbDpT10_ENKUlT_T0_E_clISt17integral_constantIbLb0EES1A_EEDaS15_S16_EUlS15_E_NS1_11comp_targetILNS1_3genE8ELNS1_11target_archE1030ELNS1_3gpuE2ELNS1_3repE0EEENS1_30default_config_static_selectorELNS0_4arch9wavefront6targetE1EEEvT1_
    .private_segment_fixed_size: 0
    .sgpr_count:     4
    .sgpr_spill_count: 0
    .symbol:         _ZN7rocprim17ROCPRIM_400000_NS6detail17trampoline_kernelINS0_14default_configENS1_25partition_config_selectorILNS1_17partition_subalgoE8EdNS0_10empty_typeEbEEZZNS1_14partition_implILS5_8ELb0ES3_jN6thrust23THRUST_200600_302600_NS6detail15normal_iteratorINSA_10device_ptrIdEEEEPS6_PKS6_NS0_5tupleIJSF_S6_EEENSJ_IJSG_SG_EEENS0_18inequality_wrapperI22is_equal_div_10_uniqueIdEEEPmJS6_EEE10hipError_tPvRmT3_T4_T5_T6_T7_T9_mT8_P12ihipStream_tbDpT10_ENKUlT_T0_E_clISt17integral_constantIbLb0EES1A_EEDaS15_S16_EUlS15_E_NS1_11comp_targetILNS1_3genE8ELNS1_11target_archE1030ELNS1_3gpuE2ELNS1_3repE0EEENS1_30default_config_static_selectorELNS0_4arch9wavefront6targetE1EEEvT1_.kd
    .uniform_work_group_size: 1
    .uses_dynamic_stack: false
    .vgpr_count:     0
    .vgpr_spill_count: 0
    .wavefront_size: 64
  - .args:
      - .offset:         0
        .size:           128
        .value_kind:     by_value
    .group_segment_fixed_size: 0
    .kernarg_segment_align: 8
    .kernarg_segment_size: 128
    .language:       OpenCL C
    .language_version:
      - 2
      - 0
    .max_flat_workgroup_size: 512
    .name:           _ZN7rocprim17ROCPRIM_400000_NS6detail17trampoline_kernelINS0_14default_configENS1_25partition_config_selectorILNS1_17partition_subalgoE8EdNS0_10empty_typeEbEEZZNS1_14partition_implILS5_8ELb0ES3_jN6thrust23THRUST_200600_302600_NS6detail15normal_iteratorINSA_10device_ptrIdEEEEPS6_PKS6_NS0_5tupleIJSF_S6_EEENSJ_IJSG_SG_EEENS0_18inequality_wrapperI22is_equal_div_10_uniqueIdEEEPmJS6_EEE10hipError_tPvRmT3_T4_T5_T6_T7_T9_mT8_P12ihipStream_tbDpT10_ENKUlT_T0_E_clISt17integral_constantIbLb1EES1A_EEDaS15_S16_EUlS15_E_NS1_11comp_targetILNS1_3genE0ELNS1_11target_archE4294967295ELNS1_3gpuE0ELNS1_3repE0EEENS1_30default_config_static_selectorELNS0_4arch9wavefront6targetE1EEEvT1_
    .private_segment_fixed_size: 0
    .sgpr_count:     4
    .sgpr_spill_count: 0
    .symbol:         _ZN7rocprim17ROCPRIM_400000_NS6detail17trampoline_kernelINS0_14default_configENS1_25partition_config_selectorILNS1_17partition_subalgoE8EdNS0_10empty_typeEbEEZZNS1_14partition_implILS5_8ELb0ES3_jN6thrust23THRUST_200600_302600_NS6detail15normal_iteratorINSA_10device_ptrIdEEEEPS6_PKS6_NS0_5tupleIJSF_S6_EEENSJ_IJSG_SG_EEENS0_18inequality_wrapperI22is_equal_div_10_uniqueIdEEEPmJS6_EEE10hipError_tPvRmT3_T4_T5_T6_T7_T9_mT8_P12ihipStream_tbDpT10_ENKUlT_T0_E_clISt17integral_constantIbLb1EES1A_EEDaS15_S16_EUlS15_E_NS1_11comp_targetILNS1_3genE0ELNS1_11target_archE4294967295ELNS1_3gpuE0ELNS1_3repE0EEENS1_30default_config_static_selectorELNS0_4arch9wavefront6targetE1EEEvT1_.kd
    .uniform_work_group_size: 1
    .uses_dynamic_stack: false
    .vgpr_count:     0
    .vgpr_spill_count: 0
    .wavefront_size: 64
  - .args:
      - .offset:         0
        .size:           128
        .value_kind:     by_value
    .group_segment_fixed_size: 0
    .kernarg_segment_align: 8
    .kernarg_segment_size: 128
    .language:       OpenCL C
    .language_version:
      - 2
      - 0
    .max_flat_workgroup_size: 512
    .name:           _ZN7rocprim17ROCPRIM_400000_NS6detail17trampoline_kernelINS0_14default_configENS1_25partition_config_selectorILNS1_17partition_subalgoE8EdNS0_10empty_typeEbEEZZNS1_14partition_implILS5_8ELb0ES3_jN6thrust23THRUST_200600_302600_NS6detail15normal_iteratorINSA_10device_ptrIdEEEEPS6_PKS6_NS0_5tupleIJSF_S6_EEENSJ_IJSG_SG_EEENS0_18inequality_wrapperI22is_equal_div_10_uniqueIdEEEPmJS6_EEE10hipError_tPvRmT3_T4_T5_T6_T7_T9_mT8_P12ihipStream_tbDpT10_ENKUlT_T0_E_clISt17integral_constantIbLb1EES1A_EEDaS15_S16_EUlS15_E_NS1_11comp_targetILNS1_3genE5ELNS1_11target_archE942ELNS1_3gpuE9ELNS1_3repE0EEENS1_30default_config_static_selectorELNS0_4arch9wavefront6targetE1EEEvT1_
    .private_segment_fixed_size: 0
    .sgpr_count:     4
    .sgpr_spill_count: 0
    .symbol:         _ZN7rocprim17ROCPRIM_400000_NS6detail17trampoline_kernelINS0_14default_configENS1_25partition_config_selectorILNS1_17partition_subalgoE8EdNS0_10empty_typeEbEEZZNS1_14partition_implILS5_8ELb0ES3_jN6thrust23THRUST_200600_302600_NS6detail15normal_iteratorINSA_10device_ptrIdEEEEPS6_PKS6_NS0_5tupleIJSF_S6_EEENSJ_IJSG_SG_EEENS0_18inequality_wrapperI22is_equal_div_10_uniqueIdEEEPmJS6_EEE10hipError_tPvRmT3_T4_T5_T6_T7_T9_mT8_P12ihipStream_tbDpT10_ENKUlT_T0_E_clISt17integral_constantIbLb1EES1A_EEDaS15_S16_EUlS15_E_NS1_11comp_targetILNS1_3genE5ELNS1_11target_archE942ELNS1_3gpuE9ELNS1_3repE0EEENS1_30default_config_static_selectorELNS0_4arch9wavefront6targetE1EEEvT1_.kd
    .uniform_work_group_size: 1
    .uses_dynamic_stack: false
    .vgpr_count:     0
    .vgpr_spill_count: 0
    .wavefront_size: 64
  - .args:
      - .offset:         0
        .size:           128
        .value_kind:     by_value
    .group_segment_fixed_size: 0
    .kernarg_segment_align: 8
    .kernarg_segment_size: 128
    .language:       OpenCL C
    .language_version:
      - 2
      - 0
    .max_flat_workgroup_size: 256
    .name:           _ZN7rocprim17ROCPRIM_400000_NS6detail17trampoline_kernelINS0_14default_configENS1_25partition_config_selectorILNS1_17partition_subalgoE8EdNS0_10empty_typeEbEEZZNS1_14partition_implILS5_8ELb0ES3_jN6thrust23THRUST_200600_302600_NS6detail15normal_iteratorINSA_10device_ptrIdEEEEPS6_PKS6_NS0_5tupleIJSF_S6_EEENSJ_IJSG_SG_EEENS0_18inequality_wrapperI22is_equal_div_10_uniqueIdEEEPmJS6_EEE10hipError_tPvRmT3_T4_T5_T6_T7_T9_mT8_P12ihipStream_tbDpT10_ENKUlT_T0_E_clISt17integral_constantIbLb1EES1A_EEDaS15_S16_EUlS15_E_NS1_11comp_targetILNS1_3genE4ELNS1_11target_archE910ELNS1_3gpuE8ELNS1_3repE0EEENS1_30default_config_static_selectorELNS0_4arch9wavefront6targetE1EEEvT1_
    .private_segment_fixed_size: 0
    .sgpr_count:     4
    .sgpr_spill_count: 0
    .symbol:         _ZN7rocprim17ROCPRIM_400000_NS6detail17trampoline_kernelINS0_14default_configENS1_25partition_config_selectorILNS1_17partition_subalgoE8EdNS0_10empty_typeEbEEZZNS1_14partition_implILS5_8ELb0ES3_jN6thrust23THRUST_200600_302600_NS6detail15normal_iteratorINSA_10device_ptrIdEEEEPS6_PKS6_NS0_5tupleIJSF_S6_EEENSJ_IJSG_SG_EEENS0_18inequality_wrapperI22is_equal_div_10_uniqueIdEEEPmJS6_EEE10hipError_tPvRmT3_T4_T5_T6_T7_T9_mT8_P12ihipStream_tbDpT10_ENKUlT_T0_E_clISt17integral_constantIbLb1EES1A_EEDaS15_S16_EUlS15_E_NS1_11comp_targetILNS1_3genE4ELNS1_11target_archE910ELNS1_3gpuE8ELNS1_3repE0EEENS1_30default_config_static_selectorELNS0_4arch9wavefront6targetE1EEEvT1_.kd
    .uniform_work_group_size: 1
    .uses_dynamic_stack: false
    .vgpr_count:     0
    .vgpr_spill_count: 0
    .wavefront_size: 64
  - .args:
      - .offset:         0
        .size:           128
        .value_kind:     by_value
    .group_segment_fixed_size: 0
    .kernarg_segment_align: 8
    .kernarg_segment_size: 128
    .language:       OpenCL C
    .language_version:
      - 2
      - 0
    .max_flat_workgroup_size: 512
    .name:           _ZN7rocprim17ROCPRIM_400000_NS6detail17trampoline_kernelINS0_14default_configENS1_25partition_config_selectorILNS1_17partition_subalgoE8EdNS0_10empty_typeEbEEZZNS1_14partition_implILS5_8ELb0ES3_jN6thrust23THRUST_200600_302600_NS6detail15normal_iteratorINSA_10device_ptrIdEEEEPS6_PKS6_NS0_5tupleIJSF_S6_EEENSJ_IJSG_SG_EEENS0_18inequality_wrapperI22is_equal_div_10_uniqueIdEEEPmJS6_EEE10hipError_tPvRmT3_T4_T5_T6_T7_T9_mT8_P12ihipStream_tbDpT10_ENKUlT_T0_E_clISt17integral_constantIbLb1EES1A_EEDaS15_S16_EUlS15_E_NS1_11comp_targetILNS1_3genE3ELNS1_11target_archE908ELNS1_3gpuE7ELNS1_3repE0EEENS1_30default_config_static_selectorELNS0_4arch9wavefront6targetE1EEEvT1_
    .private_segment_fixed_size: 0
    .sgpr_count:     4
    .sgpr_spill_count: 0
    .symbol:         _ZN7rocprim17ROCPRIM_400000_NS6detail17trampoline_kernelINS0_14default_configENS1_25partition_config_selectorILNS1_17partition_subalgoE8EdNS0_10empty_typeEbEEZZNS1_14partition_implILS5_8ELb0ES3_jN6thrust23THRUST_200600_302600_NS6detail15normal_iteratorINSA_10device_ptrIdEEEEPS6_PKS6_NS0_5tupleIJSF_S6_EEENSJ_IJSG_SG_EEENS0_18inequality_wrapperI22is_equal_div_10_uniqueIdEEEPmJS6_EEE10hipError_tPvRmT3_T4_T5_T6_T7_T9_mT8_P12ihipStream_tbDpT10_ENKUlT_T0_E_clISt17integral_constantIbLb1EES1A_EEDaS15_S16_EUlS15_E_NS1_11comp_targetILNS1_3genE3ELNS1_11target_archE908ELNS1_3gpuE7ELNS1_3repE0EEENS1_30default_config_static_selectorELNS0_4arch9wavefront6targetE1EEEvT1_.kd
    .uniform_work_group_size: 1
    .uses_dynamic_stack: false
    .vgpr_count:     0
    .vgpr_spill_count: 0
    .wavefront_size: 64
  - .args:
      - .offset:         0
        .size:           128
        .value_kind:     by_value
    .group_segment_fixed_size: 0
    .kernarg_segment_align: 8
    .kernarg_segment_size: 128
    .language:       OpenCL C
    .language_version:
      - 2
      - 0
    .max_flat_workgroup_size: 256
    .name:           _ZN7rocprim17ROCPRIM_400000_NS6detail17trampoline_kernelINS0_14default_configENS1_25partition_config_selectorILNS1_17partition_subalgoE8EdNS0_10empty_typeEbEEZZNS1_14partition_implILS5_8ELb0ES3_jN6thrust23THRUST_200600_302600_NS6detail15normal_iteratorINSA_10device_ptrIdEEEEPS6_PKS6_NS0_5tupleIJSF_S6_EEENSJ_IJSG_SG_EEENS0_18inequality_wrapperI22is_equal_div_10_uniqueIdEEEPmJS6_EEE10hipError_tPvRmT3_T4_T5_T6_T7_T9_mT8_P12ihipStream_tbDpT10_ENKUlT_T0_E_clISt17integral_constantIbLb1EES1A_EEDaS15_S16_EUlS15_E_NS1_11comp_targetILNS1_3genE2ELNS1_11target_archE906ELNS1_3gpuE6ELNS1_3repE0EEENS1_30default_config_static_selectorELNS0_4arch9wavefront6targetE1EEEvT1_
    .private_segment_fixed_size: 0
    .sgpr_count:     4
    .sgpr_spill_count: 0
    .symbol:         _ZN7rocprim17ROCPRIM_400000_NS6detail17trampoline_kernelINS0_14default_configENS1_25partition_config_selectorILNS1_17partition_subalgoE8EdNS0_10empty_typeEbEEZZNS1_14partition_implILS5_8ELb0ES3_jN6thrust23THRUST_200600_302600_NS6detail15normal_iteratorINSA_10device_ptrIdEEEEPS6_PKS6_NS0_5tupleIJSF_S6_EEENSJ_IJSG_SG_EEENS0_18inequality_wrapperI22is_equal_div_10_uniqueIdEEEPmJS6_EEE10hipError_tPvRmT3_T4_T5_T6_T7_T9_mT8_P12ihipStream_tbDpT10_ENKUlT_T0_E_clISt17integral_constantIbLb1EES1A_EEDaS15_S16_EUlS15_E_NS1_11comp_targetILNS1_3genE2ELNS1_11target_archE906ELNS1_3gpuE6ELNS1_3repE0EEENS1_30default_config_static_selectorELNS0_4arch9wavefront6targetE1EEEvT1_.kd
    .uniform_work_group_size: 1
    .uses_dynamic_stack: false
    .vgpr_count:     0
    .vgpr_spill_count: 0
    .wavefront_size: 64
  - .args:
      - .offset:         0
        .size:           128
        .value_kind:     by_value
    .group_segment_fixed_size: 0
    .kernarg_segment_align: 8
    .kernarg_segment_size: 128
    .language:       OpenCL C
    .language_version:
      - 2
      - 0
    .max_flat_workgroup_size: 384
    .name:           _ZN7rocprim17ROCPRIM_400000_NS6detail17trampoline_kernelINS0_14default_configENS1_25partition_config_selectorILNS1_17partition_subalgoE8EdNS0_10empty_typeEbEEZZNS1_14partition_implILS5_8ELb0ES3_jN6thrust23THRUST_200600_302600_NS6detail15normal_iteratorINSA_10device_ptrIdEEEEPS6_PKS6_NS0_5tupleIJSF_S6_EEENSJ_IJSG_SG_EEENS0_18inequality_wrapperI22is_equal_div_10_uniqueIdEEEPmJS6_EEE10hipError_tPvRmT3_T4_T5_T6_T7_T9_mT8_P12ihipStream_tbDpT10_ENKUlT_T0_E_clISt17integral_constantIbLb1EES1A_EEDaS15_S16_EUlS15_E_NS1_11comp_targetILNS1_3genE10ELNS1_11target_archE1200ELNS1_3gpuE4ELNS1_3repE0EEENS1_30default_config_static_selectorELNS0_4arch9wavefront6targetE1EEEvT1_
    .private_segment_fixed_size: 0
    .sgpr_count:     4
    .sgpr_spill_count: 0
    .symbol:         _ZN7rocprim17ROCPRIM_400000_NS6detail17trampoline_kernelINS0_14default_configENS1_25partition_config_selectorILNS1_17partition_subalgoE8EdNS0_10empty_typeEbEEZZNS1_14partition_implILS5_8ELb0ES3_jN6thrust23THRUST_200600_302600_NS6detail15normal_iteratorINSA_10device_ptrIdEEEEPS6_PKS6_NS0_5tupleIJSF_S6_EEENSJ_IJSG_SG_EEENS0_18inequality_wrapperI22is_equal_div_10_uniqueIdEEEPmJS6_EEE10hipError_tPvRmT3_T4_T5_T6_T7_T9_mT8_P12ihipStream_tbDpT10_ENKUlT_T0_E_clISt17integral_constantIbLb1EES1A_EEDaS15_S16_EUlS15_E_NS1_11comp_targetILNS1_3genE10ELNS1_11target_archE1200ELNS1_3gpuE4ELNS1_3repE0EEENS1_30default_config_static_selectorELNS0_4arch9wavefront6targetE1EEEvT1_.kd
    .uniform_work_group_size: 1
    .uses_dynamic_stack: false
    .vgpr_count:     0
    .vgpr_spill_count: 0
    .wavefront_size: 64
  - .args:
      - .offset:         0
        .size:           128
        .value_kind:     by_value
    .group_segment_fixed_size: 0
    .kernarg_segment_align: 8
    .kernarg_segment_size: 128
    .language:       OpenCL C
    .language_version:
      - 2
      - 0
    .max_flat_workgroup_size: 512
    .name:           _ZN7rocprim17ROCPRIM_400000_NS6detail17trampoline_kernelINS0_14default_configENS1_25partition_config_selectorILNS1_17partition_subalgoE8EdNS0_10empty_typeEbEEZZNS1_14partition_implILS5_8ELb0ES3_jN6thrust23THRUST_200600_302600_NS6detail15normal_iteratorINSA_10device_ptrIdEEEEPS6_PKS6_NS0_5tupleIJSF_S6_EEENSJ_IJSG_SG_EEENS0_18inequality_wrapperI22is_equal_div_10_uniqueIdEEEPmJS6_EEE10hipError_tPvRmT3_T4_T5_T6_T7_T9_mT8_P12ihipStream_tbDpT10_ENKUlT_T0_E_clISt17integral_constantIbLb1EES1A_EEDaS15_S16_EUlS15_E_NS1_11comp_targetILNS1_3genE9ELNS1_11target_archE1100ELNS1_3gpuE3ELNS1_3repE0EEENS1_30default_config_static_selectorELNS0_4arch9wavefront6targetE1EEEvT1_
    .private_segment_fixed_size: 0
    .sgpr_count:     4
    .sgpr_spill_count: 0
    .symbol:         _ZN7rocprim17ROCPRIM_400000_NS6detail17trampoline_kernelINS0_14default_configENS1_25partition_config_selectorILNS1_17partition_subalgoE8EdNS0_10empty_typeEbEEZZNS1_14partition_implILS5_8ELb0ES3_jN6thrust23THRUST_200600_302600_NS6detail15normal_iteratorINSA_10device_ptrIdEEEEPS6_PKS6_NS0_5tupleIJSF_S6_EEENSJ_IJSG_SG_EEENS0_18inequality_wrapperI22is_equal_div_10_uniqueIdEEEPmJS6_EEE10hipError_tPvRmT3_T4_T5_T6_T7_T9_mT8_P12ihipStream_tbDpT10_ENKUlT_T0_E_clISt17integral_constantIbLb1EES1A_EEDaS15_S16_EUlS15_E_NS1_11comp_targetILNS1_3genE9ELNS1_11target_archE1100ELNS1_3gpuE3ELNS1_3repE0EEENS1_30default_config_static_selectorELNS0_4arch9wavefront6targetE1EEEvT1_.kd
    .uniform_work_group_size: 1
    .uses_dynamic_stack: false
    .vgpr_count:     0
    .vgpr_spill_count: 0
    .wavefront_size: 64
  - .args:
      - .offset:         0
        .size:           128
        .value_kind:     by_value
    .group_segment_fixed_size: 0
    .kernarg_segment_align: 8
    .kernarg_segment_size: 128
    .language:       OpenCL C
    .language_version:
      - 2
      - 0
    .max_flat_workgroup_size: 512
    .name:           _ZN7rocprim17ROCPRIM_400000_NS6detail17trampoline_kernelINS0_14default_configENS1_25partition_config_selectorILNS1_17partition_subalgoE8EdNS0_10empty_typeEbEEZZNS1_14partition_implILS5_8ELb0ES3_jN6thrust23THRUST_200600_302600_NS6detail15normal_iteratorINSA_10device_ptrIdEEEEPS6_PKS6_NS0_5tupleIJSF_S6_EEENSJ_IJSG_SG_EEENS0_18inequality_wrapperI22is_equal_div_10_uniqueIdEEEPmJS6_EEE10hipError_tPvRmT3_T4_T5_T6_T7_T9_mT8_P12ihipStream_tbDpT10_ENKUlT_T0_E_clISt17integral_constantIbLb1EES1A_EEDaS15_S16_EUlS15_E_NS1_11comp_targetILNS1_3genE8ELNS1_11target_archE1030ELNS1_3gpuE2ELNS1_3repE0EEENS1_30default_config_static_selectorELNS0_4arch9wavefront6targetE1EEEvT1_
    .private_segment_fixed_size: 0
    .sgpr_count:     4
    .sgpr_spill_count: 0
    .symbol:         _ZN7rocprim17ROCPRIM_400000_NS6detail17trampoline_kernelINS0_14default_configENS1_25partition_config_selectorILNS1_17partition_subalgoE8EdNS0_10empty_typeEbEEZZNS1_14partition_implILS5_8ELb0ES3_jN6thrust23THRUST_200600_302600_NS6detail15normal_iteratorINSA_10device_ptrIdEEEEPS6_PKS6_NS0_5tupleIJSF_S6_EEENSJ_IJSG_SG_EEENS0_18inequality_wrapperI22is_equal_div_10_uniqueIdEEEPmJS6_EEE10hipError_tPvRmT3_T4_T5_T6_T7_T9_mT8_P12ihipStream_tbDpT10_ENKUlT_T0_E_clISt17integral_constantIbLb1EES1A_EEDaS15_S16_EUlS15_E_NS1_11comp_targetILNS1_3genE8ELNS1_11target_archE1030ELNS1_3gpuE2ELNS1_3repE0EEENS1_30default_config_static_selectorELNS0_4arch9wavefront6targetE1EEEvT1_.kd
    .uniform_work_group_size: 1
    .uses_dynamic_stack: false
    .vgpr_count:     0
    .vgpr_spill_count: 0
    .wavefront_size: 64
  - .args:
      - .offset:         0
        .size:           112
        .value_kind:     by_value
    .group_segment_fixed_size: 0
    .kernarg_segment_align: 8
    .kernarg_segment_size: 112
    .language:       OpenCL C
    .language_version:
      - 2
      - 0
    .max_flat_workgroup_size: 512
    .name:           _ZN7rocprim17ROCPRIM_400000_NS6detail17trampoline_kernelINS0_14default_configENS1_25partition_config_selectorILNS1_17partition_subalgoE8EdNS0_10empty_typeEbEEZZNS1_14partition_implILS5_8ELb0ES3_jN6thrust23THRUST_200600_302600_NS6detail15normal_iteratorINSA_10device_ptrIdEEEEPS6_PKS6_NS0_5tupleIJSF_S6_EEENSJ_IJSG_SG_EEENS0_18inequality_wrapperI22is_equal_div_10_uniqueIdEEEPmJS6_EEE10hipError_tPvRmT3_T4_T5_T6_T7_T9_mT8_P12ihipStream_tbDpT10_ENKUlT_T0_E_clISt17integral_constantIbLb1EES19_IbLb0EEEEDaS15_S16_EUlS15_E_NS1_11comp_targetILNS1_3genE0ELNS1_11target_archE4294967295ELNS1_3gpuE0ELNS1_3repE0EEENS1_30default_config_static_selectorELNS0_4arch9wavefront6targetE1EEEvT1_
    .private_segment_fixed_size: 0
    .sgpr_count:     4
    .sgpr_spill_count: 0
    .symbol:         _ZN7rocprim17ROCPRIM_400000_NS6detail17trampoline_kernelINS0_14default_configENS1_25partition_config_selectorILNS1_17partition_subalgoE8EdNS0_10empty_typeEbEEZZNS1_14partition_implILS5_8ELb0ES3_jN6thrust23THRUST_200600_302600_NS6detail15normal_iteratorINSA_10device_ptrIdEEEEPS6_PKS6_NS0_5tupleIJSF_S6_EEENSJ_IJSG_SG_EEENS0_18inequality_wrapperI22is_equal_div_10_uniqueIdEEEPmJS6_EEE10hipError_tPvRmT3_T4_T5_T6_T7_T9_mT8_P12ihipStream_tbDpT10_ENKUlT_T0_E_clISt17integral_constantIbLb1EES19_IbLb0EEEEDaS15_S16_EUlS15_E_NS1_11comp_targetILNS1_3genE0ELNS1_11target_archE4294967295ELNS1_3gpuE0ELNS1_3repE0EEENS1_30default_config_static_selectorELNS0_4arch9wavefront6targetE1EEEvT1_.kd
    .uniform_work_group_size: 1
    .uses_dynamic_stack: false
    .vgpr_count:     0
    .vgpr_spill_count: 0
    .wavefront_size: 64
  - .args:
      - .offset:         0
        .size:           112
        .value_kind:     by_value
    .group_segment_fixed_size: 0
    .kernarg_segment_align: 8
    .kernarg_segment_size: 112
    .language:       OpenCL C
    .language_version:
      - 2
      - 0
    .max_flat_workgroup_size: 512
    .name:           _ZN7rocprim17ROCPRIM_400000_NS6detail17trampoline_kernelINS0_14default_configENS1_25partition_config_selectorILNS1_17partition_subalgoE8EdNS0_10empty_typeEbEEZZNS1_14partition_implILS5_8ELb0ES3_jN6thrust23THRUST_200600_302600_NS6detail15normal_iteratorINSA_10device_ptrIdEEEEPS6_PKS6_NS0_5tupleIJSF_S6_EEENSJ_IJSG_SG_EEENS0_18inequality_wrapperI22is_equal_div_10_uniqueIdEEEPmJS6_EEE10hipError_tPvRmT3_T4_T5_T6_T7_T9_mT8_P12ihipStream_tbDpT10_ENKUlT_T0_E_clISt17integral_constantIbLb1EES19_IbLb0EEEEDaS15_S16_EUlS15_E_NS1_11comp_targetILNS1_3genE5ELNS1_11target_archE942ELNS1_3gpuE9ELNS1_3repE0EEENS1_30default_config_static_selectorELNS0_4arch9wavefront6targetE1EEEvT1_
    .private_segment_fixed_size: 0
    .sgpr_count:     4
    .sgpr_spill_count: 0
    .symbol:         _ZN7rocprim17ROCPRIM_400000_NS6detail17trampoline_kernelINS0_14default_configENS1_25partition_config_selectorILNS1_17partition_subalgoE8EdNS0_10empty_typeEbEEZZNS1_14partition_implILS5_8ELb0ES3_jN6thrust23THRUST_200600_302600_NS6detail15normal_iteratorINSA_10device_ptrIdEEEEPS6_PKS6_NS0_5tupleIJSF_S6_EEENSJ_IJSG_SG_EEENS0_18inequality_wrapperI22is_equal_div_10_uniqueIdEEEPmJS6_EEE10hipError_tPvRmT3_T4_T5_T6_T7_T9_mT8_P12ihipStream_tbDpT10_ENKUlT_T0_E_clISt17integral_constantIbLb1EES19_IbLb0EEEEDaS15_S16_EUlS15_E_NS1_11comp_targetILNS1_3genE5ELNS1_11target_archE942ELNS1_3gpuE9ELNS1_3repE0EEENS1_30default_config_static_selectorELNS0_4arch9wavefront6targetE1EEEvT1_.kd
    .uniform_work_group_size: 1
    .uses_dynamic_stack: false
    .vgpr_count:     0
    .vgpr_spill_count: 0
    .wavefront_size: 64
  - .args:
      - .offset:         0
        .size:           112
        .value_kind:     by_value
    .group_segment_fixed_size: 0
    .kernarg_segment_align: 8
    .kernarg_segment_size: 112
    .language:       OpenCL C
    .language_version:
      - 2
      - 0
    .max_flat_workgroup_size: 256
    .name:           _ZN7rocprim17ROCPRIM_400000_NS6detail17trampoline_kernelINS0_14default_configENS1_25partition_config_selectorILNS1_17partition_subalgoE8EdNS0_10empty_typeEbEEZZNS1_14partition_implILS5_8ELb0ES3_jN6thrust23THRUST_200600_302600_NS6detail15normal_iteratorINSA_10device_ptrIdEEEEPS6_PKS6_NS0_5tupleIJSF_S6_EEENSJ_IJSG_SG_EEENS0_18inequality_wrapperI22is_equal_div_10_uniqueIdEEEPmJS6_EEE10hipError_tPvRmT3_T4_T5_T6_T7_T9_mT8_P12ihipStream_tbDpT10_ENKUlT_T0_E_clISt17integral_constantIbLb1EES19_IbLb0EEEEDaS15_S16_EUlS15_E_NS1_11comp_targetILNS1_3genE4ELNS1_11target_archE910ELNS1_3gpuE8ELNS1_3repE0EEENS1_30default_config_static_selectorELNS0_4arch9wavefront6targetE1EEEvT1_
    .private_segment_fixed_size: 0
    .sgpr_count:     4
    .sgpr_spill_count: 0
    .symbol:         _ZN7rocprim17ROCPRIM_400000_NS6detail17trampoline_kernelINS0_14default_configENS1_25partition_config_selectorILNS1_17partition_subalgoE8EdNS0_10empty_typeEbEEZZNS1_14partition_implILS5_8ELb0ES3_jN6thrust23THRUST_200600_302600_NS6detail15normal_iteratorINSA_10device_ptrIdEEEEPS6_PKS6_NS0_5tupleIJSF_S6_EEENSJ_IJSG_SG_EEENS0_18inequality_wrapperI22is_equal_div_10_uniqueIdEEEPmJS6_EEE10hipError_tPvRmT3_T4_T5_T6_T7_T9_mT8_P12ihipStream_tbDpT10_ENKUlT_T0_E_clISt17integral_constantIbLb1EES19_IbLb0EEEEDaS15_S16_EUlS15_E_NS1_11comp_targetILNS1_3genE4ELNS1_11target_archE910ELNS1_3gpuE8ELNS1_3repE0EEENS1_30default_config_static_selectorELNS0_4arch9wavefront6targetE1EEEvT1_.kd
    .uniform_work_group_size: 1
    .uses_dynamic_stack: false
    .vgpr_count:     0
    .vgpr_spill_count: 0
    .wavefront_size: 64
  - .args:
      - .offset:         0
        .size:           112
        .value_kind:     by_value
    .group_segment_fixed_size: 0
    .kernarg_segment_align: 8
    .kernarg_segment_size: 112
    .language:       OpenCL C
    .language_version:
      - 2
      - 0
    .max_flat_workgroup_size: 512
    .name:           _ZN7rocprim17ROCPRIM_400000_NS6detail17trampoline_kernelINS0_14default_configENS1_25partition_config_selectorILNS1_17partition_subalgoE8EdNS0_10empty_typeEbEEZZNS1_14partition_implILS5_8ELb0ES3_jN6thrust23THRUST_200600_302600_NS6detail15normal_iteratorINSA_10device_ptrIdEEEEPS6_PKS6_NS0_5tupleIJSF_S6_EEENSJ_IJSG_SG_EEENS0_18inequality_wrapperI22is_equal_div_10_uniqueIdEEEPmJS6_EEE10hipError_tPvRmT3_T4_T5_T6_T7_T9_mT8_P12ihipStream_tbDpT10_ENKUlT_T0_E_clISt17integral_constantIbLb1EES19_IbLb0EEEEDaS15_S16_EUlS15_E_NS1_11comp_targetILNS1_3genE3ELNS1_11target_archE908ELNS1_3gpuE7ELNS1_3repE0EEENS1_30default_config_static_selectorELNS0_4arch9wavefront6targetE1EEEvT1_
    .private_segment_fixed_size: 0
    .sgpr_count:     4
    .sgpr_spill_count: 0
    .symbol:         _ZN7rocprim17ROCPRIM_400000_NS6detail17trampoline_kernelINS0_14default_configENS1_25partition_config_selectorILNS1_17partition_subalgoE8EdNS0_10empty_typeEbEEZZNS1_14partition_implILS5_8ELb0ES3_jN6thrust23THRUST_200600_302600_NS6detail15normal_iteratorINSA_10device_ptrIdEEEEPS6_PKS6_NS0_5tupleIJSF_S6_EEENSJ_IJSG_SG_EEENS0_18inequality_wrapperI22is_equal_div_10_uniqueIdEEEPmJS6_EEE10hipError_tPvRmT3_T4_T5_T6_T7_T9_mT8_P12ihipStream_tbDpT10_ENKUlT_T0_E_clISt17integral_constantIbLb1EES19_IbLb0EEEEDaS15_S16_EUlS15_E_NS1_11comp_targetILNS1_3genE3ELNS1_11target_archE908ELNS1_3gpuE7ELNS1_3repE0EEENS1_30default_config_static_selectorELNS0_4arch9wavefront6targetE1EEEvT1_.kd
    .uniform_work_group_size: 1
    .uses_dynamic_stack: false
    .vgpr_count:     0
    .vgpr_spill_count: 0
    .wavefront_size: 64
  - .args:
      - .offset:         0
        .size:           112
        .value_kind:     by_value
    .group_segment_fixed_size: 0
    .kernarg_segment_align: 8
    .kernarg_segment_size: 112
    .language:       OpenCL C
    .language_version:
      - 2
      - 0
    .max_flat_workgroup_size: 256
    .name:           _ZN7rocprim17ROCPRIM_400000_NS6detail17trampoline_kernelINS0_14default_configENS1_25partition_config_selectorILNS1_17partition_subalgoE8EdNS0_10empty_typeEbEEZZNS1_14partition_implILS5_8ELb0ES3_jN6thrust23THRUST_200600_302600_NS6detail15normal_iteratorINSA_10device_ptrIdEEEEPS6_PKS6_NS0_5tupleIJSF_S6_EEENSJ_IJSG_SG_EEENS0_18inequality_wrapperI22is_equal_div_10_uniqueIdEEEPmJS6_EEE10hipError_tPvRmT3_T4_T5_T6_T7_T9_mT8_P12ihipStream_tbDpT10_ENKUlT_T0_E_clISt17integral_constantIbLb1EES19_IbLb0EEEEDaS15_S16_EUlS15_E_NS1_11comp_targetILNS1_3genE2ELNS1_11target_archE906ELNS1_3gpuE6ELNS1_3repE0EEENS1_30default_config_static_selectorELNS0_4arch9wavefront6targetE1EEEvT1_
    .private_segment_fixed_size: 0
    .sgpr_count:     4
    .sgpr_spill_count: 0
    .symbol:         _ZN7rocprim17ROCPRIM_400000_NS6detail17trampoline_kernelINS0_14default_configENS1_25partition_config_selectorILNS1_17partition_subalgoE8EdNS0_10empty_typeEbEEZZNS1_14partition_implILS5_8ELb0ES3_jN6thrust23THRUST_200600_302600_NS6detail15normal_iteratorINSA_10device_ptrIdEEEEPS6_PKS6_NS0_5tupleIJSF_S6_EEENSJ_IJSG_SG_EEENS0_18inequality_wrapperI22is_equal_div_10_uniqueIdEEEPmJS6_EEE10hipError_tPvRmT3_T4_T5_T6_T7_T9_mT8_P12ihipStream_tbDpT10_ENKUlT_T0_E_clISt17integral_constantIbLb1EES19_IbLb0EEEEDaS15_S16_EUlS15_E_NS1_11comp_targetILNS1_3genE2ELNS1_11target_archE906ELNS1_3gpuE6ELNS1_3repE0EEENS1_30default_config_static_selectorELNS0_4arch9wavefront6targetE1EEEvT1_.kd
    .uniform_work_group_size: 1
    .uses_dynamic_stack: false
    .vgpr_count:     0
    .vgpr_spill_count: 0
    .wavefront_size: 64
  - .args:
      - .offset:         0
        .size:           112
        .value_kind:     by_value
    .group_segment_fixed_size: 0
    .kernarg_segment_align: 8
    .kernarg_segment_size: 112
    .language:       OpenCL C
    .language_version:
      - 2
      - 0
    .max_flat_workgroup_size: 384
    .name:           _ZN7rocprim17ROCPRIM_400000_NS6detail17trampoline_kernelINS0_14default_configENS1_25partition_config_selectorILNS1_17partition_subalgoE8EdNS0_10empty_typeEbEEZZNS1_14partition_implILS5_8ELb0ES3_jN6thrust23THRUST_200600_302600_NS6detail15normal_iteratorINSA_10device_ptrIdEEEEPS6_PKS6_NS0_5tupleIJSF_S6_EEENSJ_IJSG_SG_EEENS0_18inequality_wrapperI22is_equal_div_10_uniqueIdEEEPmJS6_EEE10hipError_tPvRmT3_T4_T5_T6_T7_T9_mT8_P12ihipStream_tbDpT10_ENKUlT_T0_E_clISt17integral_constantIbLb1EES19_IbLb0EEEEDaS15_S16_EUlS15_E_NS1_11comp_targetILNS1_3genE10ELNS1_11target_archE1200ELNS1_3gpuE4ELNS1_3repE0EEENS1_30default_config_static_selectorELNS0_4arch9wavefront6targetE1EEEvT1_
    .private_segment_fixed_size: 0
    .sgpr_count:     4
    .sgpr_spill_count: 0
    .symbol:         _ZN7rocprim17ROCPRIM_400000_NS6detail17trampoline_kernelINS0_14default_configENS1_25partition_config_selectorILNS1_17partition_subalgoE8EdNS0_10empty_typeEbEEZZNS1_14partition_implILS5_8ELb0ES3_jN6thrust23THRUST_200600_302600_NS6detail15normal_iteratorINSA_10device_ptrIdEEEEPS6_PKS6_NS0_5tupleIJSF_S6_EEENSJ_IJSG_SG_EEENS0_18inequality_wrapperI22is_equal_div_10_uniqueIdEEEPmJS6_EEE10hipError_tPvRmT3_T4_T5_T6_T7_T9_mT8_P12ihipStream_tbDpT10_ENKUlT_T0_E_clISt17integral_constantIbLb1EES19_IbLb0EEEEDaS15_S16_EUlS15_E_NS1_11comp_targetILNS1_3genE10ELNS1_11target_archE1200ELNS1_3gpuE4ELNS1_3repE0EEENS1_30default_config_static_selectorELNS0_4arch9wavefront6targetE1EEEvT1_.kd
    .uniform_work_group_size: 1
    .uses_dynamic_stack: false
    .vgpr_count:     0
    .vgpr_spill_count: 0
    .wavefront_size: 64
  - .args:
      - .offset:         0
        .size:           112
        .value_kind:     by_value
    .group_segment_fixed_size: 0
    .kernarg_segment_align: 8
    .kernarg_segment_size: 112
    .language:       OpenCL C
    .language_version:
      - 2
      - 0
    .max_flat_workgroup_size: 512
    .name:           _ZN7rocprim17ROCPRIM_400000_NS6detail17trampoline_kernelINS0_14default_configENS1_25partition_config_selectorILNS1_17partition_subalgoE8EdNS0_10empty_typeEbEEZZNS1_14partition_implILS5_8ELb0ES3_jN6thrust23THRUST_200600_302600_NS6detail15normal_iteratorINSA_10device_ptrIdEEEEPS6_PKS6_NS0_5tupleIJSF_S6_EEENSJ_IJSG_SG_EEENS0_18inequality_wrapperI22is_equal_div_10_uniqueIdEEEPmJS6_EEE10hipError_tPvRmT3_T4_T5_T6_T7_T9_mT8_P12ihipStream_tbDpT10_ENKUlT_T0_E_clISt17integral_constantIbLb1EES19_IbLb0EEEEDaS15_S16_EUlS15_E_NS1_11comp_targetILNS1_3genE9ELNS1_11target_archE1100ELNS1_3gpuE3ELNS1_3repE0EEENS1_30default_config_static_selectorELNS0_4arch9wavefront6targetE1EEEvT1_
    .private_segment_fixed_size: 0
    .sgpr_count:     4
    .sgpr_spill_count: 0
    .symbol:         _ZN7rocprim17ROCPRIM_400000_NS6detail17trampoline_kernelINS0_14default_configENS1_25partition_config_selectorILNS1_17partition_subalgoE8EdNS0_10empty_typeEbEEZZNS1_14partition_implILS5_8ELb0ES3_jN6thrust23THRUST_200600_302600_NS6detail15normal_iteratorINSA_10device_ptrIdEEEEPS6_PKS6_NS0_5tupleIJSF_S6_EEENSJ_IJSG_SG_EEENS0_18inequality_wrapperI22is_equal_div_10_uniqueIdEEEPmJS6_EEE10hipError_tPvRmT3_T4_T5_T6_T7_T9_mT8_P12ihipStream_tbDpT10_ENKUlT_T0_E_clISt17integral_constantIbLb1EES19_IbLb0EEEEDaS15_S16_EUlS15_E_NS1_11comp_targetILNS1_3genE9ELNS1_11target_archE1100ELNS1_3gpuE3ELNS1_3repE0EEENS1_30default_config_static_selectorELNS0_4arch9wavefront6targetE1EEEvT1_.kd
    .uniform_work_group_size: 1
    .uses_dynamic_stack: false
    .vgpr_count:     0
    .vgpr_spill_count: 0
    .wavefront_size: 64
  - .args:
      - .offset:         0
        .size:           112
        .value_kind:     by_value
    .group_segment_fixed_size: 0
    .kernarg_segment_align: 8
    .kernarg_segment_size: 112
    .language:       OpenCL C
    .language_version:
      - 2
      - 0
    .max_flat_workgroup_size: 512
    .name:           _ZN7rocprim17ROCPRIM_400000_NS6detail17trampoline_kernelINS0_14default_configENS1_25partition_config_selectorILNS1_17partition_subalgoE8EdNS0_10empty_typeEbEEZZNS1_14partition_implILS5_8ELb0ES3_jN6thrust23THRUST_200600_302600_NS6detail15normal_iteratorINSA_10device_ptrIdEEEEPS6_PKS6_NS0_5tupleIJSF_S6_EEENSJ_IJSG_SG_EEENS0_18inequality_wrapperI22is_equal_div_10_uniqueIdEEEPmJS6_EEE10hipError_tPvRmT3_T4_T5_T6_T7_T9_mT8_P12ihipStream_tbDpT10_ENKUlT_T0_E_clISt17integral_constantIbLb1EES19_IbLb0EEEEDaS15_S16_EUlS15_E_NS1_11comp_targetILNS1_3genE8ELNS1_11target_archE1030ELNS1_3gpuE2ELNS1_3repE0EEENS1_30default_config_static_selectorELNS0_4arch9wavefront6targetE1EEEvT1_
    .private_segment_fixed_size: 0
    .sgpr_count:     4
    .sgpr_spill_count: 0
    .symbol:         _ZN7rocprim17ROCPRIM_400000_NS6detail17trampoline_kernelINS0_14default_configENS1_25partition_config_selectorILNS1_17partition_subalgoE8EdNS0_10empty_typeEbEEZZNS1_14partition_implILS5_8ELb0ES3_jN6thrust23THRUST_200600_302600_NS6detail15normal_iteratorINSA_10device_ptrIdEEEEPS6_PKS6_NS0_5tupleIJSF_S6_EEENSJ_IJSG_SG_EEENS0_18inequality_wrapperI22is_equal_div_10_uniqueIdEEEPmJS6_EEE10hipError_tPvRmT3_T4_T5_T6_T7_T9_mT8_P12ihipStream_tbDpT10_ENKUlT_T0_E_clISt17integral_constantIbLb1EES19_IbLb0EEEEDaS15_S16_EUlS15_E_NS1_11comp_targetILNS1_3genE8ELNS1_11target_archE1030ELNS1_3gpuE2ELNS1_3repE0EEENS1_30default_config_static_selectorELNS0_4arch9wavefront6targetE1EEEvT1_.kd
    .uniform_work_group_size: 1
    .uses_dynamic_stack: false
    .vgpr_count:     0
    .vgpr_spill_count: 0
    .wavefront_size: 64
  - .args:
      - .offset:         0
        .size:           128
        .value_kind:     by_value
    .group_segment_fixed_size: 0
    .kernarg_segment_align: 8
    .kernarg_segment_size: 128
    .language:       OpenCL C
    .language_version:
      - 2
      - 0
    .max_flat_workgroup_size: 512
    .name:           _ZN7rocprim17ROCPRIM_400000_NS6detail17trampoline_kernelINS0_14default_configENS1_25partition_config_selectorILNS1_17partition_subalgoE8EdNS0_10empty_typeEbEEZZNS1_14partition_implILS5_8ELb0ES3_jN6thrust23THRUST_200600_302600_NS6detail15normal_iteratorINSA_10device_ptrIdEEEEPS6_PKS6_NS0_5tupleIJSF_S6_EEENSJ_IJSG_SG_EEENS0_18inequality_wrapperI22is_equal_div_10_uniqueIdEEEPmJS6_EEE10hipError_tPvRmT3_T4_T5_T6_T7_T9_mT8_P12ihipStream_tbDpT10_ENKUlT_T0_E_clISt17integral_constantIbLb0EES19_IbLb1EEEEDaS15_S16_EUlS15_E_NS1_11comp_targetILNS1_3genE0ELNS1_11target_archE4294967295ELNS1_3gpuE0ELNS1_3repE0EEENS1_30default_config_static_selectorELNS0_4arch9wavefront6targetE1EEEvT1_
    .private_segment_fixed_size: 0
    .sgpr_count:     4
    .sgpr_spill_count: 0
    .symbol:         _ZN7rocprim17ROCPRIM_400000_NS6detail17trampoline_kernelINS0_14default_configENS1_25partition_config_selectorILNS1_17partition_subalgoE8EdNS0_10empty_typeEbEEZZNS1_14partition_implILS5_8ELb0ES3_jN6thrust23THRUST_200600_302600_NS6detail15normal_iteratorINSA_10device_ptrIdEEEEPS6_PKS6_NS0_5tupleIJSF_S6_EEENSJ_IJSG_SG_EEENS0_18inequality_wrapperI22is_equal_div_10_uniqueIdEEEPmJS6_EEE10hipError_tPvRmT3_T4_T5_T6_T7_T9_mT8_P12ihipStream_tbDpT10_ENKUlT_T0_E_clISt17integral_constantIbLb0EES19_IbLb1EEEEDaS15_S16_EUlS15_E_NS1_11comp_targetILNS1_3genE0ELNS1_11target_archE4294967295ELNS1_3gpuE0ELNS1_3repE0EEENS1_30default_config_static_selectorELNS0_4arch9wavefront6targetE1EEEvT1_.kd
    .uniform_work_group_size: 1
    .uses_dynamic_stack: false
    .vgpr_count:     0
    .vgpr_spill_count: 0
    .wavefront_size: 64
  - .args:
      - .offset:         0
        .size:           128
        .value_kind:     by_value
    .group_segment_fixed_size: 0
    .kernarg_segment_align: 8
    .kernarg_segment_size: 128
    .language:       OpenCL C
    .language_version:
      - 2
      - 0
    .max_flat_workgroup_size: 512
    .name:           _ZN7rocprim17ROCPRIM_400000_NS6detail17trampoline_kernelINS0_14default_configENS1_25partition_config_selectorILNS1_17partition_subalgoE8EdNS0_10empty_typeEbEEZZNS1_14partition_implILS5_8ELb0ES3_jN6thrust23THRUST_200600_302600_NS6detail15normal_iteratorINSA_10device_ptrIdEEEEPS6_PKS6_NS0_5tupleIJSF_S6_EEENSJ_IJSG_SG_EEENS0_18inequality_wrapperI22is_equal_div_10_uniqueIdEEEPmJS6_EEE10hipError_tPvRmT3_T4_T5_T6_T7_T9_mT8_P12ihipStream_tbDpT10_ENKUlT_T0_E_clISt17integral_constantIbLb0EES19_IbLb1EEEEDaS15_S16_EUlS15_E_NS1_11comp_targetILNS1_3genE5ELNS1_11target_archE942ELNS1_3gpuE9ELNS1_3repE0EEENS1_30default_config_static_selectorELNS0_4arch9wavefront6targetE1EEEvT1_
    .private_segment_fixed_size: 0
    .sgpr_count:     4
    .sgpr_spill_count: 0
    .symbol:         _ZN7rocprim17ROCPRIM_400000_NS6detail17trampoline_kernelINS0_14default_configENS1_25partition_config_selectorILNS1_17partition_subalgoE8EdNS0_10empty_typeEbEEZZNS1_14partition_implILS5_8ELb0ES3_jN6thrust23THRUST_200600_302600_NS6detail15normal_iteratorINSA_10device_ptrIdEEEEPS6_PKS6_NS0_5tupleIJSF_S6_EEENSJ_IJSG_SG_EEENS0_18inequality_wrapperI22is_equal_div_10_uniqueIdEEEPmJS6_EEE10hipError_tPvRmT3_T4_T5_T6_T7_T9_mT8_P12ihipStream_tbDpT10_ENKUlT_T0_E_clISt17integral_constantIbLb0EES19_IbLb1EEEEDaS15_S16_EUlS15_E_NS1_11comp_targetILNS1_3genE5ELNS1_11target_archE942ELNS1_3gpuE9ELNS1_3repE0EEENS1_30default_config_static_selectorELNS0_4arch9wavefront6targetE1EEEvT1_.kd
    .uniform_work_group_size: 1
    .uses_dynamic_stack: false
    .vgpr_count:     0
    .vgpr_spill_count: 0
    .wavefront_size: 64
  - .args:
      - .offset:         0
        .size:           128
        .value_kind:     by_value
    .group_segment_fixed_size: 0
    .kernarg_segment_align: 8
    .kernarg_segment_size: 128
    .language:       OpenCL C
    .language_version:
      - 2
      - 0
    .max_flat_workgroup_size: 256
    .name:           _ZN7rocprim17ROCPRIM_400000_NS6detail17trampoline_kernelINS0_14default_configENS1_25partition_config_selectorILNS1_17partition_subalgoE8EdNS0_10empty_typeEbEEZZNS1_14partition_implILS5_8ELb0ES3_jN6thrust23THRUST_200600_302600_NS6detail15normal_iteratorINSA_10device_ptrIdEEEEPS6_PKS6_NS0_5tupleIJSF_S6_EEENSJ_IJSG_SG_EEENS0_18inequality_wrapperI22is_equal_div_10_uniqueIdEEEPmJS6_EEE10hipError_tPvRmT3_T4_T5_T6_T7_T9_mT8_P12ihipStream_tbDpT10_ENKUlT_T0_E_clISt17integral_constantIbLb0EES19_IbLb1EEEEDaS15_S16_EUlS15_E_NS1_11comp_targetILNS1_3genE4ELNS1_11target_archE910ELNS1_3gpuE8ELNS1_3repE0EEENS1_30default_config_static_selectorELNS0_4arch9wavefront6targetE1EEEvT1_
    .private_segment_fixed_size: 0
    .sgpr_count:     4
    .sgpr_spill_count: 0
    .symbol:         _ZN7rocprim17ROCPRIM_400000_NS6detail17trampoline_kernelINS0_14default_configENS1_25partition_config_selectorILNS1_17partition_subalgoE8EdNS0_10empty_typeEbEEZZNS1_14partition_implILS5_8ELb0ES3_jN6thrust23THRUST_200600_302600_NS6detail15normal_iteratorINSA_10device_ptrIdEEEEPS6_PKS6_NS0_5tupleIJSF_S6_EEENSJ_IJSG_SG_EEENS0_18inequality_wrapperI22is_equal_div_10_uniqueIdEEEPmJS6_EEE10hipError_tPvRmT3_T4_T5_T6_T7_T9_mT8_P12ihipStream_tbDpT10_ENKUlT_T0_E_clISt17integral_constantIbLb0EES19_IbLb1EEEEDaS15_S16_EUlS15_E_NS1_11comp_targetILNS1_3genE4ELNS1_11target_archE910ELNS1_3gpuE8ELNS1_3repE0EEENS1_30default_config_static_selectorELNS0_4arch9wavefront6targetE1EEEvT1_.kd
    .uniform_work_group_size: 1
    .uses_dynamic_stack: false
    .vgpr_count:     0
    .vgpr_spill_count: 0
    .wavefront_size: 64
  - .args:
      - .offset:         0
        .size:           128
        .value_kind:     by_value
    .group_segment_fixed_size: 0
    .kernarg_segment_align: 8
    .kernarg_segment_size: 128
    .language:       OpenCL C
    .language_version:
      - 2
      - 0
    .max_flat_workgroup_size: 512
    .name:           _ZN7rocprim17ROCPRIM_400000_NS6detail17trampoline_kernelINS0_14default_configENS1_25partition_config_selectorILNS1_17partition_subalgoE8EdNS0_10empty_typeEbEEZZNS1_14partition_implILS5_8ELb0ES3_jN6thrust23THRUST_200600_302600_NS6detail15normal_iteratorINSA_10device_ptrIdEEEEPS6_PKS6_NS0_5tupleIJSF_S6_EEENSJ_IJSG_SG_EEENS0_18inequality_wrapperI22is_equal_div_10_uniqueIdEEEPmJS6_EEE10hipError_tPvRmT3_T4_T5_T6_T7_T9_mT8_P12ihipStream_tbDpT10_ENKUlT_T0_E_clISt17integral_constantIbLb0EES19_IbLb1EEEEDaS15_S16_EUlS15_E_NS1_11comp_targetILNS1_3genE3ELNS1_11target_archE908ELNS1_3gpuE7ELNS1_3repE0EEENS1_30default_config_static_selectorELNS0_4arch9wavefront6targetE1EEEvT1_
    .private_segment_fixed_size: 0
    .sgpr_count:     4
    .sgpr_spill_count: 0
    .symbol:         _ZN7rocprim17ROCPRIM_400000_NS6detail17trampoline_kernelINS0_14default_configENS1_25partition_config_selectorILNS1_17partition_subalgoE8EdNS0_10empty_typeEbEEZZNS1_14partition_implILS5_8ELb0ES3_jN6thrust23THRUST_200600_302600_NS6detail15normal_iteratorINSA_10device_ptrIdEEEEPS6_PKS6_NS0_5tupleIJSF_S6_EEENSJ_IJSG_SG_EEENS0_18inequality_wrapperI22is_equal_div_10_uniqueIdEEEPmJS6_EEE10hipError_tPvRmT3_T4_T5_T6_T7_T9_mT8_P12ihipStream_tbDpT10_ENKUlT_T0_E_clISt17integral_constantIbLb0EES19_IbLb1EEEEDaS15_S16_EUlS15_E_NS1_11comp_targetILNS1_3genE3ELNS1_11target_archE908ELNS1_3gpuE7ELNS1_3repE0EEENS1_30default_config_static_selectorELNS0_4arch9wavefront6targetE1EEEvT1_.kd
    .uniform_work_group_size: 1
    .uses_dynamic_stack: false
    .vgpr_count:     0
    .vgpr_spill_count: 0
    .wavefront_size: 64
  - .args:
      - .offset:         0
        .size:           128
        .value_kind:     by_value
    .group_segment_fixed_size: 14344
    .kernarg_segment_align: 8
    .kernarg_segment_size: 128
    .language:       OpenCL C
    .language_version:
      - 2
      - 0
    .max_flat_workgroup_size: 256
    .name:           _ZN7rocprim17ROCPRIM_400000_NS6detail17trampoline_kernelINS0_14default_configENS1_25partition_config_selectorILNS1_17partition_subalgoE8EdNS0_10empty_typeEbEEZZNS1_14partition_implILS5_8ELb0ES3_jN6thrust23THRUST_200600_302600_NS6detail15normal_iteratorINSA_10device_ptrIdEEEEPS6_PKS6_NS0_5tupleIJSF_S6_EEENSJ_IJSG_SG_EEENS0_18inequality_wrapperI22is_equal_div_10_uniqueIdEEEPmJS6_EEE10hipError_tPvRmT3_T4_T5_T6_T7_T9_mT8_P12ihipStream_tbDpT10_ENKUlT_T0_E_clISt17integral_constantIbLb0EES19_IbLb1EEEEDaS15_S16_EUlS15_E_NS1_11comp_targetILNS1_3genE2ELNS1_11target_archE906ELNS1_3gpuE6ELNS1_3repE0EEENS1_30default_config_static_selectorELNS0_4arch9wavefront6targetE1EEEvT1_
    .private_segment_fixed_size: 0
    .sgpr_count:     43
    .sgpr_spill_count: 0
    .symbol:         _ZN7rocprim17ROCPRIM_400000_NS6detail17trampoline_kernelINS0_14default_configENS1_25partition_config_selectorILNS1_17partition_subalgoE8EdNS0_10empty_typeEbEEZZNS1_14partition_implILS5_8ELb0ES3_jN6thrust23THRUST_200600_302600_NS6detail15normal_iteratorINSA_10device_ptrIdEEEEPS6_PKS6_NS0_5tupleIJSF_S6_EEENSJ_IJSG_SG_EEENS0_18inequality_wrapperI22is_equal_div_10_uniqueIdEEEPmJS6_EEE10hipError_tPvRmT3_T4_T5_T6_T7_T9_mT8_P12ihipStream_tbDpT10_ENKUlT_T0_E_clISt17integral_constantIbLb0EES19_IbLb1EEEEDaS15_S16_EUlS15_E_NS1_11comp_targetILNS1_3genE2ELNS1_11target_archE906ELNS1_3gpuE6ELNS1_3repE0EEENS1_30default_config_static_selectorELNS0_4arch9wavefront6targetE1EEEvT1_.kd
    .uniform_work_group_size: 1
    .uses_dynamic_stack: false
    .vgpr_count:     60
    .vgpr_spill_count: 0
    .wavefront_size: 64
  - .args:
      - .offset:         0
        .size:           128
        .value_kind:     by_value
    .group_segment_fixed_size: 0
    .kernarg_segment_align: 8
    .kernarg_segment_size: 128
    .language:       OpenCL C
    .language_version:
      - 2
      - 0
    .max_flat_workgroup_size: 384
    .name:           _ZN7rocprim17ROCPRIM_400000_NS6detail17trampoline_kernelINS0_14default_configENS1_25partition_config_selectorILNS1_17partition_subalgoE8EdNS0_10empty_typeEbEEZZNS1_14partition_implILS5_8ELb0ES3_jN6thrust23THRUST_200600_302600_NS6detail15normal_iteratorINSA_10device_ptrIdEEEEPS6_PKS6_NS0_5tupleIJSF_S6_EEENSJ_IJSG_SG_EEENS0_18inequality_wrapperI22is_equal_div_10_uniqueIdEEEPmJS6_EEE10hipError_tPvRmT3_T4_T5_T6_T7_T9_mT8_P12ihipStream_tbDpT10_ENKUlT_T0_E_clISt17integral_constantIbLb0EES19_IbLb1EEEEDaS15_S16_EUlS15_E_NS1_11comp_targetILNS1_3genE10ELNS1_11target_archE1200ELNS1_3gpuE4ELNS1_3repE0EEENS1_30default_config_static_selectorELNS0_4arch9wavefront6targetE1EEEvT1_
    .private_segment_fixed_size: 0
    .sgpr_count:     4
    .sgpr_spill_count: 0
    .symbol:         _ZN7rocprim17ROCPRIM_400000_NS6detail17trampoline_kernelINS0_14default_configENS1_25partition_config_selectorILNS1_17partition_subalgoE8EdNS0_10empty_typeEbEEZZNS1_14partition_implILS5_8ELb0ES3_jN6thrust23THRUST_200600_302600_NS6detail15normal_iteratorINSA_10device_ptrIdEEEEPS6_PKS6_NS0_5tupleIJSF_S6_EEENSJ_IJSG_SG_EEENS0_18inequality_wrapperI22is_equal_div_10_uniqueIdEEEPmJS6_EEE10hipError_tPvRmT3_T4_T5_T6_T7_T9_mT8_P12ihipStream_tbDpT10_ENKUlT_T0_E_clISt17integral_constantIbLb0EES19_IbLb1EEEEDaS15_S16_EUlS15_E_NS1_11comp_targetILNS1_3genE10ELNS1_11target_archE1200ELNS1_3gpuE4ELNS1_3repE0EEENS1_30default_config_static_selectorELNS0_4arch9wavefront6targetE1EEEvT1_.kd
    .uniform_work_group_size: 1
    .uses_dynamic_stack: false
    .vgpr_count:     0
    .vgpr_spill_count: 0
    .wavefront_size: 64
  - .args:
      - .offset:         0
        .size:           128
        .value_kind:     by_value
    .group_segment_fixed_size: 0
    .kernarg_segment_align: 8
    .kernarg_segment_size: 128
    .language:       OpenCL C
    .language_version:
      - 2
      - 0
    .max_flat_workgroup_size: 512
    .name:           _ZN7rocprim17ROCPRIM_400000_NS6detail17trampoline_kernelINS0_14default_configENS1_25partition_config_selectorILNS1_17partition_subalgoE8EdNS0_10empty_typeEbEEZZNS1_14partition_implILS5_8ELb0ES3_jN6thrust23THRUST_200600_302600_NS6detail15normal_iteratorINSA_10device_ptrIdEEEEPS6_PKS6_NS0_5tupleIJSF_S6_EEENSJ_IJSG_SG_EEENS0_18inequality_wrapperI22is_equal_div_10_uniqueIdEEEPmJS6_EEE10hipError_tPvRmT3_T4_T5_T6_T7_T9_mT8_P12ihipStream_tbDpT10_ENKUlT_T0_E_clISt17integral_constantIbLb0EES19_IbLb1EEEEDaS15_S16_EUlS15_E_NS1_11comp_targetILNS1_3genE9ELNS1_11target_archE1100ELNS1_3gpuE3ELNS1_3repE0EEENS1_30default_config_static_selectorELNS0_4arch9wavefront6targetE1EEEvT1_
    .private_segment_fixed_size: 0
    .sgpr_count:     4
    .sgpr_spill_count: 0
    .symbol:         _ZN7rocprim17ROCPRIM_400000_NS6detail17trampoline_kernelINS0_14default_configENS1_25partition_config_selectorILNS1_17partition_subalgoE8EdNS0_10empty_typeEbEEZZNS1_14partition_implILS5_8ELb0ES3_jN6thrust23THRUST_200600_302600_NS6detail15normal_iteratorINSA_10device_ptrIdEEEEPS6_PKS6_NS0_5tupleIJSF_S6_EEENSJ_IJSG_SG_EEENS0_18inequality_wrapperI22is_equal_div_10_uniqueIdEEEPmJS6_EEE10hipError_tPvRmT3_T4_T5_T6_T7_T9_mT8_P12ihipStream_tbDpT10_ENKUlT_T0_E_clISt17integral_constantIbLb0EES19_IbLb1EEEEDaS15_S16_EUlS15_E_NS1_11comp_targetILNS1_3genE9ELNS1_11target_archE1100ELNS1_3gpuE3ELNS1_3repE0EEENS1_30default_config_static_selectorELNS0_4arch9wavefront6targetE1EEEvT1_.kd
    .uniform_work_group_size: 1
    .uses_dynamic_stack: false
    .vgpr_count:     0
    .vgpr_spill_count: 0
    .wavefront_size: 64
  - .args:
      - .offset:         0
        .size:           128
        .value_kind:     by_value
    .group_segment_fixed_size: 0
    .kernarg_segment_align: 8
    .kernarg_segment_size: 128
    .language:       OpenCL C
    .language_version:
      - 2
      - 0
    .max_flat_workgroup_size: 512
    .name:           _ZN7rocprim17ROCPRIM_400000_NS6detail17trampoline_kernelINS0_14default_configENS1_25partition_config_selectorILNS1_17partition_subalgoE8EdNS0_10empty_typeEbEEZZNS1_14partition_implILS5_8ELb0ES3_jN6thrust23THRUST_200600_302600_NS6detail15normal_iteratorINSA_10device_ptrIdEEEEPS6_PKS6_NS0_5tupleIJSF_S6_EEENSJ_IJSG_SG_EEENS0_18inequality_wrapperI22is_equal_div_10_uniqueIdEEEPmJS6_EEE10hipError_tPvRmT3_T4_T5_T6_T7_T9_mT8_P12ihipStream_tbDpT10_ENKUlT_T0_E_clISt17integral_constantIbLb0EES19_IbLb1EEEEDaS15_S16_EUlS15_E_NS1_11comp_targetILNS1_3genE8ELNS1_11target_archE1030ELNS1_3gpuE2ELNS1_3repE0EEENS1_30default_config_static_selectorELNS0_4arch9wavefront6targetE1EEEvT1_
    .private_segment_fixed_size: 0
    .sgpr_count:     4
    .sgpr_spill_count: 0
    .symbol:         _ZN7rocprim17ROCPRIM_400000_NS6detail17trampoline_kernelINS0_14default_configENS1_25partition_config_selectorILNS1_17partition_subalgoE8EdNS0_10empty_typeEbEEZZNS1_14partition_implILS5_8ELb0ES3_jN6thrust23THRUST_200600_302600_NS6detail15normal_iteratorINSA_10device_ptrIdEEEEPS6_PKS6_NS0_5tupleIJSF_S6_EEENSJ_IJSG_SG_EEENS0_18inequality_wrapperI22is_equal_div_10_uniqueIdEEEPmJS6_EEE10hipError_tPvRmT3_T4_T5_T6_T7_T9_mT8_P12ihipStream_tbDpT10_ENKUlT_T0_E_clISt17integral_constantIbLb0EES19_IbLb1EEEEDaS15_S16_EUlS15_E_NS1_11comp_targetILNS1_3genE8ELNS1_11target_archE1030ELNS1_3gpuE2ELNS1_3repE0EEENS1_30default_config_static_selectorELNS0_4arch9wavefront6targetE1EEEvT1_.kd
    .uniform_work_group_size: 1
    .uses_dynamic_stack: false
    .vgpr_count:     0
    .vgpr_spill_count: 0
    .wavefront_size: 64
  - .args:
      - .offset:         0
        .size:           16
        .value_kind:     by_value
      - .offset:         16
        .size:           8
        .value_kind:     by_value
      - .offset:         24
        .size:           8
        .value_kind:     by_value
    .group_segment_fixed_size: 0
    .kernarg_segment_align: 8
    .kernarg_segment_size: 32
    .language:       OpenCL C
    .language_version:
      - 2
      - 0
    .max_flat_workgroup_size: 256
    .name:           _ZN6thrust23THRUST_200600_302600_NS11hip_rocprim14__parallel_for6kernelILj256ENS1_20__uninitialized_fill7functorINS0_10device_ptrIfEEfEEmLj1EEEvT0_T1_SA_
    .private_segment_fixed_size: 0
    .sgpr_count:     20
    .sgpr_spill_count: 0
    .symbol:         _ZN6thrust23THRUST_200600_302600_NS11hip_rocprim14__parallel_for6kernelILj256ENS1_20__uninitialized_fill7functorINS0_10device_ptrIfEEfEEmLj1EEEvT0_T1_SA_.kd
    .uniform_work_group_size: 1
    .uses_dynamic_stack: false
    .vgpr_count:     4
    .vgpr_spill_count: 0
    .wavefront_size: 64
  - .args:
      - .offset:         0
        .size:           112
        .value_kind:     by_value
    .group_segment_fixed_size: 0
    .kernarg_segment_align: 8
    .kernarg_segment_size: 112
    .language:       OpenCL C
    .language_version:
      - 2
      - 0
    .max_flat_workgroup_size: 512
    .name:           _ZN7rocprim17ROCPRIM_400000_NS6detail17trampoline_kernelINS0_14default_configENS1_25partition_config_selectorILNS1_17partition_subalgoE8EfNS0_10empty_typeEbEEZZNS1_14partition_implILS5_8ELb0ES3_jN6thrust23THRUST_200600_302600_NS6detail15normal_iteratorINSA_10device_ptrIfEEEEPS6_PKS6_NS0_5tupleIJSF_S6_EEENSJ_IJSG_SG_EEENS0_18inequality_wrapperINSA_8equal_toIfEEEEPmJS6_EEE10hipError_tPvRmT3_T4_T5_T6_T7_T9_mT8_P12ihipStream_tbDpT10_ENKUlT_T0_E_clISt17integral_constantIbLb0EES1A_EEDaS15_S16_EUlS15_E_NS1_11comp_targetILNS1_3genE0ELNS1_11target_archE4294967295ELNS1_3gpuE0ELNS1_3repE0EEENS1_30default_config_static_selectorELNS0_4arch9wavefront6targetE1EEEvT1_
    .private_segment_fixed_size: 0
    .sgpr_count:     4
    .sgpr_spill_count: 0
    .symbol:         _ZN7rocprim17ROCPRIM_400000_NS6detail17trampoline_kernelINS0_14default_configENS1_25partition_config_selectorILNS1_17partition_subalgoE8EfNS0_10empty_typeEbEEZZNS1_14partition_implILS5_8ELb0ES3_jN6thrust23THRUST_200600_302600_NS6detail15normal_iteratorINSA_10device_ptrIfEEEEPS6_PKS6_NS0_5tupleIJSF_S6_EEENSJ_IJSG_SG_EEENS0_18inequality_wrapperINSA_8equal_toIfEEEEPmJS6_EEE10hipError_tPvRmT3_T4_T5_T6_T7_T9_mT8_P12ihipStream_tbDpT10_ENKUlT_T0_E_clISt17integral_constantIbLb0EES1A_EEDaS15_S16_EUlS15_E_NS1_11comp_targetILNS1_3genE0ELNS1_11target_archE4294967295ELNS1_3gpuE0ELNS1_3repE0EEENS1_30default_config_static_selectorELNS0_4arch9wavefront6targetE1EEEvT1_.kd
    .uniform_work_group_size: 1
    .uses_dynamic_stack: false
    .vgpr_count:     0
    .vgpr_spill_count: 0
    .wavefront_size: 64
  - .args:
      - .offset:         0
        .size:           112
        .value_kind:     by_value
    .group_segment_fixed_size: 0
    .kernarg_segment_align: 8
    .kernarg_segment_size: 112
    .language:       OpenCL C
    .language_version:
      - 2
      - 0
    .max_flat_workgroup_size: 512
    .name:           _ZN7rocprim17ROCPRIM_400000_NS6detail17trampoline_kernelINS0_14default_configENS1_25partition_config_selectorILNS1_17partition_subalgoE8EfNS0_10empty_typeEbEEZZNS1_14partition_implILS5_8ELb0ES3_jN6thrust23THRUST_200600_302600_NS6detail15normal_iteratorINSA_10device_ptrIfEEEEPS6_PKS6_NS0_5tupleIJSF_S6_EEENSJ_IJSG_SG_EEENS0_18inequality_wrapperINSA_8equal_toIfEEEEPmJS6_EEE10hipError_tPvRmT3_T4_T5_T6_T7_T9_mT8_P12ihipStream_tbDpT10_ENKUlT_T0_E_clISt17integral_constantIbLb0EES1A_EEDaS15_S16_EUlS15_E_NS1_11comp_targetILNS1_3genE5ELNS1_11target_archE942ELNS1_3gpuE9ELNS1_3repE0EEENS1_30default_config_static_selectorELNS0_4arch9wavefront6targetE1EEEvT1_
    .private_segment_fixed_size: 0
    .sgpr_count:     4
    .sgpr_spill_count: 0
    .symbol:         _ZN7rocprim17ROCPRIM_400000_NS6detail17trampoline_kernelINS0_14default_configENS1_25partition_config_selectorILNS1_17partition_subalgoE8EfNS0_10empty_typeEbEEZZNS1_14partition_implILS5_8ELb0ES3_jN6thrust23THRUST_200600_302600_NS6detail15normal_iteratorINSA_10device_ptrIfEEEEPS6_PKS6_NS0_5tupleIJSF_S6_EEENSJ_IJSG_SG_EEENS0_18inequality_wrapperINSA_8equal_toIfEEEEPmJS6_EEE10hipError_tPvRmT3_T4_T5_T6_T7_T9_mT8_P12ihipStream_tbDpT10_ENKUlT_T0_E_clISt17integral_constantIbLb0EES1A_EEDaS15_S16_EUlS15_E_NS1_11comp_targetILNS1_3genE5ELNS1_11target_archE942ELNS1_3gpuE9ELNS1_3repE0EEENS1_30default_config_static_selectorELNS0_4arch9wavefront6targetE1EEEvT1_.kd
    .uniform_work_group_size: 1
    .uses_dynamic_stack: false
    .vgpr_count:     0
    .vgpr_spill_count: 0
    .wavefront_size: 64
  - .args:
      - .offset:         0
        .size:           112
        .value_kind:     by_value
    .group_segment_fixed_size: 0
    .kernarg_segment_align: 8
    .kernarg_segment_size: 112
    .language:       OpenCL C
    .language_version:
      - 2
      - 0
    .max_flat_workgroup_size: 256
    .name:           _ZN7rocprim17ROCPRIM_400000_NS6detail17trampoline_kernelINS0_14default_configENS1_25partition_config_selectorILNS1_17partition_subalgoE8EfNS0_10empty_typeEbEEZZNS1_14partition_implILS5_8ELb0ES3_jN6thrust23THRUST_200600_302600_NS6detail15normal_iteratorINSA_10device_ptrIfEEEEPS6_PKS6_NS0_5tupleIJSF_S6_EEENSJ_IJSG_SG_EEENS0_18inequality_wrapperINSA_8equal_toIfEEEEPmJS6_EEE10hipError_tPvRmT3_T4_T5_T6_T7_T9_mT8_P12ihipStream_tbDpT10_ENKUlT_T0_E_clISt17integral_constantIbLb0EES1A_EEDaS15_S16_EUlS15_E_NS1_11comp_targetILNS1_3genE4ELNS1_11target_archE910ELNS1_3gpuE8ELNS1_3repE0EEENS1_30default_config_static_selectorELNS0_4arch9wavefront6targetE1EEEvT1_
    .private_segment_fixed_size: 0
    .sgpr_count:     4
    .sgpr_spill_count: 0
    .symbol:         _ZN7rocprim17ROCPRIM_400000_NS6detail17trampoline_kernelINS0_14default_configENS1_25partition_config_selectorILNS1_17partition_subalgoE8EfNS0_10empty_typeEbEEZZNS1_14partition_implILS5_8ELb0ES3_jN6thrust23THRUST_200600_302600_NS6detail15normal_iteratorINSA_10device_ptrIfEEEEPS6_PKS6_NS0_5tupleIJSF_S6_EEENSJ_IJSG_SG_EEENS0_18inequality_wrapperINSA_8equal_toIfEEEEPmJS6_EEE10hipError_tPvRmT3_T4_T5_T6_T7_T9_mT8_P12ihipStream_tbDpT10_ENKUlT_T0_E_clISt17integral_constantIbLb0EES1A_EEDaS15_S16_EUlS15_E_NS1_11comp_targetILNS1_3genE4ELNS1_11target_archE910ELNS1_3gpuE8ELNS1_3repE0EEENS1_30default_config_static_selectorELNS0_4arch9wavefront6targetE1EEEvT1_.kd
    .uniform_work_group_size: 1
    .uses_dynamic_stack: false
    .vgpr_count:     0
    .vgpr_spill_count: 0
    .wavefront_size: 64
  - .args:
      - .offset:         0
        .size:           112
        .value_kind:     by_value
    .group_segment_fixed_size: 0
    .kernarg_segment_align: 8
    .kernarg_segment_size: 112
    .language:       OpenCL C
    .language_version:
      - 2
      - 0
    .max_flat_workgroup_size: 512
    .name:           _ZN7rocprim17ROCPRIM_400000_NS6detail17trampoline_kernelINS0_14default_configENS1_25partition_config_selectorILNS1_17partition_subalgoE8EfNS0_10empty_typeEbEEZZNS1_14partition_implILS5_8ELb0ES3_jN6thrust23THRUST_200600_302600_NS6detail15normal_iteratorINSA_10device_ptrIfEEEEPS6_PKS6_NS0_5tupleIJSF_S6_EEENSJ_IJSG_SG_EEENS0_18inequality_wrapperINSA_8equal_toIfEEEEPmJS6_EEE10hipError_tPvRmT3_T4_T5_T6_T7_T9_mT8_P12ihipStream_tbDpT10_ENKUlT_T0_E_clISt17integral_constantIbLb0EES1A_EEDaS15_S16_EUlS15_E_NS1_11comp_targetILNS1_3genE3ELNS1_11target_archE908ELNS1_3gpuE7ELNS1_3repE0EEENS1_30default_config_static_selectorELNS0_4arch9wavefront6targetE1EEEvT1_
    .private_segment_fixed_size: 0
    .sgpr_count:     4
    .sgpr_spill_count: 0
    .symbol:         _ZN7rocprim17ROCPRIM_400000_NS6detail17trampoline_kernelINS0_14default_configENS1_25partition_config_selectorILNS1_17partition_subalgoE8EfNS0_10empty_typeEbEEZZNS1_14partition_implILS5_8ELb0ES3_jN6thrust23THRUST_200600_302600_NS6detail15normal_iteratorINSA_10device_ptrIfEEEEPS6_PKS6_NS0_5tupleIJSF_S6_EEENSJ_IJSG_SG_EEENS0_18inequality_wrapperINSA_8equal_toIfEEEEPmJS6_EEE10hipError_tPvRmT3_T4_T5_T6_T7_T9_mT8_P12ihipStream_tbDpT10_ENKUlT_T0_E_clISt17integral_constantIbLb0EES1A_EEDaS15_S16_EUlS15_E_NS1_11comp_targetILNS1_3genE3ELNS1_11target_archE908ELNS1_3gpuE7ELNS1_3repE0EEENS1_30default_config_static_selectorELNS0_4arch9wavefront6targetE1EEEvT1_.kd
    .uniform_work_group_size: 1
    .uses_dynamic_stack: false
    .vgpr_count:     0
    .vgpr_spill_count: 0
    .wavefront_size: 64
  - .args:
      - .offset:         0
        .size:           112
        .value_kind:     by_value
    .group_segment_fixed_size: 16904
    .kernarg_segment_align: 8
    .kernarg_segment_size: 112
    .language:       OpenCL C
    .language_version:
      - 2
      - 0
    .max_flat_workgroup_size: 256
    .name:           _ZN7rocprim17ROCPRIM_400000_NS6detail17trampoline_kernelINS0_14default_configENS1_25partition_config_selectorILNS1_17partition_subalgoE8EfNS0_10empty_typeEbEEZZNS1_14partition_implILS5_8ELb0ES3_jN6thrust23THRUST_200600_302600_NS6detail15normal_iteratorINSA_10device_ptrIfEEEEPS6_PKS6_NS0_5tupleIJSF_S6_EEENSJ_IJSG_SG_EEENS0_18inequality_wrapperINSA_8equal_toIfEEEEPmJS6_EEE10hipError_tPvRmT3_T4_T5_T6_T7_T9_mT8_P12ihipStream_tbDpT10_ENKUlT_T0_E_clISt17integral_constantIbLb0EES1A_EEDaS15_S16_EUlS15_E_NS1_11comp_targetILNS1_3genE2ELNS1_11target_archE906ELNS1_3gpuE6ELNS1_3repE0EEENS1_30default_config_static_selectorELNS0_4arch9wavefront6targetE1EEEvT1_
    .private_segment_fixed_size: 0
    .sgpr_count:     60
    .sgpr_spill_count: 0
    .symbol:         _ZN7rocprim17ROCPRIM_400000_NS6detail17trampoline_kernelINS0_14default_configENS1_25partition_config_selectorILNS1_17partition_subalgoE8EfNS0_10empty_typeEbEEZZNS1_14partition_implILS5_8ELb0ES3_jN6thrust23THRUST_200600_302600_NS6detail15normal_iteratorINSA_10device_ptrIfEEEEPS6_PKS6_NS0_5tupleIJSF_S6_EEENSJ_IJSG_SG_EEENS0_18inequality_wrapperINSA_8equal_toIfEEEEPmJS6_EEE10hipError_tPvRmT3_T4_T5_T6_T7_T9_mT8_P12ihipStream_tbDpT10_ENKUlT_T0_E_clISt17integral_constantIbLb0EES1A_EEDaS15_S16_EUlS15_E_NS1_11comp_targetILNS1_3genE2ELNS1_11target_archE906ELNS1_3gpuE6ELNS1_3repE0EEENS1_30default_config_static_selectorELNS0_4arch9wavefront6targetE1EEEvT1_.kd
    .uniform_work_group_size: 1
    .uses_dynamic_stack: false
    .vgpr_count:     75
    .vgpr_spill_count: 0
    .wavefront_size: 64
  - .args:
      - .offset:         0
        .size:           112
        .value_kind:     by_value
    .group_segment_fixed_size: 0
    .kernarg_segment_align: 8
    .kernarg_segment_size: 112
    .language:       OpenCL C
    .language_version:
      - 2
      - 0
    .max_flat_workgroup_size: 384
    .name:           _ZN7rocprim17ROCPRIM_400000_NS6detail17trampoline_kernelINS0_14default_configENS1_25partition_config_selectorILNS1_17partition_subalgoE8EfNS0_10empty_typeEbEEZZNS1_14partition_implILS5_8ELb0ES3_jN6thrust23THRUST_200600_302600_NS6detail15normal_iteratorINSA_10device_ptrIfEEEEPS6_PKS6_NS0_5tupleIJSF_S6_EEENSJ_IJSG_SG_EEENS0_18inequality_wrapperINSA_8equal_toIfEEEEPmJS6_EEE10hipError_tPvRmT3_T4_T5_T6_T7_T9_mT8_P12ihipStream_tbDpT10_ENKUlT_T0_E_clISt17integral_constantIbLb0EES1A_EEDaS15_S16_EUlS15_E_NS1_11comp_targetILNS1_3genE10ELNS1_11target_archE1200ELNS1_3gpuE4ELNS1_3repE0EEENS1_30default_config_static_selectorELNS0_4arch9wavefront6targetE1EEEvT1_
    .private_segment_fixed_size: 0
    .sgpr_count:     4
    .sgpr_spill_count: 0
    .symbol:         _ZN7rocprim17ROCPRIM_400000_NS6detail17trampoline_kernelINS0_14default_configENS1_25partition_config_selectorILNS1_17partition_subalgoE8EfNS0_10empty_typeEbEEZZNS1_14partition_implILS5_8ELb0ES3_jN6thrust23THRUST_200600_302600_NS6detail15normal_iteratorINSA_10device_ptrIfEEEEPS6_PKS6_NS0_5tupleIJSF_S6_EEENSJ_IJSG_SG_EEENS0_18inequality_wrapperINSA_8equal_toIfEEEEPmJS6_EEE10hipError_tPvRmT3_T4_T5_T6_T7_T9_mT8_P12ihipStream_tbDpT10_ENKUlT_T0_E_clISt17integral_constantIbLb0EES1A_EEDaS15_S16_EUlS15_E_NS1_11comp_targetILNS1_3genE10ELNS1_11target_archE1200ELNS1_3gpuE4ELNS1_3repE0EEENS1_30default_config_static_selectorELNS0_4arch9wavefront6targetE1EEEvT1_.kd
    .uniform_work_group_size: 1
    .uses_dynamic_stack: false
    .vgpr_count:     0
    .vgpr_spill_count: 0
    .wavefront_size: 64
  - .args:
      - .offset:         0
        .size:           112
        .value_kind:     by_value
    .group_segment_fixed_size: 0
    .kernarg_segment_align: 8
    .kernarg_segment_size: 112
    .language:       OpenCL C
    .language_version:
      - 2
      - 0
    .max_flat_workgroup_size: 128
    .name:           _ZN7rocprim17ROCPRIM_400000_NS6detail17trampoline_kernelINS0_14default_configENS1_25partition_config_selectorILNS1_17partition_subalgoE8EfNS0_10empty_typeEbEEZZNS1_14partition_implILS5_8ELb0ES3_jN6thrust23THRUST_200600_302600_NS6detail15normal_iteratorINSA_10device_ptrIfEEEEPS6_PKS6_NS0_5tupleIJSF_S6_EEENSJ_IJSG_SG_EEENS0_18inequality_wrapperINSA_8equal_toIfEEEEPmJS6_EEE10hipError_tPvRmT3_T4_T5_T6_T7_T9_mT8_P12ihipStream_tbDpT10_ENKUlT_T0_E_clISt17integral_constantIbLb0EES1A_EEDaS15_S16_EUlS15_E_NS1_11comp_targetILNS1_3genE9ELNS1_11target_archE1100ELNS1_3gpuE3ELNS1_3repE0EEENS1_30default_config_static_selectorELNS0_4arch9wavefront6targetE1EEEvT1_
    .private_segment_fixed_size: 0
    .sgpr_count:     4
    .sgpr_spill_count: 0
    .symbol:         _ZN7rocprim17ROCPRIM_400000_NS6detail17trampoline_kernelINS0_14default_configENS1_25partition_config_selectorILNS1_17partition_subalgoE8EfNS0_10empty_typeEbEEZZNS1_14partition_implILS5_8ELb0ES3_jN6thrust23THRUST_200600_302600_NS6detail15normal_iteratorINSA_10device_ptrIfEEEEPS6_PKS6_NS0_5tupleIJSF_S6_EEENSJ_IJSG_SG_EEENS0_18inequality_wrapperINSA_8equal_toIfEEEEPmJS6_EEE10hipError_tPvRmT3_T4_T5_T6_T7_T9_mT8_P12ihipStream_tbDpT10_ENKUlT_T0_E_clISt17integral_constantIbLb0EES1A_EEDaS15_S16_EUlS15_E_NS1_11comp_targetILNS1_3genE9ELNS1_11target_archE1100ELNS1_3gpuE3ELNS1_3repE0EEENS1_30default_config_static_selectorELNS0_4arch9wavefront6targetE1EEEvT1_.kd
    .uniform_work_group_size: 1
    .uses_dynamic_stack: false
    .vgpr_count:     0
    .vgpr_spill_count: 0
    .wavefront_size: 64
  - .args:
      - .offset:         0
        .size:           112
        .value_kind:     by_value
    .group_segment_fixed_size: 0
    .kernarg_segment_align: 8
    .kernarg_segment_size: 112
    .language:       OpenCL C
    .language_version:
      - 2
      - 0
    .max_flat_workgroup_size: 512
    .name:           _ZN7rocprim17ROCPRIM_400000_NS6detail17trampoline_kernelINS0_14default_configENS1_25partition_config_selectorILNS1_17partition_subalgoE8EfNS0_10empty_typeEbEEZZNS1_14partition_implILS5_8ELb0ES3_jN6thrust23THRUST_200600_302600_NS6detail15normal_iteratorINSA_10device_ptrIfEEEEPS6_PKS6_NS0_5tupleIJSF_S6_EEENSJ_IJSG_SG_EEENS0_18inequality_wrapperINSA_8equal_toIfEEEEPmJS6_EEE10hipError_tPvRmT3_T4_T5_T6_T7_T9_mT8_P12ihipStream_tbDpT10_ENKUlT_T0_E_clISt17integral_constantIbLb0EES1A_EEDaS15_S16_EUlS15_E_NS1_11comp_targetILNS1_3genE8ELNS1_11target_archE1030ELNS1_3gpuE2ELNS1_3repE0EEENS1_30default_config_static_selectorELNS0_4arch9wavefront6targetE1EEEvT1_
    .private_segment_fixed_size: 0
    .sgpr_count:     4
    .sgpr_spill_count: 0
    .symbol:         _ZN7rocprim17ROCPRIM_400000_NS6detail17trampoline_kernelINS0_14default_configENS1_25partition_config_selectorILNS1_17partition_subalgoE8EfNS0_10empty_typeEbEEZZNS1_14partition_implILS5_8ELb0ES3_jN6thrust23THRUST_200600_302600_NS6detail15normal_iteratorINSA_10device_ptrIfEEEEPS6_PKS6_NS0_5tupleIJSF_S6_EEENSJ_IJSG_SG_EEENS0_18inequality_wrapperINSA_8equal_toIfEEEEPmJS6_EEE10hipError_tPvRmT3_T4_T5_T6_T7_T9_mT8_P12ihipStream_tbDpT10_ENKUlT_T0_E_clISt17integral_constantIbLb0EES1A_EEDaS15_S16_EUlS15_E_NS1_11comp_targetILNS1_3genE8ELNS1_11target_archE1030ELNS1_3gpuE2ELNS1_3repE0EEENS1_30default_config_static_selectorELNS0_4arch9wavefront6targetE1EEEvT1_.kd
    .uniform_work_group_size: 1
    .uses_dynamic_stack: false
    .vgpr_count:     0
    .vgpr_spill_count: 0
    .wavefront_size: 64
  - .args:
      - .offset:         0
        .size:           128
        .value_kind:     by_value
    .group_segment_fixed_size: 0
    .kernarg_segment_align: 8
    .kernarg_segment_size: 128
    .language:       OpenCL C
    .language_version:
      - 2
      - 0
    .max_flat_workgroup_size: 512
    .name:           _ZN7rocprim17ROCPRIM_400000_NS6detail17trampoline_kernelINS0_14default_configENS1_25partition_config_selectorILNS1_17partition_subalgoE8EfNS0_10empty_typeEbEEZZNS1_14partition_implILS5_8ELb0ES3_jN6thrust23THRUST_200600_302600_NS6detail15normal_iteratorINSA_10device_ptrIfEEEEPS6_PKS6_NS0_5tupleIJSF_S6_EEENSJ_IJSG_SG_EEENS0_18inequality_wrapperINSA_8equal_toIfEEEEPmJS6_EEE10hipError_tPvRmT3_T4_T5_T6_T7_T9_mT8_P12ihipStream_tbDpT10_ENKUlT_T0_E_clISt17integral_constantIbLb1EES1A_EEDaS15_S16_EUlS15_E_NS1_11comp_targetILNS1_3genE0ELNS1_11target_archE4294967295ELNS1_3gpuE0ELNS1_3repE0EEENS1_30default_config_static_selectorELNS0_4arch9wavefront6targetE1EEEvT1_
    .private_segment_fixed_size: 0
    .sgpr_count:     4
    .sgpr_spill_count: 0
    .symbol:         _ZN7rocprim17ROCPRIM_400000_NS6detail17trampoline_kernelINS0_14default_configENS1_25partition_config_selectorILNS1_17partition_subalgoE8EfNS0_10empty_typeEbEEZZNS1_14partition_implILS5_8ELb0ES3_jN6thrust23THRUST_200600_302600_NS6detail15normal_iteratorINSA_10device_ptrIfEEEEPS6_PKS6_NS0_5tupleIJSF_S6_EEENSJ_IJSG_SG_EEENS0_18inequality_wrapperINSA_8equal_toIfEEEEPmJS6_EEE10hipError_tPvRmT3_T4_T5_T6_T7_T9_mT8_P12ihipStream_tbDpT10_ENKUlT_T0_E_clISt17integral_constantIbLb1EES1A_EEDaS15_S16_EUlS15_E_NS1_11comp_targetILNS1_3genE0ELNS1_11target_archE4294967295ELNS1_3gpuE0ELNS1_3repE0EEENS1_30default_config_static_selectorELNS0_4arch9wavefront6targetE1EEEvT1_.kd
    .uniform_work_group_size: 1
    .uses_dynamic_stack: false
    .vgpr_count:     0
    .vgpr_spill_count: 0
    .wavefront_size: 64
  - .args:
      - .offset:         0
        .size:           128
        .value_kind:     by_value
    .group_segment_fixed_size: 0
    .kernarg_segment_align: 8
    .kernarg_segment_size: 128
    .language:       OpenCL C
    .language_version:
      - 2
      - 0
    .max_flat_workgroup_size: 512
    .name:           _ZN7rocprim17ROCPRIM_400000_NS6detail17trampoline_kernelINS0_14default_configENS1_25partition_config_selectorILNS1_17partition_subalgoE8EfNS0_10empty_typeEbEEZZNS1_14partition_implILS5_8ELb0ES3_jN6thrust23THRUST_200600_302600_NS6detail15normal_iteratorINSA_10device_ptrIfEEEEPS6_PKS6_NS0_5tupleIJSF_S6_EEENSJ_IJSG_SG_EEENS0_18inequality_wrapperINSA_8equal_toIfEEEEPmJS6_EEE10hipError_tPvRmT3_T4_T5_T6_T7_T9_mT8_P12ihipStream_tbDpT10_ENKUlT_T0_E_clISt17integral_constantIbLb1EES1A_EEDaS15_S16_EUlS15_E_NS1_11comp_targetILNS1_3genE5ELNS1_11target_archE942ELNS1_3gpuE9ELNS1_3repE0EEENS1_30default_config_static_selectorELNS0_4arch9wavefront6targetE1EEEvT1_
    .private_segment_fixed_size: 0
    .sgpr_count:     4
    .sgpr_spill_count: 0
    .symbol:         _ZN7rocprim17ROCPRIM_400000_NS6detail17trampoline_kernelINS0_14default_configENS1_25partition_config_selectorILNS1_17partition_subalgoE8EfNS0_10empty_typeEbEEZZNS1_14partition_implILS5_8ELb0ES3_jN6thrust23THRUST_200600_302600_NS6detail15normal_iteratorINSA_10device_ptrIfEEEEPS6_PKS6_NS0_5tupleIJSF_S6_EEENSJ_IJSG_SG_EEENS0_18inequality_wrapperINSA_8equal_toIfEEEEPmJS6_EEE10hipError_tPvRmT3_T4_T5_T6_T7_T9_mT8_P12ihipStream_tbDpT10_ENKUlT_T0_E_clISt17integral_constantIbLb1EES1A_EEDaS15_S16_EUlS15_E_NS1_11comp_targetILNS1_3genE5ELNS1_11target_archE942ELNS1_3gpuE9ELNS1_3repE0EEENS1_30default_config_static_selectorELNS0_4arch9wavefront6targetE1EEEvT1_.kd
    .uniform_work_group_size: 1
    .uses_dynamic_stack: false
    .vgpr_count:     0
    .vgpr_spill_count: 0
    .wavefront_size: 64
  - .args:
      - .offset:         0
        .size:           128
        .value_kind:     by_value
    .group_segment_fixed_size: 0
    .kernarg_segment_align: 8
    .kernarg_segment_size: 128
    .language:       OpenCL C
    .language_version:
      - 2
      - 0
    .max_flat_workgroup_size: 256
    .name:           _ZN7rocprim17ROCPRIM_400000_NS6detail17trampoline_kernelINS0_14default_configENS1_25partition_config_selectorILNS1_17partition_subalgoE8EfNS0_10empty_typeEbEEZZNS1_14partition_implILS5_8ELb0ES3_jN6thrust23THRUST_200600_302600_NS6detail15normal_iteratorINSA_10device_ptrIfEEEEPS6_PKS6_NS0_5tupleIJSF_S6_EEENSJ_IJSG_SG_EEENS0_18inequality_wrapperINSA_8equal_toIfEEEEPmJS6_EEE10hipError_tPvRmT3_T4_T5_T6_T7_T9_mT8_P12ihipStream_tbDpT10_ENKUlT_T0_E_clISt17integral_constantIbLb1EES1A_EEDaS15_S16_EUlS15_E_NS1_11comp_targetILNS1_3genE4ELNS1_11target_archE910ELNS1_3gpuE8ELNS1_3repE0EEENS1_30default_config_static_selectorELNS0_4arch9wavefront6targetE1EEEvT1_
    .private_segment_fixed_size: 0
    .sgpr_count:     4
    .sgpr_spill_count: 0
    .symbol:         _ZN7rocprim17ROCPRIM_400000_NS6detail17trampoline_kernelINS0_14default_configENS1_25partition_config_selectorILNS1_17partition_subalgoE8EfNS0_10empty_typeEbEEZZNS1_14partition_implILS5_8ELb0ES3_jN6thrust23THRUST_200600_302600_NS6detail15normal_iteratorINSA_10device_ptrIfEEEEPS6_PKS6_NS0_5tupleIJSF_S6_EEENSJ_IJSG_SG_EEENS0_18inequality_wrapperINSA_8equal_toIfEEEEPmJS6_EEE10hipError_tPvRmT3_T4_T5_T6_T7_T9_mT8_P12ihipStream_tbDpT10_ENKUlT_T0_E_clISt17integral_constantIbLb1EES1A_EEDaS15_S16_EUlS15_E_NS1_11comp_targetILNS1_3genE4ELNS1_11target_archE910ELNS1_3gpuE8ELNS1_3repE0EEENS1_30default_config_static_selectorELNS0_4arch9wavefront6targetE1EEEvT1_.kd
    .uniform_work_group_size: 1
    .uses_dynamic_stack: false
    .vgpr_count:     0
    .vgpr_spill_count: 0
    .wavefront_size: 64
  - .args:
      - .offset:         0
        .size:           128
        .value_kind:     by_value
    .group_segment_fixed_size: 0
    .kernarg_segment_align: 8
    .kernarg_segment_size: 128
    .language:       OpenCL C
    .language_version:
      - 2
      - 0
    .max_flat_workgroup_size: 512
    .name:           _ZN7rocprim17ROCPRIM_400000_NS6detail17trampoline_kernelINS0_14default_configENS1_25partition_config_selectorILNS1_17partition_subalgoE8EfNS0_10empty_typeEbEEZZNS1_14partition_implILS5_8ELb0ES3_jN6thrust23THRUST_200600_302600_NS6detail15normal_iteratorINSA_10device_ptrIfEEEEPS6_PKS6_NS0_5tupleIJSF_S6_EEENSJ_IJSG_SG_EEENS0_18inequality_wrapperINSA_8equal_toIfEEEEPmJS6_EEE10hipError_tPvRmT3_T4_T5_T6_T7_T9_mT8_P12ihipStream_tbDpT10_ENKUlT_T0_E_clISt17integral_constantIbLb1EES1A_EEDaS15_S16_EUlS15_E_NS1_11comp_targetILNS1_3genE3ELNS1_11target_archE908ELNS1_3gpuE7ELNS1_3repE0EEENS1_30default_config_static_selectorELNS0_4arch9wavefront6targetE1EEEvT1_
    .private_segment_fixed_size: 0
    .sgpr_count:     4
    .sgpr_spill_count: 0
    .symbol:         _ZN7rocprim17ROCPRIM_400000_NS6detail17trampoline_kernelINS0_14default_configENS1_25partition_config_selectorILNS1_17partition_subalgoE8EfNS0_10empty_typeEbEEZZNS1_14partition_implILS5_8ELb0ES3_jN6thrust23THRUST_200600_302600_NS6detail15normal_iteratorINSA_10device_ptrIfEEEEPS6_PKS6_NS0_5tupleIJSF_S6_EEENSJ_IJSG_SG_EEENS0_18inequality_wrapperINSA_8equal_toIfEEEEPmJS6_EEE10hipError_tPvRmT3_T4_T5_T6_T7_T9_mT8_P12ihipStream_tbDpT10_ENKUlT_T0_E_clISt17integral_constantIbLb1EES1A_EEDaS15_S16_EUlS15_E_NS1_11comp_targetILNS1_3genE3ELNS1_11target_archE908ELNS1_3gpuE7ELNS1_3repE0EEENS1_30default_config_static_selectorELNS0_4arch9wavefront6targetE1EEEvT1_.kd
    .uniform_work_group_size: 1
    .uses_dynamic_stack: false
    .vgpr_count:     0
    .vgpr_spill_count: 0
    .wavefront_size: 64
  - .args:
      - .offset:         0
        .size:           128
        .value_kind:     by_value
    .group_segment_fixed_size: 0
    .kernarg_segment_align: 8
    .kernarg_segment_size: 128
    .language:       OpenCL C
    .language_version:
      - 2
      - 0
    .max_flat_workgroup_size: 256
    .name:           _ZN7rocprim17ROCPRIM_400000_NS6detail17trampoline_kernelINS0_14default_configENS1_25partition_config_selectorILNS1_17partition_subalgoE8EfNS0_10empty_typeEbEEZZNS1_14partition_implILS5_8ELb0ES3_jN6thrust23THRUST_200600_302600_NS6detail15normal_iteratorINSA_10device_ptrIfEEEEPS6_PKS6_NS0_5tupleIJSF_S6_EEENSJ_IJSG_SG_EEENS0_18inequality_wrapperINSA_8equal_toIfEEEEPmJS6_EEE10hipError_tPvRmT3_T4_T5_T6_T7_T9_mT8_P12ihipStream_tbDpT10_ENKUlT_T0_E_clISt17integral_constantIbLb1EES1A_EEDaS15_S16_EUlS15_E_NS1_11comp_targetILNS1_3genE2ELNS1_11target_archE906ELNS1_3gpuE6ELNS1_3repE0EEENS1_30default_config_static_selectorELNS0_4arch9wavefront6targetE1EEEvT1_
    .private_segment_fixed_size: 0
    .sgpr_count:     4
    .sgpr_spill_count: 0
    .symbol:         _ZN7rocprim17ROCPRIM_400000_NS6detail17trampoline_kernelINS0_14default_configENS1_25partition_config_selectorILNS1_17partition_subalgoE8EfNS0_10empty_typeEbEEZZNS1_14partition_implILS5_8ELb0ES3_jN6thrust23THRUST_200600_302600_NS6detail15normal_iteratorINSA_10device_ptrIfEEEEPS6_PKS6_NS0_5tupleIJSF_S6_EEENSJ_IJSG_SG_EEENS0_18inequality_wrapperINSA_8equal_toIfEEEEPmJS6_EEE10hipError_tPvRmT3_T4_T5_T6_T7_T9_mT8_P12ihipStream_tbDpT10_ENKUlT_T0_E_clISt17integral_constantIbLb1EES1A_EEDaS15_S16_EUlS15_E_NS1_11comp_targetILNS1_3genE2ELNS1_11target_archE906ELNS1_3gpuE6ELNS1_3repE0EEENS1_30default_config_static_selectorELNS0_4arch9wavefront6targetE1EEEvT1_.kd
    .uniform_work_group_size: 1
    .uses_dynamic_stack: false
    .vgpr_count:     0
    .vgpr_spill_count: 0
    .wavefront_size: 64
  - .args:
      - .offset:         0
        .size:           128
        .value_kind:     by_value
    .group_segment_fixed_size: 0
    .kernarg_segment_align: 8
    .kernarg_segment_size: 128
    .language:       OpenCL C
    .language_version:
      - 2
      - 0
    .max_flat_workgroup_size: 384
    .name:           _ZN7rocprim17ROCPRIM_400000_NS6detail17trampoline_kernelINS0_14default_configENS1_25partition_config_selectorILNS1_17partition_subalgoE8EfNS0_10empty_typeEbEEZZNS1_14partition_implILS5_8ELb0ES3_jN6thrust23THRUST_200600_302600_NS6detail15normal_iteratorINSA_10device_ptrIfEEEEPS6_PKS6_NS0_5tupleIJSF_S6_EEENSJ_IJSG_SG_EEENS0_18inequality_wrapperINSA_8equal_toIfEEEEPmJS6_EEE10hipError_tPvRmT3_T4_T5_T6_T7_T9_mT8_P12ihipStream_tbDpT10_ENKUlT_T0_E_clISt17integral_constantIbLb1EES1A_EEDaS15_S16_EUlS15_E_NS1_11comp_targetILNS1_3genE10ELNS1_11target_archE1200ELNS1_3gpuE4ELNS1_3repE0EEENS1_30default_config_static_selectorELNS0_4arch9wavefront6targetE1EEEvT1_
    .private_segment_fixed_size: 0
    .sgpr_count:     4
    .sgpr_spill_count: 0
    .symbol:         _ZN7rocprim17ROCPRIM_400000_NS6detail17trampoline_kernelINS0_14default_configENS1_25partition_config_selectorILNS1_17partition_subalgoE8EfNS0_10empty_typeEbEEZZNS1_14partition_implILS5_8ELb0ES3_jN6thrust23THRUST_200600_302600_NS6detail15normal_iteratorINSA_10device_ptrIfEEEEPS6_PKS6_NS0_5tupleIJSF_S6_EEENSJ_IJSG_SG_EEENS0_18inequality_wrapperINSA_8equal_toIfEEEEPmJS6_EEE10hipError_tPvRmT3_T4_T5_T6_T7_T9_mT8_P12ihipStream_tbDpT10_ENKUlT_T0_E_clISt17integral_constantIbLb1EES1A_EEDaS15_S16_EUlS15_E_NS1_11comp_targetILNS1_3genE10ELNS1_11target_archE1200ELNS1_3gpuE4ELNS1_3repE0EEENS1_30default_config_static_selectorELNS0_4arch9wavefront6targetE1EEEvT1_.kd
    .uniform_work_group_size: 1
    .uses_dynamic_stack: false
    .vgpr_count:     0
    .vgpr_spill_count: 0
    .wavefront_size: 64
  - .args:
      - .offset:         0
        .size:           128
        .value_kind:     by_value
    .group_segment_fixed_size: 0
    .kernarg_segment_align: 8
    .kernarg_segment_size: 128
    .language:       OpenCL C
    .language_version:
      - 2
      - 0
    .max_flat_workgroup_size: 128
    .name:           _ZN7rocprim17ROCPRIM_400000_NS6detail17trampoline_kernelINS0_14default_configENS1_25partition_config_selectorILNS1_17partition_subalgoE8EfNS0_10empty_typeEbEEZZNS1_14partition_implILS5_8ELb0ES3_jN6thrust23THRUST_200600_302600_NS6detail15normal_iteratorINSA_10device_ptrIfEEEEPS6_PKS6_NS0_5tupleIJSF_S6_EEENSJ_IJSG_SG_EEENS0_18inequality_wrapperINSA_8equal_toIfEEEEPmJS6_EEE10hipError_tPvRmT3_T4_T5_T6_T7_T9_mT8_P12ihipStream_tbDpT10_ENKUlT_T0_E_clISt17integral_constantIbLb1EES1A_EEDaS15_S16_EUlS15_E_NS1_11comp_targetILNS1_3genE9ELNS1_11target_archE1100ELNS1_3gpuE3ELNS1_3repE0EEENS1_30default_config_static_selectorELNS0_4arch9wavefront6targetE1EEEvT1_
    .private_segment_fixed_size: 0
    .sgpr_count:     4
    .sgpr_spill_count: 0
    .symbol:         _ZN7rocprim17ROCPRIM_400000_NS6detail17trampoline_kernelINS0_14default_configENS1_25partition_config_selectorILNS1_17partition_subalgoE8EfNS0_10empty_typeEbEEZZNS1_14partition_implILS5_8ELb0ES3_jN6thrust23THRUST_200600_302600_NS6detail15normal_iteratorINSA_10device_ptrIfEEEEPS6_PKS6_NS0_5tupleIJSF_S6_EEENSJ_IJSG_SG_EEENS0_18inequality_wrapperINSA_8equal_toIfEEEEPmJS6_EEE10hipError_tPvRmT3_T4_T5_T6_T7_T9_mT8_P12ihipStream_tbDpT10_ENKUlT_T0_E_clISt17integral_constantIbLb1EES1A_EEDaS15_S16_EUlS15_E_NS1_11comp_targetILNS1_3genE9ELNS1_11target_archE1100ELNS1_3gpuE3ELNS1_3repE0EEENS1_30default_config_static_selectorELNS0_4arch9wavefront6targetE1EEEvT1_.kd
    .uniform_work_group_size: 1
    .uses_dynamic_stack: false
    .vgpr_count:     0
    .vgpr_spill_count: 0
    .wavefront_size: 64
  - .args:
      - .offset:         0
        .size:           128
        .value_kind:     by_value
    .group_segment_fixed_size: 0
    .kernarg_segment_align: 8
    .kernarg_segment_size: 128
    .language:       OpenCL C
    .language_version:
      - 2
      - 0
    .max_flat_workgroup_size: 512
    .name:           _ZN7rocprim17ROCPRIM_400000_NS6detail17trampoline_kernelINS0_14default_configENS1_25partition_config_selectorILNS1_17partition_subalgoE8EfNS0_10empty_typeEbEEZZNS1_14partition_implILS5_8ELb0ES3_jN6thrust23THRUST_200600_302600_NS6detail15normal_iteratorINSA_10device_ptrIfEEEEPS6_PKS6_NS0_5tupleIJSF_S6_EEENSJ_IJSG_SG_EEENS0_18inequality_wrapperINSA_8equal_toIfEEEEPmJS6_EEE10hipError_tPvRmT3_T4_T5_T6_T7_T9_mT8_P12ihipStream_tbDpT10_ENKUlT_T0_E_clISt17integral_constantIbLb1EES1A_EEDaS15_S16_EUlS15_E_NS1_11comp_targetILNS1_3genE8ELNS1_11target_archE1030ELNS1_3gpuE2ELNS1_3repE0EEENS1_30default_config_static_selectorELNS0_4arch9wavefront6targetE1EEEvT1_
    .private_segment_fixed_size: 0
    .sgpr_count:     4
    .sgpr_spill_count: 0
    .symbol:         _ZN7rocprim17ROCPRIM_400000_NS6detail17trampoline_kernelINS0_14default_configENS1_25partition_config_selectorILNS1_17partition_subalgoE8EfNS0_10empty_typeEbEEZZNS1_14partition_implILS5_8ELb0ES3_jN6thrust23THRUST_200600_302600_NS6detail15normal_iteratorINSA_10device_ptrIfEEEEPS6_PKS6_NS0_5tupleIJSF_S6_EEENSJ_IJSG_SG_EEENS0_18inequality_wrapperINSA_8equal_toIfEEEEPmJS6_EEE10hipError_tPvRmT3_T4_T5_T6_T7_T9_mT8_P12ihipStream_tbDpT10_ENKUlT_T0_E_clISt17integral_constantIbLb1EES1A_EEDaS15_S16_EUlS15_E_NS1_11comp_targetILNS1_3genE8ELNS1_11target_archE1030ELNS1_3gpuE2ELNS1_3repE0EEENS1_30default_config_static_selectorELNS0_4arch9wavefront6targetE1EEEvT1_.kd
    .uniform_work_group_size: 1
    .uses_dynamic_stack: false
    .vgpr_count:     0
    .vgpr_spill_count: 0
    .wavefront_size: 64
  - .args:
      - .offset:         0
        .size:           112
        .value_kind:     by_value
    .group_segment_fixed_size: 0
    .kernarg_segment_align: 8
    .kernarg_segment_size: 112
    .language:       OpenCL C
    .language_version:
      - 2
      - 0
    .max_flat_workgroup_size: 512
    .name:           _ZN7rocprim17ROCPRIM_400000_NS6detail17trampoline_kernelINS0_14default_configENS1_25partition_config_selectorILNS1_17partition_subalgoE8EfNS0_10empty_typeEbEEZZNS1_14partition_implILS5_8ELb0ES3_jN6thrust23THRUST_200600_302600_NS6detail15normal_iteratorINSA_10device_ptrIfEEEEPS6_PKS6_NS0_5tupleIJSF_S6_EEENSJ_IJSG_SG_EEENS0_18inequality_wrapperINSA_8equal_toIfEEEEPmJS6_EEE10hipError_tPvRmT3_T4_T5_T6_T7_T9_mT8_P12ihipStream_tbDpT10_ENKUlT_T0_E_clISt17integral_constantIbLb1EES19_IbLb0EEEEDaS15_S16_EUlS15_E_NS1_11comp_targetILNS1_3genE0ELNS1_11target_archE4294967295ELNS1_3gpuE0ELNS1_3repE0EEENS1_30default_config_static_selectorELNS0_4arch9wavefront6targetE1EEEvT1_
    .private_segment_fixed_size: 0
    .sgpr_count:     4
    .sgpr_spill_count: 0
    .symbol:         _ZN7rocprim17ROCPRIM_400000_NS6detail17trampoline_kernelINS0_14default_configENS1_25partition_config_selectorILNS1_17partition_subalgoE8EfNS0_10empty_typeEbEEZZNS1_14partition_implILS5_8ELb0ES3_jN6thrust23THRUST_200600_302600_NS6detail15normal_iteratorINSA_10device_ptrIfEEEEPS6_PKS6_NS0_5tupleIJSF_S6_EEENSJ_IJSG_SG_EEENS0_18inequality_wrapperINSA_8equal_toIfEEEEPmJS6_EEE10hipError_tPvRmT3_T4_T5_T6_T7_T9_mT8_P12ihipStream_tbDpT10_ENKUlT_T0_E_clISt17integral_constantIbLb1EES19_IbLb0EEEEDaS15_S16_EUlS15_E_NS1_11comp_targetILNS1_3genE0ELNS1_11target_archE4294967295ELNS1_3gpuE0ELNS1_3repE0EEENS1_30default_config_static_selectorELNS0_4arch9wavefront6targetE1EEEvT1_.kd
    .uniform_work_group_size: 1
    .uses_dynamic_stack: false
    .vgpr_count:     0
    .vgpr_spill_count: 0
    .wavefront_size: 64
  - .args:
      - .offset:         0
        .size:           112
        .value_kind:     by_value
    .group_segment_fixed_size: 0
    .kernarg_segment_align: 8
    .kernarg_segment_size: 112
    .language:       OpenCL C
    .language_version:
      - 2
      - 0
    .max_flat_workgroup_size: 512
    .name:           _ZN7rocprim17ROCPRIM_400000_NS6detail17trampoline_kernelINS0_14default_configENS1_25partition_config_selectorILNS1_17partition_subalgoE8EfNS0_10empty_typeEbEEZZNS1_14partition_implILS5_8ELb0ES3_jN6thrust23THRUST_200600_302600_NS6detail15normal_iteratorINSA_10device_ptrIfEEEEPS6_PKS6_NS0_5tupleIJSF_S6_EEENSJ_IJSG_SG_EEENS0_18inequality_wrapperINSA_8equal_toIfEEEEPmJS6_EEE10hipError_tPvRmT3_T4_T5_T6_T7_T9_mT8_P12ihipStream_tbDpT10_ENKUlT_T0_E_clISt17integral_constantIbLb1EES19_IbLb0EEEEDaS15_S16_EUlS15_E_NS1_11comp_targetILNS1_3genE5ELNS1_11target_archE942ELNS1_3gpuE9ELNS1_3repE0EEENS1_30default_config_static_selectorELNS0_4arch9wavefront6targetE1EEEvT1_
    .private_segment_fixed_size: 0
    .sgpr_count:     4
    .sgpr_spill_count: 0
    .symbol:         _ZN7rocprim17ROCPRIM_400000_NS6detail17trampoline_kernelINS0_14default_configENS1_25partition_config_selectorILNS1_17partition_subalgoE8EfNS0_10empty_typeEbEEZZNS1_14partition_implILS5_8ELb0ES3_jN6thrust23THRUST_200600_302600_NS6detail15normal_iteratorINSA_10device_ptrIfEEEEPS6_PKS6_NS0_5tupleIJSF_S6_EEENSJ_IJSG_SG_EEENS0_18inequality_wrapperINSA_8equal_toIfEEEEPmJS6_EEE10hipError_tPvRmT3_T4_T5_T6_T7_T9_mT8_P12ihipStream_tbDpT10_ENKUlT_T0_E_clISt17integral_constantIbLb1EES19_IbLb0EEEEDaS15_S16_EUlS15_E_NS1_11comp_targetILNS1_3genE5ELNS1_11target_archE942ELNS1_3gpuE9ELNS1_3repE0EEENS1_30default_config_static_selectorELNS0_4arch9wavefront6targetE1EEEvT1_.kd
    .uniform_work_group_size: 1
    .uses_dynamic_stack: false
    .vgpr_count:     0
    .vgpr_spill_count: 0
    .wavefront_size: 64
  - .args:
      - .offset:         0
        .size:           112
        .value_kind:     by_value
    .group_segment_fixed_size: 0
    .kernarg_segment_align: 8
    .kernarg_segment_size: 112
    .language:       OpenCL C
    .language_version:
      - 2
      - 0
    .max_flat_workgroup_size: 256
    .name:           _ZN7rocprim17ROCPRIM_400000_NS6detail17trampoline_kernelINS0_14default_configENS1_25partition_config_selectorILNS1_17partition_subalgoE8EfNS0_10empty_typeEbEEZZNS1_14partition_implILS5_8ELb0ES3_jN6thrust23THRUST_200600_302600_NS6detail15normal_iteratorINSA_10device_ptrIfEEEEPS6_PKS6_NS0_5tupleIJSF_S6_EEENSJ_IJSG_SG_EEENS0_18inequality_wrapperINSA_8equal_toIfEEEEPmJS6_EEE10hipError_tPvRmT3_T4_T5_T6_T7_T9_mT8_P12ihipStream_tbDpT10_ENKUlT_T0_E_clISt17integral_constantIbLb1EES19_IbLb0EEEEDaS15_S16_EUlS15_E_NS1_11comp_targetILNS1_3genE4ELNS1_11target_archE910ELNS1_3gpuE8ELNS1_3repE0EEENS1_30default_config_static_selectorELNS0_4arch9wavefront6targetE1EEEvT1_
    .private_segment_fixed_size: 0
    .sgpr_count:     4
    .sgpr_spill_count: 0
    .symbol:         _ZN7rocprim17ROCPRIM_400000_NS6detail17trampoline_kernelINS0_14default_configENS1_25partition_config_selectorILNS1_17partition_subalgoE8EfNS0_10empty_typeEbEEZZNS1_14partition_implILS5_8ELb0ES3_jN6thrust23THRUST_200600_302600_NS6detail15normal_iteratorINSA_10device_ptrIfEEEEPS6_PKS6_NS0_5tupleIJSF_S6_EEENSJ_IJSG_SG_EEENS0_18inequality_wrapperINSA_8equal_toIfEEEEPmJS6_EEE10hipError_tPvRmT3_T4_T5_T6_T7_T9_mT8_P12ihipStream_tbDpT10_ENKUlT_T0_E_clISt17integral_constantIbLb1EES19_IbLb0EEEEDaS15_S16_EUlS15_E_NS1_11comp_targetILNS1_3genE4ELNS1_11target_archE910ELNS1_3gpuE8ELNS1_3repE0EEENS1_30default_config_static_selectorELNS0_4arch9wavefront6targetE1EEEvT1_.kd
    .uniform_work_group_size: 1
    .uses_dynamic_stack: false
    .vgpr_count:     0
    .vgpr_spill_count: 0
    .wavefront_size: 64
  - .args:
      - .offset:         0
        .size:           112
        .value_kind:     by_value
    .group_segment_fixed_size: 0
    .kernarg_segment_align: 8
    .kernarg_segment_size: 112
    .language:       OpenCL C
    .language_version:
      - 2
      - 0
    .max_flat_workgroup_size: 512
    .name:           _ZN7rocprim17ROCPRIM_400000_NS6detail17trampoline_kernelINS0_14default_configENS1_25partition_config_selectorILNS1_17partition_subalgoE8EfNS0_10empty_typeEbEEZZNS1_14partition_implILS5_8ELb0ES3_jN6thrust23THRUST_200600_302600_NS6detail15normal_iteratorINSA_10device_ptrIfEEEEPS6_PKS6_NS0_5tupleIJSF_S6_EEENSJ_IJSG_SG_EEENS0_18inequality_wrapperINSA_8equal_toIfEEEEPmJS6_EEE10hipError_tPvRmT3_T4_T5_T6_T7_T9_mT8_P12ihipStream_tbDpT10_ENKUlT_T0_E_clISt17integral_constantIbLb1EES19_IbLb0EEEEDaS15_S16_EUlS15_E_NS1_11comp_targetILNS1_3genE3ELNS1_11target_archE908ELNS1_3gpuE7ELNS1_3repE0EEENS1_30default_config_static_selectorELNS0_4arch9wavefront6targetE1EEEvT1_
    .private_segment_fixed_size: 0
    .sgpr_count:     4
    .sgpr_spill_count: 0
    .symbol:         _ZN7rocprim17ROCPRIM_400000_NS6detail17trampoline_kernelINS0_14default_configENS1_25partition_config_selectorILNS1_17partition_subalgoE8EfNS0_10empty_typeEbEEZZNS1_14partition_implILS5_8ELb0ES3_jN6thrust23THRUST_200600_302600_NS6detail15normal_iteratorINSA_10device_ptrIfEEEEPS6_PKS6_NS0_5tupleIJSF_S6_EEENSJ_IJSG_SG_EEENS0_18inequality_wrapperINSA_8equal_toIfEEEEPmJS6_EEE10hipError_tPvRmT3_T4_T5_T6_T7_T9_mT8_P12ihipStream_tbDpT10_ENKUlT_T0_E_clISt17integral_constantIbLb1EES19_IbLb0EEEEDaS15_S16_EUlS15_E_NS1_11comp_targetILNS1_3genE3ELNS1_11target_archE908ELNS1_3gpuE7ELNS1_3repE0EEENS1_30default_config_static_selectorELNS0_4arch9wavefront6targetE1EEEvT1_.kd
    .uniform_work_group_size: 1
    .uses_dynamic_stack: false
    .vgpr_count:     0
    .vgpr_spill_count: 0
    .wavefront_size: 64
  - .args:
      - .offset:         0
        .size:           112
        .value_kind:     by_value
    .group_segment_fixed_size: 0
    .kernarg_segment_align: 8
    .kernarg_segment_size: 112
    .language:       OpenCL C
    .language_version:
      - 2
      - 0
    .max_flat_workgroup_size: 256
    .name:           _ZN7rocprim17ROCPRIM_400000_NS6detail17trampoline_kernelINS0_14default_configENS1_25partition_config_selectorILNS1_17partition_subalgoE8EfNS0_10empty_typeEbEEZZNS1_14partition_implILS5_8ELb0ES3_jN6thrust23THRUST_200600_302600_NS6detail15normal_iteratorINSA_10device_ptrIfEEEEPS6_PKS6_NS0_5tupleIJSF_S6_EEENSJ_IJSG_SG_EEENS0_18inequality_wrapperINSA_8equal_toIfEEEEPmJS6_EEE10hipError_tPvRmT3_T4_T5_T6_T7_T9_mT8_P12ihipStream_tbDpT10_ENKUlT_T0_E_clISt17integral_constantIbLb1EES19_IbLb0EEEEDaS15_S16_EUlS15_E_NS1_11comp_targetILNS1_3genE2ELNS1_11target_archE906ELNS1_3gpuE6ELNS1_3repE0EEENS1_30default_config_static_selectorELNS0_4arch9wavefront6targetE1EEEvT1_
    .private_segment_fixed_size: 0
    .sgpr_count:     4
    .sgpr_spill_count: 0
    .symbol:         _ZN7rocprim17ROCPRIM_400000_NS6detail17trampoline_kernelINS0_14default_configENS1_25partition_config_selectorILNS1_17partition_subalgoE8EfNS0_10empty_typeEbEEZZNS1_14partition_implILS5_8ELb0ES3_jN6thrust23THRUST_200600_302600_NS6detail15normal_iteratorINSA_10device_ptrIfEEEEPS6_PKS6_NS0_5tupleIJSF_S6_EEENSJ_IJSG_SG_EEENS0_18inequality_wrapperINSA_8equal_toIfEEEEPmJS6_EEE10hipError_tPvRmT3_T4_T5_T6_T7_T9_mT8_P12ihipStream_tbDpT10_ENKUlT_T0_E_clISt17integral_constantIbLb1EES19_IbLb0EEEEDaS15_S16_EUlS15_E_NS1_11comp_targetILNS1_3genE2ELNS1_11target_archE906ELNS1_3gpuE6ELNS1_3repE0EEENS1_30default_config_static_selectorELNS0_4arch9wavefront6targetE1EEEvT1_.kd
    .uniform_work_group_size: 1
    .uses_dynamic_stack: false
    .vgpr_count:     0
    .vgpr_spill_count: 0
    .wavefront_size: 64
  - .args:
      - .offset:         0
        .size:           112
        .value_kind:     by_value
    .group_segment_fixed_size: 0
    .kernarg_segment_align: 8
    .kernarg_segment_size: 112
    .language:       OpenCL C
    .language_version:
      - 2
      - 0
    .max_flat_workgroup_size: 384
    .name:           _ZN7rocprim17ROCPRIM_400000_NS6detail17trampoline_kernelINS0_14default_configENS1_25partition_config_selectorILNS1_17partition_subalgoE8EfNS0_10empty_typeEbEEZZNS1_14partition_implILS5_8ELb0ES3_jN6thrust23THRUST_200600_302600_NS6detail15normal_iteratorINSA_10device_ptrIfEEEEPS6_PKS6_NS0_5tupleIJSF_S6_EEENSJ_IJSG_SG_EEENS0_18inequality_wrapperINSA_8equal_toIfEEEEPmJS6_EEE10hipError_tPvRmT3_T4_T5_T6_T7_T9_mT8_P12ihipStream_tbDpT10_ENKUlT_T0_E_clISt17integral_constantIbLb1EES19_IbLb0EEEEDaS15_S16_EUlS15_E_NS1_11comp_targetILNS1_3genE10ELNS1_11target_archE1200ELNS1_3gpuE4ELNS1_3repE0EEENS1_30default_config_static_selectorELNS0_4arch9wavefront6targetE1EEEvT1_
    .private_segment_fixed_size: 0
    .sgpr_count:     4
    .sgpr_spill_count: 0
    .symbol:         _ZN7rocprim17ROCPRIM_400000_NS6detail17trampoline_kernelINS0_14default_configENS1_25partition_config_selectorILNS1_17partition_subalgoE8EfNS0_10empty_typeEbEEZZNS1_14partition_implILS5_8ELb0ES3_jN6thrust23THRUST_200600_302600_NS6detail15normal_iteratorINSA_10device_ptrIfEEEEPS6_PKS6_NS0_5tupleIJSF_S6_EEENSJ_IJSG_SG_EEENS0_18inequality_wrapperINSA_8equal_toIfEEEEPmJS6_EEE10hipError_tPvRmT3_T4_T5_T6_T7_T9_mT8_P12ihipStream_tbDpT10_ENKUlT_T0_E_clISt17integral_constantIbLb1EES19_IbLb0EEEEDaS15_S16_EUlS15_E_NS1_11comp_targetILNS1_3genE10ELNS1_11target_archE1200ELNS1_3gpuE4ELNS1_3repE0EEENS1_30default_config_static_selectorELNS0_4arch9wavefront6targetE1EEEvT1_.kd
    .uniform_work_group_size: 1
    .uses_dynamic_stack: false
    .vgpr_count:     0
    .vgpr_spill_count: 0
    .wavefront_size: 64
  - .args:
      - .offset:         0
        .size:           112
        .value_kind:     by_value
    .group_segment_fixed_size: 0
    .kernarg_segment_align: 8
    .kernarg_segment_size: 112
    .language:       OpenCL C
    .language_version:
      - 2
      - 0
    .max_flat_workgroup_size: 128
    .name:           _ZN7rocprim17ROCPRIM_400000_NS6detail17trampoline_kernelINS0_14default_configENS1_25partition_config_selectorILNS1_17partition_subalgoE8EfNS0_10empty_typeEbEEZZNS1_14partition_implILS5_8ELb0ES3_jN6thrust23THRUST_200600_302600_NS6detail15normal_iteratorINSA_10device_ptrIfEEEEPS6_PKS6_NS0_5tupleIJSF_S6_EEENSJ_IJSG_SG_EEENS0_18inequality_wrapperINSA_8equal_toIfEEEEPmJS6_EEE10hipError_tPvRmT3_T4_T5_T6_T7_T9_mT8_P12ihipStream_tbDpT10_ENKUlT_T0_E_clISt17integral_constantIbLb1EES19_IbLb0EEEEDaS15_S16_EUlS15_E_NS1_11comp_targetILNS1_3genE9ELNS1_11target_archE1100ELNS1_3gpuE3ELNS1_3repE0EEENS1_30default_config_static_selectorELNS0_4arch9wavefront6targetE1EEEvT1_
    .private_segment_fixed_size: 0
    .sgpr_count:     4
    .sgpr_spill_count: 0
    .symbol:         _ZN7rocprim17ROCPRIM_400000_NS6detail17trampoline_kernelINS0_14default_configENS1_25partition_config_selectorILNS1_17partition_subalgoE8EfNS0_10empty_typeEbEEZZNS1_14partition_implILS5_8ELb0ES3_jN6thrust23THRUST_200600_302600_NS6detail15normal_iteratorINSA_10device_ptrIfEEEEPS6_PKS6_NS0_5tupleIJSF_S6_EEENSJ_IJSG_SG_EEENS0_18inequality_wrapperINSA_8equal_toIfEEEEPmJS6_EEE10hipError_tPvRmT3_T4_T5_T6_T7_T9_mT8_P12ihipStream_tbDpT10_ENKUlT_T0_E_clISt17integral_constantIbLb1EES19_IbLb0EEEEDaS15_S16_EUlS15_E_NS1_11comp_targetILNS1_3genE9ELNS1_11target_archE1100ELNS1_3gpuE3ELNS1_3repE0EEENS1_30default_config_static_selectorELNS0_4arch9wavefront6targetE1EEEvT1_.kd
    .uniform_work_group_size: 1
    .uses_dynamic_stack: false
    .vgpr_count:     0
    .vgpr_spill_count: 0
    .wavefront_size: 64
  - .args:
      - .offset:         0
        .size:           112
        .value_kind:     by_value
    .group_segment_fixed_size: 0
    .kernarg_segment_align: 8
    .kernarg_segment_size: 112
    .language:       OpenCL C
    .language_version:
      - 2
      - 0
    .max_flat_workgroup_size: 512
    .name:           _ZN7rocprim17ROCPRIM_400000_NS6detail17trampoline_kernelINS0_14default_configENS1_25partition_config_selectorILNS1_17partition_subalgoE8EfNS0_10empty_typeEbEEZZNS1_14partition_implILS5_8ELb0ES3_jN6thrust23THRUST_200600_302600_NS6detail15normal_iteratorINSA_10device_ptrIfEEEEPS6_PKS6_NS0_5tupleIJSF_S6_EEENSJ_IJSG_SG_EEENS0_18inequality_wrapperINSA_8equal_toIfEEEEPmJS6_EEE10hipError_tPvRmT3_T4_T5_T6_T7_T9_mT8_P12ihipStream_tbDpT10_ENKUlT_T0_E_clISt17integral_constantIbLb1EES19_IbLb0EEEEDaS15_S16_EUlS15_E_NS1_11comp_targetILNS1_3genE8ELNS1_11target_archE1030ELNS1_3gpuE2ELNS1_3repE0EEENS1_30default_config_static_selectorELNS0_4arch9wavefront6targetE1EEEvT1_
    .private_segment_fixed_size: 0
    .sgpr_count:     4
    .sgpr_spill_count: 0
    .symbol:         _ZN7rocprim17ROCPRIM_400000_NS6detail17trampoline_kernelINS0_14default_configENS1_25partition_config_selectorILNS1_17partition_subalgoE8EfNS0_10empty_typeEbEEZZNS1_14partition_implILS5_8ELb0ES3_jN6thrust23THRUST_200600_302600_NS6detail15normal_iteratorINSA_10device_ptrIfEEEEPS6_PKS6_NS0_5tupleIJSF_S6_EEENSJ_IJSG_SG_EEENS0_18inequality_wrapperINSA_8equal_toIfEEEEPmJS6_EEE10hipError_tPvRmT3_T4_T5_T6_T7_T9_mT8_P12ihipStream_tbDpT10_ENKUlT_T0_E_clISt17integral_constantIbLb1EES19_IbLb0EEEEDaS15_S16_EUlS15_E_NS1_11comp_targetILNS1_3genE8ELNS1_11target_archE1030ELNS1_3gpuE2ELNS1_3repE0EEENS1_30default_config_static_selectorELNS0_4arch9wavefront6targetE1EEEvT1_.kd
    .uniform_work_group_size: 1
    .uses_dynamic_stack: false
    .vgpr_count:     0
    .vgpr_spill_count: 0
    .wavefront_size: 64
  - .args:
      - .offset:         0
        .size:           128
        .value_kind:     by_value
    .group_segment_fixed_size: 0
    .kernarg_segment_align: 8
    .kernarg_segment_size: 128
    .language:       OpenCL C
    .language_version:
      - 2
      - 0
    .max_flat_workgroup_size: 512
    .name:           _ZN7rocprim17ROCPRIM_400000_NS6detail17trampoline_kernelINS0_14default_configENS1_25partition_config_selectorILNS1_17partition_subalgoE8EfNS0_10empty_typeEbEEZZNS1_14partition_implILS5_8ELb0ES3_jN6thrust23THRUST_200600_302600_NS6detail15normal_iteratorINSA_10device_ptrIfEEEEPS6_PKS6_NS0_5tupleIJSF_S6_EEENSJ_IJSG_SG_EEENS0_18inequality_wrapperINSA_8equal_toIfEEEEPmJS6_EEE10hipError_tPvRmT3_T4_T5_T6_T7_T9_mT8_P12ihipStream_tbDpT10_ENKUlT_T0_E_clISt17integral_constantIbLb0EES19_IbLb1EEEEDaS15_S16_EUlS15_E_NS1_11comp_targetILNS1_3genE0ELNS1_11target_archE4294967295ELNS1_3gpuE0ELNS1_3repE0EEENS1_30default_config_static_selectorELNS0_4arch9wavefront6targetE1EEEvT1_
    .private_segment_fixed_size: 0
    .sgpr_count:     4
    .sgpr_spill_count: 0
    .symbol:         _ZN7rocprim17ROCPRIM_400000_NS6detail17trampoline_kernelINS0_14default_configENS1_25partition_config_selectorILNS1_17partition_subalgoE8EfNS0_10empty_typeEbEEZZNS1_14partition_implILS5_8ELb0ES3_jN6thrust23THRUST_200600_302600_NS6detail15normal_iteratorINSA_10device_ptrIfEEEEPS6_PKS6_NS0_5tupleIJSF_S6_EEENSJ_IJSG_SG_EEENS0_18inequality_wrapperINSA_8equal_toIfEEEEPmJS6_EEE10hipError_tPvRmT3_T4_T5_T6_T7_T9_mT8_P12ihipStream_tbDpT10_ENKUlT_T0_E_clISt17integral_constantIbLb0EES19_IbLb1EEEEDaS15_S16_EUlS15_E_NS1_11comp_targetILNS1_3genE0ELNS1_11target_archE4294967295ELNS1_3gpuE0ELNS1_3repE0EEENS1_30default_config_static_selectorELNS0_4arch9wavefront6targetE1EEEvT1_.kd
    .uniform_work_group_size: 1
    .uses_dynamic_stack: false
    .vgpr_count:     0
    .vgpr_spill_count: 0
    .wavefront_size: 64
  - .args:
      - .offset:         0
        .size:           128
        .value_kind:     by_value
    .group_segment_fixed_size: 0
    .kernarg_segment_align: 8
    .kernarg_segment_size: 128
    .language:       OpenCL C
    .language_version:
      - 2
      - 0
    .max_flat_workgroup_size: 512
    .name:           _ZN7rocprim17ROCPRIM_400000_NS6detail17trampoline_kernelINS0_14default_configENS1_25partition_config_selectorILNS1_17partition_subalgoE8EfNS0_10empty_typeEbEEZZNS1_14partition_implILS5_8ELb0ES3_jN6thrust23THRUST_200600_302600_NS6detail15normal_iteratorINSA_10device_ptrIfEEEEPS6_PKS6_NS0_5tupleIJSF_S6_EEENSJ_IJSG_SG_EEENS0_18inequality_wrapperINSA_8equal_toIfEEEEPmJS6_EEE10hipError_tPvRmT3_T4_T5_T6_T7_T9_mT8_P12ihipStream_tbDpT10_ENKUlT_T0_E_clISt17integral_constantIbLb0EES19_IbLb1EEEEDaS15_S16_EUlS15_E_NS1_11comp_targetILNS1_3genE5ELNS1_11target_archE942ELNS1_3gpuE9ELNS1_3repE0EEENS1_30default_config_static_selectorELNS0_4arch9wavefront6targetE1EEEvT1_
    .private_segment_fixed_size: 0
    .sgpr_count:     4
    .sgpr_spill_count: 0
    .symbol:         _ZN7rocprim17ROCPRIM_400000_NS6detail17trampoline_kernelINS0_14default_configENS1_25partition_config_selectorILNS1_17partition_subalgoE8EfNS0_10empty_typeEbEEZZNS1_14partition_implILS5_8ELb0ES3_jN6thrust23THRUST_200600_302600_NS6detail15normal_iteratorINSA_10device_ptrIfEEEEPS6_PKS6_NS0_5tupleIJSF_S6_EEENSJ_IJSG_SG_EEENS0_18inequality_wrapperINSA_8equal_toIfEEEEPmJS6_EEE10hipError_tPvRmT3_T4_T5_T6_T7_T9_mT8_P12ihipStream_tbDpT10_ENKUlT_T0_E_clISt17integral_constantIbLb0EES19_IbLb1EEEEDaS15_S16_EUlS15_E_NS1_11comp_targetILNS1_3genE5ELNS1_11target_archE942ELNS1_3gpuE9ELNS1_3repE0EEENS1_30default_config_static_selectorELNS0_4arch9wavefront6targetE1EEEvT1_.kd
    .uniform_work_group_size: 1
    .uses_dynamic_stack: false
    .vgpr_count:     0
    .vgpr_spill_count: 0
    .wavefront_size: 64
  - .args:
      - .offset:         0
        .size:           128
        .value_kind:     by_value
    .group_segment_fixed_size: 0
    .kernarg_segment_align: 8
    .kernarg_segment_size: 128
    .language:       OpenCL C
    .language_version:
      - 2
      - 0
    .max_flat_workgroup_size: 256
    .name:           _ZN7rocprim17ROCPRIM_400000_NS6detail17trampoline_kernelINS0_14default_configENS1_25partition_config_selectorILNS1_17partition_subalgoE8EfNS0_10empty_typeEbEEZZNS1_14partition_implILS5_8ELb0ES3_jN6thrust23THRUST_200600_302600_NS6detail15normal_iteratorINSA_10device_ptrIfEEEEPS6_PKS6_NS0_5tupleIJSF_S6_EEENSJ_IJSG_SG_EEENS0_18inequality_wrapperINSA_8equal_toIfEEEEPmJS6_EEE10hipError_tPvRmT3_T4_T5_T6_T7_T9_mT8_P12ihipStream_tbDpT10_ENKUlT_T0_E_clISt17integral_constantIbLb0EES19_IbLb1EEEEDaS15_S16_EUlS15_E_NS1_11comp_targetILNS1_3genE4ELNS1_11target_archE910ELNS1_3gpuE8ELNS1_3repE0EEENS1_30default_config_static_selectorELNS0_4arch9wavefront6targetE1EEEvT1_
    .private_segment_fixed_size: 0
    .sgpr_count:     4
    .sgpr_spill_count: 0
    .symbol:         _ZN7rocprim17ROCPRIM_400000_NS6detail17trampoline_kernelINS0_14default_configENS1_25partition_config_selectorILNS1_17partition_subalgoE8EfNS0_10empty_typeEbEEZZNS1_14partition_implILS5_8ELb0ES3_jN6thrust23THRUST_200600_302600_NS6detail15normal_iteratorINSA_10device_ptrIfEEEEPS6_PKS6_NS0_5tupleIJSF_S6_EEENSJ_IJSG_SG_EEENS0_18inequality_wrapperINSA_8equal_toIfEEEEPmJS6_EEE10hipError_tPvRmT3_T4_T5_T6_T7_T9_mT8_P12ihipStream_tbDpT10_ENKUlT_T0_E_clISt17integral_constantIbLb0EES19_IbLb1EEEEDaS15_S16_EUlS15_E_NS1_11comp_targetILNS1_3genE4ELNS1_11target_archE910ELNS1_3gpuE8ELNS1_3repE0EEENS1_30default_config_static_selectorELNS0_4arch9wavefront6targetE1EEEvT1_.kd
    .uniform_work_group_size: 1
    .uses_dynamic_stack: false
    .vgpr_count:     0
    .vgpr_spill_count: 0
    .wavefront_size: 64
  - .args:
      - .offset:         0
        .size:           128
        .value_kind:     by_value
    .group_segment_fixed_size: 0
    .kernarg_segment_align: 8
    .kernarg_segment_size: 128
    .language:       OpenCL C
    .language_version:
      - 2
      - 0
    .max_flat_workgroup_size: 512
    .name:           _ZN7rocprim17ROCPRIM_400000_NS6detail17trampoline_kernelINS0_14default_configENS1_25partition_config_selectorILNS1_17partition_subalgoE8EfNS0_10empty_typeEbEEZZNS1_14partition_implILS5_8ELb0ES3_jN6thrust23THRUST_200600_302600_NS6detail15normal_iteratorINSA_10device_ptrIfEEEEPS6_PKS6_NS0_5tupleIJSF_S6_EEENSJ_IJSG_SG_EEENS0_18inequality_wrapperINSA_8equal_toIfEEEEPmJS6_EEE10hipError_tPvRmT3_T4_T5_T6_T7_T9_mT8_P12ihipStream_tbDpT10_ENKUlT_T0_E_clISt17integral_constantIbLb0EES19_IbLb1EEEEDaS15_S16_EUlS15_E_NS1_11comp_targetILNS1_3genE3ELNS1_11target_archE908ELNS1_3gpuE7ELNS1_3repE0EEENS1_30default_config_static_selectorELNS0_4arch9wavefront6targetE1EEEvT1_
    .private_segment_fixed_size: 0
    .sgpr_count:     4
    .sgpr_spill_count: 0
    .symbol:         _ZN7rocprim17ROCPRIM_400000_NS6detail17trampoline_kernelINS0_14default_configENS1_25partition_config_selectorILNS1_17partition_subalgoE8EfNS0_10empty_typeEbEEZZNS1_14partition_implILS5_8ELb0ES3_jN6thrust23THRUST_200600_302600_NS6detail15normal_iteratorINSA_10device_ptrIfEEEEPS6_PKS6_NS0_5tupleIJSF_S6_EEENSJ_IJSG_SG_EEENS0_18inequality_wrapperINSA_8equal_toIfEEEEPmJS6_EEE10hipError_tPvRmT3_T4_T5_T6_T7_T9_mT8_P12ihipStream_tbDpT10_ENKUlT_T0_E_clISt17integral_constantIbLb0EES19_IbLb1EEEEDaS15_S16_EUlS15_E_NS1_11comp_targetILNS1_3genE3ELNS1_11target_archE908ELNS1_3gpuE7ELNS1_3repE0EEENS1_30default_config_static_selectorELNS0_4arch9wavefront6targetE1EEEvT1_.kd
    .uniform_work_group_size: 1
    .uses_dynamic_stack: false
    .vgpr_count:     0
    .vgpr_spill_count: 0
    .wavefront_size: 64
  - .args:
      - .offset:         0
        .size:           128
        .value_kind:     by_value
    .group_segment_fixed_size: 16904
    .kernarg_segment_align: 8
    .kernarg_segment_size: 128
    .language:       OpenCL C
    .language_version:
      - 2
      - 0
    .max_flat_workgroup_size: 256
    .name:           _ZN7rocprim17ROCPRIM_400000_NS6detail17trampoline_kernelINS0_14default_configENS1_25partition_config_selectorILNS1_17partition_subalgoE8EfNS0_10empty_typeEbEEZZNS1_14partition_implILS5_8ELb0ES3_jN6thrust23THRUST_200600_302600_NS6detail15normal_iteratorINSA_10device_ptrIfEEEEPS6_PKS6_NS0_5tupleIJSF_S6_EEENSJ_IJSG_SG_EEENS0_18inequality_wrapperINSA_8equal_toIfEEEEPmJS6_EEE10hipError_tPvRmT3_T4_T5_T6_T7_T9_mT8_P12ihipStream_tbDpT10_ENKUlT_T0_E_clISt17integral_constantIbLb0EES19_IbLb1EEEEDaS15_S16_EUlS15_E_NS1_11comp_targetILNS1_3genE2ELNS1_11target_archE906ELNS1_3gpuE6ELNS1_3repE0EEENS1_30default_config_static_selectorELNS0_4arch9wavefront6targetE1EEEvT1_
    .private_segment_fixed_size: 0
    .sgpr_count:     61
    .sgpr_spill_count: 0
    .symbol:         _ZN7rocprim17ROCPRIM_400000_NS6detail17trampoline_kernelINS0_14default_configENS1_25partition_config_selectorILNS1_17partition_subalgoE8EfNS0_10empty_typeEbEEZZNS1_14partition_implILS5_8ELb0ES3_jN6thrust23THRUST_200600_302600_NS6detail15normal_iteratorINSA_10device_ptrIfEEEEPS6_PKS6_NS0_5tupleIJSF_S6_EEENSJ_IJSG_SG_EEENS0_18inequality_wrapperINSA_8equal_toIfEEEEPmJS6_EEE10hipError_tPvRmT3_T4_T5_T6_T7_T9_mT8_P12ihipStream_tbDpT10_ENKUlT_T0_E_clISt17integral_constantIbLb0EES19_IbLb1EEEEDaS15_S16_EUlS15_E_NS1_11comp_targetILNS1_3genE2ELNS1_11target_archE906ELNS1_3gpuE6ELNS1_3repE0EEENS1_30default_config_static_selectorELNS0_4arch9wavefront6targetE1EEEvT1_.kd
    .uniform_work_group_size: 1
    .uses_dynamic_stack: false
    .vgpr_count:     77
    .vgpr_spill_count: 0
    .wavefront_size: 64
  - .args:
      - .offset:         0
        .size:           128
        .value_kind:     by_value
    .group_segment_fixed_size: 0
    .kernarg_segment_align: 8
    .kernarg_segment_size: 128
    .language:       OpenCL C
    .language_version:
      - 2
      - 0
    .max_flat_workgroup_size: 384
    .name:           _ZN7rocprim17ROCPRIM_400000_NS6detail17trampoline_kernelINS0_14default_configENS1_25partition_config_selectorILNS1_17partition_subalgoE8EfNS0_10empty_typeEbEEZZNS1_14partition_implILS5_8ELb0ES3_jN6thrust23THRUST_200600_302600_NS6detail15normal_iteratorINSA_10device_ptrIfEEEEPS6_PKS6_NS0_5tupleIJSF_S6_EEENSJ_IJSG_SG_EEENS0_18inequality_wrapperINSA_8equal_toIfEEEEPmJS6_EEE10hipError_tPvRmT3_T4_T5_T6_T7_T9_mT8_P12ihipStream_tbDpT10_ENKUlT_T0_E_clISt17integral_constantIbLb0EES19_IbLb1EEEEDaS15_S16_EUlS15_E_NS1_11comp_targetILNS1_3genE10ELNS1_11target_archE1200ELNS1_3gpuE4ELNS1_3repE0EEENS1_30default_config_static_selectorELNS0_4arch9wavefront6targetE1EEEvT1_
    .private_segment_fixed_size: 0
    .sgpr_count:     4
    .sgpr_spill_count: 0
    .symbol:         _ZN7rocprim17ROCPRIM_400000_NS6detail17trampoline_kernelINS0_14default_configENS1_25partition_config_selectorILNS1_17partition_subalgoE8EfNS0_10empty_typeEbEEZZNS1_14partition_implILS5_8ELb0ES3_jN6thrust23THRUST_200600_302600_NS6detail15normal_iteratorINSA_10device_ptrIfEEEEPS6_PKS6_NS0_5tupleIJSF_S6_EEENSJ_IJSG_SG_EEENS0_18inequality_wrapperINSA_8equal_toIfEEEEPmJS6_EEE10hipError_tPvRmT3_T4_T5_T6_T7_T9_mT8_P12ihipStream_tbDpT10_ENKUlT_T0_E_clISt17integral_constantIbLb0EES19_IbLb1EEEEDaS15_S16_EUlS15_E_NS1_11comp_targetILNS1_3genE10ELNS1_11target_archE1200ELNS1_3gpuE4ELNS1_3repE0EEENS1_30default_config_static_selectorELNS0_4arch9wavefront6targetE1EEEvT1_.kd
    .uniform_work_group_size: 1
    .uses_dynamic_stack: false
    .vgpr_count:     0
    .vgpr_spill_count: 0
    .wavefront_size: 64
  - .args:
      - .offset:         0
        .size:           128
        .value_kind:     by_value
    .group_segment_fixed_size: 0
    .kernarg_segment_align: 8
    .kernarg_segment_size: 128
    .language:       OpenCL C
    .language_version:
      - 2
      - 0
    .max_flat_workgroup_size: 128
    .name:           _ZN7rocprim17ROCPRIM_400000_NS6detail17trampoline_kernelINS0_14default_configENS1_25partition_config_selectorILNS1_17partition_subalgoE8EfNS0_10empty_typeEbEEZZNS1_14partition_implILS5_8ELb0ES3_jN6thrust23THRUST_200600_302600_NS6detail15normal_iteratorINSA_10device_ptrIfEEEEPS6_PKS6_NS0_5tupleIJSF_S6_EEENSJ_IJSG_SG_EEENS0_18inequality_wrapperINSA_8equal_toIfEEEEPmJS6_EEE10hipError_tPvRmT3_T4_T5_T6_T7_T9_mT8_P12ihipStream_tbDpT10_ENKUlT_T0_E_clISt17integral_constantIbLb0EES19_IbLb1EEEEDaS15_S16_EUlS15_E_NS1_11comp_targetILNS1_3genE9ELNS1_11target_archE1100ELNS1_3gpuE3ELNS1_3repE0EEENS1_30default_config_static_selectorELNS0_4arch9wavefront6targetE1EEEvT1_
    .private_segment_fixed_size: 0
    .sgpr_count:     4
    .sgpr_spill_count: 0
    .symbol:         _ZN7rocprim17ROCPRIM_400000_NS6detail17trampoline_kernelINS0_14default_configENS1_25partition_config_selectorILNS1_17partition_subalgoE8EfNS0_10empty_typeEbEEZZNS1_14partition_implILS5_8ELb0ES3_jN6thrust23THRUST_200600_302600_NS6detail15normal_iteratorINSA_10device_ptrIfEEEEPS6_PKS6_NS0_5tupleIJSF_S6_EEENSJ_IJSG_SG_EEENS0_18inequality_wrapperINSA_8equal_toIfEEEEPmJS6_EEE10hipError_tPvRmT3_T4_T5_T6_T7_T9_mT8_P12ihipStream_tbDpT10_ENKUlT_T0_E_clISt17integral_constantIbLb0EES19_IbLb1EEEEDaS15_S16_EUlS15_E_NS1_11comp_targetILNS1_3genE9ELNS1_11target_archE1100ELNS1_3gpuE3ELNS1_3repE0EEENS1_30default_config_static_selectorELNS0_4arch9wavefront6targetE1EEEvT1_.kd
    .uniform_work_group_size: 1
    .uses_dynamic_stack: false
    .vgpr_count:     0
    .vgpr_spill_count: 0
    .wavefront_size: 64
  - .args:
      - .offset:         0
        .size:           128
        .value_kind:     by_value
    .group_segment_fixed_size: 0
    .kernarg_segment_align: 8
    .kernarg_segment_size: 128
    .language:       OpenCL C
    .language_version:
      - 2
      - 0
    .max_flat_workgroup_size: 512
    .name:           _ZN7rocprim17ROCPRIM_400000_NS6detail17trampoline_kernelINS0_14default_configENS1_25partition_config_selectorILNS1_17partition_subalgoE8EfNS0_10empty_typeEbEEZZNS1_14partition_implILS5_8ELb0ES3_jN6thrust23THRUST_200600_302600_NS6detail15normal_iteratorINSA_10device_ptrIfEEEEPS6_PKS6_NS0_5tupleIJSF_S6_EEENSJ_IJSG_SG_EEENS0_18inequality_wrapperINSA_8equal_toIfEEEEPmJS6_EEE10hipError_tPvRmT3_T4_T5_T6_T7_T9_mT8_P12ihipStream_tbDpT10_ENKUlT_T0_E_clISt17integral_constantIbLb0EES19_IbLb1EEEEDaS15_S16_EUlS15_E_NS1_11comp_targetILNS1_3genE8ELNS1_11target_archE1030ELNS1_3gpuE2ELNS1_3repE0EEENS1_30default_config_static_selectorELNS0_4arch9wavefront6targetE1EEEvT1_
    .private_segment_fixed_size: 0
    .sgpr_count:     4
    .sgpr_spill_count: 0
    .symbol:         _ZN7rocprim17ROCPRIM_400000_NS6detail17trampoline_kernelINS0_14default_configENS1_25partition_config_selectorILNS1_17partition_subalgoE8EfNS0_10empty_typeEbEEZZNS1_14partition_implILS5_8ELb0ES3_jN6thrust23THRUST_200600_302600_NS6detail15normal_iteratorINSA_10device_ptrIfEEEEPS6_PKS6_NS0_5tupleIJSF_S6_EEENSJ_IJSG_SG_EEENS0_18inequality_wrapperINSA_8equal_toIfEEEEPmJS6_EEE10hipError_tPvRmT3_T4_T5_T6_T7_T9_mT8_P12ihipStream_tbDpT10_ENKUlT_T0_E_clISt17integral_constantIbLb0EES19_IbLb1EEEEDaS15_S16_EUlS15_E_NS1_11comp_targetILNS1_3genE8ELNS1_11target_archE1030ELNS1_3gpuE2ELNS1_3repE0EEENS1_30default_config_static_selectorELNS0_4arch9wavefront6targetE1EEEvT1_.kd
    .uniform_work_group_size: 1
    .uses_dynamic_stack: false
    .vgpr_count:     0
    .vgpr_spill_count: 0
    .wavefront_size: 64
  - .args:
      - .offset:         0
        .size:           112
        .value_kind:     by_value
    .group_segment_fixed_size: 0
    .kernarg_segment_align: 8
    .kernarg_segment_size: 112
    .language:       OpenCL C
    .language_version:
      - 2
      - 0
    .max_flat_workgroup_size: 512
    .name:           _ZN7rocprim17ROCPRIM_400000_NS6detail17trampoline_kernelINS0_14default_configENS1_25partition_config_selectorILNS1_17partition_subalgoE8EfNS0_10empty_typeEbEEZZNS1_14partition_implILS5_8ELb0ES3_jN6thrust23THRUST_200600_302600_NS6detail15normal_iteratorINSA_10device_ptrIfEEEEPS6_PKS6_NS0_5tupleIJSF_S6_EEENSJ_IJSG_SG_EEENS0_18inequality_wrapperI22is_equal_div_10_uniqueIfEEEPmJS6_EEE10hipError_tPvRmT3_T4_T5_T6_T7_T9_mT8_P12ihipStream_tbDpT10_ENKUlT_T0_E_clISt17integral_constantIbLb0EES1A_EEDaS15_S16_EUlS15_E_NS1_11comp_targetILNS1_3genE0ELNS1_11target_archE4294967295ELNS1_3gpuE0ELNS1_3repE0EEENS1_30default_config_static_selectorELNS0_4arch9wavefront6targetE1EEEvT1_
    .private_segment_fixed_size: 0
    .sgpr_count:     4
    .sgpr_spill_count: 0
    .symbol:         _ZN7rocprim17ROCPRIM_400000_NS6detail17trampoline_kernelINS0_14default_configENS1_25partition_config_selectorILNS1_17partition_subalgoE8EfNS0_10empty_typeEbEEZZNS1_14partition_implILS5_8ELb0ES3_jN6thrust23THRUST_200600_302600_NS6detail15normal_iteratorINSA_10device_ptrIfEEEEPS6_PKS6_NS0_5tupleIJSF_S6_EEENSJ_IJSG_SG_EEENS0_18inequality_wrapperI22is_equal_div_10_uniqueIfEEEPmJS6_EEE10hipError_tPvRmT3_T4_T5_T6_T7_T9_mT8_P12ihipStream_tbDpT10_ENKUlT_T0_E_clISt17integral_constantIbLb0EES1A_EEDaS15_S16_EUlS15_E_NS1_11comp_targetILNS1_3genE0ELNS1_11target_archE4294967295ELNS1_3gpuE0ELNS1_3repE0EEENS1_30default_config_static_selectorELNS0_4arch9wavefront6targetE1EEEvT1_.kd
    .uniform_work_group_size: 1
    .uses_dynamic_stack: false
    .vgpr_count:     0
    .vgpr_spill_count: 0
    .wavefront_size: 64
  - .args:
      - .offset:         0
        .size:           112
        .value_kind:     by_value
    .group_segment_fixed_size: 0
    .kernarg_segment_align: 8
    .kernarg_segment_size: 112
    .language:       OpenCL C
    .language_version:
      - 2
      - 0
    .max_flat_workgroup_size: 512
    .name:           _ZN7rocprim17ROCPRIM_400000_NS6detail17trampoline_kernelINS0_14default_configENS1_25partition_config_selectorILNS1_17partition_subalgoE8EfNS0_10empty_typeEbEEZZNS1_14partition_implILS5_8ELb0ES3_jN6thrust23THRUST_200600_302600_NS6detail15normal_iteratorINSA_10device_ptrIfEEEEPS6_PKS6_NS0_5tupleIJSF_S6_EEENSJ_IJSG_SG_EEENS0_18inequality_wrapperI22is_equal_div_10_uniqueIfEEEPmJS6_EEE10hipError_tPvRmT3_T4_T5_T6_T7_T9_mT8_P12ihipStream_tbDpT10_ENKUlT_T0_E_clISt17integral_constantIbLb0EES1A_EEDaS15_S16_EUlS15_E_NS1_11comp_targetILNS1_3genE5ELNS1_11target_archE942ELNS1_3gpuE9ELNS1_3repE0EEENS1_30default_config_static_selectorELNS0_4arch9wavefront6targetE1EEEvT1_
    .private_segment_fixed_size: 0
    .sgpr_count:     4
    .sgpr_spill_count: 0
    .symbol:         _ZN7rocprim17ROCPRIM_400000_NS6detail17trampoline_kernelINS0_14default_configENS1_25partition_config_selectorILNS1_17partition_subalgoE8EfNS0_10empty_typeEbEEZZNS1_14partition_implILS5_8ELb0ES3_jN6thrust23THRUST_200600_302600_NS6detail15normal_iteratorINSA_10device_ptrIfEEEEPS6_PKS6_NS0_5tupleIJSF_S6_EEENSJ_IJSG_SG_EEENS0_18inequality_wrapperI22is_equal_div_10_uniqueIfEEEPmJS6_EEE10hipError_tPvRmT3_T4_T5_T6_T7_T9_mT8_P12ihipStream_tbDpT10_ENKUlT_T0_E_clISt17integral_constantIbLb0EES1A_EEDaS15_S16_EUlS15_E_NS1_11comp_targetILNS1_3genE5ELNS1_11target_archE942ELNS1_3gpuE9ELNS1_3repE0EEENS1_30default_config_static_selectorELNS0_4arch9wavefront6targetE1EEEvT1_.kd
    .uniform_work_group_size: 1
    .uses_dynamic_stack: false
    .vgpr_count:     0
    .vgpr_spill_count: 0
    .wavefront_size: 64
  - .args:
      - .offset:         0
        .size:           112
        .value_kind:     by_value
    .group_segment_fixed_size: 0
    .kernarg_segment_align: 8
    .kernarg_segment_size: 112
    .language:       OpenCL C
    .language_version:
      - 2
      - 0
    .max_flat_workgroup_size: 256
    .name:           _ZN7rocprim17ROCPRIM_400000_NS6detail17trampoline_kernelINS0_14default_configENS1_25partition_config_selectorILNS1_17partition_subalgoE8EfNS0_10empty_typeEbEEZZNS1_14partition_implILS5_8ELb0ES3_jN6thrust23THRUST_200600_302600_NS6detail15normal_iteratorINSA_10device_ptrIfEEEEPS6_PKS6_NS0_5tupleIJSF_S6_EEENSJ_IJSG_SG_EEENS0_18inequality_wrapperI22is_equal_div_10_uniqueIfEEEPmJS6_EEE10hipError_tPvRmT3_T4_T5_T6_T7_T9_mT8_P12ihipStream_tbDpT10_ENKUlT_T0_E_clISt17integral_constantIbLb0EES1A_EEDaS15_S16_EUlS15_E_NS1_11comp_targetILNS1_3genE4ELNS1_11target_archE910ELNS1_3gpuE8ELNS1_3repE0EEENS1_30default_config_static_selectorELNS0_4arch9wavefront6targetE1EEEvT1_
    .private_segment_fixed_size: 0
    .sgpr_count:     4
    .sgpr_spill_count: 0
    .symbol:         _ZN7rocprim17ROCPRIM_400000_NS6detail17trampoline_kernelINS0_14default_configENS1_25partition_config_selectorILNS1_17partition_subalgoE8EfNS0_10empty_typeEbEEZZNS1_14partition_implILS5_8ELb0ES3_jN6thrust23THRUST_200600_302600_NS6detail15normal_iteratorINSA_10device_ptrIfEEEEPS6_PKS6_NS0_5tupleIJSF_S6_EEENSJ_IJSG_SG_EEENS0_18inequality_wrapperI22is_equal_div_10_uniqueIfEEEPmJS6_EEE10hipError_tPvRmT3_T4_T5_T6_T7_T9_mT8_P12ihipStream_tbDpT10_ENKUlT_T0_E_clISt17integral_constantIbLb0EES1A_EEDaS15_S16_EUlS15_E_NS1_11comp_targetILNS1_3genE4ELNS1_11target_archE910ELNS1_3gpuE8ELNS1_3repE0EEENS1_30default_config_static_selectorELNS0_4arch9wavefront6targetE1EEEvT1_.kd
    .uniform_work_group_size: 1
    .uses_dynamic_stack: false
    .vgpr_count:     0
    .vgpr_spill_count: 0
    .wavefront_size: 64
  - .args:
      - .offset:         0
        .size:           112
        .value_kind:     by_value
    .group_segment_fixed_size: 0
    .kernarg_segment_align: 8
    .kernarg_segment_size: 112
    .language:       OpenCL C
    .language_version:
      - 2
      - 0
    .max_flat_workgroup_size: 512
    .name:           _ZN7rocprim17ROCPRIM_400000_NS6detail17trampoline_kernelINS0_14default_configENS1_25partition_config_selectorILNS1_17partition_subalgoE8EfNS0_10empty_typeEbEEZZNS1_14partition_implILS5_8ELb0ES3_jN6thrust23THRUST_200600_302600_NS6detail15normal_iteratorINSA_10device_ptrIfEEEEPS6_PKS6_NS0_5tupleIJSF_S6_EEENSJ_IJSG_SG_EEENS0_18inequality_wrapperI22is_equal_div_10_uniqueIfEEEPmJS6_EEE10hipError_tPvRmT3_T4_T5_T6_T7_T9_mT8_P12ihipStream_tbDpT10_ENKUlT_T0_E_clISt17integral_constantIbLb0EES1A_EEDaS15_S16_EUlS15_E_NS1_11comp_targetILNS1_3genE3ELNS1_11target_archE908ELNS1_3gpuE7ELNS1_3repE0EEENS1_30default_config_static_selectorELNS0_4arch9wavefront6targetE1EEEvT1_
    .private_segment_fixed_size: 0
    .sgpr_count:     4
    .sgpr_spill_count: 0
    .symbol:         _ZN7rocprim17ROCPRIM_400000_NS6detail17trampoline_kernelINS0_14default_configENS1_25partition_config_selectorILNS1_17partition_subalgoE8EfNS0_10empty_typeEbEEZZNS1_14partition_implILS5_8ELb0ES3_jN6thrust23THRUST_200600_302600_NS6detail15normal_iteratorINSA_10device_ptrIfEEEEPS6_PKS6_NS0_5tupleIJSF_S6_EEENSJ_IJSG_SG_EEENS0_18inequality_wrapperI22is_equal_div_10_uniqueIfEEEPmJS6_EEE10hipError_tPvRmT3_T4_T5_T6_T7_T9_mT8_P12ihipStream_tbDpT10_ENKUlT_T0_E_clISt17integral_constantIbLb0EES1A_EEDaS15_S16_EUlS15_E_NS1_11comp_targetILNS1_3genE3ELNS1_11target_archE908ELNS1_3gpuE7ELNS1_3repE0EEENS1_30default_config_static_selectorELNS0_4arch9wavefront6targetE1EEEvT1_.kd
    .uniform_work_group_size: 1
    .uses_dynamic_stack: false
    .vgpr_count:     0
    .vgpr_spill_count: 0
    .wavefront_size: 64
  - .args:
      - .offset:         0
        .size:           112
        .value_kind:     by_value
    .group_segment_fixed_size: 16904
    .kernarg_segment_align: 8
    .kernarg_segment_size: 112
    .language:       OpenCL C
    .language_version:
      - 2
      - 0
    .max_flat_workgroup_size: 256
    .name:           _ZN7rocprim17ROCPRIM_400000_NS6detail17trampoline_kernelINS0_14default_configENS1_25partition_config_selectorILNS1_17partition_subalgoE8EfNS0_10empty_typeEbEEZZNS1_14partition_implILS5_8ELb0ES3_jN6thrust23THRUST_200600_302600_NS6detail15normal_iteratorINSA_10device_ptrIfEEEEPS6_PKS6_NS0_5tupleIJSF_S6_EEENSJ_IJSG_SG_EEENS0_18inequality_wrapperI22is_equal_div_10_uniqueIfEEEPmJS6_EEE10hipError_tPvRmT3_T4_T5_T6_T7_T9_mT8_P12ihipStream_tbDpT10_ENKUlT_T0_E_clISt17integral_constantIbLb0EES1A_EEDaS15_S16_EUlS15_E_NS1_11comp_targetILNS1_3genE2ELNS1_11target_archE906ELNS1_3gpuE6ELNS1_3repE0EEENS1_30default_config_static_selectorELNS0_4arch9wavefront6targetE1EEEvT1_
    .private_segment_fixed_size: 0
    .sgpr_count:     60
    .sgpr_spill_count: 0
    .symbol:         _ZN7rocprim17ROCPRIM_400000_NS6detail17trampoline_kernelINS0_14default_configENS1_25partition_config_selectorILNS1_17partition_subalgoE8EfNS0_10empty_typeEbEEZZNS1_14partition_implILS5_8ELb0ES3_jN6thrust23THRUST_200600_302600_NS6detail15normal_iteratorINSA_10device_ptrIfEEEEPS6_PKS6_NS0_5tupleIJSF_S6_EEENSJ_IJSG_SG_EEENS0_18inequality_wrapperI22is_equal_div_10_uniqueIfEEEPmJS6_EEE10hipError_tPvRmT3_T4_T5_T6_T7_T9_mT8_P12ihipStream_tbDpT10_ENKUlT_T0_E_clISt17integral_constantIbLb0EES1A_EEDaS15_S16_EUlS15_E_NS1_11comp_targetILNS1_3genE2ELNS1_11target_archE906ELNS1_3gpuE6ELNS1_3repE0EEENS1_30default_config_static_selectorELNS0_4arch9wavefront6targetE1EEEvT1_.kd
    .uniform_work_group_size: 1
    .uses_dynamic_stack: false
    .vgpr_count:     75
    .vgpr_spill_count: 0
    .wavefront_size: 64
  - .args:
      - .offset:         0
        .size:           112
        .value_kind:     by_value
    .group_segment_fixed_size: 0
    .kernarg_segment_align: 8
    .kernarg_segment_size: 112
    .language:       OpenCL C
    .language_version:
      - 2
      - 0
    .max_flat_workgroup_size: 384
    .name:           _ZN7rocprim17ROCPRIM_400000_NS6detail17trampoline_kernelINS0_14default_configENS1_25partition_config_selectorILNS1_17partition_subalgoE8EfNS0_10empty_typeEbEEZZNS1_14partition_implILS5_8ELb0ES3_jN6thrust23THRUST_200600_302600_NS6detail15normal_iteratorINSA_10device_ptrIfEEEEPS6_PKS6_NS0_5tupleIJSF_S6_EEENSJ_IJSG_SG_EEENS0_18inequality_wrapperI22is_equal_div_10_uniqueIfEEEPmJS6_EEE10hipError_tPvRmT3_T4_T5_T6_T7_T9_mT8_P12ihipStream_tbDpT10_ENKUlT_T0_E_clISt17integral_constantIbLb0EES1A_EEDaS15_S16_EUlS15_E_NS1_11comp_targetILNS1_3genE10ELNS1_11target_archE1200ELNS1_3gpuE4ELNS1_3repE0EEENS1_30default_config_static_selectorELNS0_4arch9wavefront6targetE1EEEvT1_
    .private_segment_fixed_size: 0
    .sgpr_count:     4
    .sgpr_spill_count: 0
    .symbol:         _ZN7rocprim17ROCPRIM_400000_NS6detail17trampoline_kernelINS0_14default_configENS1_25partition_config_selectorILNS1_17partition_subalgoE8EfNS0_10empty_typeEbEEZZNS1_14partition_implILS5_8ELb0ES3_jN6thrust23THRUST_200600_302600_NS6detail15normal_iteratorINSA_10device_ptrIfEEEEPS6_PKS6_NS0_5tupleIJSF_S6_EEENSJ_IJSG_SG_EEENS0_18inequality_wrapperI22is_equal_div_10_uniqueIfEEEPmJS6_EEE10hipError_tPvRmT3_T4_T5_T6_T7_T9_mT8_P12ihipStream_tbDpT10_ENKUlT_T0_E_clISt17integral_constantIbLb0EES1A_EEDaS15_S16_EUlS15_E_NS1_11comp_targetILNS1_3genE10ELNS1_11target_archE1200ELNS1_3gpuE4ELNS1_3repE0EEENS1_30default_config_static_selectorELNS0_4arch9wavefront6targetE1EEEvT1_.kd
    .uniform_work_group_size: 1
    .uses_dynamic_stack: false
    .vgpr_count:     0
    .vgpr_spill_count: 0
    .wavefront_size: 64
  - .args:
      - .offset:         0
        .size:           112
        .value_kind:     by_value
    .group_segment_fixed_size: 0
    .kernarg_segment_align: 8
    .kernarg_segment_size: 112
    .language:       OpenCL C
    .language_version:
      - 2
      - 0
    .max_flat_workgroup_size: 128
    .name:           _ZN7rocprim17ROCPRIM_400000_NS6detail17trampoline_kernelINS0_14default_configENS1_25partition_config_selectorILNS1_17partition_subalgoE8EfNS0_10empty_typeEbEEZZNS1_14partition_implILS5_8ELb0ES3_jN6thrust23THRUST_200600_302600_NS6detail15normal_iteratorINSA_10device_ptrIfEEEEPS6_PKS6_NS0_5tupleIJSF_S6_EEENSJ_IJSG_SG_EEENS0_18inequality_wrapperI22is_equal_div_10_uniqueIfEEEPmJS6_EEE10hipError_tPvRmT3_T4_T5_T6_T7_T9_mT8_P12ihipStream_tbDpT10_ENKUlT_T0_E_clISt17integral_constantIbLb0EES1A_EEDaS15_S16_EUlS15_E_NS1_11comp_targetILNS1_3genE9ELNS1_11target_archE1100ELNS1_3gpuE3ELNS1_3repE0EEENS1_30default_config_static_selectorELNS0_4arch9wavefront6targetE1EEEvT1_
    .private_segment_fixed_size: 0
    .sgpr_count:     4
    .sgpr_spill_count: 0
    .symbol:         _ZN7rocprim17ROCPRIM_400000_NS6detail17trampoline_kernelINS0_14default_configENS1_25partition_config_selectorILNS1_17partition_subalgoE8EfNS0_10empty_typeEbEEZZNS1_14partition_implILS5_8ELb0ES3_jN6thrust23THRUST_200600_302600_NS6detail15normal_iteratorINSA_10device_ptrIfEEEEPS6_PKS6_NS0_5tupleIJSF_S6_EEENSJ_IJSG_SG_EEENS0_18inequality_wrapperI22is_equal_div_10_uniqueIfEEEPmJS6_EEE10hipError_tPvRmT3_T4_T5_T6_T7_T9_mT8_P12ihipStream_tbDpT10_ENKUlT_T0_E_clISt17integral_constantIbLb0EES1A_EEDaS15_S16_EUlS15_E_NS1_11comp_targetILNS1_3genE9ELNS1_11target_archE1100ELNS1_3gpuE3ELNS1_3repE0EEENS1_30default_config_static_selectorELNS0_4arch9wavefront6targetE1EEEvT1_.kd
    .uniform_work_group_size: 1
    .uses_dynamic_stack: false
    .vgpr_count:     0
    .vgpr_spill_count: 0
    .wavefront_size: 64
  - .args:
      - .offset:         0
        .size:           112
        .value_kind:     by_value
    .group_segment_fixed_size: 0
    .kernarg_segment_align: 8
    .kernarg_segment_size: 112
    .language:       OpenCL C
    .language_version:
      - 2
      - 0
    .max_flat_workgroup_size: 512
    .name:           _ZN7rocprim17ROCPRIM_400000_NS6detail17trampoline_kernelINS0_14default_configENS1_25partition_config_selectorILNS1_17partition_subalgoE8EfNS0_10empty_typeEbEEZZNS1_14partition_implILS5_8ELb0ES3_jN6thrust23THRUST_200600_302600_NS6detail15normal_iteratorINSA_10device_ptrIfEEEEPS6_PKS6_NS0_5tupleIJSF_S6_EEENSJ_IJSG_SG_EEENS0_18inequality_wrapperI22is_equal_div_10_uniqueIfEEEPmJS6_EEE10hipError_tPvRmT3_T4_T5_T6_T7_T9_mT8_P12ihipStream_tbDpT10_ENKUlT_T0_E_clISt17integral_constantIbLb0EES1A_EEDaS15_S16_EUlS15_E_NS1_11comp_targetILNS1_3genE8ELNS1_11target_archE1030ELNS1_3gpuE2ELNS1_3repE0EEENS1_30default_config_static_selectorELNS0_4arch9wavefront6targetE1EEEvT1_
    .private_segment_fixed_size: 0
    .sgpr_count:     4
    .sgpr_spill_count: 0
    .symbol:         _ZN7rocprim17ROCPRIM_400000_NS6detail17trampoline_kernelINS0_14default_configENS1_25partition_config_selectorILNS1_17partition_subalgoE8EfNS0_10empty_typeEbEEZZNS1_14partition_implILS5_8ELb0ES3_jN6thrust23THRUST_200600_302600_NS6detail15normal_iteratorINSA_10device_ptrIfEEEEPS6_PKS6_NS0_5tupleIJSF_S6_EEENSJ_IJSG_SG_EEENS0_18inequality_wrapperI22is_equal_div_10_uniqueIfEEEPmJS6_EEE10hipError_tPvRmT3_T4_T5_T6_T7_T9_mT8_P12ihipStream_tbDpT10_ENKUlT_T0_E_clISt17integral_constantIbLb0EES1A_EEDaS15_S16_EUlS15_E_NS1_11comp_targetILNS1_3genE8ELNS1_11target_archE1030ELNS1_3gpuE2ELNS1_3repE0EEENS1_30default_config_static_selectorELNS0_4arch9wavefront6targetE1EEEvT1_.kd
    .uniform_work_group_size: 1
    .uses_dynamic_stack: false
    .vgpr_count:     0
    .vgpr_spill_count: 0
    .wavefront_size: 64
  - .args:
      - .offset:         0
        .size:           128
        .value_kind:     by_value
    .group_segment_fixed_size: 0
    .kernarg_segment_align: 8
    .kernarg_segment_size: 128
    .language:       OpenCL C
    .language_version:
      - 2
      - 0
    .max_flat_workgroup_size: 512
    .name:           _ZN7rocprim17ROCPRIM_400000_NS6detail17trampoline_kernelINS0_14default_configENS1_25partition_config_selectorILNS1_17partition_subalgoE8EfNS0_10empty_typeEbEEZZNS1_14partition_implILS5_8ELb0ES3_jN6thrust23THRUST_200600_302600_NS6detail15normal_iteratorINSA_10device_ptrIfEEEEPS6_PKS6_NS0_5tupleIJSF_S6_EEENSJ_IJSG_SG_EEENS0_18inequality_wrapperI22is_equal_div_10_uniqueIfEEEPmJS6_EEE10hipError_tPvRmT3_T4_T5_T6_T7_T9_mT8_P12ihipStream_tbDpT10_ENKUlT_T0_E_clISt17integral_constantIbLb1EES1A_EEDaS15_S16_EUlS15_E_NS1_11comp_targetILNS1_3genE0ELNS1_11target_archE4294967295ELNS1_3gpuE0ELNS1_3repE0EEENS1_30default_config_static_selectorELNS0_4arch9wavefront6targetE1EEEvT1_
    .private_segment_fixed_size: 0
    .sgpr_count:     4
    .sgpr_spill_count: 0
    .symbol:         _ZN7rocprim17ROCPRIM_400000_NS6detail17trampoline_kernelINS0_14default_configENS1_25partition_config_selectorILNS1_17partition_subalgoE8EfNS0_10empty_typeEbEEZZNS1_14partition_implILS5_8ELb0ES3_jN6thrust23THRUST_200600_302600_NS6detail15normal_iteratorINSA_10device_ptrIfEEEEPS6_PKS6_NS0_5tupleIJSF_S6_EEENSJ_IJSG_SG_EEENS0_18inequality_wrapperI22is_equal_div_10_uniqueIfEEEPmJS6_EEE10hipError_tPvRmT3_T4_T5_T6_T7_T9_mT8_P12ihipStream_tbDpT10_ENKUlT_T0_E_clISt17integral_constantIbLb1EES1A_EEDaS15_S16_EUlS15_E_NS1_11comp_targetILNS1_3genE0ELNS1_11target_archE4294967295ELNS1_3gpuE0ELNS1_3repE0EEENS1_30default_config_static_selectorELNS0_4arch9wavefront6targetE1EEEvT1_.kd
    .uniform_work_group_size: 1
    .uses_dynamic_stack: false
    .vgpr_count:     0
    .vgpr_spill_count: 0
    .wavefront_size: 64
  - .args:
      - .offset:         0
        .size:           128
        .value_kind:     by_value
    .group_segment_fixed_size: 0
    .kernarg_segment_align: 8
    .kernarg_segment_size: 128
    .language:       OpenCL C
    .language_version:
      - 2
      - 0
    .max_flat_workgroup_size: 512
    .name:           _ZN7rocprim17ROCPRIM_400000_NS6detail17trampoline_kernelINS0_14default_configENS1_25partition_config_selectorILNS1_17partition_subalgoE8EfNS0_10empty_typeEbEEZZNS1_14partition_implILS5_8ELb0ES3_jN6thrust23THRUST_200600_302600_NS6detail15normal_iteratorINSA_10device_ptrIfEEEEPS6_PKS6_NS0_5tupleIJSF_S6_EEENSJ_IJSG_SG_EEENS0_18inequality_wrapperI22is_equal_div_10_uniqueIfEEEPmJS6_EEE10hipError_tPvRmT3_T4_T5_T6_T7_T9_mT8_P12ihipStream_tbDpT10_ENKUlT_T0_E_clISt17integral_constantIbLb1EES1A_EEDaS15_S16_EUlS15_E_NS1_11comp_targetILNS1_3genE5ELNS1_11target_archE942ELNS1_3gpuE9ELNS1_3repE0EEENS1_30default_config_static_selectorELNS0_4arch9wavefront6targetE1EEEvT1_
    .private_segment_fixed_size: 0
    .sgpr_count:     4
    .sgpr_spill_count: 0
    .symbol:         _ZN7rocprim17ROCPRIM_400000_NS6detail17trampoline_kernelINS0_14default_configENS1_25partition_config_selectorILNS1_17partition_subalgoE8EfNS0_10empty_typeEbEEZZNS1_14partition_implILS5_8ELb0ES3_jN6thrust23THRUST_200600_302600_NS6detail15normal_iteratorINSA_10device_ptrIfEEEEPS6_PKS6_NS0_5tupleIJSF_S6_EEENSJ_IJSG_SG_EEENS0_18inequality_wrapperI22is_equal_div_10_uniqueIfEEEPmJS6_EEE10hipError_tPvRmT3_T4_T5_T6_T7_T9_mT8_P12ihipStream_tbDpT10_ENKUlT_T0_E_clISt17integral_constantIbLb1EES1A_EEDaS15_S16_EUlS15_E_NS1_11comp_targetILNS1_3genE5ELNS1_11target_archE942ELNS1_3gpuE9ELNS1_3repE0EEENS1_30default_config_static_selectorELNS0_4arch9wavefront6targetE1EEEvT1_.kd
    .uniform_work_group_size: 1
    .uses_dynamic_stack: false
    .vgpr_count:     0
    .vgpr_spill_count: 0
    .wavefront_size: 64
  - .args:
      - .offset:         0
        .size:           128
        .value_kind:     by_value
    .group_segment_fixed_size: 0
    .kernarg_segment_align: 8
    .kernarg_segment_size: 128
    .language:       OpenCL C
    .language_version:
      - 2
      - 0
    .max_flat_workgroup_size: 256
    .name:           _ZN7rocprim17ROCPRIM_400000_NS6detail17trampoline_kernelINS0_14default_configENS1_25partition_config_selectorILNS1_17partition_subalgoE8EfNS0_10empty_typeEbEEZZNS1_14partition_implILS5_8ELb0ES3_jN6thrust23THRUST_200600_302600_NS6detail15normal_iteratorINSA_10device_ptrIfEEEEPS6_PKS6_NS0_5tupleIJSF_S6_EEENSJ_IJSG_SG_EEENS0_18inequality_wrapperI22is_equal_div_10_uniqueIfEEEPmJS6_EEE10hipError_tPvRmT3_T4_T5_T6_T7_T9_mT8_P12ihipStream_tbDpT10_ENKUlT_T0_E_clISt17integral_constantIbLb1EES1A_EEDaS15_S16_EUlS15_E_NS1_11comp_targetILNS1_3genE4ELNS1_11target_archE910ELNS1_3gpuE8ELNS1_3repE0EEENS1_30default_config_static_selectorELNS0_4arch9wavefront6targetE1EEEvT1_
    .private_segment_fixed_size: 0
    .sgpr_count:     4
    .sgpr_spill_count: 0
    .symbol:         _ZN7rocprim17ROCPRIM_400000_NS6detail17trampoline_kernelINS0_14default_configENS1_25partition_config_selectorILNS1_17partition_subalgoE8EfNS0_10empty_typeEbEEZZNS1_14partition_implILS5_8ELb0ES3_jN6thrust23THRUST_200600_302600_NS6detail15normal_iteratorINSA_10device_ptrIfEEEEPS6_PKS6_NS0_5tupleIJSF_S6_EEENSJ_IJSG_SG_EEENS0_18inequality_wrapperI22is_equal_div_10_uniqueIfEEEPmJS6_EEE10hipError_tPvRmT3_T4_T5_T6_T7_T9_mT8_P12ihipStream_tbDpT10_ENKUlT_T0_E_clISt17integral_constantIbLb1EES1A_EEDaS15_S16_EUlS15_E_NS1_11comp_targetILNS1_3genE4ELNS1_11target_archE910ELNS1_3gpuE8ELNS1_3repE0EEENS1_30default_config_static_selectorELNS0_4arch9wavefront6targetE1EEEvT1_.kd
    .uniform_work_group_size: 1
    .uses_dynamic_stack: false
    .vgpr_count:     0
    .vgpr_spill_count: 0
    .wavefront_size: 64
  - .args:
      - .offset:         0
        .size:           128
        .value_kind:     by_value
    .group_segment_fixed_size: 0
    .kernarg_segment_align: 8
    .kernarg_segment_size: 128
    .language:       OpenCL C
    .language_version:
      - 2
      - 0
    .max_flat_workgroup_size: 512
    .name:           _ZN7rocprim17ROCPRIM_400000_NS6detail17trampoline_kernelINS0_14default_configENS1_25partition_config_selectorILNS1_17partition_subalgoE8EfNS0_10empty_typeEbEEZZNS1_14partition_implILS5_8ELb0ES3_jN6thrust23THRUST_200600_302600_NS6detail15normal_iteratorINSA_10device_ptrIfEEEEPS6_PKS6_NS0_5tupleIJSF_S6_EEENSJ_IJSG_SG_EEENS0_18inequality_wrapperI22is_equal_div_10_uniqueIfEEEPmJS6_EEE10hipError_tPvRmT3_T4_T5_T6_T7_T9_mT8_P12ihipStream_tbDpT10_ENKUlT_T0_E_clISt17integral_constantIbLb1EES1A_EEDaS15_S16_EUlS15_E_NS1_11comp_targetILNS1_3genE3ELNS1_11target_archE908ELNS1_3gpuE7ELNS1_3repE0EEENS1_30default_config_static_selectorELNS0_4arch9wavefront6targetE1EEEvT1_
    .private_segment_fixed_size: 0
    .sgpr_count:     4
    .sgpr_spill_count: 0
    .symbol:         _ZN7rocprim17ROCPRIM_400000_NS6detail17trampoline_kernelINS0_14default_configENS1_25partition_config_selectorILNS1_17partition_subalgoE8EfNS0_10empty_typeEbEEZZNS1_14partition_implILS5_8ELb0ES3_jN6thrust23THRUST_200600_302600_NS6detail15normal_iteratorINSA_10device_ptrIfEEEEPS6_PKS6_NS0_5tupleIJSF_S6_EEENSJ_IJSG_SG_EEENS0_18inequality_wrapperI22is_equal_div_10_uniqueIfEEEPmJS6_EEE10hipError_tPvRmT3_T4_T5_T6_T7_T9_mT8_P12ihipStream_tbDpT10_ENKUlT_T0_E_clISt17integral_constantIbLb1EES1A_EEDaS15_S16_EUlS15_E_NS1_11comp_targetILNS1_3genE3ELNS1_11target_archE908ELNS1_3gpuE7ELNS1_3repE0EEENS1_30default_config_static_selectorELNS0_4arch9wavefront6targetE1EEEvT1_.kd
    .uniform_work_group_size: 1
    .uses_dynamic_stack: false
    .vgpr_count:     0
    .vgpr_spill_count: 0
    .wavefront_size: 64
  - .args:
      - .offset:         0
        .size:           128
        .value_kind:     by_value
    .group_segment_fixed_size: 0
    .kernarg_segment_align: 8
    .kernarg_segment_size: 128
    .language:       OpenCL C
    .language_version:
      - 2
      - 0
    .max_flat_workgroup_size: 256
    .name:           _ZN7rocprim17ROCPRIM_400000_NS6detail17trampoline_kernelINS0_14default_configENS1_25partition_config_selectorILNS1_17partition_subalgoE8EfNS0_10empty_typeEbEEZZNS1_14partition_implILS5_8ELb0ES3_jN6thrust23THRUST_200600_302600_NS6detail15normal_iteratorINSA_10device_ptrIfEEEEPS6_PKS6_NS0_5tupleIJSF_S6_EEENSJ_IJSG_SG_EEENS0_18inequality_wrapperI22is_equal_div_10_uniqueIfEEEPmJS6_EEE10hipError_tPvRmT3_T4_T5_T6_T7_T9_mT8_P12ihipStream_tbDpT10_ENKUlT_T0_E_clISt17integral_constantIbLb1EES1A_EEDaS15_S16_EUlS15_E_NS1_11comp_targetILNS1_3genE2ELNS1_11target_archE906ELNS1_3gpuE6ELNS1_3repE0EEENS1_30default_config_static_selectorELNS0_4arch9wavefront6targetE1EEEvT1_
    .private_segment_fixed_size: 0
    .sgpr_count:     4
    .sgpr_spill_count: 0
    .symbol:         _ZN7rocprim17ROCPRIM_400000_NS6detail17trampoline_kernelINS0_14default_configENS1_25partition_config_selectorILNS1_17partition_subalgoE8EfNS0_10empty_typeEbEEZZNS1_14partition_implILS5_8ELb0ES3_jN6thrust23THRUST_200600_302600_NS6detail15normal_iteratorINSA_10device_ptrIfEEEEPS6_PKS6_NS0_5tupleIJSF_S6_EEENSJ_IJSG_SG_EEENS0_18inequality_wrapperI22is_equal_div_10_uniqueIfEEEPmJS6_EEE10hipError_tPvRmT3_T4_T5_T6_T7_T9_mT8_P12ihipStream_tbDpT10_ENKUlT_T0_E_clISt17integral_constantIbLb1EES1A_EEDaS15_S16_EUlS15_E_NS1_11comp_targetILNS1_3genE2ELNS1_11target_archE906ELNS1_3gpuE6ELNS1_3repE0EEENS1_30default_config_static_selectorELNS0_4arch9wavefront6targetE1EEEvT1_.kd
    .uniform_work_group_size: 1
    .uses_dynamic_stack: false
    .vgpr_count:     0
    .vgpr_spill_count: 0
    .wavefront_size: 64
  - .args:
      - .offset:         0
        .size:           128
        .value_kind:     by_value
    .group_segment_fixed_size: 0
    .kernarg_segment_align: 8
    .kernarg_segment_size: 128
    .language:       OpenCL C
    .language_version:
      - 2
      - 0
    .max_flat_workgroup_size: 384
    .name:           _ZN7rocprim17ROCPRIM_400000_NS6detail17trampoline_kernelINS0_14default_configENS1_25partition_config_selectorILNS1_17partition_subalgoE8EfNS0_10empty_typeEbEEZZNS1_14partition_implILS5_8ELb0ES3_jN6thrust23THRUST_200600_302600_NS6detail15normal_iteratorINSA_10device_ptrIfEEEEPS6_PKS6_NS0_5tupleIJSF_S6_EEENSJ_IJSG_SG_EEENS0_18inequality_wrapperI22is_equal_div_10_uniqueIfEEEPmJS6_EEE10hipError_tPvRmT3_T4_T5_T6_T7_T9_mT8_P12ihipStream_tbDpT10_ENKUlT_T0_E_clISt17integral_constantIbLb1EES1A_EEDaS15_S16_EUlS15_E_NS1_11comp_targetILNS1_3genE10ELNS1_11target_archE1200ELNS1_3gpuE4ELNS1_3repE0EEENS1_30default_config_static_selectorELNS0_4arch9wavefront6targetE1EEEvT1_
    .private_segment_fixed_size: 0
    .sgpr_count:     4
    .sgpr_spill_count: 0
    .symbol:         _ZN7rocprim17ROCPRIM_400000_NS6detail17trampoline_kernelINS0_14default_configENS1_25partition_config_selectorILNS1_17partition_subalgoE8EfNS0_10empty_typeEbEEZZNS1_14partition_implILS5_8ELb0ES3_jN6thrust23THRUST_200600_302600_NS6detail15normal_iteratorINSA_10device_ptrIfEEEEPS6_PKS6_NS0_5tupleIJSF_S6_EEENSJ_IJSG_SG_EEENS0_18inequality_wrapperI22is_equal_div_10_uniqueIfEEEPmJS6_EEE10hipError_tPvRmT3_T4_T5_T6_T7_T9_mT8_P12ihipStream_tbDpT10_ENKUlT_T0_E_clISt17integral_constantIbLb1EES1A_EEDaS15_S16_EUlS15_E_NS1_11comp_targetILNS1_3genE10ELNS1_11target_archE1200ELNS1_3gpuE4ELNS1_3repE0EEENS1_30default_config_static_selectorELNS0_4arch9wavefront6targetE1EEEvT1_.kd
    .uniform_work_group_size: 1
    .uses_dynamic_stack: false
    .vgpr_count:     0
    .vgpr_spill_count: 0
    .wavefront_size: 64
  - .args:
      - .offset:         0
        .size:           128
        .value_kind:     by_value
    .group_segment_fixed_size: 0
    .kernarg_segment_align: 8
    .kernarg_segment_size: 128
    .language:       OpenCL C
    .language_version:
      - 2
      - 0
    .max_flat_workgroup_size: 128
    .name:           _ZN7rocprim17ROCPRIM_400000_NS6detail17trampoline_kernelINS0_14default_configENS1_25partition_config_selectorILNS1_17partition_subalgoE8EfNS0_10empty_typeEbEEZZNS1_14partition_implILS5_8ELb0ES3_jN6thrust23THRUST_200600_302600_NS6detail15normal_iteratorINSA_10device_ptrIfEEEEPS6_PKS6_NS0_5tupleIJSF_S6_EEENSJ_IJSG_SG_EEENS0_18inequality_wrapperI22is_equal_div_10_uniqueIfEEEPmJS6_EEE10hipError_tPvRmT3_T4_T5_T6_T7_T9_mT8_P12ihipStream_tbDpT10_ENKUlT_T0_E_clISt17integral_constantIbLb1EES1A_EEDaS15_S16_EUlS15_E_NS1_11comp_targetILNS1_3genE9ELNS1_11target_archE1100ELNS1_3gpuE3ELNS1_3repE0EEENS1_30default_config_static_selectorELNS0_4arch9wavefront6targetE1EEEvT1_
    .private_segment_fixed_size: 0
    .sgpr_count:     4
    .sgpr_spill_count: 0
    .symbol:         _ZN7rocprim17ROCPRIM_400000_NS6detail17trampoline_kernelINS0_14default_configENS1_25partition_config_selectorILNS1_17partition_subalgoE8EfNS0_10empty_typeEbEEZZNS1_14partition_implILS5_8ELb0ES3_jN6thrust23THRUST_200600_302600_NS6detail15normal_iteratorINSA_10device_ptrIfEEEEPS6_PKS6_NS0_5tupleIJSF_S6_EEENSJ_IJSG_SG_EEENS0_18inequality_wrapperI22is_equal_div_10_uniqueIfEEEPmJS6_EEE10hipError_tPvRmT3_T4_T5_T6_T7_T9_mT8_P12ihipStream_tbDpT10_ENKUlT_T0_E_clISt17integral_constantIbLb1EES1A_EEDaS15_S16_EUlS15_E_NS1_11comp_targetILNS1_3genE9ELNS1_11target_archE1100ELNS1_3gpuE3ELNS1_3repE0EEENS1_30default_config_static_selectorELNS0_4arch9wavefront6targetE1EEEvT1_.kd
    .uniform_work_group_size: 1
    .uses_dynamic_stack: false
    .vgpr_count:     0
    .vgpr_spill_count: 0
    .wavefront_size: 64
  - .args:
      - .offset:         0
        .size:           128
        .value_kind:     by_value
    .group_segment_fixed_size: 0
    .kernarg_segment_align: 8
    .kernarg_segment_size: 128
    .language:       OpenCL C
    .language_version:
      - 2
      - 0
    .max_flat_workgroup_size: 512
    .name:           _ZN7rocprim17ROCPRIM_400000_NS6detail17trampoline_kernelINS0_14default_configENS1_25partition_config_selectorILNS1_17partition_subalgoE8EfNS0_10empty_typeEbEEZZNS1_14partition_implILS5_8ELb0ES3_jN6thrust23THRUST_200600_302600_NS6detail15normal_iteratorINSA_10device_ptrIfEEEEPS6_PKS6_NS0_5tupleIJSF_S6_EEENSJ_IJSG_SG_EEENS0_18inequality_wrapperI22is_equal_div_10_uniqueIfEEEPmJS6_EEE10hipError_tPvRmT3_T4_T5_T6_T7_T9_mT8_P12ihipStream_tbDpT10_ENKUlT_T0_E_clISt17integral_constantIbLb1EES1A_EEDaS15_S16_EUlS15_E_NS1_11comp_targetILNS1_3genE8ELNS1_11target_archE1030ELNS1_3gpuE2ELNS1_3repE0EEENS1_30default_config_static_selectorELNS0_4arch9wavefront6targetE1EEEvT1_
    .private_segment_fixed_size: 0
    .sgpr_count:     4
    .sgpr_spill_count: 0
    .symbol:         _ZN7rocprim17ROCPRIM_400000_NS6detail17trampoline_kernelINS0_14default_configENS1_25partition_config_selectorILNS1_17partition_subalgoE8EfNS0_10empty_typeEbEEZZNS1_14partition_implILS5_8ELb0ES3_jN6thrust23THRUST_200600_302600_NS6detail15normal_iteratorINSA_10device_ptrIfEEEEPS6_PKS6_NS0_5tupleIJSF_S6_EEENSJ_IJSG_SG_EEENS0_18inequality_wrapperI22is_equal_div_10_uniqueIfEEEPmJS6_EEE10hipError_tPvRmT3_T4_T5_T6_T7_T9_mT8_P12ihipStream_tbDpT10_ENKUlT_T0_E_clISt17integral_constantIbLb1EES1A_EEDaS15_S16_EUlS15_E_NS1_11comp_targetILNS1_3genE8ELNS1_11target_archE1030ELNS1_3gpuE2ELNS1_3repE0EEENS1_30default_config_static_selectorELNS0_4arch9wavefront6targetE1EEEvT1_.kd
    .uniform_work_group_size: 1
    .uses_dynamic_stack: false
    .vgpr_count:     0
    .vgpr_spill_count: 0
    .wavefront_size: 64
  - .args:
      - .offset:         0
        .size:           112
        .value_kind:     by_value
    .group_segment_fixed_size: 0
    .kernarg_segment_align: 8
    .kernarg_segment_size: 112
    .language:       OpenCL C
    .language_version:
      - 2
      - 0
    .max_flat_workgroup_size: 512
    .name:           _ZN7rocprim17ROCPRIM_400000_NS6detail17trampoline_kernelINS0_14default_configENS1_25partition_config_selectorILNS1_17partition_subalgoE8EfNS0_10empty_typeEbEEZZNS1_14partition_implILS5_8ELb0ES3_jN6thrust23THRUST_200600_302600_NS6detail15normal_iteratorINSA_10device_ptrIfEEEEPS6_PKS6_NS0_5tupleIJSF_S6_EEENSJ_IJSG_SG_EEENS0_18inequality_wrapperI22is_equal_div_10_uniqueIfEEEPmJS6_EEE10hipError_tPvRmT3_T4_T5_T6_T7_T9_mT8_P12ihipStream_tbDpT10_ENKUlT_T0_E_clISt17integral_constantIbLb1EES19_IbLb0EEEEDaS15_S16_EUlS15_E_NS1_11comp_targetILNS1_3genE0ELNS1_11target_archE4294967295ELNS1_3gpuE0ELNS1_3repE0EEENS1_30default_config_static_selectorELNS0_4arch9wavefront6targetE1EEEvT1_
    .private_segment_fixed_size: 0
    .sgpr_count:     4
    .sgpr_spill_count: 0
    .symbol:         _ZN7rocprim17ROCPRIM_400000_NS6detail17trampoline_kernelINS0_14default_configENS1_25partition_config_selectorILNS1_17partition_subalgoE8EfNS0_10empty_typeEbEEZZNS1_14partition_implILS5_8ELb0ES3_jN6thrust23THRUST_200600_302600_NS6detail15normal_iteratorINSA_10device_ptrIfEEEEPS6_PKS6_NS0_5tupleIJSF_S6_EEENSJ_IJSG_SG_EEENS0_18inequality_wrapperI22is_equal_div_10_uniqueIfEEEPmJS6_EEE10hipError_tPvRmT3_T4_T5_T6_T7_T9_mT8_P12ihipStream_tbDpT10_ENKUlT_T0_E_clISt17integral_constantIbLb1EES19_IbLb0EEEEDaS15_S16_EUlS15_E_NS1_11comp_targetILNS1_3genE0ELNS1_11target_archE4294967295ELNS1_3gpuE0ELNS1_3repE0EEENS1_30default_config_static_selectorELNS0_4arch9wavefront6targetE1EEEvT1_.kd
    .uniform_work_group_size: 1
    .uses_dynamic_stack: false
    .vgpr_count:     0
    .vgpr_spill_count: 0
    .wavefront_size: 64
  - .args:
      - .offset:         0
        .size:           112
        .value_kind:     by_value
    .group_segment_fixed_size: 0
    .kernarg_segment_align: 8
    .kernarg_segment_size: 112
    .language:       OpenCL C
    .language_version:
      - 2
      - 0
    .max_flat_workgroup_size: 512
    .name:           _ZN7rocprim17ROCPRIM_400000_NS6detail17trampoline_kernelINS0_14default_configENS1_25partition_config_selectorILNS1_17partition_subalgoE8EfNS0_10empty_typeEbEEZZNS1_14partition_implILS5_8ELb0ES3_jN6thrust23THRUST_200600_302600_NS6detail15normal_iteratorINSA_10device_ptrIfEEEEPS6_PKS6_NS0_5tupleIJSF_S6_EEENSJ_IJSG_SG_EEENS0_18inequality_wrapperI22is_equal_div_10_uniqueIfEEEPmJS6_EEE10hipError_tPvRmT3_T4_T5_T6_T7_T9_mT8_P12ihipStream_tbDpT10_ENKUlT_T0_E_clISt17integral_constantIbLb1EES19_IbLb0EEEEDaS15_S16_EUlS15_E_NS1_11comp_targetILNS1_3genE5ELNS1_11target_archE942ELNS1_3gpuE9ELNS1_3repE0EEENS1_30default_config_static_selectorELNS0_4arch9wavefront6targetE1EEEvT1_
    .private_segment_fixed_size: 0
    .sgpr_count:     4
    .sgpr_spill_count: 0
    .symbol:         _ZN7rocprim17ROCPRIM_400000_NS6detail17trampoline_kernelINS0_14default_configENS1_25partition_config_selectorILNS1_17partition_subalgoE8EfNS0_10empty_typeEbEEZZNS1_14partition_implILS5_8ELb0ES3_jN6thrust23THRUST_200600_302600_NS6detail15normal_iteratorINSA_10device_ptrIfEEEEPS6_PKS6_NS0_5tupleIJSF_S6_EEENSJ_IJSG_SG_EEENS0_18inequality_wrapperI22is_equal_div_10_uniqueIfEEEPmJS6_EEE10hipError_tPvRmT3_T4_T5_T6_T7_T9_mT8_P12ihipStream_tbDpT10_ENKUlT_T0_E_clISt17integral_constantIbLb1EES19_IbLb0EEEEDaS15_S16_EUlS15_E_NS1_11comp_targetILNS1_3genE5ELNS1_11target_archE942ELNS1_3gpuE9ELNS1_3repE0EEENS1_30default_config_static_selectorELNS0_4arch9wavefront6targetE1EEEvT1_.kd
    .uniform_work_group_size: 1
    .uses_dynamic_stack: false
    .vgpr_count:     0
    .vgpr_spill_count: 0
    .wavefront_size: 64
  - .args:
      - .offset:         0
        .size:           112
        .value_kind:     by_value
    .group_segment_fixed_size: 0
    .kernarg_segment_align: 8
    .kernarg_segment_size: 112
    .language:       OpenCL C
    .language_version:
      - 2
      - 0
    .max_flat_workgroup_size: 256
    .name:           _ZN7rocprim17ROCPRIM_400000_NS6detail17trampoline_kernelINS0_14default_configENS1_25partition_config_selectorILNS1_17partition_subalgoE8EfNS0_10empty_typeEbEEZZNS1_14partition_implILS5_8ELb0ES3_jN6thrust23THRUST_200600_302600_NS6detail15normal_iteratorINSA_10device_ptrIfEEEEPS6_PKS6_NS0_5tupleIJSF_S6_EEENSJ_IJSG_SG_EEENS0_18inequality_wrapperI22is_equal_div_10_uniqueIfEEEPmJS6_EEE10hipError_tPvRmT3_T4_T5_T6_T7_T9_mT8_P12ihipStream_tbDpT10_ENKUlT_T0_E_clISt17integral_constantIbLb1EES19_IbLb0EEEEDaS15_S16_EUlS15_E_NS1_11comp_targetILNS1_3genE4ELNS1_11target_archE910ELNS1_3gpuE8ELNS1_3repE0EEENS1_30default_config_static_selectorELNS0_4arch9wavefront6targetE1EEEvT1_
    .private_segment_fixed_size: 0
    .sgpr_count:     4
    .sgpr_spill_count: 0
    .symbol:         _ZN7rocprim17ROCPRIM_400000_NS6detail17trampoline_kernelINS0_14default_configENS1_25partition_config_selectorILNS1_17partition_subalgoE8EfNS0_10empty_typeEbEEZZNS1_14partition_implILS5_8ELb0ES3_jN6thrust23THRUST_200600_302600_NS6detail15normal_iteratorINSA_10device_ptrIfEEEEPS6_PKS6_NS0_5tupleIJSF_S6_EEENSJ_IJSG_SG_EEENS0_18inequality_wrapperI22is_equal_div_10_uniqueIfEEEPmJS6_EEE10hipError_tPvRmT3_T4_T5_T6_T7_T9_mT8_P12ihipStream_tbDpT10_ENKUlT_T0_E_clISt17integral_constantIbLb1EES19_IbLb0EEEEDaS15_S16_EUlS15_E_NS1_11comp_targetILNS1_3genE4ELNS1_11target_archE910ELNS1_3gpuE8ELNS1_3repE0EEENS1_30default_config_static_selectorELNS0_4arch9wavefront6targetE1EEEvT1_.kd
    .uniform_work_group_size: 1
    .uses_dynamic_stack: false
    .vgpr_count:     0
    .vgpr_spill_count: 0
    .wavefront_size: 64
  - .args:
      - .offset:         0
        .size:           112
        .value_kind:     by_value
    .group_segment_fixed_size: 0
    .kernarg_segment_align: 8
    .kernarg_segment_size: 112
    .language:       OpenCL C
    .language_version:
      - 2
      - 0
    .max_flat_workgroup_size: 512
    .name:           _ZN7rocprim17ROCPRIM_400000_NS6detail17trampoline_kernelINS0_14default_configENS1_25partition_config_selectorILNS1_17partition_subalgoE8EfNS0_10empty_typeEbEEZZNS1_14partition_implILS5_8ELb0ES3_jN6thrust23THRUST_200600_302600_NS6detail15normal_iteratorINSA_10device_ptrIfEEEEPS6_PKS6_NS0_5tupleIJSF_S6_EEENSJ_IJSG_SG_EEENS0_18inequality_wrapperI22is_equal_div_10_uniqueIfEEEPmJS6_EEE10hipError_tPvRmT3_T4_T5_T6_T7_T9_mT8_P12ihipStream_tbDpT10_ENKUlT_T0_E_clISt17integral_constantIbLb1EES19_IbLb0EEEEDaS15_S16_EUlS15_E_NS1_11comp_targetILNS1_3genE3ELNS1_11target_archE908ELNS1_3gpuE7ELNS1_3repE0EEENS1_30default_config_static_selectorELNS0_4arch9wavefront6targetE1EEEvT1_
    .private_segment_fixed_size: 0
    .sgpr_count:     4
    .sgpr_spill_count: 0
    .symbol:         _ZN7rocprim17ROCPRIM_400000_NS6detail17trampoline_kernelINS0_14default_configENS1_25partition_config_selectorILNS1_17partition_subalgoE8EfNS0_10empty_typeEbEEZZNS1_14partition_implILS5_8ELb0ES3_jN6thrust23THRUST_200600_302600_NS6detail15normal_iteratorINSA_10device_ptrIfEEEEPS6_PKS6_NS0_5tupleIJSF_S6_EEENSJ_IJSG_SG_EEENS0_18inequality_wrapperI22is_equal_div_10_uniqueIfEEEPmJS6_EEE10hipError_tPvRmT3_T4_T5_T6_T7_T9_mT8_P12ihipStream_tbDpT10_ENKUlT_T0_E_clISt17integral_constantIbLb1EES19_IbLb0EEEEDaS15_S16_EUlS15_E_NS1_11comp_targetILNS1_3genE3ELNS1_11target_archE908ELNS1_3gpuE7ELNS1_3repE0EEENS1_30default_config_static_selectorELNS0_4arch9wavefront6targetE1EEEvT1_.kd
    .uniform_work_group_size: 1
    .uses_dynamic_stack: false
    .vgpr_count:     0
    .vgpr_spill_count: 0
    .wavefront_size: 64
  - .args:
      - .offset:         0
        .size:           112
        .value_kind:     by_value
    .group_segment_fixed_size: 0
    .kernarg_segment_align: 8
    .kernarg_segment_size: 112
    .language:       OpenCL C
    .language_version:
      - 2
      - 0
    .max_flat_workgroup_size: 256
    .name:           _ZN7rocprim17ROCPRIM_400000_NS6detail17trampoline_kernelINS0_14default_configENS1_25partition_config_selectorILNS1_17partition_subalgoE8EfNS0_10empty_typeEbEEZZNS1_14partition_implILS5_8ELb0ES3_jN6thrust23THRUST_200600_302600_NS6detail15normal_iteratorINSA_10device_ptrIfEEEEPS6_PKS6_NS0_5tupleIJSF_S6_EEENSJ_IJSG_SG_EEENS0_18inequality_wrapperI22is_equal_div_10_uniqueIfEEEPmJS6_EEE10hipError_tPvRmT3_T4_T5_T6_T7_T9_mT8_P12ihipStream_tbDpT10_ENKUlT_T0_E_clISt17integral_constantIbLb1EES19_IbLb0EEEEDaS15_S16_EUlS15_E_NS1_11comp_targetILNS1_3genE2ELNS1_11target_archE906ELNS1_3gpuE6ELNS1_3repE0EEENS1_30default_config_static_selectorELNS0_4arch9wavefront6targetE1EEEvT1_
    .private_segment_fixed_size: 0
    .sgpr_count:     4
    .sgpr_spill_count: 0
    .symbol:         _ZN7rocprim17ROCPRIM_400000_NS6detail17trampoline_kernelINS0_14default_configENS1_25partition_config_selectorILNS1_17partition_subalgoE8EfNS0_10empty_typeEbEEZZNS1_14partition_implILS5_8ELb0ES3_jN6thrust23THRUST_200600_302600_NS6detail15normal_iteratorINSA_10device_ptrIfEEEEPS6_PKS6_NS0_5tupleIJSF_S6_EEENSJ_IJSG_SG_EEENS0_18inequality_wrapperI22is_equal_div_10_uniqueIfEEEPmJS6_EEE10hipError_tPvRmT3_T4_T5_T6_T7_T9_mT8_P12ihipStream_tbDpT10_ENKUlT_T0_E_clISt17integral_constantIbLb1EES19_IbLb0EEEEDaS15_S16_EUlS15_E_NS1_11comp_targetILNS1_3genE2ELNS1_11target_archE906ELNS1_3gpuE6ELNS1_3repE0EEENS1_30default_config_static_selectorELNS0_4arch9wavefront6targetE1EEEvT1_.kd
    .uniform_work_group_size: 1
    .uses_dynamic_stack: false
    .vgpr_count:     0
    .vgpr_spill_count: 0
    .wavefront_size: 64
  - .args:
      - .offset:         0
        .size:           112
        .value_kind:     by_value
    .group_segment_fixed_size: 0
    .kernarg_segment_align: 8
    .kernarg_segment_size: 112
    .language:       OpenCL C
    .language_version:
      - 2
      - 0
    .max_flat_workgroup_size: 384
    .name:           _ZN7rocprim17ROCPRIM_400000_NS6detail17trampoline_kernelINS0_14default_configENS1_25partition_config_selectorILNS1_17partition_subalgoE8EfNS0_10empty_typeEbEEZZNS1_14partition_implILS5_8ELb0ES3_jN6thrust23THRUST_200600_302600_NS6detail15normal_iteratorINSA_10device_ptrIfEEEEPS6_PKS6_NS0_5tupleIJSF_S6_EEENSJ_IJSG_SG_EEENS0_18inequality_wrapperI22is_equal_div_10_uniqueIfEEEPmJS6_EEE10hipError_tPvRmT3_T4_T5_T6_T7_T9_mT8_P12ihipStream_tbDpT10_ENKUlT_T0_E_clISt17integral_constantIbLb1EES19_IbLb0EEEEDaS15_S16_EUlS15_E_NS1_11comp_targetILNS1_3genE10ELNS1_11target_archE1200ELNS1_3gpuE4ELNS1_3repE0EEENS1_30default_config_static_selectorELNS0_4arch9wavefront6targetE1EEEvT1_
    .private_segment_fixed_size: 0
    .sgpr_count:     4
    .sgpr_spill_count: 0
    .symbol:         _ZN7rocprim17ROCPRIM_400000_NS6detail17trampoline_kernelINS0_14default_configENS1_25partition_config_selectorILNS1_17partition_subalgoE8EfNS0_10empty_typeEbEEZZNS1_14partition_implILS5_8ELb0ES3_jN6thrust23THRUST_200600_302600_NS6detail15normal_iteratorINSA_10device_ptrIfEEEEPS6_PKS6_NS0_5tupleIJSF_S6_EEENSJ_IJSG_SG_EEENS0_18inequality_wrapperI22is_equal_div_10_uniqueIfEEEPmJS6_EEE10hipError_tPvRmT3_T4_T5_T6_T7_T9_mT8_P12ihipStream_tbDpT10_ENKUlT_T0_E_clISt17integral_constantIbLb1EES19_IbLb0EEEEDaS15_S16_EUlS15_E_NS1_11comp_targetILNS1_3genE10ELNS1_11target_archE1200ELNS1_3gpuE4ELNS1_3repE0EEENS1_30default_config_static_selectorELNS0_4arch9wavefront6targetE1EEEvT1_.kd
    .uniform_work_group_size: 1
    .uses_dynamic_stack: false
    .vgpr_count:     0
    .vgpr_spill_count: 0
    .wavefront_size: 64
  - .args:
      - .offset:         0
        .size:           112
        .value_kind:     by_value
    .group_segment_fixed_size: 0
    .kernarg_segment_align: 8
    .kernarg_segment_size: 112
    .language:       OpenCL C
    .language_version:
      - 2
      - 0
    .max_flat_workgroup_size: 128
    .name:           _ZN7rocprim17ROCPRIM_400000_NS6detail17trampoline_kernelINS0_14default_configENS1_25partition_config_selectorILNS1_17partition_subalgoE8EfNS0_10empty_typeEbEEZZNS1_14partition_implILS5_8ELb0ES3_jN6thrust23THRUST_200600_302600_NS6detail15normal_iteratorINSA_10device_ptrIfEEEEPS6_PKS6_NS0_5tupleIJSF_S6_EEENSJ_IJSG_SG_EEENS0_18inequality_wrapperI22is_equal_div_10_uniqueIfEEEPmJS6_EEE10hipError_tPvRmT3_T4_T5_T6_T7_T9_mT8_P12ihipStream_tbDpT10_ENKUlT_T0_E_clISt17integral_constantIbLb1EES19_IbLb0EEEEDaS15_S16_EUlS15_E_NS1_11comp_targetILNS1_3genE9ELNS1_11target_archE1100ELNS1_3gpuE3ELNS1_3repE0EEENS1_30default_config_static_selectorELNS0_4arch9wavefront6targetE1EEEvT1_
    .private_segment_fixed_size: 0
    .sgpr_count:     4
    .sgpr_spill_count: 0
    .symbol:         _ZN7rocprim17ROCPRIM_400000_NS6detail17trampoline_kernelINS0_14default_configENS1_25partition_config_selectorILNS1_17partition_subalgoE8EfNS0_10empty_typeEbEEZZNS1_14partition_implILS5_8ELb0ES3_jN6thrust23THRUST_200600_302600_NS6detail15normal_iteratorINSA_10device_ptrIfEEEEPS6_PKS6_NS0_5tupleIJSF_S6_EEENSJ_IJSG_SG_EEENS0_18inequality_wrapperI22is_equal_div_10_uniqueIfEEEPmJS6_EEE10hipError_tPvRmT3_T4_T5_T6_T7_T9_mT8_P12ihipStream_tbDpT10_ENKUlT_T0_E_clISt17integral_constantIbLb1EES19_IbLb0EEEEDaS15_S16_EUlS15_E_NS1_11comp_targetILNS1_3genE9ELNS1_11target_archE1100ELNS1_3gpuE3ELNS1_3repE0EEENS1_30default_config_static_selectorELNS0_4arch9wavefront6targetE1EEEvT1_.kd
    .uniform_work_group_size: 1
    .uses_dynamic_stack: false
    .vgpr_count:     0
    .vgpr_spill_count: 0
    .wavefront_size: 64
  - .args:
      - .offset:         0
        .size:           112
        .value_kind:     by_value
    .group_segment_fixed_size: 0
    .kernarg_segment_align: 8
    .kernarg_segment_size: 112
    .language:       OpenCL C
    .language_version:
      - 2
      - 0
    .max_flat_workgroup_size: 512
    .name:           _ZN7rocprim17ROCPRIM_400000_NS6detail17trampoline_kernelINS0_14default_configENS1_25partition_config_selectorILNS1_17partition_subalgoE8EfNS0_10empty_typeEbEEZZNS1_14partition_implILS5_8ELb0ES3_jN6thrust23THRUST_200600_302600_NS6detail15normal_iteratorINSA_10device_ptrIfEEEEPS6_PKS6_NS0_5tupleIJSF_S6_EEENSJ_IJSG_SG_EEENS0_18inequality_wrapperI22is_equal_div_10_uniqueIfEEEPmJS6_EEE10hipError_tPvRmT3_T4_T5_T6_T7_T9_mT8_P12ihipStream_tbDpT10_ENKUlT_T0_E_clISt17integral_constantIbLb1EES19_IbLb0EEEEDaS15_S16_EUlS15_E_NS1_11comp_targetILNS1_3genE8ELNS1_11target_archE1030ELNS1_3gpuE2ELNS1_3repE0EEENS1_30default_config_static_selectorELNS0_4arch9wavefront6targetE1EEEvT1_
    .private_segment_fixed_size: 0
    .sgpr_count:     4
    .sgpr_spill_count: 0
    .symbol:         _ZN7rocprim17ROCPRIM_400000_NS6detail17trampoline_kernelINS0_14default_configENS1_25partition_config_selectorILNS1_17partition_subalgoE8EfNS0_10empty_typeEbEEZZNS1_14partition_implILS5_8ELb0ES3_jN6thrust23THRUST_200600_302600_NS6detail15normal_iteratorINSA_10device_ptrIfEEEEPS6_PKS6_NS0_5tupleIJSF_S6_EEENSJ_IJSG_SG_EEENS0_18inequality_wrapperI22is_equal_div_10_uniqueIfEEEPmJS6_EEE10hipError_tPvRmT3_T4_T5_T6_T7_T9_mT8_P12ihipStream_tbDpT10_ENKUlT_T0_E_clISt17integral_constantIbLb1EES19_IbLb0EEEEDaS15_S16_EUlS15_E_NS1_11comp_targetILNS1_3genE8ELNS1_11target_archE1030ELNS1_3gpuE2ELNS1_3repE0EEENS1_30default_config_static_selectorELNS0_4arch9wavefront6targetE1EEEvT1_.kd
    .uniform_work_group_size: 1
    .uses_dynamic_stack: false
    .vgpr_count:     0
    .vgpr_spill_count: 0
    .wavefront_size: 64
  - .args:
      - .offset:         0
        .size:           128
        .value_kind:     by_value
    .group_segment_fixed_size: 0
    .kernarg_segment_align: 8
    .kernarg_segment_size: 128
    .language:       OpenCL C
    .language_version:
      - 2
      - 0
    .max_flat_workgroup_size: 512
    .name:           _ZN7rocprim17ROCPRIM_400000_NS6detail17trampoline_kernelINS0_14default_configENS1_25partition_config_selectorILNS1_17partition_subalgoE8EfNS0_10empty_typeEbEEZZNS1_14partition_implILS5_8ELb0ES3_jN6thrust23THRUST_200600_302600_NS6detail15normal_iteratorINSA_10device_ptrIfEEEEPS6_PKS6_NS0_5tupleIJSF_S6_EEENSJ_IJSG_SG_EEENS0_18inequality_wrapperI22is_equal_div_10_uniqueIfEEEPmJS6_EEE10hipError_tPvRmT3_T4_T5_T6_T7_T9_mT8_P12ihipStream_tbDpT10_ENKUlT_T0_E_clISt17integral_constantIbLb0EES19_IbLb1EEEEDaS15_S16_EUlS15_E_NS1_11comp_targetILNS1_3genE0ELNS1_11target_archE4294967295ELNS1_3gpuE0ELNS1_3repE0EEENS1_30default_config_static_selectorELNS0_4arch9wavefront6targetE1EEEvT1_
    .private_segment_fixed_size: 0
    .sgpr_count:     4
    .sgpr_spill_count: 0
    .symbol:         _ZN7rocprim17ROCPRIM_400000_NS6detail17trampoline_kernelINS0_14default_configENS1_25partition_config_selectorILNS1_17partition_subalgoE8EfNS0_10empty_typeEbEEZZNS1_14partition_implILS5_8ELb0ES3_jN6thrust23THRUST_200600_302600_NS6detail15normal_iteratorINSA_10device_ptrIfEEEEPS6_PKS6_NS0_5tupleIJSF_S6_EEENSJ_IJSG_SG_EEENS0_18inequality_wrapperI22is_equal_div_10_uniqueIfEEEPmJS6_EEE10hipError_tPvRmT3_T4_T5_T6_T7_T9_mT8_P12ihipStream_tbDpT10_ENKUlT_T0_E_clISt17integral_constantIbLb0EES19_IbLb1EEEEDaS15_S16_EUlS15_E_NS1_11comp_targetILNS1_3genE0ELNS1_11target_archE4294967295ELNS1_3gpuE0ELNS1_3repE0EEENS1_30default_config_static_selectorELNS0_4arch9wavefront6targetE1EEEvT1_.kd
    .uniform_work_group_size: 1
    .uses_dynamic_stack: false
    .vgpr_count:     0
    .vgpr_spill_count: 0
    .wavefront_size: 64
  - .args:
      - .offset:         0
        .size:           128
        .value_kind:     by_value
    .group_segment_fixed_size: 0
    .kernarg_segment_align: 8
    .kernarg_segment_size: 128
    .language:       OpenCL C
    .language_version:
      - 2
      - 0
    .max_flat_workgroup_size: 512
    .name:           _ZN7rocprim17ROCPRIM_400000_NS6detail17trampoline_kernelINS0_14default_configENS1_25partition_config_selectorILNS1_17partition_subalgoE8EfNS0_10empty_typeEbEEZZNS1_14partition_implILS5_8ELb0ES3_jN6thrust23THRUST_200600_302600_NS6detail15normal_iteratorINSA_10device_ptrIfEEEEPS6_PKS6_NS0_5tupleIJSF_S6_EEENSJ_IJSG_SG_EEENS0_18inequality_wrapperI22is_equal_div_10_uniqueIfEEEPmJS6_EEE10hipError_tPvRmT3_T4_T5_T6_T7_T9_mT8_P12ihipStream_tbDpT10_ENKUlT_T0_E_clISt17integral_constantIbLb0EES19_IbLb1EEEEDaS15_S16_EUlS15_E_NS1_11comp_targetILNS1_3genE5ELNS1_11target_archE942ELNS1_3gpuE9ELNS1_3repE0EEENS1_30default_config_static_selectorELNS0_4arch9wavefront6targetE1EEEvT1_
    .private_segment_fixed_size: 0
    .sgpr_count:     4
    .sgpr_spill_count: 0
    .symbol:         _ZN7rocprim17ROCPRIM_400000_NS6detail17trampoline_kernelINS0_14default_configENS1_25partition_config_selectorILNS1_17partition_subalgoE8EfNS0_10empty_typeEbEEZZNS1_14partition_implILS5_8ELb0ES3_jN6thrust23THRUST_200600_302600_NS6detail15normal_iteratorINSA_10device_ptrIfEEEEPS6_PKS6_NS0_5tupleIJSF_S6_EEENSJ_IJSG_SG_EEENS0_18inequality_wrapperI22is_equal_div_10_uniqueIfEEEPmJS6_EEE10hipError_tPvRmT3_T4_T5_T6_T7_T9_mT8_P12ihipStream_tbDpT10_ENKUlT_T0_E_clISt17integral_constantIbLb0EES19_IbLb1EEEEDaS15_S16_EUlS15_E_NS1_11comp_targetILNS1_3genE5ELNS1_11target_archE942ELNS1_3gpuE9ELNS1_3repE0EEENS1_30default_config_static_selectorELNS0_4arch9wavefront6targetE1EEEvT1_.kd
    .uniform_work_group_size: 1
    .uses_dynamic_stack: false
    .vgpr_count:     0
    .vgpr_spill_count: 0
    .wavefront_size: 64
  - .args:
      - .offset:         0
        .size:           128
        .value_kind:     by_value
    .group_segment_fixed_size: 0
    .kernarg_segment_align: 8
    .kernarg_segment_size: 128
    .language:       OpenCL C
    .language_version:
      - 2
      - 0
    .max_flat_workgroup_size: 256
    .name:           _ZN7rocprim17ROCPRIM_400000_NS6detail17trampoline_kernelINS0_14default_configENS1_25partition_config_selectorILNS1_17partition_subalgoE8EfNS0_10empty_typeEbEEZZNS1_14partition_implILS5_8ELb0ES3_jN6thrust23THRUST_200600_302600_NS6detail15normal_iteratorINSA_10device_ptrIfEEEEPS6_PKS6_NS0_5tupleIJSF_S6_EEENSJ_IJSG_SG_EEENS0_18inequality_wrapperI22is_equal_div_10_uniqueIfEEEPmJS6_EEE10hipError_tPvRmT3_T4_T5_T6_T7_T9_mT8_P12ihipStream_tbDpT10_ENKUlT_T0_E_clISt17integral_constantIbLb0EES19_IbLb1EEEEDaS15_S16_EUlS15_E_NS1_11comp_targetILNS1_3genE4ELNS1_11target_archE910ELNS1_3gpuE8ELNS1_3repE0EEENS1_30default_config_static_selectorELNS0_4arch9wavefront6targetE1EEEvT1_
    .private_segment_fixed_size: 0
    .sgpr_count:     4
    .sgpr_spill_count: 0
    .symbol:         _ZN7rocprim17ROCPRIM_400000_NS6detail17trampoline_kernelINS0_14default_configENS1_25partition_config_selectorILNS1_17partition_subalgoE8EfNS0_10empty_typeEbEEZZNS1_14partition_implILS5_8ELb0ES3_jN6thrust23THRUST_200600_302600_NS6detail15normal_iteratorINSA_10device_ptrIfEEEEPS6_PKS6_NS0_5tupleIJSF_S6_EEENSJ_IJSG_SG_EEENS0_18inequality_wrapperI22is_equal_div_10_uniqueIfEEEPmJS6_EEE10hipError_tPvRmT3_T4_T5_T6_T7_T9_mT8_P12ihipStream_tbDpT10_ENKUlT_T0_E_clISt17integral_constantIbLb0EES19_IbLb1EEEEDaS15_S16_EUlS15_E_NS1_11comp_targetILNS1_3genE4ELNS1_11target_archE910ELNS1_3gpuE8ELNS1_3repE0EEENS1_30default_config_static_selectorELNS0_4arch9wavefront6targetE1EEEvT1_.kd
    .uniform_work_group_size: 1
    .uses_dynamic_stack: false
    .vgpr_count:     0
    .vgpr_spill_count: 0
    .wavefront_size: 64
  - .args:
      - .offset:         0
        .size:           128
        .value_kind:     by_value
    .group_segment_fixed_size: 0
    .kernarg_segment_align: 8
    .kernarg_segment_size: 128
    .language:       OpenCL C
    .language_version:
      - 2
      - 0
    .max_flat_workgroup_size: 512
    .name:           _ZN7rocprim17ROCPRIM_400000_NS6detail17trampoline_kernelINS0_14default_configENS1_25partition_config_selectorILNS1_17partition_subalgoE8EfNS0_10empty_typeEbEEZZNS1_14partition_implILS5_8ELb0ES3_jN6thrust23THRUST_200600_302600_NS6detail15normal_iteratorINSA_10device_ptrIfEEEEPS6_PKS6_NS0_5tupleIJSF_S6_EEENSJ_IJSG_SG_EEENS0_18inequality_wrapperI22is_equal_div_10_uniqueIfEEEPmJS6_EEE10hipError_tPvRmT3_T4_T5_T6_T7_T9_mT8_P12ihipStream_tbDpT10_ENKUlT_T0_E_clISt17integral_constantIbLb0EES19_IbLb1EEEEDaS15_S16_EUlS15_E_NS1_11comp_targetILNS1_3genE3ELNS1_11target_archE908ELNS1_3gpuE7ELNS1_3repE0EEENS1_30default_config_static_selectorELNS0_4arch9wavefront6targetE1EEEvT1_
    .private_segment_fixed_size: 0
    .sgpr_count:     4
    .sgpr_spill_count: 0
    .symbol:         _ZN7rocprim17ROCPRIM_400000_NS6detail17trampoline_kernelINS0_14default_configENS1_25partition_config_selectorILNS1_17partition_subalgoE8EfNS0_10empty_typeEbEEZZNS1_14partition_implILS5_8ELb0ES3_jN6thrust23THRUST_200600_302600_NS6detail15normal_iteratorINSA_10device_ptrIfEEEEPS6_PKS6_NS0_5tupleIJSF_S6_EEENSJ_IJSG_SG_EEENS0_18inequality_wrapperI22is_equal_div_10_uniqueIfEEEPmJS6_EEE10hipError_tPvRmT3_T4_T5_T6_T7_T9_mT8_P12ihipStream_tbDpT10_ENKUlT_T0_E_clISt17integral_constantIbLb0EES19_IbLb1EEEEDaS15_S16_EUlS15_E_NS1_11comp_targetILNS1_3genE3ELNS1_11target_archE908ELNS1_3gpuE7ELNS1_3repE0EEENS1_30default_config_static_selectorELNS0_4arch9wavefront6targetE1EEEvT1_.kd
    .uniform_work_group_size: 1
    .uses_dynamic_stack: false
    .vgpr_count:     0
    .vgpr_spill_count: 0
    .wavefront_size: 64
  - .args:
      - .offset:         0
        .size:           128
        .value_kind:     by_value
    .group_segment_fixed_size: 16904
    .kernarg_segment_align: 8
    .kernarg_segment_size: 128
    .language:       OpenCL C
    .language_version:
      - 2
      - 0
    .max_flat_workgroup_size: 256
    .name:           _ZN7rocprim17ROCPRIM_400000_NS6detail17trampoline_kernelINS0_14default_configENS1_25partition_config_selectorILNS1_17partition_subalgoE8EfNS0_10empty_typeEbEEZZNS1_14partition_implILS5_8ELb0ES3_jN6thrust23THRUST_200600_302600_NS6detail15normal_iteratorINSA_10device_ptrIfEEEEPS6_PKS6_NS0_5tupleIJSF_S6_EEENSJ_IJSG_SG_EEENS0_18inequality_wrapperI22is_equal_div_10_uniqueIfEEEPmJS6_EEE10hipError_tPvRmT3_T4_T5_T6_T7_T9_mT8_P12ihipStream_tbDpT10_ENKUlT_T0_E_clISt17integral_constantIbLb0EES19_IbLb1EEEEDaS15_S16_EUlS15_E_NS1_11comp_targetILNS1_3genE2ELNS1_11target_archE906ELNS1_3gpuE6ELNS1_3repE0EEENS1_30default_config_static_selectorELNS0_4arch9wavefront6targetE1EEEvT1_
    .private_segment_fixed_size: 0
    .sgpr_count:     61
    .sgpr_spill_count: 0
    .symbol:         _ZN7rocprim17ROCPRIM_400000_NS6detail17trampoline_kernelINS0_14default_configENS1_25partition_config_selectorILNS1_17partition_subalgoE8EfNS0_10empty_typeEbEEZZNS1_14partition_implILS5_8ELb0ES3_jN6thrust23THRUST_200600_302600_NS6detail15normal_iteratorINSA_10device_ptrIfEEEEPS6_PKS6_NS0_5tupleIJSF_S6_EEENSJ_IJSG_SG_EEENS0_18inequality_wrapperI22is_equal_div_10_uniqueIfEEEPmJS6_EEE10hipError_tPvRmT3_T4_T5_T6_T7_T9_mT8_P12ihipStream_tbDpT10_ENKUlT_T0_E_clISt17integral_constantIbLb0EES19_IbLb1EEEEDaS15_S16_EUlS15_E_NS1_11comp_targetILNS1_3genE2ELNS1_11target_archE906ELNS1_3gpuE6ELNS1_3repE0EEENS1_30default_config_static_selectorELNS0_4arch9wavefront6targetE1EEEvT1_.kd
    .uniform_work_group_size: 1
    .uses_dynamic_stack: false
    .vgpr_count:     77
    .vgpr_spill_count: 0
    .wavefront_size: 64
  - .args:
      - .offset:         0
        .size:           128
        .value_kind:     by_value
    .group_segment_fixed_size: 0
    .kernarg_segment_align: 8
    .kernarg_segment_size: 128
    .language:       OpenCL C
    .language_version:
      - 2
      - 0
    .max_flat_workgroup_size: 384
    .name:           _ZN7rocprim17ROCPRIM_400000_NS6detail17trampoline_kernelINS0_14default_configENS1_25partition_config_selectorILNS1_17partition_subalgoE8EfNS0_10empty_typeEbEEZZNS1_14partition_implILS5_8ELb0ES3_jN6thrust23THRUST_200600_302600_NS6detail15normal_iteratorINSA_10device_ptrIfEEEEPS6_PKS6_NS0_5tupleIJSF_S6_EEENSJ_IJSG_SG_EEENS0_18inequality_wrapperI22is_equal_div_10_uniqueIfEEEPmJS6_EEE10hipError_tPvRmT3_T4_T5_T6_T7_T9_mT8_P12ihipStream_tbDpT10_ENKUlT_T0_E_clISt17integral_constantIbLb0EES19_IbLb1EEEEDaS15_S16_EUlS15_E_NS1_11comp_targetILNS1_3genE10ELNS1_11target_archE1200ELNS1_3gpuE4ELNS1_3repE0EEENS1_30default_config_static_selectorELNS0_4arch9wavefront6targetE1EEEvT1_
    .private_segment_fixed_size: 0
    .sgpr_count:     4
    .sgpr_spill_count: 0
    .symbol:         _ZN7rocprim17ROCPRIM_400000_NS6detail17trampoline_kernelINS0_14default_configENS1_25partition_config_selectorILNS1_17partition_subalgoE8EfNS0_10empty_typeEbEEZZNS1_14partition_implILS5_8ELb0ES3_jN6thrust23THRUST_200600_302600_NS6detail15normal_iteratorINSA_10device_ptrIfEEEEPS6_PKS6_NS0_5tupleIJSF_S6_EEENSJ_IJSG_SG_EEENS0_18inequality_wrapperI22is_equal_div_10_uniqueIfEEEPmJS6_EEE10hipError_tPvRmT3_T4_T5_T6_T7_T9_mT8_P12ihipStream_tbDpT10_ENKUlT_T0_E_clISt17integral_constantIbLb0EES19_IbLb1EEEEDaS15_S16_EUlS15_E_NS1_11comp_targetILNS1_3genE10ELNS1_11target_archE1200ELNS1_3gpuE4ELNS1_3repE0EEENS1_30default_config_static_selectorELNS0_4arch9wavefront6targetE1EEEvT1_.kd
    .uniform_work_group_size: 1
    .uses_dynamic_stack: false
    .vgpr_count:     0
    .vgpr_spill_count: 0
    .wavefront_size: 64
  - .args:
      - .offset:         0
        .size:           128
        .value_kind:     by_value
    .group_segment_fixed_size: 0
    .kernarg_segment_align: 8
    .kernarg_segment_size: 128
    .language:       OpenCL C
    .language_version:
      - 2
      - 0
    .max_flat_workgroup_size: 128
    .name:           _ZN7rocprim17ROCPRIM_400000_NS6detail17trampoline_kernelINS0_14default_configENS1_25partition_config_selectorILNS1_17partition_subalgoE8EfNS0_10empty_typeEbEEZZNS1_14partition_implILS5_8ELb0ES3_jN6thrust23THRUST_200600_302600_NS6detail15normal_iteratorINSA_10device_ptrIfEEEEPS6_PKS6_NS0_5tupleIJSF_S6_EEENSJ_IJSG_SG_EEENS0_18inequality_wrapperI22is_equal_div_10_uniqueIfEEEPmJS6_EEE10hipError_tPvRmT3_T4_T5_T6_T7_T9_mT8_P12ihipStream_tbDpT10_ENKUlT_T0_E_clISt17integral_constantIbLb0EES19_IbLb1EEEEDaS15_S16_EUlS15_E_NS1_11comp_targetILNS1_3genE9ELNS1_11target_archE1100ELNS1_3gpuE3ELNS1_3repE0EEENS1_30default_config_static_selectorELNS0_4arch9wavefront6targetE1EEEvT1_
    .private_segment_fixed_size: 0
    .sgpr_count:     4
    .sgpr_spill_count: 0
    .symbol:         _ZN7rocprim17ROCPRIM_400000_NS6detail17trampoline_kernelINS0_14default_configENS1_25partition_config_selectorILNS1_17partition_subalgoE8EfNS0_10empty_typeEbEEZZNS1_14partition_implILS5_8ELb0ES3_jN6thrust23THRUST_200600_302600_NS6detail15normal_iteratorINSA_10device_ptrIfEEEEPS6_PKS6_NS0_5tupleIJSF_S6_EEENSJ_IJSG_SG_EEENS0_18inequality_wrapperI22is_equal_div_10_uniqueIfEEEPmJS6_EEE10hipError_tPvRmT3_T4_T5_T6_T7_T9_mT8_P12ihipStream_tbDpT10_ENKUlT_T0_E_clISt17integral_constantIbLb0EES19_IbLb1EEEEDaS15_S16_EUlS15_E_NS1_11comp_targetILNS1_3genE9ELNS1_11target_archE1100ELNS1_3gpuE3ELNS1_3repE0EEENS1_30default_config_static_selectorELNS0_4arch9wavefront6targetE1EEEvT1_.kd
    .uniform_work_group_size: 1
    .uses_dynamic_stack: false
    .vgpr_count:     0
    .vgpr_spill_count: 0
    .wavefront_size: 64
  - .args:
      - .offset:         0
        .size:           128
        .value_kind:     by_value
    .group_segment_fixed_size: 0
    .kernarg_segment_align: 8
    .kernarg_segment_size: 128
    .language:       OpenCL C
    .language_version:
      - 2
      - 0
    .max_flat_workgroup_size: 512
    .name:           _ZN7rocprim17ROCPRIM_400000_NS6detail17trampoline_kernelINS0_14default_configENS1_25partition_config_selectorILNS1_17partition_subalgoE8EfNS0_10empty_typeEbEEZZNS1_14partition_implILS5_8ELb0ES3_jN6thrust23THRUST_200600_302600_NS6detail15normal_iteratorINSA_10device_ptrIfEEEEPS6_PKS6_NS0_5tupleIJSF_S6_EEENSJ_IJSG_SG_EEENS0_18inequality_wrapperI22is_equal_div_10_uniqueIfEEEPmJS6_EEE10hipError_tPvRmT3_T4_T5_T6_T7_T9_mT8_P12ihipStream_tbDpT10_ENKUlT_T0_E_clISt17integral_constantIbLb0EES19_IbLb1EEEEDaS15_S16_EUlS15_E_NS1_11comp_targetILNS1_3genE8ELNS1_11target_archE1030ELNS1_3gpuE2ELNS1_3repE0EEENS1_30default_config_static_selectorELNS0_4arch9wavefront6targetE1EEEvT1_
    .private_segment_fixed_size: 0
    .sgpr_count:     4
    .sgpr_spill_count: 0
    .symbol:         _ZN7rocprim17ROCPRIM_400000_NS6detail17trampoline_kernelINS0_14default_configENS1_25partition_config_selectorILNS1_17partition_subalgoE8EfNS0_10empty_typeEbEEZZNS1_14partition_implILS5_8ELb0ES3_jN6thrust23THRUST_200600_302600_NS6detail15normal_iteratorINSA_10device_ptrIfEEEEPS6_PKS6_NS0_5tupleIJSF_S6_EEENSJ_IJSG_SG_EEENS0_18inequality_wrapperI22is_equal_div_10_uniqueIfEEEPmJS6_EEE10hipError_tPvRmT3_T4_T5_T6_T7_T9_mT8_P12ihipStream_tbDpT10_ENKUlT_T0_E_clISt17integral_constantIbLb0EES19_IbLb1EEEEDaS15_S16_EUlS15_E_NS1_11comp_targetILNS1_3genE8ELNS1_11target_archE1030ELNS1_3gpuE2ELNS1_3repE0EEENS1_30default_config_static_selectorELNS0_4arch9wavefront6targetE1EEEvT1_.kd
    .uniform_work_group_size: 1
    .uses_dynamic_stack: false
    .vgpr_count:     0
    .vgpr_spill_count: 0
    .wavefront_size: 64
  - .args:
      - .offset:         0
        .size:           16
        .value_kind:     by_value
      - .offset:         16
        .size:           8
        .value_kind:     by_value
      - .offset:         24
        .size:           8
        .value_kind:     by_value
    .group_segment_fixed_size: 0
    .kernarg_segment_align: 8
    .kernarg_segment_size: 32
    .language:       OpenCL C
    .language_version:
      - 2
      - 0
    .max_flat_workgroup_size: 256
    .name:           _ZN6thrust23THRUST_200600_302600_NS11hip_rocprim14__parallel_for6kernelILj256ENS1_20__uninitialized_fill7functorINS0_10device_ptrIyEEyEEmLj1EEEvT0_T1_SA_
    .private_segment_fixed_size: 0
    .sgpr_count:     20
    .sgpr_spill_count: 0
    .symbol:         _ZN6thrust23THRUST_200600_302600_NS11hip_rocprim14__parallel_for6kernelILj256ENS1_20__uninitialized_fill7functorINS0_10device_ptrIyEEyEEmLj1EEEvT0_T1_SA_.kd
    .uniform_work_group_size: 1
    .uses_dynamic_stack: false
    .vgpr_count:     5
    .vgpr_spill_count: 0
    .wavefront_size: 64
  - .args:
      - .offset:         0
        .size:           112
        .value_kind:     by_value
    .group_segment_fixed_size: 0
    .kernarg_segment_align: 8
    .kernarg_segment_size: 112
    .language:       OpenCL C
    .language_version:
      - 2
      - 0
    .max_flat_workgroup_size: 512
    .name:           _ZN7rocprim17ROCPRIM_400000_NS6detail17trampoline_kernelINS0_14default_configENS1_25partition_config_selectorILNS1_17partition_subalgoE8EyNS0_10empty_typeEbEEZZNS1_14partition_implILS5_8ELb0ES3_jN6thrust23THRUST_200600_302600_NS6detail15normal_iteratorINSA_10device_ptrIyEEEEPS6_PKS6_NS0_5tupleIJSF_S6_EEENSJ_IJSG_SG_EEENS0_18inequality_wrapperINSA_8equal_toIyEEEEPmJS6_EEE10hipError_tPvRmT3_T4_T5_T6_T7_T9_mT8_P12ihipStream_tbDpT10_ENKUlT_T0_E_clISt17integral_constantIbLb0EES1A_EEDaS15_S16_EUlS15_E_NS1_11comp_targetILNS1_3genE0ELNS1_11target_archE4294967295ELNS1_3gpuE0ELNS1_3repE0EEENS1_30default_config_static_selectorELNS0_4arch9wavefront6targetE1EEEvT1_
    .private_segment_fixed_size: 0
    .sgpr_count:     4
    .sgpr_spill_count: 0
    .symbol:         _ZN7rocprim17ROCPRIM_400000_NS6detail17trampoline_kernelINS0_14default_configENS1_25partition_config_selectorILNS1_17partition_subalgoE8EyNS0_10empty_typeEbEEZZNS1_14partition_implILS5_8ELb0ES3_jN6thrust23THRUST_200600_302600_NS6detail15normal_iteratorINSA_10device_ptrIyEEEEPS6_PKS6_NS0_5tupleIJSF_S6_EEENSJ_IJSG_SG_EEENS0_18inequality_wrapperINSA_8equal_toIyEEEEPmJS6_EEE10hipError_tPvRmT3_T4_T5_T6_T7_T9_mT8_P12ihipStream_tbDpT10_ENKUlT_T0_E_clISt17integral_constantIbLb0EES1A_EEDaS15_S16_EUlS15_E_NS1_11comp_targetILNS1_3genE0ELNS1_11target_archE4294967295ELNS1_3gpuE0ELNS1_3repE0EEENS1_30default_config_static_selectorELNS0_4arch9wavefront6targetE1EEEvT1_.kd
    .uniform_work_group_size: 1
    .uses_dynamic_stack: false
    .vgpr_count:     0
    .vgpr_spill_count: 0
    .wavefront_size: 64
  - .args:
      - .offset:         0
        .size:           112
        .value_kind:     by_value
    .group_segment_fixed_size: 0
    .kernarg_segment_align: 8
    .kernarg_segment_size: 112
    .language:       OpenCL C
    .language_version:
      - 2
      - 0
    .max_flat_workgroup_size: 512
    .name:           _ZN7rocprim17ROCPRIM_400000_NS6detail17trampoline_kernelINS0_14default_configENS1_25partition_config_selectorILNS1_17partition_subalgoE8EyNS0_10empty_typeEbEEZZNS1_14partition_implILS5_8ELb0ES3_jN6thrust23THRUST_200600_302600_NS6detail15normal_iteratorINSA_10device_ptrIyEEEEPS6_PKS6_NS0_5tupleIJSF_S6_EEENSJ_IJSG_SG_EEENS0_18inequality_wrapperINSA_8equal_toIyEEEEPmJS6_EEE10hipError_tPvRmT3_T4_T5_T6_T7_T9_mT8_P12ihipStream_tbDpT10_ENKUlT_T0_E_clISt17integral_constantIbLb0EES1A_EEDaS15_S16_EUlS15_E_NS1_11comp_targetILNS1_3genE5ELNS1_11target_archE942ELNS1_3gpuE9ELNS1_3repE0EEENS1_30default_config_static_selectorELNS0_4arch9wavefront6targetE1EEEvT1_
    .private_segment_fixed_size: 0
    .sgpr_count:     4
    .sgpr_spill_count: 0
    .symbol:         _ZN7rocprim17ROCPRIM_400000_NS6detail17trampoline_kernelINS0_14default_configENS1_25partition_config_selectorILNS1_17partition_subalgoE8EyNS0_10empty_typeEbEEZZNS1_14partition_implILS5_8ELb0ES3_jN6thrust23THRUST_200600_302600_NS6detail15normal_iteratorINSA_10device_ptrIyEEEEPS6_PKS6_NS0_5tupleIJSF_S6_EEENSJ_IJSG_SG_EEENS0_18inequality_wrapperINSA_8equal_toIyEEEEPmJS6_EEE10hipError_tPvRmT3_T4_T5_T6_T7_T9_mT8_P12ihipStream_tbDpT10_ENKUlT_T0_E_clISt17integral_constantIbLb0EES1A_EEDaS15_S16_EUlS15_E_NS1_11comp_targetILNS1_3genE5ELNS1_11target_archE942ELNS1_3gpuE9ELNS1_3repE0EEENS1_30default_config_static_selectorELNS0_4arch9wavefront6targetE1EEEvT1_.kd
    .uniform_work_group_size: 1
    .uses_dynamic_stack: false
    .vgpr_count:     0
    .vgpr_spill_count: 0
    .wavefront_size: 64
  - .args:
      - .offset:         0
        .size:           112
        .value_kind:     by_value
    .group_segment_fixed_size: 0
    .kernarg_segment_align: 8
    .kernarg_segment_size: 112
    .language:       OpenCL C
    .language_version:
      - 2
      - 0
    .max_flat_workgroup_size: 256
    .name:           _ZN7rocprim17ROCPRIM_400000_NS6detail17trampoline_kernelINS0_14default_configENS1_25partition_config_selectorILNS1_17partition_subalgoE8EyNS0_10empty_typeEbEEZZNS1_14partition_implILS5_8ELb0ES3_jN6thrust23THRUST_200600_302600_NS6detail15normal_iteratorINSA_10device_ptrIyEEEEPS6_PKS6_NS0_5tupleIJSF_S6_EEENSJ_IJSG_SG_EEENS0_18inequality_wrapperINSA_8equal_toIyEEEEPmJS6_EEE10hipError_tPvRmT3_T4_T5_T6_T7_T9_mT8_P12ihipStream_tbDpT10_ENKUlT_T0_E_clISt17integral_constantIbLb0EES1A_EEDaS15_S16_EUlS15_E_NS1_11comp_targetILNS1_3genE4ELNS1_11target_archE910ELNS1_3gpuE8ELNS1_3repE0EEENS1_30default_config_static_selectorELNS0_4arch9wavefront6targetE1EEEvT1_
    .private_segment_fixed_size: 0
    .sgpr_count:     4
    .sgpr_spill_count: 0
    .symbol:         _ZN7rocprim17ROCPRIM_400000_NS6detail17trampoline_kernelINS0_14default_configENS1_25partition_config_selectorILNS1_17partition_subalgoE8EyNS0_10empty_typeEbEEZZNS1_14partition_implILS5_8ELb0ES3_jN6thrust23THRUST_200600_302600_NS6detail15normal_iteratorINSA_10device_ptrIyEEEEPS6_PKS6_NS0_5tupleIJSF_S6_EEENSJ_IJSG_SG_EEENS0_18inequality_wrapperINSA_8equal_toIyEEEEPmJS6_EEE10hipError_tPvRmT3_T4_T5_T6_T7_T9_mT8_P12ihipStream_tbDpT10_ENKUlT_T0_E_clISt17integral_constantIbLb0EES1A_EEDaS15_S16_EUlS15_E_NS1_11comp_targetILNS1_3genE4ELNS1_11target_archE910ELNS1_3gpuE8ELNS1_3repE0EEENS1_30default_config_static_selectorELNS0_4arch9wavefront6targetE1EEEvT1_.kd
    .uniform_work_group_size: 1
    .uses_dynamic_stack: false
    .vgpr_count:     0
    .vgpr_spill_count: 0
    .wavefront_size: 64
  - .args:
      - .offset:         0
        .size:           112
        .value_kind:     by_value
    .group_segment_fixed_size: 0
    .kernarg_segment_align: 8
    .kernarg_segment_size: 112
    .language:       OpenCL C
    .language_version:
      - 2
      - 0
    .max_flat_workgroup_size: 512
    .name:           _ZN7rocprim17ROCPRIM_400000_NS6detail17trampoline_kernelINS0_14default_configENS1_25partition_config_selectorILNS1_17partition_subalgoE8EyNS0_10empty_typeEbEEZZNS1_14partition_implILS5_8ELb0ES3_jN6thrust23THRUST_200600_302600_NS6detail15normal_iteratorINSA_10device_ptrIyEEEEPS6_PKS6_NS0_5tupleIJSF_S6_EEENSJ_IJSG_SG_EEENS0_18inequality_wrapperINSA_8equal_toIyEEEEPmJS6_EEE10hipError_tPvRmT3_T4_T5_T6_T7_T9_mT8_P12ihipStream_tbDpT10_ENKUlT_T0_E_clISt17integral_constantIbLb0EES1A_EEDaS15_S16_EUlS15_E_NS1_11comp_targetILNS1_3genE3ELNS1_11target_archE908ELNS1_3gpuE7ELNS1_3repE0EEENS1_30default_config_static_selectorELNS0_4arch9wavefront6targetE1EEEvT1_
    .private_segment_fixed_size: 0
    .sgpr_count:     4
    .sgpr_spill_count: 0
    .symbol:         _ZN7rocprim17ROCPRIM_400000_NS6detail17trampoline_kernelINS0_14default_configENS1_25partition_config_selectorILNS1_17partition_subalgoE8EyNS0_10empty_typeEbEEZZNS1_14partition_implILS5_8ELb0ES3_jN6thrust23THRUST_200600_302600_NS6detail15normal_iteratorINSA_10device_ptrIyEEEEPS6_PKS6_NS0_5tupleIJSF_S6_EEENSJ_IJSG_SG_EEENS0_18inequality_wrapperINSA_8equal_toIyEEEEPmJS6_EEE10hipError_tPvRmT3_T4_T5_T6_T7_T9_mT8_P12ihipStream_tbDpT10_ENKUlT_T0_E_clISt17integral_constantIbLb0EES1A_EEDaS15_S16_EUlS15_E_NS1_11comp_targetILNS1_3genE3ELNS1_11target_archE908ELNS1_3gpuE7ELNS1_3repE0EEENS1_30default_config_static_selectorELNS0_4arch9wavefront6targetE1EEEvT1_.kd
    .uniform_work_group_size: 1
    .uses_dynamic_stack: false
    .vgpr_count:     0
    .vgpr_spill_count: 0
    .wavefront_size: 64
  - .args:
      - .offset:         0
        .size:           112
        .value_kind:     by_value
    .group_segment_fixed_size: 14344
    .kernarg_segment_align: 8
    .kernarg_segment_size: 112
    .language:       OpenCL C
    .language_version:
      - 2
      - 0
    .max_flat_workgroup_size: 256
    .name:           _ZN7rocprim17ROCPRIM_400000_NS6detail17trampoline_kernelINS0_14default_configENS1_25partition_config_selectorILNS1_17partition_subalgoE8EyNS0_10empty_typeEbEEZZNS1_14partition_implILS5_8ELb0ES3_jN6thrust23THRUST_200600_302600_NS6detail15normal_iteratorINSA_10device_ptrIyEEEEPS6_PKS6_NS0_5tupleIJSF_S6_EEENSJ_IJSG_SG_EEENS0_18inequality_wrapperINSA_8equal_toIyEEEEPmJS6_EEE10hipError_tPvRmT3_T4_T5_T6_T7_T9_mT8_P12ihipStream_tbDpT10_ENKUlT_T0_E_clISt17integral_constantIbLb0EES1A_EEDaS15_S16_EUlS15_E_NS1_11comp_targetILNS1_3genE2ELNS1_11target_archE906ELNS1_3gpuE6ELNS1_3repE0EEENS1_30default_config_static_selectorELNS0_4arch9wavefront6targetE1EEEvT1_
    .private_segment_fixed_size: 0
    .sgpr_count:     44
    .sgpr_spill_count: 0
    .symbol:         _ZN7rocprim17ROCPRIM_400000_NS6detail17trampoline_kernelINS0_14default_configENS1_25partition_config_selectorILNS1_17partition_subalgoE8EyNS0_10empty_typeEbEEZZNS1_14partition_implILS5_8ELb0ES3_jN6thrust23THRUST_200600_302600_NS6detail15normal_iteratorINSA_10device_ptrIyEEEEPS6_PKS6_NS0_5tupleIJSF_S6_EEENSJ_IJSG_SG_EEENS0_18inequality_wrapperINSA_8equal_toIyEEEEPmJS6_EEE10hipError_tPvRmT3_T4_T5_T6_T7_T9_mT8_P12ihipStream_tbDpT10_ENKUlT_T0_E_clISt17integral_constantIbLb0EES1A_EEDaS15_S16_EUlS15_E_NS1_11comp_targetILNS1_3genE2ELNS1_11target_archE906ELNS1_3gpuE6ELNS1_3repE0EEENS1_30default_config_static_selectorELNS0_4arch9wavefront6targetE1EEEvT1_.kd
    .uniform_work_group_size: 1
    .uses_dynamic_stack: false
    .vgpr_count:     58
    .vgpr_spill_count: 0
    .wavefront_size: 64
  - .args:
      - .offset:         0
        .size:           112
        .value_kind:     by_value
    .group_segment_fixed_size: 0
    .kernarg_segment_align: 8
    .kernarg_segment_size: 112
    .language:       OpenCL C
    .language_version:
      - 2
      - 0
    .max_flat_workgroup_size: 384
    .name:           _ZN7rocprim17ROCPRIM_400000_NS6detail17trampoline_kernelINS0_14default_configENS1_25partition_config_selectorILNS1_17partition_subalgoE8EyNS0_10empty_typeEbEEZZNS1_14partition_implILS5_8ELb0ES3_jN6thrust23THRUST_200600_302600_NS6detail15normal_iteratorINSA_10device_ptrIyEEEEPS6_PKS6_NS0_5tupleIJSF_S6_EEENSJ_IJSG_SG_EEENS0_18inequality_wrapperINSA_8equal_toIyEEEEPmJS6_EEE10hipError_tPvRmT3_T4_T5_T6_T7_T9_mT8_P12ihipStream_tbDpT10_ENKUlT_T0_E_clISt17integral_constantIbLb0EES1A_EEDaS15_S16_EUlS15_E_NS1_11comp_targetILNS1_3genE10ELNS1_11target_archE1200ELNS1_3gpuE4ELNS1_3repE0EEENS1_30default_config_static_selectorELNS0_4arch9wavefront6targetE1EEEvT1_
    .private_segment_fixed_size: 0
    .sgpr_count:     4
    .sgpr_spill_count: 0
    .symbol:         _ZN7rocprim17ROCPRIM_400000_NS6detail17trampoline_kernelINS0_14default_configENS1_25partition_config_selectorILNS1_17partition_subalgoE8EyNS0_10empty_typeEbEEZZNS1_14partition_implILS5_8ELb0ES3_jN6thrust23THRUST_200600_302600_NS6detail15normal_iteratorINSA_10device_ptrIyEEEEPS6_PKS6_NS0_5tupleIJSF_S6_EEENSJ_IJSG_SG_EEENS0_18inequality_wrapperINSA_8equal_toIyEEEEPmJS6_EEE10hipError_tPvRmT3_T4_T5_T6_T7_T9_mT8_P12ihipStream_tbDpT10_ENKUlT_T0_E_clISt17integral_constantIbLb0EES1A_EEDaS15_S16_EUlS15_E_NS1_11comp_targetILNS1_3genE10ELNS1_11target_archE1200ELNS1_3gpuE4ELNS1_3repE0EEENS1_30default_config_static_selectorELNS0_4arch9wavefront6targetE1EEEvT1_.kd
    .uniform_work_group_size: 1
    .uses_dynamic_stack: false
    .vgpr_count:     0
    .vgpr_spill_count: 0
    .wavefront_size: 64
  - .args:
      - .offset:         0
        .size:           112
        .value_kind:     by_value
    .group_segment_fixed_size: 0
    .kernarg_segment_align: 8
    .kernarg_segment_size: 112
    .language:       OpenCL C
    .language_version:
      - 2
      - 0
    .max_flat_workgroup_size: 512
    .name:           _ZN7rocprim17ROCPRIM_400000_NS6detail17trampoline_kernelINS0_14default_configENS1_25partition_config_selectorILNS1_17partition_subalgoE8EyNS0_10empty_typeEbEEZZNS1_14partition_implILS5_8ELb0ES3_jN6thrust23THRUST_200600_302600_NS6detail15normal_iteratorINSA_10device_ptrIyEEEEPS6_PKS6_NS0_5tupleIJSF_S6_EEENSJ_IJSG_SG_EEENS0_18inequality_wrapperINSA_8equal_toIyEEEEPmJS6_EEE10hipError_tPvRmT3_T4_T5_T6_T7_T9_mT8_P12ihipStream_tbDpT10_ENKUlT_T0_E_clISt17integral_constantIbLb0EES1A_EEDaS15_S16_EUlS15_E_NS1_11comp_targetILNS1_3genE9ELNS1_11target_archE1100ELNS1_3gpuE3ELNS1_3repE0EEENS1_30default_config_static_selectorELNS0_4arch9wavefront6targetE1EEEvT1_
    .private_segment_fixed_size: 0
    .sgpr_count:     4
    .sgpr_spill_count: 0
    .symbol:         _ZN7rocprim17ROCPRIM_400000_NS6detail17trampoline_kernelINS0_14default_configENS1_25partition_config_selectorILNS1_17partition_subalgoE8EyNS0_10empty_typeEbEEZZNS1_14partition_implILS5_8ELb0ES3_jN6thrust23THRUST_200600_302600_NS6detail15normal_iteratorINSA_10device_ptrIyEEEEPS6_PKS6_NS0_5tupleIJSF_S6_EEENSJ_IJSG_SG_EEENS0_18inequality_wrapperINSA_8equal_toIyEEEEPmJS6_EEE10hipError_tPvRmT3_T4_T5_T6_T7_T9_mT8_P12ihipStream_tbDpT10_ENKUlT_T0_E_clISt17integral_constantIbLb0EES1A_EEDaS15_S16_EUlS15_E_NS1_11comp_targetILNS1_3genE9ELNS1_11target_archE1100ELNS1_3gpuE3ELNS1_3repE0EEENS1_30default_config_static_selectorELNS0_4arch9wavefront6targetE1EEEvT1_.kd
    .uniform_work_group_size: 1
    .uses_dynamic_stack: false
    .vgpr_count:     0
    .vgpr_spill_count: 0
    .wavefront_size: 64
  - .args:
      - .offset:         0
        .size:           112
        .value_kind:     by_value
    .group_segment_fixed_size: 0
    .kernarg_segment_align: 8
    .kernarg_segment_size: 112
    .language:       OpenCL C
    .language_version:
      - 2
      - 0
    .max_flat_workgroup_size: 512
    .name:           _ZN7rocprim17ROCPRIM_400000_NS6detail17trampoline_kernelINS0_14default_configENS1_25partition_config_selectorILNS1_17partition_subalgoE8EyNS0_10empty_typeEbEEZZNS1_14partition_implILS5_8ELb0ES3_jN6thrust23THRUST_200600_302600_NS6detail15normal_iteratorINSA_10device_ptrIyEEEEPS6_PKS6_NS0_5tupleIJSF_S6_EEENSJ_IJSG_SG_EEENS0_18inequality_wrapperINSA_8equal_toIyEEEEPmJS6_EEE10hipError_tPvRmT3_T4_T5_T6_T7_T9_mT8_P12ihipStream_tbDpT10_ENKUlT_T0_E_clISt17integral_constantIbLb0EES1A_EEDaS15_S16_EUlS15_E_NS1_11comp_targetILNS1_3genE8ELNS1_11target_archE1030ELNS1_3gpuE2ELNS1_3repE0EEENS1_30default_config_static_selectorELNS0_4arch9wavefront6targetE1EEEvT1_
    .private_segment_fixed_size: 0
    .sgpr_count:     4
    .sgpr_spill_count: 0
    .symbol:         _ZN7rocprim17ROCPRIM_400000_NS6detail17trampoline_kernelINS0_14default_configENS1_25partition_config_selectorILNS1_17partition_subalgoE8EyNS0_10empty_typeEbEEZZNS1_14partition_implILS5_8ELb0ES3_jN6thrust23THRUST_200600_302600_NS6detail15normal_iteratorINSA_10device_ptrIyEEEEPS6_PKS6_NS0_5tupleIJSF_S6_EEENSJ_IJSG_SG_EEENS0_18inequality_wrapperINSA_8equal_toIyEEEEPmJS6_EEE10hipError_tPvRmT3_T4_T5_T6_T7_T9_mT8_P12ihipStream_tbDpT10_ENKUlT_T0_E_clISt17integral_constantIbLb0EES1A_EEDaS15_S16_EUlS15_E_NS1_11comp_targetILNS1_3genE8ELNS1_11target_archE1030ELNS1_3gpuE2ELNS1_3repE0EEENS1_30default_config_static_selectorELNS0_4arch9wavefront6targetE1EEEvT1_.kd
    .uniform_work_group_size: 1
    .uses_dynamic_stack: false
    .vgpr_count:     0
    .vgpr_spill_count: 0
    .wavefront_size: 64
  - .args:
      - .offset:         0
        .size:           128
        .value_kind:     by_value
    .group_segment_fixed_size: 0
    .kernarg_segment_align: 8
    .kernarg_segment_size: 128
    .language:       OpenCL C
    .language_version:
      - 2
      - 0
    .max_flat_workgroup_size: 512
    .name:           _ZN7rocprim17ROCPRIM_400000_NS6detail17trampoline_kernelINS0_14default_configENS1_25partition_config_selectorILNS1_17partition_subalgoE8EyNS0_10empty_typeEbEEZZNS1_14partition_implILS5_8ELb0ES3_jN6thrust23THRUST_200600_302600_NS6detail15normal_iteratorINSA_10device_ptrIyEEEEPS6_PKS6_NS0_5tupleIJSF_S6_EEENSJ_IJSG_SG_EEENS0_18inequality_wrapperINSA_8equal_toIyEEEEPmJS6_EEE10hipError_tPvRmT3_T4_T5_T6_T7_T9_mT8_P12ihipStream_tbDpT10_ENKUlT_T0_E_clISt17integral_constantIbLb1EES1A_EEDaS15_S16_EUlS15_E_NS1_11comp_targetILNS1_3genE0ELNS1_11target_archE4294967295ELNS1_3gpuE0ELNS1_3repE0EEENS1_30default_config_static_selectorELNS0_4arch9wavefront6targetE1EEEvT1_
    .private_segment_fixed_size: 0
    .sgpr_count:     4
    .sgpr_spill_count: 0
    .symbol:         _ZN7rocprim17ROCPRIM_400000_NS6detail17trampoline_kernelINS0_14default_configENS1_25partition_config_selectorILNS1_17partition_subalgoE8EyNS0_10empty_typeEbEEZZNS1_14partition_implILS5_8ELb0ES3_jN6thrust23THRUST_200600_302600_NS6detail15normal_iteratorINSA_10device_ptrIyEEEEPS6_PKS6_NS0_5tupleIJSF_S6_EEENSJ_IJSG_SG_EEENS0_18inequality_wrapperINSA_8equal_toIyEEEEPmJS6_EEE10hipError_tPvRmT3_T4_T5_T6_T7_T9_mT8_P12ihipStream_tbDpT10_ENKUlT_T0_E_clISt17integral_constantIbLb1EES1A_EEDaS15_S16_EUlS15_E_NS1_11comp_targetILNS1_3genE0ELNS1_11target_archE4294967295ELNS1_3gpuE0ELNS1_3repE0EEENS1_30default_config_static_selectorELNS0_4arch9wavefront6targetE1EEEvT1_.kd
    .uniform_work_group_size: 1
    .uses_dynamic_stack: false
    .vgpr_count:     0
    .vgpr_spill_count: 0
    .wavefront_size: 64
  - .args:
      - .offset:         0
        .size:           128
        .value_kind:     by_value
    .group_segment_fixed_size: 0
    .kernarg_segment_align: 8
    .kernarg_segment_size: 128
    .language:       OpenCL C
    .language_version:
      - 2
      - 0
    .max_flat_workgroup_size: 512
    .name:           _ZN7rocprim17ROCPRIM_400000_NS6detail17trampoline_kernelINS0_14default_configENS1_25partition_config_selectorILNS1_17partition_subalgoE8EyNS0_10empty_typeEbEEZZNS1_14partition_implILS5_8ELb0ES3_jN6thrust23THRUST_200600_302600_NS6detail15normal_iteratorINSA_10device_ptrIyEEEEPS6_PKS6_NS0_5tupleIJSF_S6_EEENSJ_IJSG_SG_EEENS0_18inequality_wrapperINSA_8equal_toIyEEEEPmJS6_EEE10hipError_tPvRmT3_T4_T5_T6_T7_T9_mT8_P12ihipStream_tbDpT10_ENKUlT_T0_E_clISt17integral_constantIbLb1EES1A_EEDaS15_S16_EUlS15_E_NS1_11comp_targetILNS1_3genE5ELNS1_11target_archE942ELNS1_3gpuE9ELNS1_3repE0EEENS1_30default_config_static_selectorELNS0_4arch9wavefront6targetE1EEEvT1_
    .private_segment_fixed_size: 0
    .sgpr_count:     4
    .sgpr_spill_count: 0
    .symbol:         _ZN7rocprim17ROCPRIM_400000_NS6detail17trampoline_kernelINS0_14default_configENS1_25partition_config_selectorILNS1_17partition_subalgoE8EyNS0_10empty_typeEbEEZZNS1_14partition_implILS5_8ELb0ES3_jN6thrust23THRUST_200600_302600_NS6detail15normal_iteratorINSA_10device_ptrIyEEEEPS6_PKS6_NS0_5tupleIJSF_S6_EEENSJ_IJSG_SG_EEENS0_18inequality_wrapperINSA_8equal_toIyEEEEPmJS6_EEE10hipError_tPvRmT3_T4_T5_T6_T7_T9_mT8_P12ihipStream_tbDpT10_ENKUlT_T0_E_clISt17integral_constantIbLb1EES1A_EEDaS15_S16_EUlS15_E_NS1_11comp_targetILNS1_3genE5ELNS1_11target_archE942ELNS1_3gpuE9ELNS1_3repE0EEENS1_30default_config_static_selectorELNS0_4arch9wavefront6targetE1EEEvT1_.kd
    .uniform_work_group_size: 1
    .uses_dynamic_stack: false
    .vgpr_count:     0
    .vgpr_spill_count: 0
    .wavefront_size: 64
  - .args:
      - .offset:         0
        .size:           128
        .value_kind:     by_value
    .group_segment_fixed_size: 0
    .kernarg_segment_align: 8
    .kernarg_segment_size: 128
    .language:       OpenCL C
    .language_version:
      - 2
      - 0
    .max_flat_workgroup_size: 256
    .name:           _ZN7rocprim17ROCPRIM_400000_NS6detail17trampoline_kernelINS0_14default_configENS1_25partition_config_selectorILNS1_17partition_subalgoE8EyNS0_10empty_typeEbEEZZNS1_14partition_implILS5_8ELb0ES3_jN6thrust23THRUST_200600_302600_NS6detail15normal_iteratorINSA_10device_ptrIyEEEEPS6_PKS6_NS0_5tupleIJSF_S6_EEENSJ_IJSG_SG_EEENS0_18inequality_wrapperINSA_8equal_toIyEEEEPmJS6_EEE10hipError_tPvRmT3_T4_T5_T6_T7_T9_mT8_P12ihipStream_tbDpT10_ENKUlT_T0_E_clISt17integral_constantIbLb1EES1A_EEDaS15_S16_EUlS15_E_NS1_11comp_targetILNS1_3genE4ELNS1_11target_archE910ELNS1_3gpuE8ELNS1_3repE0EEENS1_30default_config_static_selectorELNS0_4arch9wavefront6targetE1EEEvT1_
    .private_segment_fixed_size: 0
    .sgpr_count:     4
    .sgpr_spill_count: 0
    .symbol:         _ZN7rocprim17ROCPRIM_400000_NS6detail17trampoline_kernelINS0_14default_configENS1_25partition_config_selectorILNS1_17partition_subalgoE8EyNS0_10empty_typeEbEEZZNS1_14partition_implILS5_8ELb0ES3_jN6thrust23THRUST_200600_302600_NS6detail15normal_iteratorINSA_10device_ptrIyEEEEPS6_PKS6_NS0_5tupleIJSF_S6_EEENSJ_IJSG_SG_EEENS0_18inequality_wrapperINSA_8equal_toIyEEEEPmJS6_EEE10hipError_tPvRmT3_T4_T5_T6_T7_T9_mT8_P12ihipStream_tbDpT10_ENKUlT_T0_E_clISt17integral_constantIbLb1EES1A_EEDaS15_S16_EUlS15_E_NS1_11comp_targetILNS1_3genE4ELNS1_11target_archE910ELNS1_3gpuE8ELNS1_3repE0EEENS1_30default_config_static_selectorELNS0_4arch9wavefront6targetE1EEEvT1_.kd
    .uniform_work_group_size: 1
    .uses_dynamic_stack: false
    .vgpr_count:     0
    .vgpr_spill_count: 0
    .wavefront_size: 64
  - .args:
      - .offset:         0
        .size:           128
        .value_kind:     by_value
    .group_segment_fixed_size: 0
    .kernarg_segment_align: 8
    .kernarg_segment_size: 128
    .language:       OpenCL C
    .language_version:
      - 2
      - 0
    .max_flat_workgroup_size: 512
    .name:           _ZN7rocprim17ROCPRIM_400000_NS6detail17trampoline_kernelINS0_14default_configENS1_25partition_config_selectorILNS1_17partition_subalgoE8EyNS0_10empty_typeEbEEZZNS1_14partition_implILS5_8ELb0ES3_jN6thrust23THRUST_200600_302600_NS6detail15normal_iteratorINSA_10device_ptrIyEEEEPS6_PKS6_NS0_5tupleIJSF_S6_EEENSJ_IJSG_SG_EEENS0_18inequality_wrapperINSA_8equal_toIyEEEEPmJS6_EEE10hipError_tPvRmT3_T4_T5_T6_T7_T9_mT8_P12ihipStream_tbDpT10_ENKUlT_T0_E_clISt17integral_constantIbLb1EES1A_EEDaS15_S16_EUlS15_E_NS1_11comp_targetILNS1_3genE3ELNS1_11target_archE908ELNS1_3gpuE7ELNS1_3repE0EEENS1_30default_config_static_selectorELNS0_4arch9wavefront6targetE1EEEvT1_
    .private_segment_fixed_size: 0
    .sgpr_count:     4
    .sgpr_spill_count: 0
    .symbol:         _ZN7rocprim17ROCPRIM_400000_NS6detail17trampoline_kernelINS0_14default_configENS1_25partition_config_selectorILNS1_17partition_subalgoE8EyNS0_10empty_typeEbEEZZNS1_14partition_implILS5_8ELb0ES3_jN6thrust23THRUST_200600_302600_NS6detail15normal_iteratorINSA_10device_ptrIyEEEEPS6_PKS6_NS0_5tupleIJSF_S6_EEENSJ_IJSG_SG_EEENS0_18inequality_wrapperINSA_8equal_toIyEEEEPmJS6_EEE10hipError_tPvRmT3_T4_T5_T6_T7_T9_mT8_P12ihipStream_tbDpT10_ENKUlT_T0_E_clISt17integral_constantIbLb1EES1A_EEDaS15_S16_EUlS15_E_NS1_11comp_targetILNS1_3genE3ELNS1_11target_archE908ELNS1_3gpuE7ELNS1_3repE0EEENS1_30default_config_static_selectorELNS0_4arch9wavefront6targetE1EEEvT1_.kd
    .uniform_work_group_size: 1
    .uses_dynamic_stack: false
    .vgpr_count:     0
    .vgpr_spill_count: 0
    .wavefront_size: 64
  - .args:
      - .offset:         0
        .size:           128
        .value_kind:     by_value
    .group_segment_fixed_size: 0
    .kernarg_segment_align: 8
    .kernarg_segment_size: 128
    .language:       OpenCL C
    .language_version:
      - 2
      - 0
    .max_flat_workgroup_size: 256
    .name:           _ZN7rocprim17ROCPRIM_400000_NS6detail17trampoline_kernelINS0_14default_configENS1_25partition_config_selectorILNS1_17partition_subalgoE8EyNS0_10empty_typeEbEEZZNS1_14partition_implILS5_8ELb0ES3_jN6thrust23THRUST_200600_302600_NS6detail15normal_iteratorINSA_10device_ptrIyEEEEPS6_PKS6_NS0_5tupleIJSF_S6_EEENSJ_IJSG_SG_EEENS0_18inequality_wrapperINSA_8equal_toIyEEEEPmJS6_EEE10hipError_tPvRmT3_T4_T5_T6_T7_T9_mT8_P12ihipStream_tbDpT10_ENKUlT_T0_E_clISt17integral_constantIbLb1EES1A_EEDaS15_S16_EUlS15_E_NS1_11comp_targetILNS1_3genE2ELNS1_11target_archE906ELNS1_3gpuE6ELNS1_3repE0EEENS1_30default_config_static_selectorELNS0_4arch9wavefront6targetE1EEEvT1_
    .private_segment_fixed_size: 0
    .sgpr_count:     4
    .sgpr_spill_count: 0
    .symbol:         _ZN7rocprim17ROCPRIM_400000_NS6detail17trampoline_kernelINS0_14default_configENS1_25partition_config_selectorILNS1_17partition_subalgoE8EyNS0_10empty_typeEbEEZZNS1_14partition_implILS5_8ELb0ES3_jN6thrust23THRUST_200600_302600_NS6detail15normal_iteratorINSA_10device_ptrIyEEEEPS6_PKS6_NS0_5tupleIJSF_S6_EEENSJ_IJSG_SG_EEENS0_18inequality_wrapperINSA_8equal_toIyEEEEPmJS6_EEE10hipError_tPvRmT3_T4_T5_T6_T7_T9_mT8_P12ihipStream_tbDpT10_ENKUlT_T0_E_clISt17integral_constantIbLb1EES1A_EEDaS15_S16_EUlS15_E_NS1_11comp_targetILNS1_3genE2ELNS1_11target_archE906ELNS1_3gpuE6ELNS1_3repE0EEENS1_30default_config_static_selectorELNS0_4arch9wavefront6targetE1EEEvT1_.kd
    .uniform_work_group_size: 1
    .uses_dynamic_stack: false
    .vgpr_count:     0
    .vgpr_spill_count: 0
    .wavefront_size: 64
  - .args:
      - .offset:         0
        .size:           128
        .value_kind:     by_value
    .group_segment_fixed_size: 0
    .kernarg_segment_align: 8
    .kernarg_segment_size: 128
    .language:       OpenCL C
    .language_version:
      - 2
      - 0
    .max_flat_workgroup_size: 384
    .name:           _ZN7rocprim17ROCPRIM_400000_NS6detail17trampoline_kernelINS0_14default_configENS1_25partition_config_selectorILNS1_17partition_subalgoE8EyNS0_10empty_typeEbEEZZNS1_14partition_implILS5_8ELb0ES3_jN6thrust23THRUST_200600_302600_NS6detail15normal_iteratorINSA_10device_ptrIyEEEEPS6_PKS6_NS0_5tupleIJSF_S6_EEENSJ_IJSG_SG_EEENS0_18inequality_wrapperINSA_8equal_toIyEEEEPmJS6_EEE10hipError_tPvRmT3_T4_T5_T6_T7_T9_mT8_P12ihipStream_tbDpT10_ENKUlT_T0_E_clISt17integral_constantIbLb1EES1A_EEDaS15_S16_EUlS15_E_NS1_11comp_targetILNS1_3genE10ELNS1_11target_archE1200ELNS1_3gpuE4ELNS1_3repE0EEENS1_30default_config_static_selectorELNS0_4arch9wavefront6targetE1EEEvT1_
    .private_segment_fixed_size: 0
    .sgpr_count:     4
    .sgpr_spill_count: 0
    .symbol:         _ZN7rocprim17ROCPRIM_400000_NS6detail17trampoline_kernelINS0_14default_configENS1_25partition_config_selectorILNS1_17partition_subalgoE8EyNS0_10empty_typeEbEEZZNS1_14partition_implILS5_8ELb0ES3_jN6thrust23THRUST_200600_302600_NS6detail15normal_iteratorINSA_10device_ptrIyEEEEPS6_PKS6_NS0_5tupleIJSF_S6_EEENSJ_IJSG_SG_EEENS0_18inequality_wrapperINSA_8equal_toIyEEEEPmJS6_EEE10hipError_tPvRmT3_T4_T5_T6_T7_T9_mT8_P12ihipStream_tbDpT10_ENKUlT_T0_E_clISt17integral_constantIbLb1EES1A_EEDaS15_S16_EUlS15_E_NS1_11comp_targetILNS1_3genE10ELNS1_11target_archE1200ELNS1_3gpuE4ELNS1_3repE0EEENS1_30default_config_static_selectorELNS0_4arch9wavefront6targetE1EEEvT1_.kd
    .uniform_work_group_size: 1
    .uses_dynamic_stack: false
    .vgpr_count:     0
    .vgpr_spill_count: 0
    .wavefront_size: 64
  - .args:
      - .offset:         0
        .size:           128
        .value_kind:     by_value
    .group_segment_fixed_size: 0
    .kernarg_segment_align: 8
    .kernarg_segment_size: 128
    .language:       OpenCL C
    .language_version:
      - 2
      - 0
    .max_flat_workgroup_size: 512
    .name:           _ZN7rocprim17ROCPRIM_400000_NS6detail17trampoline_kernelINS0_14default_configENS1_25partition_config_selectorILNS1_17partition_subalgoE8EyNS0_10empty_typeEbEEZZNS1_14partition_implILS5_8ELb0ES3_jN6thrust23THRUST_200600_302600_NS6detail15normal_iteratorINSA_10device_ptrIyEEEEPS6_PKS6_NS0_5tupleIJSF_S6_EEENSJ_IJSG_SG_EEENS0_18inequality_wrapperINSA_8equal_toIyEEEEPmJS6_EEE10hipError_tPvRmT3_T4_T5_T6_T7_T9_mT8_P12ihipStream_tbDpT10_ENKUlT_T0_E_clISt17integral_constantIbLb1EES1A_EEDaS15_S16_EUlS15_E_NS1_11comp_targetILNS1_3genE9ELNS1_11target_archE1100ELNS1_3gpuE3ELNS1_3repE0EEENS1_30default_config_static_selectorELNS0_4arch9wavefront6targetE1EEEvT1_
    .private_segment_fixed_size: 0
    .sgpr_count:     4
    .sgpr_spill_count: 0
    .symbol:         _ZN7rocprim17ROCPRIM_400000_NS6detail17trampoline_kernelINS0_14default_configENS1_25partition_config_selectorILNS1_17partition_subalgoE8EyNS0_10empty_typeEbEEZZNS1_14partition_implILS5_8ELb0ES3_jN6thrust23THRUST_200600_302600_NS6detail15normal_iteratorINSA_10device_ptrIyEEEEPS6_PKS6_NS0_5tupleIJSF_S6_EEENSJ_IJSG_SG_EEENS0_18inequality_wrapperINSA_8equal_toIyEEEEPmJS6_EEE10hipError_tPvRmT3_T4_T5_T6_T7_T9_mT8_P12ihipStream_tbDpT10_ENKUlT_T0_E_clISt17integral_constantIbLb1EES1A_EEDaS15_S16_EUlS15_E_NS1_11comp_targetILNS1_3genE9ELNS1_11target_archE1100ELNS1_3gpuE3ELNS1_3repE0EEENS1_30default_config_static_selectorELNS0_4arch9wavefront6targetE1EEEvT1_.kd
    .uniform_work_group_size: 1
    .uses_dynamic_stack: false
    .vgpr_count:     0
    .vgpr_spill_count: 0
    .wavefront_size: 64
  - .args:
      - .offset:         0
        .size:           128
        .value_kind:     by_value
    .group_segment_fixed_size: 0
    .kernarg_segment_align: 8
    .kernarg_segment_size: 128
    .language:       OpenCL C
    .language_version:
      - 2
      - 0
    .max_flat_workgroup_size: 512
    .name:           _ZN7rocprim17ROCPRIM_400000_NS6detail17trampoline_kernelINS0_14default_configENS1_25partition_config_selectorILNS1_17partition_subalgoE8EyNS0_10empty_typeEbEEZZNS1_14partition_implILS5_8ELb0ES3_jN6thrust23THRUST_200600_302600_NS6detail15normal_iteratorINSA_10device_ptrIyEEEEPS6_PKS6_NS0_5tupleIJSF_S6_EEENSJ_IJSG_SG_EEENS0_18inequality_wrapperINSA_8equal_toIyEEEEPmJS6_EEE10hipError_tPvRmT3_T4_T5_T6_T7_T9_mT8_P12ihipStream_tbDpT10_ENKUlT_T0_E_clISt17integral_constantIbLb1EES1A_EEDaS15_S16_EUlS15_E_NS1_11comp_targetILNS1_3genE8ELNS1_11target_archE1030ELNS1_3gpuE2ELNS1_3repE0EEENS1_30default_config_static_selectorELNS0_4arch9wavefront6targetE1EEEvT1_
    .private_segment_fixed_size: 0
    .sgpr_count:     4
    .sgpr_spill_count: 0
    .symbol:         _ZN7rocprim17ROCPRIM_400000_NS6detail17trampoline_kernelINS0_14default_configENS1_25partition_config_selectorILNS1_17partition_subalgoE8EyNS0_10empty_typeEbEEZZNS1_14partition_implILS5_8ELb0ES3_jN6thrust23THRUST_200600_302600_NS6detail15normal_iteratorINSA_10device_ptrIyEEEEPS6_PKS6_NS0_5tupleIJSF_S6_EEENSJ_IJSG_SG_EEENS0_18inequality_wrapperINSA_8equal_toIyEEEEPmJS6_EEE10hipError_tPvRmT3_T4_T5_T6_T7_T9_mT8_P12ihipStream_tbDpT10_ENKUlT_T0_E_clISt17integral_constantIbLb1EES1A_EEDaS15_S16_EUlS15_E_NS1_11comp_targetILNS1_3genE8ELNS1_11target_archE1030ELNS1_3gpuE2ELNS1_3repE0EEENS1_30default_config_static_selectorELNS0_4arch9wavefront6targetE1EEEvT1_.kd
    .uniform_work_group_size: 1
    .uses_dynamic_stack: false
    .vgpr_count:     0
    .vgpr_spill_count: 0
    .wavefront_size: 64
  - .args:
      - .offset:         0
        .size:           112
        .value_kind:     by_value
    .group_segment_fixed_size: 0
    .kernarg_segment_align: 8
    .kernarg_segment_size: 112
    .language:       OpenCL C
    .language_version:
      - 2
      - 0
    .max_flat_workgroup_size: 512
    .name:           _ZN7rocprim17ROCPRIM_400000_NS6detail17trampoline_kernelINS0_14default_configENS1_25partition_config_selectorILNS1_17partition_subalgoE8EyNS0_10empty_typeEbEEZZNS1_14partition_implILS5_8ELb0ES3_jN6thrust23THRUST_200600_302600_NS6detail15normal_iteratorINSA_10device_ptrIyEEEEPS6_PKS6_NS0_5tupleIJSF_S6_EEENSJ_IJSG_SG_EEENS0_18inequality_wrapperINSA_8equal_toIyEEEEPmJS6_EEE10hipError_tPvRmT3_T4_T5_T6_T7_T9_mT8_P12ihipStream_tbDpT10_ENKUlT_T0_E_clISt17integral_constantIbLb1EES19_IbLb0EEEEDaS15_S16_EUlS15_E_NS1_11comp_targetILNS1_3genE0ELNS1_11target_archE4294967295ELNS1_3gpuE0ELNS1_3repE0EEENS1_30default_config_static_selectorELNS0_4arch9wavefront6targetE1EEEvT1_
    .private_segment_fixed_size: 0
    .sgpr_count:     4
    .sgpr_spill_count: 0
    .symbol:         _ZN7rocprim17ROCPRIM_400000_NS6detail17trampoline_kernelINS0_14default_configENS1_25partition_config_selectorILNS1_17partition_subalgoE8EyNS0_10empty_typeEbEEZZNS1_14partition_implILS5_8ELb0ES3_jN6thrust23THRUST_200600_302600_NS6detail15normal_iteratorINSA_10device_ptrIyEEEEPS6_PKS6_NS0_5tupleIJSF_S6_EEENSJ_IJSG_SG_EEENS0_18inequality_wrapperINSA_8equal_toIyEEEEPmJS6_EEE10hipError_tPvRmT3_T4_T5_T6_T7_T9_mT8_P12ihipStream_tbDpT10_ENKUlT_T0_E_clISt17integral_constantIbLb1EES19_IbLb0EEEEDaS15_S16_EUlS15_E_NS1_11comp_targetILNS1_3genE0ELNS1_11target_archE4294967295ELNS1_3gpuE0ELNS1_3repE0EEENS1_30default_config_static_selectorELNS0_4arch9wavefront6targetE1EEEvT1_.kd
    .uniform_work_group_size: 1
    .uses_dynamic_stack: false
    .vgpr_count:     0
    .vgpr_spill_count: 0
    .wavefront_size: 64
  - .args:
      - .offset:         0
        .size:           112
        .value_kind:     by_value
    .group_segment_fixed_size: 0
    .kernarg_segment_align: 8
    .kernarg_segment_size: 112
    .language:       OpenCL C
    .language_version:
      - 2
      - 0
    .max_flat_workgroup_size: 512
    .name:           _ZN7rocprim17ROCPRIM_400000_NS6detail17trampoline_kernelINS0_14default_configENS1_25partition_config_selectorILNS1_17partition_subalgoE8EyNS0_10empty_typeEbEEZZNS1_14partition_implILS5_8ELb0ES3_jN6thrust23THRUST_200600_302600_NS6detail15normal_iteratorINSA_10device_ptrIyEEEEPS6_PKS6_NS0_5tupleIJSF_S6_EEENSJ_IJSG_SG_EEENS0_18inequality_wrapperINSA_8equal_toIyEEEEPmJS6_EEE10hipError_tPvRmT3_T4_T5_T6_T7_T9_mT8_P12ihipStream_tbDpT10_ENKUlT_T0_E_clISt17integral_constantIbLb1EES19_IbLb0EEEEDaS15_S16_EUlS15_E_NS1_11comp_targetILNS1_3genE5ELNS1_11target_archE942ELNS1_3gpuE9ELNS1_3repE0EEENS1_30default_config_static_selectorELNS0_4arch9wavefront6targetE1EEEvT1_
    .private_segment_fixed_size: 0
    .sgpr_count:     4
    .sgpr_spill_count: 0
    .symbol:         _ZN7rocprim17ROCPRIM_400000_NS6detail17trampoline_kernelINS0_14default_configENS1_25partition_config_selectorILNS1_17partition_subalgoE8EyNS0_10empty_typeEbEEZZNS1_14partition_implILS5_8ELb0ES3_jN6thrust23THRUST_200600_302600_NS6detail15normal_iteratorINSA_10device_ptrIyEEEEPS6_PKS6_NS0_5tupleIJSF_S6_EEENSJ_IJSG_SG_EEENS0_18inequality_wrapperINSA_8equal_toIyEEEEPmJS6_EEE10hipError_tPvRmT3_T4_T5_T6_T7_T9_mT8_P12ihipStream_tbDpT10_ENKUlT_T0_E_clISt17integral_constantIbLb1EES19_IbLb0EEEEDaS15_S16_EUlS15_E_NS1_11comp_targetILNS1_3genE5ELNS1_11target_archE942ELNS1_3gpuE9ELNS1_3repE0EEENS1_30default_config_static_selectorELNS0_4arch9wavefront6targetE1EEEvT1_.kd
    .uniform_work_group_size: 1
    .uses_dynamic_stack: false
    .vgpr_count:     0
    .vgpr_spill_count: 0
    .wavefront_size: 64
  - .args:
      - .offset:         0
        .size:           112
        .value_kind:     by_value
    .group_segment_fixed_size: 0
    .kernarg_segment_align: 8
    .kernarg_segment_size: 112
    .language:       OpenCL C
    .language_version:
      - 2
      - 0
    .max_flat_workgroup_size: 256
    .name:           _ZN7rocprim17ROCPRIM_400000_NS6detail17trampoline_kernelINS0_14default_configENS1_25partition_config_selectorILNS1_17partition_subalgoE8EyNS0_10empty_typeEbEEZZNS1_14partition_implILS5_8ELb0ES3_jN6thrust23THRUST_200600_302600_NS6detail15normal_iteratorINSA_10device_ptrIyEEEEPS6_PKS6_NS0_5tupleIJSF_S6_EEENSJ_IJSG_SG_EEENS0_18inequality_wrapperINSA_8equal_toIyEEEEPmJS6_EEE10hipError_tPvRmT3_T4_T5_T6_T7_T9_mT8_P12ihipStream_tbDpT10_ENKUlT_T0_E_clISt17integral_constantIbLb1EES19_IbLb0EEEEDaS15_S16_EUlS15_E_NS1_11comp_targetILNS1_3genE4ELNS1_11target_archE910ELNS1_3gpuE8ELNS1_3repE0EEENS1_30default_config_static_selectorELNS0_4arch9wavefront6targetE1EEEvT1_
    .private_segment_fixed_size: 0
    .sgpr_count:     4
    .sgpr_spill_count: 0
    .symbol:         _ZN7rocprim17ROCPRIM_400000_NS6detail17trampoline_kernelINS0_14default_configENS1_25partition_config_selectorILNS1_17partition_subalgoE8EyNS0_10empty_typeEbEEZZNS1_14partition_implILS5_8ELb0ES3_jN6thrust23THRUST_200600_302600_NS6detail15normal_iteratorINSA_10device_ptrIyEEEEPS6_PKS6_NS0_5tupleIJSF_S6_EEENSJ_IJSG_SG_EEENS0_18inequality_wrapperINSA_8equal_toIyEEEEPmJS6_EEE10hipError_tPvRmT3_T4_T5_T6_T7_T9_mT8_P12ihipStream_tbDpT10_ENKUlT_T0_E_clISt17integral_constantIbLb1EES19_IbLb0EEEEDaS15_S16_EUlS15_E_NS1_11comp_targetILNS1_3genE4ELNS1_11target_archE910ELNS1_3gpuE8ELNS1_3repE0EEENS1_30default_config_static_selectorELNS0_4arch9wavefront6targetE1EEEvT1_.kd
    .uniform_work_group_size: 1
    .uses_dynamic_stack: false
    .vgpr_count:     0
    .vgpr_spill_count: 0
    .wavefront_size: 64
  - .args:
      - .offset:         0
        .size:           112
        .value_kind:     by_value
    .group_segment_fixed_size: 0
    .kernarg_segment_align: 8
    .kernarg_segment_size: 112
    .language:       OpenCL C
    .language_version:
      - 2
      - 0
    .max_flat_workgroup_size: 512
    .name:           _ZN7rocprim17ROCPRIM_400000_NS6detail17trampoline_kernelINS0_14default_configENS1_25partition_config_selectorILNS1_17partition_subalgoE8EyNS0_10empty_typeEbEEZZNS1_14partition_implILS5_8ELb0ES3_jN6thrust23THRUST_200600_302600_NS6detail15normal_iteratorINSA_10device_ptrIyEEEEPS6_PKS6_NS0_5tupleIJSF_S6_EEENSJ_IJSG_SG_EEENS0_18inequality_wrapperINSA_8equal_toIyEEEEPmJS6_EEE10hipError_tPvRmT3_T4_T5_T6_T7_T9_mT8_P12ihipStream_tbDpT10_ENKUlT_T0_E_clISt17integral_constantIbLb1EES19_IbLb0EEEEDaS15_S16_EUlS15_E_NS1_11comp_targetILNS1_3genE3ELNS1_11target_archE908ELNS1_3gpuE7ELNS1_3repE0EEENS1_30default_config_static_selectorELNS0_4arch9wavefront6targetE1EEEvT1_
    .private_segment_fixed_size: 0
    .sgpr_count:     4
    .sgpr_spill_count: 0
    .symbol:         _ZN7rocprim17ROCPRIM_400000_NS6detail17trampoline_kernelINS0_14default_configENS1_25partition_config_selectorILNS1_17partition_subalgoE8EyNS0_10empty_typeEbEEZZNS1_14partition_implILS5_8ELb0ES3_jN6thrust23THRUST_200600_302600_NS6detail15normal_iteratorINSA_10device_ptrIyEEEEPS6_PKS6_NS0_5tupleIJSF_S6_EEENSJ_IJSG_SG_EEENS0_18inequality_wrapperINSA_8equal_toIyEEEEPmJS6_EEE10hipError_tPvRmT3_T4_T5_T6_T7_T9_mT8_P12ihipStream_tbDpT10_ENKUlT_T0_E_clISt17integral_constantIbLb1EES19_IbLb0EEEEDaS15_S16_EUlS15_E_NS1_11comp_targetILNS1_3genE3ELNS1_11target_archE908ELNS1_3gpuE7ELNS1_3repE0EEENS1_30default_config_static_selectorELNS0_4arch9wavefront6targetE1EEEvT1_.kd
    .uniform_work_group_size: 1
    .uses_dynamic_stack: false
    .vgpr_count:     0
    .vgpr_spill_count: 0
    .wavefront_size: 64
  - .args:
      - .offset:         0
        .size:           112
        .value_kind:     by_value
    .group_segment_fixed_size: 0
    .kernarg_segment_align: 8
    .kernarg_segment_size: 112
    .language:       OpenCL C
    .language_version:
      - 2
      - 0
    .max_flat_workgroup_size: 256
    .name:           _ZN7rocprim17ROCPRIM_400000_NS6detail17trampoline_kernelINS0_14default_configENS1_25partition_config_selectorILNS1_17partition_subalgoE8EyNS0_10empty_typeEbEEZZNS1_14partition_implILS5_8ELb0ES3_jN6thrust23THRUST_200600_302600_NS6detail15normal_iteratorINSA_10device_ptrIyEEEEPS6_PKS6_NS0_5tupleIJSF_S6_EEENSJ_IJSG_SG_EEENS0_18inequality_wrapperINSA_8equal_toIyEEEEPmJS6_EEE10hipError_tPvRmT3_T4_T5_T6_T7_T9_mT8_P12ihipStream_tbDpT10_ENKUlT_T0_E_clISt17integral_constantIbLb1EES19_IbLb0EEEEDaS15_S16_EUlS15_E_NS1_11comp_targetILNS1_3genE2ELNS1_11target_archE906ELNS1_3gpuE6ELNS1_3repE0EEENS1_30default_config_static_selectorELNS0_4arch9wavefront6targetE1EEEvT1_
    .private_segment_fixed_size: 0
    .sgpr_count:     4
    .sgpr_spill_count: 0
    .symbol:         _ZN7rocprim17ROCPRIM_400000_NS6detail17trampoline_kernelINS0_14default_configENS1_25partition_config_selectorILNS1_17partition_subalgoE8EyNS0_10empty_typeEbEEZZNS1_14partition_implILS5_8ELb0ES3_jN6thrust23THRUST_200600_302600_NS6detail15normal_iteratorINSA_10device_ptrIyEEEEPS6_PKS6_NS0_5tupleIJSF_S6_EEENSJ_IJSG_SG_EEENS0_18inequality_wrapperINSA_8equal_toIyEEEEPmJS6_EEE10hipError_tPvRmT3_T4_T5_T6_T7_T9_mT8_P12ihipStream_tbDpT10_ENKUlT_T0_E_clISt17integral_constantIbLb1EES19_IbLb0EEEEDaS15_S16_EUlS15_E_NS1_11comp_targetILNS1_3genE2ELNS1_11target_archE906ELNS1_3gpuE6ELNS1_3repE0EEENS1_30default_config_static_selectorELNS0_4arch9wavefront6targetE1EEEvT1_.kd
    .uniform_work_group_size: 1
    .uses_dynamic_stack: false
    .vgpr_count:     0
    .vgpr_spill_count: 0
    .wavefront_size: 64
  - .args:
      - .offset:         0
        .size:           112
        .value_kind:     by_value
    .group_segment_fixed_size: 0
    .kernarg_segment_align: 8
    .kernarg_segment_size: 112
    .language:       OpenCL C
    .language_version:
      - 2
      - 0
    .max_flat_workgroup_size: 384
    .name:           _ZN7rocprim17ROCPRIM_400000_NS6detail17trampoline_kernelINS0_14default_configENS1_25partition_config_selectorILNS1_17partition_subalgoE8EyNS0_10empty_typeEbEEZZNS1_14partition_implILS5_8ELb0ES3_jN6thrust23THRUST_200600_302600_NS6detail15normal_iteratorINSA_10device_ptrIyEEEEPS6_PKS6_NS0_5tupleIJSF_S6_EEENSJ_IJSG_SG_EEENS0_18inequality_wrapperINSA_8equal_toIyEEEEPmJS6_EEE10hipError_tPvRmT3_T4_T5_T6_T7_T9_mT8_P12ihipStream_tbDpT10_ENKUlT_T0_E_clISt17integral_constantIbLb1EES19_IbLb0EEEEDaS15_S16_EUlS15_E_NS1_11comp_targetILNS1_3genE10ELNS1_11target_archE1200ELNS1_3gpuE4ELNS1_3repE0EEENS1_30default_config_static_selectorELNS0_4arch9wavefront6targetE1EEEvT1_
    .private_segment_fixed_size: 0
    .sgpr_count:     4
    .sgpr_spill_count: 0
    .symbol:         _ZN7rocprim17ROCPRIM_400000_NS6detail17trampoline_kernelINS0_14default_configENS1_25partition_config_selectorILNS1_17partition_subalgoE8EyNS0_10empty_typeEbEEZZNS1_14partition_implILS5_8ELb0ES3_jN6thrust23THRUST_200600_302600_NS6detail15normal_iteratorINSA_10device_ptrIyEEEEPS6_PKS6_NS0_5tupleIJSF_S6_EEENSJ_IJSG_SG_EEENS0_18inequality_wrapperINSA_8equal_toIyEEEEPmJS6_EEE10hipError_tPvRmT3_T4_T5_T6_T7_T9_mT8_P12ihipStream_tbDpT10_ENKUlT_T0_E_clISt17integral_constantIbLb1EES19_IbLb0EEEEDaS15_S16_EUlS15_E_NS1_11comp_targetILNS1_3genE10ELNS1_11target_archE1200ELNS1_3gpuE4ELNS1_3repE0EEENS1_30default_config_static_selectorELNS0_4arch9wavefront6targetE1EEEvT1_.kd
    .uniform_work_group_size: 1
    .uses_dynamic_stack: false
    .vgpr_count:     0
    .vgpr_spill_count: 0
    .wavefront_size: 64
  - .args:
      - .offset:         0
        .size:           112
        .value_kind:     by_value
    .group_segment_fixed_size: 0
    .kernarg_segment_align: 8
    .kernarg_segment_size: 112
    .language:       OpenCL C
    .language_version:
      - 2
      - 0
    .max_flat_workgroup_size: 512
    .name:           _ZN7rocprim17ROCPRIM_400000_NS6detail17trampoline_kernelINS0_14default_configENS1_25partition_config_selectorILNS1_17partition_subalgoE8EyNS0_10empty_typeEbEEZZNS1_14partition_implILS5_8ELb0ES3_jN6thrust23THRUST_200600_302600_NS6detail15normal_iteratorINSA_10device_ptrIyEEEEPS6_PKS6_NS0_5tupleIJSF_S6_EEENSJ_IJSG_SG_EEENS0_18inequality_wrapperINSA_8equal_toIyEEEEPmJS6_EEE10hipError_tPvRmT3_T4_T5_T6_T7_T9_mT8_P12ihipStream_tbDpT10_ENKUlT_T0_E_clISt17integral_constantIbLb1EES19_IbLb0EEEEDaS15_S16_EUlS15_E_NS1_11comp_targetILNS1_3genE9ELNS1_11target_archE1100ELNS1_3gpuE3ELNS1_3repE0EEENS1_30default_config_static_selectorELNS0_4arch9wavefront6targetE1EEEvT1_
    .private_segment_fixed_size: 0
    .sgpr_count:     4
    .sgpr_spill_count: 0
    .symbol:         _ZN7rocprim17ROCPRIM_400000_NS6detail17trampoline_kernelINS0_14default_configENS1_25partition_config_selectorILNS1_17partition_subalgoE8EyNS0_10empty_typeEbEEZZNS1_14partition_implILS5_8ELb0ES3_jN6thrust23THRUST_200600_302600_NS6detail15normal_iteratorINSA_10device_ptrIyEEEEPS6_PKS6_NS0_5tupleIJSF_S6_EEENSJ_IJSG_SG_EEENS0_18inequality_wrapperINSA_8equal_toIyEEEEPmJS6_EEE10hipError_tPvRmT3_T4_T5_T6_T7_T9_mT8_P12ihipStream_tbDpT10_ENKUlT_T0_E_clISt17integral_constantIbLb1EES19_IbLb0EEEEDaS15_S16_EUlS15_E_NS1_11comp_targetILNS1_3genE9ELNS1_11target_archE1100ELNS1_3gpuE3ELNS1_3repE0EEENS1_30default_config_static_selectorELNS0_4arch9wavefront6targetE1EEEvT1_.kd
    .uniform_work_group_size: 1
    .uses_dynamic_stack: false
    .vgpr_count:     0
    .vgpr_spill_count: 0
    .wavefront_size: 64
  - .args:
      - .offset:         0
        .size:           112
        .value_kind:     by_value
    .group_segment_fixed_size: 0
    .kernarg_segment_align: 8
    .kernarg_segment_size: 112
    .language:       OpenCL C
    .language_version:
      - 2
      - 0
    .max_flat_workgroup_size: 512
    .name:           _ZN7rocprim17ROCPRIM_400000_NS6detail17trampoline_kernelINS0_14default_configENS1_25partition_config_selectorILNS1_17partition_subalgoE8EyNS0_10empty_typeEbEEZZNS1_14partition_implILS5_8ELb0ES3_jN6thrust23THRUST_200600_302600_NS6detail15normal_iteratorINSA_10device_ptrIyEEEEPS6_PKS6_NS0_5tupleIJSF_S6_EEENSJ_IJSG_SG_EEENS0_18inequality_wrapperINSA_8equal_toIyEEEEPmJS6_EEE10hipError_tPvRmT3_T4_T5_T6_T7_T9_mT8_P12ihipStream_tbDpT10_ENKUlT_T0_E_clISt17integral_constantIbLb1EES19_IbLb0EEEEDaS15_S16_EUlS15_E_NS1_11comp_targetILNS1_3genE8ELNS1_11target_archE1030ELNS1_3gpuE2ELNS1_3repE0EEENS1_30default_config_static_selectorELNS0_4arch9wavefront6targetE1EEEvT1_
    .private_segment_fixed_size: 0
    .sgpr_count:     4
    .sgpr_spill_count: 0
    .symbol:         _ZN7rocprim17ROCPRIM_400000_NS6detail17trampoline_kernelINS0_14default_configENS1_25partition_config_selectorILNS1_17partition_subalgoE8EyNS0_10empty_typeEbEEZZNS1_14partition_implILS5_8ELb0ES3_jN6thrust23THRUST_200600_302600_NS6detail15normal_iteratorINSA_10device_ptrIyEEEEPS6_PKS6_NS0_5tupleIJSF_S6_EEENSJ_IJSG_SG_EEENS0_18inequality_wrapperINSA_8equal_toIyEEEEPmJS6_EEE10hipError_tPvRmT3_T4_T5_T6_T7_T9_mT8_P12ihipStream_tbDpT10_ENKUlT_T0_E_clISt17integral_constantIbLb1EES19_IbLb0EEEEDaS15_S16_EUlS15_E_NS1_11comp_targetILNS1_3genE8ELNS1_11target_archE1030ELNS1_3gpuE2ELNS1_3repE0EEENS1_30default_config_static_selectorELNS0_4arch9wavefront6targetE1EEEvT1_.kd
    .uniform_work_group_size: 1
    .uses_dynamic_stack: false
    .vgpr_count:     0
    .vgpr_spill_count: 0
    .wavefront_size: 64
  - .args:
      - .offset:         0
        .size:           128
        .value_kind:     by_value
    .group_segment_fixed_size: 0
    .kernarg_segment_align: 8
    .kernarg_segment_size: 128
    .language:       OpenCL C
    .language_version:
      - 2
      - 0
    .max_flat_workgroup_size: 512
    .name:           _ZN7rocprim17ROCPRIM_400000_NS6detail17trampoline_kernelINS0_14default_configENS1_25partition_config_selectorILNS1_17partition_subalgoE8EyNS0_10empty_typeEbEEZZNS1_14partition_implILS5_8ELb0ES3_jN6thrust23THRUST_200600_302600_NS6detail15normal_iteratorINSA_10device_ptrIyEEEEPS6_PKS6_NS0_5tupleIJSF_S6_EEENSJ_IJSG_SG_EEENS0_18inequality_wrapperINSA_8equal_toIyEEEEPmJS6_EEE10hipError_tPvRmT3_T4_T5_T6_T7_T9_mT8_P12ihipStream_tbDpT10_ENKUlT_T0_E_clISt17integral_constantIbLb0EES19_IbLb1EEEEDaS15_S16_EUlS15_E_NS1_11comp_targetILNS1_3genE0ELNS1_11target_archE4294967295ELNS1_3gpuE0ELNS1_3repE0EEENS1_30default_config_static_selectorELNS0_4arch9wavefront6targetE1EEEvT1_
    .private_segment_fixed_size: 0
    .sgpr_count:     4
    .sgpr_spill_count: 0
    .symbol:         _ZN7rocprim17ROCPRIM_400000_NS6detail17trampoline_kernelINS0_14default_configENS1_25partition_config_selectorILNS1_17partition_subalgoE8EyNS0_10empty_typeEbEEZZNS1_14partition_implILS5_8ELb0ES3_jN6thrust23THRUST_200600_302600_NS6detail15normal_iteratorINSA_10device_ptrIyEEEEPS6_PKS6_NS0_5tupleIJSF_S6_EEENSJ_IJSG_SG_EEENS0_18inequality_wrapperINSA_8equal_toIyEEEEPmJS6_EEE10hipError_tPvRmT3_T4_T5_T6_T7_T9_mT8_P12ihipStream_tbDpT10_ENKUlT_T0_E_clISt17integral_constantIbLb0EES19_IbLb1EEEEDaS15_S16_EUlS15_E_NS1_11comp_targetILNS1_3genE0ELNS1_11target_archE4294967295ELNS1_3gpuE0ELNS1_3repE0EEENS1_30default_config_static_selectorELNS0_4arch9wavefront6targetE1EEEvT1_.kd
    .uniform_work_group_size: 1
    .uses_dynamic_stack: false
    .vgpr_count:     0
    .vgpr_spill_count: 0
    .wavefront_size: 64
  - .args:
      - .offset:         0
        .size:           128
        .value_kind:     by_value
    .group_segment_fixed_size: 0
    .kernarg_segment_align: 8
    .kernarg_segment_size: 128
    .language:       OpenCL C
    .language_version:
      - 2
      - 0
    .max_flat_workgroup_size: 512
    .name:           _ZN7rocprim17ROCPRIM_400000_NS6detail17trampoline_kernelINS0_14default_configENS1_25partition_config_selectorILNS1_17partition_subalgoE8EyNS0_10empty_typeEbEEZZNS1_14partition_implILS5_8ELb0ES3_jN6thrust23THRUST_200600_302600_NS6detail15normal_iteratorINSA_10device_ptrIyEEEEPS6_PKS6_NS0_5tupleIJSF_S6_EEENSJ_IJSG_SG_EEENS0_18inequality_wrapperINSA_8equal_toIyEEEEPmJS6_EEE10hipError_tPvRmT3_T4_T5_T6_T7_T9_mT8_P12ihipStream_tbDpT10_ENKUlT_T0_E_clISt17integral_constantIbLb0EES19_IbLb1EEEEDaS15_S16_EUlS15_E_NS1_11comp_targetILNS1_3genE5ELNS1_11target_archE942ELNS1_3gpuE9ELNS1_3repE0EEENS1_30default_config_static_selectorELNS0_4arch9wavefront6targetE1EEEvT1_
    .private_segment_fixed_size: 0
    .sgpr_count:     4
    .sgpr_spill_count: 0
    .symbol:         _ZN7rocprim17ROCPRIM_400000_NS6detail17trampoline_kernelINS0_14default_configENS1_25partition_config_selectorILNS1_17partition_subalgoE8EyNS0_10empty_typeEbEEZZNS1_14partition_implILS5_8ELb0ES3_jN6thrust23THRUST_200600_302600_NS6detail15normal_iteratorINSA_10device_ptrIyEEEEPS6_PKS6_NS0_5tupleIJSF_S6_EEENSJ_IJSG_SG_EEENS0_18inequality_wrapperINSA_8equal_toIyEEEEPmJS6_EEE10hipError_tPvRmT3_T4_T5_T6_T7_T9_mT8_P12ihipStream_tbDpT10_ENKUlT_T0_E_clISt17integral_constantIbLb0EES19_IbLb1EEEEDaS15_S16_EUlS15_E_NS1_11comp_targetILNS1_3genE5ELNS1_11target_archE942ELNS1_3gpuE9ELNS1_3repE0EEENS1_30default_config_static_selectorELNS0_4arch9wavefront6targetE1EEEvT1_.kd
    .uniform_work_group_size: 1
    .uses_dynamic_stack: false
    .vgpr_count:     0
    .vgpr_spill_count: 0
    .wavefront_size: 64
  - .args:
      - .offset:         0
        .size:           128
        .value_kind:     by_value
    .group_segment_fixed_size: 0
    .kernarg_segment_align: 8
    .kernarg_segment_size: 128
    .language:       OpenCL C
    .language_version:
      - 2
      - 0
    .max_flat_workgroup_size: 256
    .name:           _ZN7rocprim17ROCPRIM_400000_NS6detail17trampoline_kernelINS0_14default_configENS1_25partition_config_selectorILNS1_17partition_subalgoE8EyNS0_10empty_typeEbEEZZNS1_14partition_implILS5_8ELb0ES3_jN6thrust23THRUST_200600_302600_NS6detail15normal_iteratorINSA_10device_ptrIyEEEEPS6_PKS6_NS0_5tupleIJSF_S6_EEENSJ_IJSG_SG_EEENS0_18inequality_wrapperINSA_8equal_toIyEEEEPmJS6_EEE10hipError_tPvRmT3_T4_T5_T6_T7_T9_mT8_P12ihipStream_tbDpT10_ENKUlT_T0_E_clISt17integral_constantIbLb0EES19_IbLb1EEEEDaS15_S16_EUlS15_E_NS1_11comp_targetILNS1_3genE4ELNS1_11target_archE910ELNS1_3gpuE8ELNS1_3repE0EEENS1_30default_config_static_selectorELNS0_4arch9wavefront6targetE1EEEvT1_
    .private_segment_fixed_size: 0
    .sgpr_count:     4
    .sgpr_spill_count: 0
    .symbol:         _ZN7rocprim17ROCPRIM_400000_NS6detail17trampoline_kernelINS0_14default_configENS1_25partition_config_selectorILNS1_17partition_subalgoE8EyNS0_10empty_typeEbEEZZNS1_14partition_implILS5_8ELb0ES3_jN6thrust23THRUST_200600_302600_NS6detail15normal_iteratorINSA_10device_ptrIyEEEEPS6_PKS6_NS0_5tupleIJSF_S6_EEENSJ_IJSG_SG_EEENS0_18inequality_wrapperINSA_8equal_toIyEEEEPmJS6_EEE10hipError_tPvRmT3_T4_T5_T6_T7_T9_mT8_P12ihipStream_tbDpT10_ENKUlT_T0_E_clISt17integral_constantIbLb0EES19_IbLb1EEEEDaS15_S16_EUlS15_E_NS1_11comp_targetILNS1_3genE4ELNS1_11target_archE910ELNS1_3gpuE8ELNS1_3repE0EEENS1_30default_config_static_selectorELNS0_4arch9wavefront6targetE1EEEvT1_.kd
    .uniform_work_group_size: 1
    .uses_dynamic_stack: false
    .vgpr_count:     0
    .vgpr_spill_count: 0
    .wavefront_size: 64
  - .args:
      - .offset:         0
        .size:           128
        .value_kind:     by_value
    .group_segment_fixed_size: 0
    .kernarg_segment_align: 8
    .kernarg_segment_size: 128
    .language:       OpenCL C
    .language_version:
      - 2
      - 0
    .max_flat_workgroup_size: 512
    .name:           _ZN7rocprim17ROCPRIM_400000_NS6detail17trampoline_kernelINS0_14default_configENS1_25partition_config_selectorILNS1_17partition_subalgoE8EyNS0_10empty_typeEbEEZZNS1_14partition_implILS5_8ELb0ES3_jN6thrust23THRUST_200600_302600_NS6detail15normal_iteratorINSA_10device_ptrIyEEEEPS6_PKS6_NS0_5tupleIJSF_S6_EEENSJ_IJSG_SG_EEENS0_18inequality_wrapperINSA_8equal_toIyEEEEPmJS6_EEE10hipError_tPvRmT3_T4_T5_T6_T7_T9_mT8_P12ihipStream_tbDpT10_ENKUlT_T0_E_clISt17integral_constantIbLb0EES19_IbLb1EEEEDaS15_S16_EUlS15_E_NS1_11comp_targetILNS1_3genE3ELNS1_11target_archE908ELNS1_3gpuE7ELNS1_3repE0EEENS1_30default_config_static_selectorELNS0_4arch9wavefront6targetE1EEEvT1_
    .private_segment_fixed_size: 0
    .sgpr_count:     4
    .sgpr_spill_count: 0
    .symbol:         _ZN7rocprim17ROCPRIM_400000_NS6detail17trampoline_kernelINS0_14default_configENS1_25partition_config_selectorILNS1_17partition_subalgoE8EyNS0_10empty_typeEbEEZZNS1_14partition_implILS5_8ELb0ES3_jN6thrust23THRUST_200600_302600_NS6detail15normal_iteratorINSA_10device_ptrIyEEEEPS6_PKS6_NS0_5tupleIJSF_S6_EEENSJ_IJSG_SG_EEENS0_18inequality_wrapperINSA_8equal_toIyEEEEPmJS6_EEE10hipError_tPvRmT3_T4_T5_T6_T7_T9_mT8_P12ihipStream_tbDpT10_ENKUlT_T0_E_clISt17integral_constantIbLb0EES19_IbLb1EEEEDaS15_S16_EUlS15_E_NS1_11comp_targetILNS1_3genE3ELNS1_11target_archE908ELNS1_3gpuE7ELNS1_3repE0EEENS1_30default_config_static_selectorELNS0_4arch9wavefront6targetE1EEEvT1_.kd
    .uniform_work_group_size: 1
    .uses_dynamic_stack: false
    .vgpr_count:     0
    .vgpr_spill_count: 0
    .wavefront_size: 64
  - .args:
      - .offset:         0
        .size:           128
        .value_kind:     by_value
    .group_segment_fixed_size: 14344
    .kernarg_segment_align: 8
    .kernarg_segment_size: 128
    .language:       OpenCL C
    .language_version:
      - 2
      - 0
    .max_flat_workgroup_size: 256
    .name:           _ZN7rocprim17ROCPRIM_400000_NS6detail17trampoline_kernelINS0_14default_configENS1_25partition_config_selectorILNS1_17partition_subalgoE8EyNS0_10empty_typeEbEEZZNS1_14partition_implILS5_8ELb0ES3_jN6thrust23THRUST_200600_302600_NS6detail15normal_iteratorINSA_10device_ptrIyEEEEPS6_PKS6_NS0_5tupleIJSF_S6_EEENSJ_IJSG_SG_EEENS0_18inequality_wrapperINSA_8equal_toIyEEEEPmJS6_EEE10hipError_tPvRmT3_T4_T5_T6_T7_T9_mT8_P12ihipStream_tbDpT10_ENKUlT_T0_E_clISt17integral_constantIbLb0EES19_IbLb1EEEEDaS15_S16_EUlS15_E_NS1_11comp_targetILNS1_3genE2ELNS1_11target_archE906ELNS1_3gpuE6ELNS1_3repE0EEENS1_30default_config_static_selectorELNS0_4arch9wavefront6targetE1EEEvT1_
    .private_segment_fixed_size: 0
    .sgpr_count:     43
    .sgpr_spill_count: 0
    .symbol:         _ZN7rocprim17ROCPRIM_400000_NS6detail17trampoline_kernelINS0_14default_configENS1_25partition_config_selectorILNS1_17partition_subalgoE8EyNS0_10empty_typeEbEEZZNS1_14partition_implILS5_8ELb0ES3_jN6thrust23THRUST_200600_302600_NS6detail15normal_iteratorINSA_10device_ptrIyEEEEPS6_PKS6_NS0_5tupleIJSF_S6_EEENSJ_IJSG_SG_EEENS0_18inequality_wrapperINSA_8equal_toIyEEEEPmJS6_EEE10hipError_tPvRmT3_T4_T5_T6_T7_T9_mT8_P12ihipStream_tbDpT10_ENKUlT_T0_E_clISt17integral_constantIbLb0EES19_IbLb1EEEEDaS15_S16_EUlS15_E_NS1_11comp_targetILNS1_3genE2ELNS1_11target_archE906ELNS1_3gpuE6ELNS1_3repE0EEENS1_30default_config_static_selectorELNS0_4arch9wavefront6targetE1EEEvT1_.kd
    .uniform_work_group_size: 1
    .uses_dynamic_stack: false
    .vgpr_count:     60
    .vgpr_spill_count: 0
    .wavefront_size: 64
  - .args:
      - .offset:         0
        .size:           128
        .value_kind:     by_value
    .group_segment_fixed_size: 0
    .kernarg_segment_align: 8
    .kernarg_segment_size: 128
    .language:       OpenCL C
    .language_version:
      - 2
      - 0
    .max_flat_workgroup_size: 384
    .name:           _ZN7rocprim17ROCPRIM_400000_NS6detail17trampoline_kernelINS0_14default_configENS1_25partition_config_selectorILNS1_17partition_subalgoE8EyNS0_10empty_typeEbEEZZNS1_14partition_implILS5_8ELb0ES3_jN6thrust23THRUST_200600_302600_NS6detail15normal_iteratorINSA_10device_ptrIyEEEEPS6_PKS6_NS0_5tupleIJSF_S6_EEENSJ_IJSG_SG_EEENS0_18inequality_wrapperINSA_8equal_toIyEEEEPmJS6_EEE10hipError_tPvRmT3_T4_T5_T6_T7_T9_mT8_P12ihipStream_tbDpT10_ENKUlT_T0_E_clISt17integral_constantIbLb0EES19_IbLb1EEEEDaS15_S16_EUlS15_E_NS1_11comp_targetILNS1_3genE10ELNS1_11target_archE1200ELNS1_3gpuE4ELNS1_3repE0EEENS1_30default_config_static_selectorELNS0_4arch9wavefront6targetE1EEEvT1_
    .private_segment_fixed_size: 0
    .sgpr_count:     4
    .sgpr_spill_count: 0
    .symbol:         _ZN7rocprim17ROCPRIM_400000_NS6detail17trampoline_kernelINS0_14default_configENS1_25partition_config_selectorILNS1_17partition_subalgoE8EyNS0_10empty_typeEbEEZZNS1_14partition_implILS5_8ELb0ES3_jN6thrust23THRUST_200600_302600_NS6detail15normal_iteratorINSA_10device_ptrIyEEEEPS6_PKS6_NS0_5tupleIJSF_S6_EEENSJ_IJSG_SG_EEENS0_18inequality_wrapperINSA_8equal_toIyEEEEPmJS6_EEE10hipError_tPvRmT3_T4_T5_T6_T7_T9_mT8_P12ihipStream_tbDpT10_ENKUlT_T0_E_clISt17integral_constantIbLb0EES19_IbLb1EEEEDaS15_S16_EUlS15_E_NS1_11comp_targetILNS1_3genE10ELNS1_11target_archE1200ELNS1_3gpuE4ELNS1_3repE0EEENS1_30default_config_static_selectorELNS0_4arch9wavefront6targetE1EEEvT1_.kd
    .uniform_work_group_size: 1
    .uses_dynamic_stack: false
    .vgpr_count:     0
    .vgpr_spill_count: 0
    .wavefront_size: 64
  - .args:
      - .offset:         0
        .size:           128
        .value_kind:     by_value
    .group_segment_fixed_size: 0
    .kernarg_segment_align: 8
    .kernarg_segment_size: 128
    .language:       OpenCL C
    .language_version:
      - 2
      - 0
    .max_flat_workgroup_size: 512
    .name:           _ZN7rocprim17ROCPRIM_400000_NS6detail17trampoline_kernelINS0_14default_configENS1_25partition_config_selectorILNS1_17partition_subalgoE8EyNS0_10empty_typeEbEEZZNS1_14partition_implILS5_8ELb0ES3_jN6thrust23THRUST_200600_302600_NS6detail15normal_iteratorINSA_10device_ptrIyEEEEPS6_PKS6_NS0_5tupleIJSF_S6_EEENSJ_IJSG_SG_EEENS0_18inequality_wrapperINSA_8equal_toIyEEEEPmJS6_EEE10hipError_tPvRmT3_T4_T5_T6_T7_T9_mT8_P12ihipStream_tbDpT10_ENKUlT_T0_E_clISt17integral_constantIbLb0EES19_IbLb1EEEEDaS15_S16_EUlS15_E_NS1_11comp_targetILNS1_3genE9ELNS1_11target_archE1100ELNS1_3gpuE3ELNS1_3repE0EEENS1_30default_config_static_selectorELNS0_4arch9wavefront6targetE1EEEvT1_
    .private_segment_fixed_size: 0
    .sgpr_count:     4
    .sgpr_spill_count: 0
    .symbol:         _ZN7rocprim17ROCPRIM_400000_NS6detail17trampoline_kernelINS0_14default_configENS1_25partition_config_selectorILNS1_17partition_subalgoE8EyNS0_10empty_typeEbEEZZNS1_14partition_implILS5_8ELb0ES3_jN6thrust23THRUST_200600_302600_NS6detail15normal_iteratorINSA_10device_ptrIyEEEEPS6_PKS6_NS0_5tupleIJSF_S6_EEENSJ_IJSG_SG_EEENS0_18inequality_wrapperINSA_8equal_toIyEEEEPmJS6_EEE10hipError_tPvRmT3_T4_T5_T6_T7_T9_mT8_P12ihipStream_tbDpT10_ENKUlT_T0_E_clISt17integral_constantIbLb0EES19_IbLb1EEEEDaS15_S16_EUlS15_E_NS1_11comp_targetILNS1_3genE9ELNS1_11target_archE1100ELNS1_3gpuE3ELNS1_3repE0EEENS1_30default_config_static_selectorELNS0_4arch9wavefront6targetE1EEEvT1_.kd
    .uniform_work_group_size: 1
    .uses_dynamic_stack: false
    .vgpr_count:     0
    .vgpr_spill_count: 0
    .wavefront_size: 64
  - .args:
      - .offset:         0
        .size:           128
        .value_kind:     by_value
    .group_segment_fixed_size: 0
    .kernarg_segment_align: 8
    .kernarg_segment_size: 128
    .language:       OpenCL C
    .language_version:
      - 2
      - 0
    .max_flat_workgroup_size: 512
    .name:           _ZN7rocprim17ROCPRIM_400000_NS6detail17trampoline_kernelINS0_14default_configENS1_25partition_config_selectorILNS1_17partition_subalgoE8EyNS0_10empty_typeEbEEZZNS1_14partition_implILS5_8ELb0ES3_jN6thrust23THRUST_200600_302600_NS6detail15normal_iteratorINSA_10device_ptrIyEEEEPS6_PKS6_NS0_5tupleIJSF_S6_EEENSJ_IJSG_SG_EEENS0_18inequality_wrapperINSA_8equal_toIyEEEEPmJS6_EEE10hipError_tPvRmT3_T4_T5_T6_T7_T9_mT8_P12ihipStream_tbDpT10_ENKUlT_T0_E_clISt17integral_constantIbLb0EES19_IbLb1EEEEDaS15_S16_EUlS15_E_NS1_11comp_targetILNS1_3genE8ELNS1_11target_archE1030ELNS1_3gpuE2ELNS1_3repE0EEENS1_30default_config_static_selectorELNS0_4arch9wavefront6targetE1EEEvT1_
    .private_segment_fixed_size: 0
    .sgpr_count:     4
    .sgpr_spill_count: 0
    .symbol:         _ZN7rocprim17ROCPRIM_400000_NS6detail17trampoline_kernelINS0_14default_configENS1_25partition_config_selectorILNS1_17partition_subalgoE8EyNS0_10empty_typeEbEEZZNS1_14partition_implILS5_8ELb0ES3_jN6thrust23THRUST_200600_302600_NS6detail15normal_iteratorINSA_10device_ptrIyEEEEPS6_PKS6_NS0_5tupleIJSF_S6_EEENSJ_IJSG_SG_EEENS0_18inequality_wrapperINSA_8equal_toIyEEEEPmJS6_EEE10hipError_tPvRmT3_T4_T5_T6_T7_T9_mT8_P12ihipStream_tbDpT10_ENKUlT_T0_E_clISt17integral_constantIbLb0EES19_IbLb1EEEEDaS15_S16_EUlS15_E_NS1_11comp_targetILNS1_3genE8ELNS1_11target_archE1030ELNS1_3gpuE2ELNS1_3repE0EEENS1_30default_config_static_selectorELNS0_4arch9wavefront6targetE1EEEvT1_.kd
    .uniform_work_group_size: 1
    .uses_dynamic_stack: false
    .vgpr_count:     0
    .vgpr_spill_count: 0
    .wavefront_size: 64
  - .args:
      - .offset:         0
        .size:           112
        .value_kind:     by_value
    .group_segment_fixed_size: 0
    .kernarg_segment_align: 8
    .kernarg_segment_size: 112
    .language:       OpenCL C
    .language_version:
      - 2
      - 0
    .max_flat_workgroup_size: 512
    .name:           _ZN7rocprim17ROCPRIM_400000_NS6detail17trampoline_kernelINS0_14default_configENS1_25partition_config_selectorILNS1_17partition_subalgoE8EyNS0_10empty_typeEbEEZZNS1_14partition_implILS5_8ELb0ES3_jN6thrust23THRUST_200600_302600_NS6detail15normal_iteratorINSA_10device_ptrIyEEEEPS6_PKS6_NS0_5tupleIJSF_S6_EEENSJ_IJSG_SG_EEENS0_18inequality_wrapperI22is_equal_div_10_uniqueIyEEEPmJS6_EEE10hipError_tPvRmT3_T4_T5_T6_T7_T9_mT8_P12ihipStream_tbDpT10_ENKUlT_T0_E_clISt17integral_constantIbLb0EES1A_EEDaS15_S16_EUlS15_E_NS1_11comp_targetILNS1_3genE0ELNS1_11target_archE4294967295ELNS1_3gpuE0ELNS1_3repE0EEENS1_30default_config_static_selectorELNS0_4arch9wavefront6targetE1EEEvT1_
    .private_segment_fixed_size: 0
    .sgpr_count:     4
    .sgpr_spill_count: 0
    .symbol:         _ZN7rocprim17ROCPRIM_400000_NS6detail17trampoline_kernelINS0_14default_configENS1_25partition_config_selectorILNS1_17partition_subalgoE8EyNS0_10empty_typeEbEEZZNS1_14partition_implILS5_8ELb0ES3_jN6thrust23THRUST_200600_302600_NS6detail15normal_iteratorINSA_10device_ptrIyEEEEPS6_PKS6_NS0_5tupleIJSF_S6_EEENSJ_IJSG_SG_EEENS0_18inequality_wrapperI22is_equal_div_10_uniqueIyEEEPmJS6_EEE10hipError_tPvRmT3_T4_T5_T6_T7_T9_mT8_P12ihipStream_tbDpT10_ENKUlT_T0_E_clISt17integral_constantIbLb0EES1A_EEDaS15_S16_EUlS15_E_NS1_11comp_targetILNS1_3genE0ELNS1_11target_archE4294967295ELNS1_3gpuE0ELNS1_3repE0EEENS1_30default_config_static_selectorELNS0_4arch9wavefront6targetE1EEEvT1_.kd
    .uniform_work_group_size: 1
    .uses_dynamic_stack: false
    .vgpr_count:     0
    .vgpr_spill_count: 0
    .wavefront_size: 64
  - .args:
      - .offset:         0
        .size:           112
        .value_kind:     by_value
    .group_segment_fixed_size: 0
    .kernarg_segment_align: 8
    .kernarg_segment_size: 112
    .language:       OpenCL C
    .language_version:
      - 2
      - 0
    .max_flat_workgroup_size: 512
    .name:           _ZN7rocprim17ROCPRIM_400000_NS6detail17trampoline_kernelINS0_14default_configENS1_25partition_config_selectorILNS1_17partition_subalgoE8EyNS0_10empty_typeEbEEZZNS1_14partition_implILS5_8ELb0ES3_jN6thrust23THRUST_200600_302600_NS6detail15normal_iteratorINSA_10device_ptrIyEEEEPS6_PKS6_NS0_5tupleIJSF_S6_EEENSJ_IJSG_SG_EEENS0_18inequality_wrapperI22is_equal_div_10_uniqueIyEEEPmJS6_EEE10hipError_tPvRmT3_T4_T5_T6_T7_T9_mT8_P12ihipStream_tbDpT10_ENKUlT_T0_E_clISt17integral_constantIbLb0EES1A_EEDaS15_S16_EUlS15_E_NS1_11comp_targetILNS1_3genE5ELNS1_11target_archE942ELNS1_3gpuE9ELNS1_3repE0EEENS1_30default_config_static_selectorELNS0_4arch9wavefront6targetE1EEEvT1_
    .private_segment_fixed_size: 0
    .sgpr_count:     4
    .sgpr_spill_count: 0
    .symbol:         _ZN7rocprim17ROCPRIM_400000_NS6detail17trampoline_kernelINS0_14default_configENS1_25partition_config_selectorILNS1_17partition_subalgoE8EyNS0_10empty_typeEbEEZZNS1_14partition_implILS5_8ELb0ES3_jN6thrust23THRUST_200600_302600_NS6detail15normal_iteratorINSA_10device_ptrIyEEEEPS6_PKS6_NS0_5tupleIJSF_S6_EEENSJ_IJSG_SG_EEENS0_18inequality_wrapperI22is_equal_div_10_uniqueIyEEEPmJS6_EEE10hipError_tPvRmT3_T4_T5_T6_T7_T9_mT8_P12ihipStream_tbDpT10_ENKUlT_T0_E_clISt17integral_constantIbLb0EES1A_EEDaS15_S16_EUlS15_E_NS1_11comp_targetILNS1_3genE5ELNS1_11target_archE942ELNS1_3gpuE9ELNS1_3repE0EEENS1_30default_config_static_selectorELNS0_4arch9wavefront6targetE1EEEvT1_.kd
    .uniform_work_group_size: 1
    .uses_dynamic_stack: false
    .vgpr_count:     0
    .vgpr_spill_count: 0
    .wavefront_size: 64
  - .args:
      - .offset:         0
        .size:           112
        .value_kind:     by_value
    .group_segment_fixed_size: 0
    .kernarg_segment_align: 8
    .kernarg_segment_size: 112
    .language:       OpenCL C
    .language_version:
      - 2
      - 0
    .max_flat_workgroup_size: 256
    .name:           _ZN7rocprim17ROCPRIM_400000_NS6detail17trampoline_kernelINS0_14default_configENS1_25partition_config_selectorILNS1_17partition_subalgoE8EyNS0_10empty_typeEbEEZZNS1_14partition_implILS5_8ELb0ES3_jN6thrust23THRUST_200600_302600_NS6detail15normal_iteratorINSA_10device_ptrIyEEEEPS6_PKS6_NS0_5tupleIJSF_S6_EEENSJ_IJSG_SG_EEENS0_18inequality_wrapperI22is_equal_div_10_uniqueIyEEEPmJS6_EEE10hipError_tPvRmT3_T4_T5_T6_T7_T9_mT8_P12ihipStream_tbDpT10_ENKUlT_T0_E_clISt17integral_constantIbLb0EES1A_EEDaS15_S16_EUlS15_E_NS1_11comp_targetILNS1_3genE4ELNS1_11target_archE910ELNS1_3gpuE8ELNS1_3repE0EEENS1_30default_config_static_selectorELNS0_4arch9wavefront6targetE1EEEvT1_
    .private_segment_fixed_size: 0
    .sgpr_count:     4
    .sgpr_spill_count: 0
    .symbol:         _ZN7rocprim17ROCPRIM_400000_NS6detail17trampoline_kernelINS0_14default_configENS1_25partition_config_selectorILNS1_17partition_subalgoE8EyNS0_10empty_typeEbEEZZNS1_14partition_implILS5_8ELb0ES3_jN6thrust23THRUST_200600_302600_NS6detail15normal_iteratorINSA_10device_ptrIyEEEEPS6_PKS6_NS0_5tupleIJSF_S6_EEENSJ_IJSG_SG_EEENS0_18inequality_wrapperI22is_equal_div_10_uniqueIyEEEPmJS6_EEE10hipError_tPvRmT3_T4_T5_T6_T7_T9_mT8_P12ihipStream_tbDpT10_ENKUlT_T0_E_clISt17integral_constantIbLb0EES1A_EEDaS15_S16_EUlS15_E_NS1_11comp_targetILNS1_3genE4ELNS1_11target_archE910ELNS1_3gpuE8ELNS1_3repE0EEENS1_30default_config_static_selectorELNS0_4arch9wavefront6targetE1EEEvT1_.kd
    .uniform_work_group_size: 1
    .uses_dynamic_stack: false
    .vgpr_count:     0
    .vgpr_spill_count: 0
    .wavefront_size: 64
  - .args:
      - .offset:         0
        .size:           112
        .value_kind:     by_value
    .group_segment_fixed_size: 0
    .kernarg_segment_align: 8
    .kernarg_segment_size: 112
    .language:       OpenCL C
    .language_version:
      - 2
      - 0
    .max_flat_workgroup_size: 512
    .name:           _ZN7rocprim17ROCPRIM_400000_NS6detail17trampoline_kernelINS0_14default_configENS1_25partition_config_selectorILNS1_17partition_subalgoE8EyNS0_10empty_typeEbEEZZNS1_14partition_implILS5_8ELb0ES3_jN6thrust23THRUST_200600_302600_NS6detail15normal_iteratorINSA_10device_ptrIyEEEEPS6_PKS6_NS0_5tupleIJSF_S6_EEENSJ_IJSG_SG_EEENS0_18inequality_wrapperI22is_equal_div_10_uniqueIyEEEPmJS6_EEE10hipError_tPvRmT3_T4_T5_T6_T7_T9_mT8_P12ihipStream_tbDpT10_ENKUlT_T0_E_clISt17integral_constantIbLb0EES1A_EEDaS15_S16_EUlS15_E_NS1_11comp_targetILNS1_3genE3ELNS1_11target_archE908ELNS1_3gpuE7ELNS1_3repE0EEENS1_30default_config_static_selectorELNS0_4arch9wavefront6targetE1EEEvT1_
    .private_segment_fixed_size: 0
    .sgpr_count:     4
    .sgpr_spill_count: 0
    .symbol:         _ZN7rocprim17ROCPRIM_400000_NS6detail17trampoline_kernelINS0_14default_configENS1_25partition_config_selectorILNS1_17partition_subalgoE8EyNS0_10empty_typeEbEEZZNS1_14partition_implILS5_8ELb0ES3_jN6thrust23THRUST_200600_302600_NS6detail15normal_iteratorINSA_10device_ptrIyEEEEPS6_PKS6_NS0_5tupleIJSF_S6_EEENSJ_IJSG_SG_EEENS0_18inequality_wrapperI22is_equal_div_10_uniqueIyEEEPmJS6_EEE10hipError_tPvRmT3_T4_T5_T6_T7_T9_mT8_P12ihipStream_tbDpT10_ENKUlT_T0_E_clISt17integral_constantIbLb0EES1A_EEDaS15_S16_EUlS15_E_NS1_11comp_targetILNS1_3genE3ELNS1_11target_archE908ELNS1_3gpuE7ELNS1_3repE0EEENS1_30default_config_static_selectorELNS0_4arch9wavefront6targetE1EEEvT1_.kd
    .uniform_work_group_size: 1
    .uses_dynamic_stack: false
    .vgpr_count:     0
    .vgpr_spill_count: 0
    .wavefront_size: 64
  - .args:
      - .offset:         0
        .size:           112
        .value_kind:     by_value
    .group_segment_fixed_size: 14344
    .kernarg_segment_align: 8
    .kernarg_segment_size: 112
    .language:       OpenCL C
    .language_version:
      - 2
      - 0
    .max_flat_workgroup_size: 256
    .name:           _ZN7rocprim17ROCPRIM_400000_NS6detail17trampoline_kernelINS0_14default_configENS1_25partition_config_selectorILNS1_17partition_subalgoE8EyNS0_10empty_typeEbEEZZNS1_14partition_implILS5_8ELb0ES3_jN6thrust23THRUST_200600_302600_NS6detail15normal_iteratorINSA_10device_ptrIyEEEEPS6_PKS6_NS0_5tupleIJSF_S6_EEENSJ_IJSG_SG_EEENS0_18inequality_wrapperI22is_equal_div_10_uniqueIyEEEPmJS6_EEE10hipError_tPvRmT3_T4_T5_T6_T7_T9_mT8_P12ihipStream_tbDpT10_ENKUlT_T0_E_clISt17integral_constantIbLb0EES1A_EEDaS15_S16_EUlS15_E_NS1_11comp_targetILNS1_3genE2ELNS1_11target_archE906ELNS1_3gpuE6ELNS1_3repE0EEENS1_30default_config_static_selectorELNS0_4arch9wavefront6targetE1EEEvT1_
    .private_segment_fixed_size: 0
    .sgpr_count:     44
    .sgpr_spill_count: 0
    .symbol:         _ZN7rocprim17ROCPRIM_400000_NS6detail17trampoline_kernelINS0_14default_configENS1_25partition_config_selectorILNS1_17partition_subalgoE8EyNS0_10empty_typeEbEEZZNS1_14partition_implILS5_8ELb0ES3_jN6thrust23THRUST_200600_302600_NS6detail15normal_iteratorINSA_10device_ptrIyEEEEPS6_PKS6_NS0_5tupleIJSF_S6_EEENSJ_IJSG_SG_EEENS0_18inequality_wrapperI22is_equal_div_10_uniqueIyEEEPmJS6_EEE10hipError_tPvRmT3_T4_T5_T6_T7_T9_mT8_P12ihipStream_tbDpT10_ENKUlT_T0_E_clISt17integral_constantIbLb0EES1A_EEDaS15_S16_EUlS15_E_NS1_11comp_targetILNS1_3genE2ELNS1_11target_archE906ELNS1_3gpuE6ELNS1_3repE0EEENS1_30default_config_static_selectorELNS0_4arch9wavefront6targetE1EEEvT1_.kd
    .uniform_work_group_size: 1
    .uses_dynamic_stack: false
    .vgpr_count:     58
    .vgpr_spill_count: 0
    .wavefront_size: 64
  - .args:
      - .offset:         0
        .size:           112
        .value_kind:     by_value
    .group_segment_fixed_size: 0
    .kernarg_segment_align: 8
    .kernarg_segment_size: 112
    .language:       OpenCL C
    .language_version:
      - 2
      - 0
    .max_flat_workgroup_size: 384
    .name:           _ZN7rocprim17ROCPRIM_400000_NS6detail17trampoline_kernelINS0_14default_configENS1_25partition_config_selectorILNS1_17partition_subalgoE8EyNS0_10empty_typeEbEEZZNS1_14partition_implILS5_8ELb0ES3_jN6thrust23THRUST_200600_302600_NS6detail15normal_iteratorINSA_10device_ptrIyEEEEPS6_PKS6_NS0_5tupleIJSF_S6_EEENSJ_IJSG_SG_EEENS0_18inequality_wrapperI22is_equal_div_10_uniqueIyEEEPmJS6_EEE10hipError_tPvRmT3_T4_T5_T6_T7_T9_mT8_P12ihipStream_tbDpT10_ENKUlT_T0_E_clISt17integral_constantIbLb0EES1A_EEDaS15_S16_EUlS15_E_NS1_11comp_targetILNS1_3genE10ELNS1_11target_archE1200ELNS1_3gpuE4ELNS1_3repE0EEENS1_30default_config_static_selectorELNS0_4arch9wavefront6targetE1EEEvT1_
    .private_segment_fixed_size: 0
    .sgpr_count:     4
    .sgpr_spill_count: 0
    .symbol:         _ZN7rocprim17ROCPRIM_400000_NS6detail17trampoline_kernelINS0_14default_configENS1_25partition_config_selectorILNS1_17partition_subalgoE8EyNS0_10empty_typeEbEEZZNS1_14partition_implILS5_8ELb0ES3_jN6thrust23THRUST_200600_302600_NS6detail15normal_iteratorINSA_10device_ptrIyEEEEPS6_PKS6_NS0_5tupleIJSF_S6_EEENSJ_IJSG_SG_EEENS0_18inequality_wrapperI22is_equal_div_10_uniqueIyEEEPmJS6_EEE10hipError_tPvRmT3_T4_T5_T6_T7_T9_mT8_P12ihipStream_tbDpT10_ENKUlT_T0_E_clISt17integral_constantIbLb0EES1A_EEDaS15_S16_EUlS15_E_NS1_11comp_targetILNS1_3genE10ELNS1_11target_archE1200ELNS1_3gpuE4ELNS1_3repE0EEENS1_30default_config_static_selectorELNS0_4arch9wavefront6targetE1EEEvT1_.kd
    .uniform_work_group_size: 1
    .uses_dynamic_stack: false
    .vgpr_count:     0
    .vgpr_spill_count: 0
    .wavefront_size: 64
  - .args:
      - .offset:         0
        .size:           112
        .value_kind:     by_value
    .group_segment_fixed_size: 0
    .kernarg_segment_align: 8
    .kernarg_segment_size: 112
    .language:       OpenCL C
    .language_version:
      - 2
      - 0
    .max_flat_workgroup_size: 512
    .name:           _ZN7rocprim17ROCPRIM_400000_NS6detail17trampoline_kernelINS0_14default_configENS1_25partition_config_selectorILNS1_17partition_subalgoE8EyNS0_10empty_typeEbEEZZNS1_14partition_implILS5_8ELb0ES3_jN6thrust23THRUST_200600_302600_NS6detail15normal_iteratorINSA_10device_ptrIyEEEEPS6_PKS6_NS0_5tupleIJSF_S6_EEENSJ_IJSG_SG_EEENS0_18inequality_wrapperI22is_equal_div_10_uniqueIyEEEPmJS6_EEE10hipError_tPvRmT3_T4_T5_T6_T7_T9_mT8_P12ihipStream_tbDpT10_ENKUlT_T0_E_clISt17integral_constantIbLb0EES1A_EEDaS15_S16_EUlS15_E_NS1_11comp_targetILNS1_3genE9ELNS1_11target_archE1100ELNS1_3gpuE3ELNS1_3repE0EEENS1_30default_config_static_selectorELNS0_4arch9wavefront6targetE1EEEvT1_
    .private_segment_fixed_size: 0
    .sgpr_count:     4
    .sgpr_spill_count: 0
    .symbol:         _ZN7rocprim17ROCPRIM_400000_NS6detail17trampoline_kernelINS0_14default_configENS1_25partition_config_selectorILNS1_17partition_subalgoE8EyNS0_10empty_typeEbEEZZNS1_14partition_implILS5_8ELb0ES3_jN6thrust23THRUST_200600_302600_NS6detail15normal_iteratorINSA_10device_ptrIyEEEEPS6_PKS6_NS0_5tupleIJSF_S6_EEENSJ_IJSG_SG_EEENS0_18inequality_wrapperI22is_equal_div_10_uniqueIyEEEPmJS6_EEE10hipError_tPvRmT3_T4_T5_T6_T7_T9_mT8_P12ihipStream_tbDpT10_ENKUlT_T0_E_clISt17integral_constantIbLb0EES1A_EEDaS15_S16_EUlS15_E_NS1_11comp_targetILNS1_3genE9ELNS1_11target_archE1100ELNS1_3gpuE3ELNS1_3repE0EEENS1_30default_config_static_selectorELNS0_4arch9wavefront6targetE1EEEvT1_.kd
    .uniform_work_group_size: 1
    .uses_dynamic_stack: false
    .vgpr_count:     0
    .vgpr_spill_count: 0
    .wavefront_size: 64
  - .args:
      - .offset:         0
        .size:           112
        .value_kind:     by_value
    .group_segment_fixed_size: 0
    .kernarg_segment_align: 8
    .kernarg_segment_size: 112
    .language:       OpenCL C
    .language_version:
      - 2
      - 0
    .max_flat_workgroup_size: 512
    .name:           _ZN7rocprim17ROCPRIM_400000_NS6detail17trampoline_kernelINS0_14default_configENS1_25partition_config_selectorILNS1_17partition_subalgoE8EyNS0_10empty_typeEbEEZZNS1_14partition_implILS5_8ELb0ES3_jN6thrust23THRUST_200600_302600_NS6detail15normal_iteratorINSA_10device_ptrIyEEEEPS6_PKS6_NS0_5tupleIJSF_S6_EEENSJ_IJSG_SG_EEENS0_18inequality_wrapperI22is_equal_div_10_uniqueIyEEEPmJS6_EEE10hipError_tPvRmT3_T4_T5_T6_T7_T9_mT8_P12ihipStream_tbDpT10_ENKUlT_T0_E_clISt17integral_constantIbLb0EES1A_EEDaS15_S16_EUlS15_E_NS1_11comp_targetILNS1_3genE8ELNS1_11target_archE1030ELNS1_3gpuE2ELNS1_3repE0EEENS1_30default_config_static_selectorELNS0_4arch9wavefront6targetE1EEEvT1_
    .private_segment_fixed_size: 0
    .sgpr_count:     4
    .sgpr_spill_count: 0
    .symbol:         _ZN7rocprim17ROCPRIM_400000_NS6detail17trampoline_kernelINS0_14default_configENS1_25partition_config_selectorILNS1_17partition_subalgoE8EyNS0_10empty_typeEbEEZZNS1_14partition_implILS5_8ELb0ES3_jN6thrust23THRUST_200600_302600_NS6detail15normal_iteratorINSA_10device_ptrIyEEEEPS6_PKS6_NS0_5tupleIJSF_S6_EEENSJ_IJSG_SG_EEENS0_18inequality_wrapperI22is_equal_div_10_uniqueIyEEEPmJS6_EEE10hipError_tPvRmT3_T4_T5_T6_T7_T9_mT8_P12ihipStream_tbDpT10_ENKUlT_T0_E_clISt17integral_constantIbLb0EES1A_EEDaS15_S16_EUlS15_E_NS1_11comp_targetILNS1_3genE8ELNS1_11target_archE1030ELNS1_3gpuE2ELNS1_3repE0EEENS1_30default_config_static_selectorELNS0_4arch9wavefront6targetE1EEEvT1_.kd
    .uniform_work_group_size: 1
    .uses_dynamic_stack: false
    .vgpr_count:     0
    .vgpr_spill_count: 0
    .wavefront_size: 64
  - .args:
      - .offset:         0
        .size:           128
        .value_kind:     by_value
    .group_segment_fixed_size: 0
    .kernarg_segment_align: 8
    .kernarg_segment_size: 128
    .language:       OpenCL C
    .language_version:
      - 2
      - 0
    .max_flat_workgroup_size: 512
    .name:           _ZN7rocprim17ROCPRIM_400000_NS6detail17trampoline_kernelINS0_14default_configENS1_25partition_config_selectorILNS1_17partition_subalgoE8EyNS0_10empty_typeEbEEZZNS1_14partition_implILS5_8ELb0ES3_jN6thrust23THRUST_200600_302600_NS6detail15normal_iteratorINSA_10device_ptrIyEEEEPS6_PKS6_NS0_5tupleIJSF_S6_EEENSJ_IJSG_SG_EEENS0_18inequality_wrapperI22is_equal_div_10_uniqueIyEEEPmJS6_EEE10hipError_tPvRmT3_T4_T5_T6_T7_T9_mT8_P12ihipStream_tbDpT10_ENKUlT_T0_E_clISt17integral_constantIbLb1EES1A_EEDaS15_S16_EUlS15_E_NS1_11comp_targetILNS1_3genE0ELNS1_11target_archE4294967295ELNS1_3gpuE0ELNS1_3repE0EEENS1_30default_config_static_selectorELNS0_4arch9wavefront6targetE1EEEvT1_
    .private_segment_fixed_size: 0
    .sgpr_count:     4
    .sgpr_spill_count: 0
    .symbol:         _ZN7rocprim17ROCPRIM_400000_NS6detail17trampoline_kernelINS0_14default_configENS1_25partition_config_selectorILNS1_17partition_subalgoE8EyNS0_10empty_typeEbEEZZNS1_14partition_implILS5_8ELb0ES3_jN6thrust23THRUST_200600_302600_NS6detail15normal_iteratorINSA_10device_ptrIyEEEEPS6_PKS6_NS0_5tupleIJSF_S6_EEENSJ_IJSG_SG_EEENS0_18inequality_wrapperI22is_equal_div_10_uniqueIyEEEPmJS6_EEE10hipError_tPvRmT3_T4_T5_T6_T7_T9_mT8_P12ihipStream_tbDpT10_ENKUlT_T0_E_clISt17integral_constantIbLb1EES1A_EEDaS15_S16_EUlS15_E_NS1_11comp_targetILNS1_3genE0ELNS1_11target_archE4294967295ELNS1_3gpuE0ELNS1_3repE0EEENS1_30default_config_static_selectorELNS0_4arch9wavefront6targetE1EEEvT1_.kd
    .uniform_work_group_size: 1
    .uses_dynamic_stack: false
    .vgpr_count:     0
    .vgpr_spill_count: 0
    .wavefront_size: 64
  - .args:
      - .offset:         0
        .size:           128
        .value_kind:     by_value
    .group_segment_fixed_size: 0
    .kernarg_segment_align: 8
    .kernarg_segment_size: 128
    .language:       OpenCL C
    .language_version:
      - 2
      - 0
    .max_flat_workgroup_size: 512
    .name:           _ZN7rocprim17ROCPRIM_400000_NS6detail17trampoline_kernelINS0_14default_configENS1_25partition_config_selectorILNS1_17partition_subalgoE8EyNS0_10empty_typeEbEEZZNS1_14partition_implILS5_8ELb0ES3_jN6thrust23THRUST_200600_302600_NS6detail15normal_iteratorINSA_10device_ptrIyEEEEPS6_PKS6_NS0_5tupleIJSF_S6_EEENSJ_IJSG_SG_EEENS0_18inequality_wrapperI22is_equal_div_10_uniqueIyEEEPmJS6_EEE10hipError_tPvRmT3_T4_T5_T6_T7_T9_mT8_P12ihipStream_tbDpT10_ENKUlT_T0_E_clISt17integral_constantIbLb1EES1A_EEDaS15_S16_EUlS15_E_NS1_11comp_targetILNS1_3genE5ELNS1_11target_archE942ELNS1_3gpuE9ELNS1_3repE0EEENS1_30default_config_static_selectorELNS0_4arch9wavefront6targetE1EEEvT1_
    .private_segment_fixed_size: 0
    .sgpr_count:     4
    .sgpr_spill_count: 0
    .symbol:         _ZN7rocprim17ROCPRIM_400000_NS6detail17trampoline_kernelINS0_14default_configENS1_25partition_config_selectorILNS1_17partition_subalgoE8EyNS0_10empty_typeEbEEZZNS1_14partition_implILS5_8ELb0ES3_jN6thrust23THRUST_200600_302600_NS6detail15normal_iteratorINSA_10device_ptrIyEEEEPS6_PKS6_NS0_5tupleIJSF_S6_EEENSJ_IJSG_SG_EEENS0_18inequality_wrapperI22is_equal_div_10_uniqueIyEEEPmJS6_EEE10hipError_tPvRmT3_T4_T5_T6_T7_T9_mT8_P12ihipStream_tbDpT10_ENKUlT_T0_E_clISt17integral_constantIbLb1EES1A_EEDaS15_S16_EUlS15_E_NS1_11comp_targetILNS1_3genE5ELNS1_11target_archE942ELNS1_3gpuE9ELNS1_3repE0EEENS1_30default_config_static_selectorELNS0_4arch9wavefront6targetE1EEEvT1_.kd
    .uniform_work_group_size: 1
    .uses_dynamic_stack: false
    .vgpr_count:     0
    .vgpr_spill_count: 0
    .wavefront_size: 64
  - .args:
      - .offset:         0
        .size:           128
        .value_kind:     by_value
    .group_segment_fixed_size: 0
    .kernarg_segment_align: 8
    .kernarg_segment_size: 128
    .language:       OpenCL C
    .language_version:
      - 2
      - 0
    .max_flat_workgroup_size: 256
    .name:           _ZN7rocprim17ROCPRIM_400000_NS6detail17trampoline_kernelINS0_14default_configENS1_25partition_config_selectorILNS1_17partition_subalgoE8EyNS0_10empty_typeEbEEZZNS1_14partition_implILS5_8ELb0ES3_jN6thrust23THRUST_200600_302600_NS6detail15normal_iteratorINSA_10device_ptrIyEEEEPS6_PKS6_NS0_5tupleIJSF_S6_EEENSJ_IJSG_SG_EEENS0_18inequality_wrapperI22is_equal_div_10_uniqueIyEEEPmJS6_EEE10hipError_tPvRmT3_T4_T5_T6_T7_T9_mT8_P12ihipStream_tbDpT10_ENKUlT_T0_E_clISt17integral_constantIbLb1EES1A_EEDaS15_S16_EUlS15_E_NS1_11comp_targetILNS1_3genE4ELNS1_11target_archE910ELNS1_3gpuE8ELNS1_3repE0EEENS1_30default_config_static_selectorELNS0_4arch9wavefront6targetE1EEEvT1_
    .private_segment_fixed_size: 0
    .sgpr_count:     4
    .sgpr_spill_count: 0
    .symbol:         _ZN7rocprim17ROCPRIM_400000_NS6detail17trampoline_kernelINS0_14default_configENS1_25partition_config_selectorILNS1_17partition_subalgoE8EyNS0_10empty_typeEbEEZZNS1_14partition_implILS5_8ELb0ES3_jN6thrust23THRUST_200600_302600_NS6detail15normal_iteratorINSA_10device_ptrIyEEEEPS6_PKS6_NS0_5tupleIJSF_S6_EEENSJ_IJSG_SG_EEENS0_18inequality_wrapperI22is_equal_div_10_uniqueIyEEEPmJS6_EEE10hipError_tPvRmT3_T4_T5_T6_T7_T9_mT8_P12ihipStream_tbDpT10_ENKUlT_T0_E_clISt17integral_constantIbLb1EES1A_EEDaS15_S16_EUlS15_E_NS1_11comp_targetILNS1_3genE4ELNS1_11target_archE910ELNS1_3gpuE8ELNS1_3repE0EEENS1_30default_config_static_selectorELNS0_4arch9wavefront6targetE1EEEvT1_.kd
    .uniform_work_group_size: 1
    .uses_dynamic_stack: false
    .vgpr_count:     0
    .vgpr_spill_count: 0
    .wavefront_size: 64
  - .args:
      - .offset:         0
        .size:           128
        .value_kind:     by_value
    .group_segment_fixed_size: 0
    .kernarg_segment_align: 8
    .kernarg_segment_size: 128
    .language:       OpenCL C
    .language_version:
      - 2
      - 0
    .max_flat_workgroup_size: 512
    .name:           _ZN7rocprim17ROCPRIM_400000_NS6detail17trampoline_kernelINS0_14default_configENS1_25partition_config_selectorILNS1_17partition_subalgoE8EyNS0_10empty_typeEbEEZZNS1_14partition_implILS5_8ELb0ES3_jN6thrust23THRUST_200600_302600_NS6detail15normal_iteratorINSA_10device_ptrIyEEEEPS6_PKS6_NS0_5tupleIJSF_S6_EEENSJ_IJSG_SG_EEENS0_18inequality_wrapperI22is_equal_div_10_uniqueIyEEEPmJS6_EEE10hipError_tPvRmT3_T4_T5_T6_T7_T9_mT8_P12ihipStream_tbDpT10_ENKUlT_T0_E_clISt17integral_constantIbLb1EES1A_EEDaS15_S16_EUlS15_E_NS1_11comp_targetILNS1_3genE3ELNS1_11target_archE908ELNS1_3gpuE7ELNS1_3repE0EEENS1_30default_config_static_selectorELNS0_4arch9wavefront6targetE1EEEvT1_
    .private_segment_fixed_size: 0
    .sgpr_count:     4
    .sgpr_spill_count: 0
    .symbol:         _ZN7rocprim17ROCPRIM_400000_NS6detail17trampoline_kernelINS0_14default_configENS1_25partition_config_selectorILNS1_17partition_subalgoE8EyNS0_10empty_typeEbEEZZNS1_14partition_implILS5_8ELb0ES3_jN6thrust23THRUST_200600_302600_NS6detail15normal_iteratorINSA_10device_ptrIyEEEEPS6_PKS6_NS0_5tupleIJSF_S6_EEENSJ_IJSG_SG_EEENS0_18inequality_wrapperI22is_equal_div_10_uniqueIyEEEPmJS6_EEE10hipError_tPvRmT3_T4_T5_T6_T7_T9_mT8_P12ihipStream_tbDpT10_ENKUlT_T0_E_clISt17integral_constantIbLb1EES1A_EEDaS15_S16_EUlS15_E_NS1_11comp_targetILNS1_3genE3ELNS1_11target_archE908ELNS1_3gpuE7ELNS1_3repE0EEENS1_30default_config_static_selectorELNS0_4arch9wavefront6targetE1EEEvT1_.kd
    .uniform_work_group_size: 1
    .uses_dynamic_stack: false
    .vgpr_count:     0
    .vgpr_spill_count: 0
    .wavefront_size: 64
  - .args:
      - .offset:         0
        .size:           128
        .value_kind:     by_value
    .group_segment_fixed_size: 0
    .kernarg_segment_align: 8
    .kernarg_segment_size: 128
    .language:       OpenCL C
    .language_version:
      - 2
      - 0
    .max_flat_workgroup_size: 256
    .name:           _ZN7rocprim17ROCPRIM_400000_NS6detail17trampoline_kernelINS0_14default_configENS1_25partition_config_selectorILNS1_17partition_subalgoE8EyNS0_10empty_typeEbEEZZNS1_14partition_implILS5_8ELb0ES3_jN6thrust23THRUST_200600_302600_NS6detail15normal_iteratorINSA_10device_ptrIyEEEEPS6_PKS6_NS0_5tupleIJSF_S6_EEENSJ_IJSG_SG_EEENS0_18inequality_wrapperI22is_equal_div_10_uniqueIyEEEPmJS6_EEE10hipError_tPvRmT3_T4_T5_T6_T7_T9_mT8_P12ihipStream_tbDpT10_ENKUlT_T0_E_clISt17integral_constantIbLb1EES1A_EEDaS15_S16_EUlS15_E_NS1_11comp_targetILNS1_3genE2ELNS1_11target_archE906ELNS1_3gpuE6ELNS1_3repE0EEENS1_30default_config_static_selectorELNS0_4arch9wavefront6targetE1EEEvT1_
    .private_segment_fixed_size: 0
    .sgpr_count:     4
    .sgpr_spill_count: 0
    .symbol:         _ZN7rocprim17ROCPRIM_400000_NS6detail17trampoline_kernelINS0_14default_configENS1_25partition_config_selectorILNS1_17partition_subalgoE8EyNS0_10empty_typeEbEEZZNS1_14partition_implILS5_8ELb0ES3_jN6thrust23THRUST_200600_302600_NS6detail15normal_iteratorINSA_10device_ptrIyEEEEPS6_PKS6_NS0_5tupleIJSF_S6_EEENSJ_IJSG_SG_EEENS0_18inequality_wrapperI22is_equal_div_10_uniqueIyEEEPmJS6_EEE10hipError_tPvRmT3_T4_T5_T6_T7_T9_mT8_P12ihipStream_tbDpT10_ENKUlT_T0_E_clISt17integral_constantIbLb1EES1A_EEDaS15_S16_EUlS15_E_NS1_11comp_targetILNS1_3genE2ELNS1_11target_archE906ELNS1_3gpuE6ELNS1_3repE0EEENS1_30default_config_static_selectorELNS0_4arch9wavefront6targetE1EEEvT1_.kd
    .uniform_work_group_size: 1
    .uses_dynamic_stack: false
    .vgpr_count:     0
    .vgpr_spill_count: 0
    .wavefront_size: 64
  - .args:
      - .offset:         0
        .size:           128
        .value_kind:     by_value
    .group_segment_fixed_size: 0
    .kernarg_segment_align: 8
    .kernarg_segment_size: 128
    .language:       OpenCL C
    .language_version:
      - 2
      - 0
    .max_flat_workgroup_size: 384
    .name:           _ZN7rocprim17ROCPRIM_400000_NS6detail17trampoline_kernelINS0_14default_configENS1_25partition_config_selectorILNS1_17partition_subalgoE8EyNS0_10empty_typeEbEEZZNS1_14partition_implILS5_8ELb0ES3_jN6thrust23THRUST_200600_302600_NS6detail15normal_iteratorINSA_10device_ptrIyEEEEPS6_PKS6_NS0_5tupleIJSF_S6_EEENSJ_IJSG_SG_EEENS0_18inequality_wrapperI22is_equal_div_10_uniqueIyEEEPmJS6_EEE10hipError_tPvRmT3_T4_T5_T6_T7_T9_mT8_P12ihipStream_tbDpT10_ENKUlT_T0_E_clISt17integral_constantIbLb1EES1A_EEDaS15_S16_EUlS15_E_NS1_11comp_targetILNS1_3genE10ELNS1_11target_archE1200ELNS1_3gpuE4ELNS1_3repE0EEENS1_30default_config_static_selectorELNS0_4arch9wavefront6targetE1EEEvT1_
    .private_segment_fixed_size: 0
    .sgpr_count:     4
    .sgpr_spill_count: 0
    .symbol:         _ZN7rocprim17ROCPRIM_400000_NS6detail17trampoline_kernelINS0_14default_configENS1_25partition_config_selectorILNS1_17partition_subalgoE8EyNS0_10empty_typeEbEEZZNS1_14partition_implILS5_8ELb0ES3_jN6thrust23THRUST_200600_302600_NS6detail15normal_iteratorINSA_10device_ptrIyEEEEPS6_PKS6_NS0_5tupleIJSF_S6_EEENSJ_IJSG_SG_EEENS0_18inequality_wrapperI22is_equal_div_10_uniqueIyEEEPmJS6_EEE10hipError_tPvRmT3_T4_T5_T6_T7_T9_mT8_P12ihipStream_tbDpT10_ENKUlT_T0_E_clISt17integral_constantIbLb1EES1A_EEDaS15_S16_EUlS15_E_NS1_11comp_targetILNS1_3genE10ELNS1_11target_archE1200ELNS1_3gpuE4ELNS1_3repE0EEENS1_30default_config_static_selectorELNS0_4arch9wavefront6targetE1EEEvT1_.kd
    .uniform_work_group_size: 1
    .uses_dynamic_stack: false
    .vgpr_count:     0
    .vgpr_spill_count: 0
    .wavefront_size: 64
  - .args:
      - .offset:         0
        .size:           128
        .value_kind:     by_value
    .group_segment_fixed_size: 0
    .kernarg_segment_align: 8
    .kernarg_segment_size: 128
    .language:       OpenCL C
    .language_version:
      - 2
      - 0
    .max_flat_workgroup_size: 512
    .name:           _ZN7rocprim17ROCPRIM_400000_NS6detail17trampoline_kernelINS0_14default_configENS1_25partition_config_selectorILNS1_17partition_subalgoE8EyNS0_10empty_typeEbEEZZNS1_14partition_implILS5_8ELb0ES3_jN6thrust23THRUST_200600_302600_NS6detail15normal_iteratorINSA_10device_ptrIyEEEEPS6_PKS6_NS0_5tupleIJSF_S6_EEENSJ_IJSG_SG_EEENS0_18inequality_wrapperI22is_equal_div_10_uniqueIyEEEPmJS6_EEE10hipError_tPvRmT3_T4_T5_T6_T7_T9_mT8_P12ihipStream_tbDpT10_ENKUlT_T0_E_clISt17integral_constantIbLb1EES1A_EEDaS15_S16_EUlS15_E_NS1_11comp_targetILNS1_3genE9ELNS1_11target_archE1100ELNS1_3gpuE3ELNS1_3repE0EEENS1_30default_config_static_selectorELNS0_4arch9wavefront6targetE1EEEvT1_
    .private_segment_fixed_size: 0
    .sgpr_count:     4
    .sgpr_spill_count: 0
    .symbol:         _ZN7rocprim17ROCPRIM_400000_NS6detail17trampoline_kernelINS0_14default_configENS1_25partition_config_selectorILNS1_17partition_subalgoE8EyNS0_10empty_typeEbEEZZNS1_14partition_implILS5_8ELb0ES3_jN6thrust23THRUST_200600_302600_NS6detail15normal_iteratorINSA_10device_ptrIyEEEEPS6_PKS6_NS0_5tupleIJSF_S6_EEENSJ_IJSG_SG_EEENS0_18inequality_wrapperI22is_equal_div_10_uniqueIyEEEPmJS6_EEE10hipError_tPvRmT3_T4_T5_T6_T7_T9_mT8_P12ihipStream_tbDpT10_ENKUlT_T0_E_clISt17integral_constantIbLb1EES1A_EEDaS15_S16_EUlS15_E_NS1_11comp_targetILNS1_3genE9ELNS1_11target_archE1100ELNS1_3gpuE3ELNS1_3repE0EEENS1_30default_config_static_selectorELNS0_4arch9wavefront6targetE1EEEvT1_.kd
    .uniform_work_group_size: 1
    .uses_dynamic_stack: false
    .vgpr_count:     0
    .vgpr_spill_count: 0
    .wavefront_size: 64
  - .args:
      - .offset:         0
        .size:           128
        .value_kind:     by_value
    .group_segment_fixed_size: 0
    .kernarg_segment_align: 8
    .kernarg_segment_size: 128
    .language:       OpenCL C
    .language_version:
      - 2
      - 0
    .max_flat_workgroup_size: 512
    .name:           _ZN7rocprim17ROCPRIM_400000_NS6detail17trampoline_kernelINS0_14default_configENS1_25partition_config_selectorILNS1_17partition_subalgoE8EyNS0_10empty_typeEbEEZZNS1_14partition_implILS5_8ELb0ES3_jN6thrust23THRUST_200600_302600_NS6detail15normal_iteratorINSA_10device_ptrIyEEEEPS6_PKS6_NS0_5tupleIJSF_S6_EEENSJ_IJSG_SG_EEENS0_18inequality_wrapperI22is_equal_div_10_uniqueIyEEEPmJS6_EEE10hipError_tPvRmT3_T4_T5_T6_T7_T9_mT8_P12ihipStream_tbDpT10_ENKUlT_T0_E_clISt17integral_constantIbLb1EES1A_EEDaS15_S16_EUlS15_E_NS1_11comp_targetILNS1_3genE8ELNS1_11target_archE1030ELNS1_3gpuE2ELNS1_3repE0EEENS1_30default_config_static_selectorELNS0_4arch9wavefront6targetE1EEEvT1_
    .private_segment_fixed_size: 0
    .sgpr_count:     4
    .sgpr_spill_count: 0
    .symbol:         _ZN7rocprim17ROCPRIM_400000_NS6detail17trampoline_kernelINS0_14default_configENS1_25partition_config_selectorILNS1_17partition_subalgoE8EyNS0_10empty_typeEbEEZZNS1_14partition_implILS5_8ELb0ES3_jN6thrust23THRUST_200600_302600_NS6detail15normal_iteratorINSA_10device_ptrIyEEEEPS6_PKS6_NS0_5tupleIJSF_S6_EEENSJ_IJSG_SG_EEENS0_18inequality_wrapperI22is_equal_div_10_uniqueIyEEEPmJS6_EEE10hipError_tPvRmT3_T4_T5_T6_T7_T9_mT8_P12ihipStream_tbDpT10_ENKUlT_T0_E_clISt17integral_constantIbLb1EES1A_EEDaS15_S16_EUlS15_E_NS1_11comp_targetILNS1_3genE8ELNS1_11target_archE1030ELNS1_3gpuE2ELNS1_3repE0EEENS1_30default_config_static_selectorELNS0_4arch9wavefront6targetE1EEEvT1_.kd
    .uniform_work_group_size: 1
    .uses_dynamic_stack: false
    .vgpr_count:     0
    .vgpr_spill_count: 0
    .wavefront_size: 64
  - .args:
      - .offset:         0
        .size:           112
        .value_kind:     by_value
    .group_segment_fixed_size: 0
    .kernarg_segment_align: 8
    .kernarg_segment_size: 112
    .language:       OpenCL C
    .language_version:
      - 2
      - 0
    .max_flat_workgroup_size: 512
    .name:           _ZN7rocprim17ROCPRIM_400000_NS6detail17trampoline_kernelINS0_14default_configENS1_25partition_config_selectorILNS1_17partition_subalgoE8EyNS0_10empty_typeEbEEZZNS1_14partition_implILS5_8ELb0ES3_jN6thrust23THRUST_200600_302600_NS6detail15normal_iteratorINSA_10device_ptrIyEEEEPS6_PKS6_NS0_5tupleIJSF_S6_EEENSJ_IJSG_SG_EEENS0_18inequality_wrapperI22is_equal_div_10_uniqueIyEEEPmJS6_EEE10hipError_tPvRmT3_T4_T5_T6_T7_T9_mT8_P12ihipStream_tbDpT10_ENKUlT_T0_E_clISt17integral_constantIbLb1EES19_IbLb0EEEEDaS15_S16_EUlS15_E_NS1_11comp_targetILNS1_3genE0ELNS1_11target_archE4294967295ELNS1_3gpuE0ELNS1_3repE0EEENS1_30default_config_static_selectorELNS0_4arch9wavefront6targetE1EEEvT1_
    .private_segment_fixed_size: 0
    .sgpr_count:     4
    .sgpr_spill_count: 0
    .symbol:         _ZN7rocprim17ROCPRIM_400000_NS6detail17trampoline_kernelINS0_14default_configENS1_25partition_config_selectorILNS1_17partition_subalgoE8EyNS0_10empty_typeEbEEZZNS1_14partition_implILS5_8ELb0ES3_jN6thrust23THRUST_200600_302600_NS6detail15normal_iteratorINSA_10device_ptrIyEEEEPS6_PKS6_NS0_5tupleIJSF_S6_EEENSJ_IJSG_SG_EEENS0_18inequality_wrapperI22is_equal_div_10_uniqueIyEEEPmJS6_EEE10hipError_tPvRmT3_T4_T5_T6_T7_T9_mT8_P12ihipStream_tbDpT10_ENKUlT_T0_E_clISt17integral_constantIbLb1EES19_IbLb0EEEEDaS15_S16_EUlS15_E_NS1_11comp_targetILNS1_3genE0ELNS1_11target_archE4294967295ELNS1_3gpuE0ELNS1_3repE0EEENS1_30default_config_static_selectorELNS0_4arch9wavefront6targetE1EEEvT1_.kd
    .uniform_work_group_size: 1
    .uses_dynamic_stack: false
    .vgpr_count:     0
    .vgpr_spill_count: 0
    .wavefront_size: 64
  - .args:
      - .offset:         0
        .size:           112
        .value_kind:     by_value
    .group_segment_fixed_size: 0
    .kernarg_segment_align: 8
    .kernarg_segment_size: 112
    .language:       OpenCL C
    .language_version:
      - 2
      - 0
    .max_flat_workgroup_size: 512
    .name:           _ZN7rocprim17ROCPRIM_400000_NS6detail17trampoline_kernelINS0_14default_configENS1_25partition_config_selectorILNS1_17partition_subalgoE8EyNS0_10empty_typeEbEEZZNS1_14partition_implILS5_8ELb0ES3_jN6thrust23THRUST_200600_302600_NS6detail15normal_iteratorINSA_10device_ptrIyEEEEPS6_PKS6_NS0_5tupleIJSF_S6_EEENSJ_IJSG_SG_EEENS0_18inequality_wrapperI22is_equal_div_10_uniqueIyEEEPmJS6_EEE10hipError_tPvRmT3_T4_T5_T6_T7_T9_mT8_P12ihipStream_tbDpT10_ENKUlT_T0_E_clISt17integral_constantIbLb1EES19_IbLb0EEEEDaS15_S16_EUlS15_E_NS1_11comp_targetILNS1_3genE5ELNS1_11target_archE942ELNS1_3gpuE9ELNS1_3repE0EEENS1_30default_config_static_selectorELNS0_4arch9wavefront6targetE1EEEvT1_
    .private_segment_fixed_size: 0
    .sgpr_count:     4
    .sgpr_spill_count: 0
    .symbol:         _ZN7rocprim17ROCPRIM_400000_NS6detail17trampoline_kernelINS0_14default_configENS1_25partition_config_selectorILNS1_17partition_subalgoE8EyNS0_10empty_typeEbEEZZNS1_14partition_implILS5_8ELb0ES3_jN6thrust23THRUST_200600_302600_NS6detail15normal_iteratorINSA_10device_ptrIyEEEEPS6_PKS6_NS0_5tupleIJSF_S6_EEENSJ_IJSG_SG_EEENS0_18inequality_wrapperI22is_equal_div_10_uniqueIyEEEPmJS6_EEE10hipError_tPvRmT3_T4_T5_T6_T7_T9_mT8_P12ihipStream_tbDpT10_ENKUlT_T0_E_clISt17integral_constantIbLb1EES19_IbLb0EEEEDaS15_S16_EUlS15_E_NS1_11comp_targetILNS1_3genE5ELNS1_11target_archE942ELNS1_3gpuE9ELNS1_3repE0EEENS1_30default_config_static_selectorELNS0_4arch9wavefront6targetE1EEEvT1_.kd
    .uniform_work_group_size: 1
    .uses_dynamic_stack: false
    .vgpr_count:     0
    .vgpr_spill_count: 0
    .wavefront_size: 64
  - .args:
      - .offset:         0
        .size:           112
        .value_kind:     by_value
    .group_segment_fixed_size: 0
    .kernarg_segment_align: 8
    .kernarg_segment_size: 112
    .language:       OpenCL C
    .language_version:
      - 2
      - 0
    .max_flat_workgroup_size: 256
    .name:           _ZN7rocprim17ROCPRIM_400000_NS6detail17trampoline_kernelINS0_14default_configENS1_25partition_config_selectorILNS1_17partition_subalgoE8EyNS0_10empty_typeEbEEZZNS1_14partition_implILS5_8ELb0ES3_jN6thrust23THRUST_200600_302600_NS6detail15normal_iteratorINSA_10device_ptrIyEEEEPS6_PKS6_NS0_5tupleIJSF_S6_EEENSJ_IJSG_SG_EEENS0_18inequality_wrapperI22is_equal_div_10_uniqueIyEEEPmJS6_EEE10hipError_tPvRmT3_T4_T5_T6_T7_T9_mT8_P12ihipStream_tbDpT10_ENKUlT_T0_E_clISt17integral_constantIbLb1EES19_IbLb0EEEEDaS15_S16_EUlS15_E_NS1_11comp_targetILNS1_3genE4ELNS1_11target_archE910ELNS1_3gpuE8ELNS1_3repE0EEENS1_30default_config_static_selectorELNS0_4arch9wavefront6targetE1EEEvT1_
    .private_segment_fixed_size: 0
    .sgpr_count:     4
    .sgpr_spill_count: 0
    .symbol:         _ZN7rocprim17ROCPRIM_400000_NS6detail17trampoline_kernelINS0_14default_configENS1_25partition_config_selectorILNS1_17partition_subalgoE8EyNS0_10empty_typeEbEEZZNS1_14partition_implILS5_8ELb0ES3_jN6thrust23THRUST_200600_302600_NS6detail15normal_iteratorINSA_10device_ptrIyEEEEPS6_PKS6_NS0_5tupleIJSF_S6_EEENSJ_IJSG_SG_EEENS0_18inequality_wrapperI22is_equal_div_10_uniqueIyEEEPmJS6_EEE10hipError_tPvRmT3_T4_T5_T6_T7_T9_mT8_P12ihipStream_tbDpT10_ENKUlT_T0_E_clISt17integral_constantIbLb1EES19_IbLb0EEEEDaS15_S16_EUlS15_E_NS1_11comp_targetILNS1_3genE4ELNS1_11target_archE910ELNS1_3gpuE8ELNS1_3repE0EEENS1_30default_config_static_selectorELNS0_4arch9wavefront6targetE1EEEvT1_.kd
    .uniform_work_group_size: 1
    .uses_dynamic_stack: false
    .vgpr_count:     0
    .vgpr_spill_count: 0
    .wavefront_size: 64
  - .args:
      - .offset:         0
        .size:           112
        .value_kind:     by_value
    .group_segment_fixed_size: 0
    .kernarg_segment_align: 8
    .kernarg_segment_size: 112
    .language:       OpenCL C
    .language_version:
      - 2
      - 0
    .max_flat_workgroup_size: 512
    .name:           _ZN7rocprim17ROCPRIM_400000_NS6detail17trampoline_kernelINS0_14default_configENS1_25partition_config_selectorILNS1_17partition_subalgoE8EyNS0_10empty_typeEbEEZZNS1_14partition_implILS5_8ELb0ES3_jN6thrust23THRUST_200600_302600_NS6detail15normal_iteratorINSA_10device_ptrIyEEEEPS6_PKS6_NS0_5tupleIJSF_S6_EEENSJ_IJSG_SG_EEENS0_18inequality_wrapperI22is_equal_div_10_uniqueIyEEEPmJS6_EEE10hipError_tPvRmT3_T4_T5_T6_T7_T9_mT8_P12ihipStream_tbDpT10_ENKUlT_T0_E_clISt17integral_constantIbLb1EES19_IbLb0EEEEDaS15_S16_EUlS15_E_NS1_11comp_targetILNS1_3genE3ELNS1_11target_archE908ELNS1_3gpuE7ELNS1_3repE0EEENS1_30default_config_static_selectorELNS0_4arch9wavefront6targetE1EEEvT1_
    .private_segment_fixed_size: 0
    .sgpr_count:     4
    .sgpr_spill_count: 0
    .symbol:         _ZN7rocprim17ROCPRIM_400000_NS6detail17trampoline_kernelINS0_14default_configENS1_25partition_config_selectorILNS1_17partition_subalgoE8EyNS0_10empty_typeEbEEZZNS1_14partition_implILS5_8ELb0ES3_jN6thrust23THRUST_200600_302600_NS6detail15normal_iteratorINSA_10device_ptrIyEEEEPS6_PKS6_NS0_5tupleIJSF_S6_EEENSJ_IJSG_SG_EEENS0_18inequality_wrapperI22is_equal_div_10_uniqueIyEEEPmJS6_EEE10hipError_tPvRmT3_T4_T5_T6_T7_T9_mT8_P12ihipStream_tbDpT10_ENKUlT_T0_E_clISt17integral_constantIbLb1EES19_IbLb0EEEEDaS15_S16_EUlS15_E_NS1_11comp_targetILNS1_3genE3ELNS1_11target_archE908ELNS1_3gpuE7ELNS1_3repE0EEENS1_30default_config_static_selectorELNS0_4arch9wavefront6targetE1EEEvT1_.kd
    .uniform_work_group_size: 1
    .uses_dynamic_stack: false
    .vgpr_count:     0
    .vgpr_spill_count: 0
    .wavefront_size: 64
  - .args:
      - .offset:         0
        .size:           112
        .value_kind:     by_value
    .group_segment_fixed_size: 0
    .kernarg_segment_align: 8
    .kernarg_segment_size: 112
    .language:       OpenCL C
    .language_version:
      - 2
      - 0
    .max_flat_workgroup_size: 256
    .name:           _ZN7rocprim17ROCPRIM_400000_NS6detail17trampoline_kernelINS0_14default_configENS1_25partition_config_selectorILNS1_17partition_subalgoE8EyNS0_10empty_typeEbEEZZNS1_14partition_implILS5_8ELb0ES3_jN6thrust23THRUST_200600_302600_NS6detail15normal_iteratorINSA_10device_ptrIyEEEEPS6_PKS6_NS0_5tupleIJSF_S6_EEENSJ_IJSG_SG_EEENS0_18inequality_wrapperI22is_equal_div_10_uniqueIyEEEPmJS6_EEE10hipError_tPvRmT3_T4_T5_T6_T7_T9_mT8_P12ihipStream_tbDpT10_ENKUlT_T0_E_clISt17integral_constantIbLb1EES19_IbLb0EEEEDaS15_S16_EUlS15_E_NS1_11comp_targetILNS1_3genE2ELNS1_11target_archE906ELNS1_3gpuE6ELNS1_3repE0EEENS1_30default_config_static_selectorELNS0_4arch9wavefront6targetE1EEEvT1_
    .private_segment_fixed_size: 0
    .sgpr_count:     4
    .sgpr_spill_count: 0
    .symbol:         _ZN7rocprim17ROCPRIM_400000_NS6detail17trampoline_kernelINS0_14default_configENS1_25partition_config_selectorILNS1_17partition_subalgoE8EyNS0_10empty_typeEbEEZZNS1_14partition_implILS5_8ELb0ES3_jN6thrust23THRUST_200600_302600_NS6detail15normal_iteratorINSA_10device_ptrIyEEEEPS6_PKS6_NS0_5tupleIJSF_S6_EEENSJ_IJSG_SG_EEENS0_18inequality_wrapperI22is_equal_div_10_uniqueIyEEEPmJS6_EEE10hipError_tPvRmT3_T4_T5_T6_T7_T9_mT8_P12ihipStream_tbDpT10_ENKUlT_T0_E_clISt17integral_constantIbLb1EES19_IbLb0EEEEDaS15_S16_EUlS15_E_NS1_11comp_targetILNS1_3genE2ELNS1_11target_archE906ELNS1_3gpuE6ELNS1_3repE0EEENS1_30default_config_static_selectorELNS0_4arch9wavefront6targetE1EEEvT1_.kd
    .uniform_work_group_size: 1
    .uses_dynamic_stack: false
    .vgpr_count:     0
    .vgpr_spill_count: 0
    .wavefront_size: 64
  - .args:
      - .offset:         0
        .size:           112
        .value_kind:     by_value
    .group_segment_fixed_size: 0
    .kernarg_segment_align: 8
    .kernarg_segment_size: 112
    .language:       OpenCL C
    .language_version:
      - 2
      - 0
    .max_flat_workgroup_size: 384
    .name:           _ZN7rocprim17ROCPRIM_400000_NS6detail17trampoline_kernelINS0_14default_configENS1_25partition_config_selectorILNS1_17partition_subalgoE8EyNS0_10empty_typeEbEEZZNS1_14partition_implILS5_8ELb0ES3_jN6thrust23THRUST_200600_302600_NS6detail15normal_iteratorINSA_10device_ptrIyEEEEPS6_PKS6_NS0_5tupleIJSF_S6_EEENSJ_IJSG_SG_EEENS0_18inequality_wrapperI22is_equal_div_10_uniqueIyEEEPmJS6_EEE10hipError_tPvRmT3_T4_T5_T6_T7_T9_mT8_P12ihipStream_tbDpT10_ENKUlT_T0_E_clISt17integral_constantIbLb1EES19_IbLb0EEEEDaS15_S16_EUlS15_E_NS1_11comp_targetILNS1_3genE10ELNS1_11target_archE1200ELNS1_3gpuE4ELNS1_3repE0EEENS1_30default_config_static_selectorELNS0_4arch9wavefront6targetE1EEEvT1_
    .private_segment_fixed_size: 0
    .sgpr_count:     4
    .sgpr_spill_count: 0
    .symbol:         _ZN7rocprim17ROCPRIM_400000_NS6detail17trampoline_kernelINS0_14default_configENS1_25partition_config_selectorILNS1_17partition_subalgoE8EyNS0_10empty_typeEbEEZZNS1_14partition_implILS5_8ELb0ES3_jN6thrust23THRUST_200600_302600_NS6detail15normal_iteratorINSA_10device_ptrIyEEEEPS6_PKS6_NS0_5tupleIJSF_S6_EEENSJ_IJSG_SG_EEENS0_18inequality_wrapperI22is_equal_div_10_uniqueIyEEEPmJS6_EEE10hipError_tPvRmT3_T4_T5_T6_T7_T9_mT8_P12ihipStream_tbDpT10_ENKUlT_T0_E_clISt17integral_constantIbLb1EES19_IbLb0EEEEDaS15_S16_EUlS15_E_NS1_11comp_targetILNS1_3genE10ELNS1_11target_archE1200ELNS1_3gpuE4ELNS1_3repE0EEENS1_30default_config_static_selectorELNS0_4arch9wavefront6targetE1EEEvT1_.kd
    .uniform_work_group_size: 1
    .uses_dynamic_stack: false
    .vgpr_count:     0
    .vgpr_spill_count: 0
    .wavefront_size: 64
  - .args:
      - .offset:         0
        .size:           112
        .value_kind:     by_value
    .group_segment_fixed_size: 0
    .kernarg_segment_align: 8
    .kernarg_segment_size: 112
    .language:       OpenCL C
    .language_version:
      - 2
      - 0
    .max_flat_workgroup_size: 512
    .name:           _ZN7rocprim17ROCPRIM_400000_NS6detail17trampoline_kernelINS0_14default_configENS1_25partition_config_selectorILNS1_17partition_subalgoE8EyNS0_10empty_typeEbEEZZNS1_14partition_implILS5_8ELb0ES3_jN6thrust23THRUST_200600_302600_NS6detail15normal_iteratorINSA_10device_ptrIyEEEEPS6_PKS6_NS0_5tupleIJSF_S6_EEENSJ_IJSG_SG_EEENS0_18inequality_wrapperI22is_equal_div_10_uniqueIyEEEPmJS6_EEE10hipError_tPvRmT3_T4_T5_T6_T7_T9_mT8_P12ihipStream_tbDpT10_ENKUlT_T0_E_clISt17integral_constantIbLb1EES19_IbLb0EEEEDaS15_S16_EUlS15_E_NS1_11comp_targetILNS1_3genE9ELNS1_11target_archE1100ELNS1_3gpuE3ELNS1_3repE0EEENS1_30default_config_static_selectorELNS0_4arch9wavefront6targetE1EEEvT1_
    .private_segment_fixed_size: 0
    .sgpr_count:     4
    .sgpr_spill_count: 0
    .symbol:         _ZN7rocprim17ROCPRIM_400000_NS6detail17trampoline_kernelINS0_14default_configENS1_25partition_config_selectorILNS1_17partition_subalgoE8EyNS0_10empty_typeEbEEZZNS1_14partition_implILS5_8ELb0ES3_jN6thrust23THRUST_200600_302600_NS6detail15normal_iteratorINSA_10device_ptrIyEEEEPS6_PKS6_NS0_5tupleIJSF_S6_EEENSJ_IJSG_SG_EEENS0_18inequality_wrapperI22is_equal_div_10_uniqueIyEEEPmJS6_EEE10hipError_tPvRmT3_T4_T5_T6_T7_T9_mT8_P12ihipStream_tbDpT10_ENKUlT_T0_E_clISt17integral_constantIbLb1EES19_IbLb0EEEEDaS15_S16_EUlS15_E_NS1_11comp_targetILNS1_3genE9ELNS1_11target_archE1100ELNS1_3gpuE3ELNS1_3repE0EEENS1_30default_config_static_selectorELNS0_4arch9wavefront6targetE1EEEvT1_.kd
    .uniform_work_group_size: 1
    .uses_dynamic_stack: false
    .vgpr_count:     0
    .vgpr_spill_count: 0
    .wavefront_size: 64
  - .args:
      - .offset:         0
        .size:           112
        .value_kind:     by_value
    .group_segment_fixed_size: 0
    .kernarg_segment_align: 8
    .kernarg_segment_size: 112
    .language:       OpenCL C
    .language_version:
      - 2
      - 0
    .max_flat_workgroup_size: 512
    .name:           _ZN7rocprim17ROCPRIM_400000_NS6detail17trampoline_kernelINS0_14default_configENS1_25partition_config_selectorILNS1_17partition_subalgoE8EyNS0_10empty_typeEbEEZZNS1_14partition_implILS5_8ELb0ES3_jN6thrust23THRUST_200600_302600_NS6detail15normal_iteratorINSA_10device_ptrIyEEEEPS6_PKS6_NS0_5tupleIJSF_S6_EEENSJ_IJSG_SG_EEENS0_18inequality_wrapperI22is_equal_div_10_uniqueIyEEEPmJS6_EEE10hipError_tPvRmT3_T4_T5_T6_T7_T9_mT8_P12ihipStream_tbDpT10_ENKUlT_T0_E_clISt17integral_constantIbLb1EES19_IbLb0EEEEDaS15_S16_EUlS15_E_NS1_11comp_targetILNS1_3genE8ELNS1_11target_archE1030ELNS1_3gpuE2ELNS1_3repE0EEENS1_30default_config_static_selectorELNS0_4arch9wavefront6targetE1EEEvT1_
    .private_segment_fixed_size: 0
    .sgpr_count:     4
    .sgpr_spill_count: 0
    .symbol:         _ZN7rocprim17ROCPRIM_400000_NS6detail17trampoline_kernelINS0_14default_configENS1_25partition_config_selectorILNS1_17partition_subalgoE8EyNS0_10empty_typeEbEEZZNS1_14partition_implILS5_8ELb0ES3_jN6thrust23THRUST_200600_302600_NS6detail15normal_iteratorINSA_10device_ptrIyEEEEPS6_PKS6_NS0_5tupleIJSF_S6_EEENSJ_IJSG_SG_EEENS0_18inequality_wrapperI22is_equal_div_10_uniqueIyEEEPmJS6_EEE10hipError_tPvRmT3_T4_T5_T6_T7_T9_mT8_P12ihipStream_tbDpT10_ENKUlT_T0_E_clISt17integral_constantIbLb1EES19_IbLb0EEEEDaS15_S16_EUlS15_E_NS1_11comp_targetILNS1_3genE8ELNS1_11target_archE1030ELNS1_3gpuE2ELNS1_3repE0EEENS1_30default_config_static_selectorELNS0_4arch9wavefront6targetE1EEEvT1_.kd
    .uniform_work_group_size: 1
    .uses_dynamic_stack: false
    .vgpr_count:     0
    .vgpr_spill_count: 0
    .wavefront_size: 64
  - .args:
      - .offset:         0
        .size:           128
        .value_kind:     by_value
    .group_segment_fixed_size: 0
    .kernarg_segment_align: 8
    .kernarg_segment_size: 128
    .language:       OpenCL C
    .language_version:
      - 2
      - 0
    .max_flat_workgroup_size: 512
    .name:           _ZN7rocprim17ROCPRIM_400000_NS6detail17trampoline_kernelINS0_14default_configENS1_25partition_config_selectorILNS1_17partition_subalgoE8EyNS0_10empty_typeEbEEZZNS1_14partition_implILS5_8ELb0ES3_jN6thrust23THRUST_200600_302600_NS6detail15normal_iteratorINSA_10device_ptrIyEEEEPS6_PKS6_NS0_5tupleIJSF_S6_EEENSJ_IJSG_SG_EEENS0_18inequality_wrapperI22is_equal_div_10_uniqueIyEEEPmJS6_EEE10hipError_tPvRmT3_T4_T5_T6_T7_T9_mT8_P12ihipStream_tbDpT10_ENKUlT_T0_E_clISt17integral_constantIbLb0EES19_IbLb1EEEEDaS15_S16_EUlS15_E_NS1_11comp_targetILNS1_3genE0ELNS1_11target_archE4294967295ELNS1_3gpuE0ELNS1_3repE0EEENS1_30default_config_static_selectorELNS0_4arch9wavefront6targetE1EEEvT1_
    .private_segment_fixed_size: 0
    .sgpr_count:     4
    .sgpr_spill_count: 0
    .symbol:         _ZN7rocprim17ROCPRIM_400000_NS6detail17trampoline_kernelINS0_14default_configENS1_25partition_config_selectorILNS1_17partition_subalgoE8EyNS0_10empty_typeEbEEZZNS1_14partition_implILS5_8ELb0ES3_jN6thrust23THRUST_200600_302600_NS6detail15normal_iteratorINSA_10device_ptrIyEEEEPS6_PKS6_NS0_5tupleIJSF_S6_EEENSJ_IJSG_SG_EEENS0_18inequality_wrapperI22is_equal_div_10_uniqueIyEEEPmJS6_EEE10hipError_tPvRmT3_T4_T5_T6_T7_T9_mT8_P12ihipStream_tbDpT10_ENKUlT_T0_E_clISt17integral_constantIbLb0EES19_IbLb1EEEEDaS15_S16_EUlS15_E_NS1_11comp_targetILNS1_3genE0ELNS1_11target_archE4294967295ELNS1_3gpuE0ELNS1_3repE0EEENS1_30default_config_static_selectorELNS0_4arch9wavefront6targetE1EEEvT1_.kd
    .uniform_work_group_size: 1
    .uses_dynamic_stack: false
    .vgpr_count:     0
    .vgpr_spill_count: 0
    .wavefront_size: 64
  - .args:
      - .offset:         0
        .size:           128
        .value_kind:     by_value
    .group_segment_fixed_size: 0
    .kernarg_segment_align: 8
    .kernarg_segment_size: 128
    .language:       OpenCL C
    .language_version:
      - 2
      - 0
    .max_flat_workgroup_size: 512
    .name:           _ZN7rocprim17ROCPRIM_400000_NS6detail17trampoline_kernelINS0_14default_configENS1_25partition_config_selectorILNS1_17partition_subalgoE8EyNS0_10empty_typeEbEEZZNS1_14partition_implILS5_8ELb0ES3_jN6thrust23THRUST_200600_302600_NS6detail15normal_iteratorINSA_10device_ptrIyEEEEPS6_PKS6_NS0_5tupleIJSF_S6_EEENSJ_IJSG_SG_EEENS0_18inequality_wrapperI22is_equal_div_10_uniqueIyEEEPmJS6_EEE10hipError_tPvRmT3_T4_T5_T6_T7_T9_mT8_P12ihipStream_tbDpT10_ENKUlT_T0_E_clISt17integral_constantIbLb0EES19_IbLb1EEEEDaS15_S16_EUlS15_E_NS1_11comp_targetILNS1_3genE5ELNS1_11target_archE942ELNS1_3gpuE9ELNS1_3repE0EEENS1_30default_config_static_selectorELNS0_4arch9wavefront6targetE1EEEvT1_
    .private_segment_fixed_size: 0
    .sgpr_count:     4
    .sgpr_spill_count: 0
    .symbol:         _ZN7rocprim17ROCPRIM_400000_NS6detail17trampoline_kernelINS0_14default_configENS1_25partition_config_selectorILNS1_17partition_subalgoE8EyNS0_10empty_typeEbEEZZNS1_14partition_implILS5_8ELb0ES3_jN6thrust23THRUST_200600_302600_NS6detail15normal_iteratorINSA_10device_ptrIyEEEEPS6_PKS6_NS0_5tupleIJSF_S6_EEENSJ_IJSG_SG_EEENS0_18inequality_wrapperI22is_equal_div_10_uniqueIyEEEPmJS6_EEE10hipError_tPvRmT3_T4_T5_T6_T7_T9_mT8_P12ihipStream_tbDpT10_ENKUlT_T0_E_clISt17integral_constantIbLb0EES19_IbLb1EEEEDaS15_S16_EUlS15_E_NS1_11comp_targetILNS1_3genE5ELNS1_11target_archE942ELNS1_3gpuE9ELNS1_3repE0EEENS1_30default_config_static_selectorELNS0_4arch9wavefront6targetE1EEEvT1_.kd
    .uniform_work_group_size: 1
    .uses_dynamic_stack: false
    .vgpr_count:     0
    .vgpr_spill_count: 0
    .wavefront_size: 64
  - .args:
      - .offset:         0
        .size:           128
        .value_kind:     by_value
    .group_segment_fixed_size: 0
    .kernarg_segment_align: 8
    .kernarg_segment_size: 128
    .language:       OpenCL C
    .language_version:
      - 2
      - 0
    .max_flat_workgroup_size: 256
    .name:           _ZN7rocprim17ROCPRIM_400000_NS6detail17trampoline_kernelINS0_14default_configENS1_25partition_config_selectorILNS1_17partition_subalgoE8EyNS0_10empty_typeEbEEZZNS1_14partition_implILS5_8ELb0ES3_jN6thrust23THRUST_200600_302600_NS6detail15normal_iteratorINSA_10device_ptrIyEEEEPS6_PKS6_NS0_5tupleIJSF_S6_EEENSJ_IJSG_SG_EEENS0_18inequality_wrapperI22is_equal_div_10_uniqueIyEEEPmJS6_EEE10hipError_tPvRmT3_T4_T5_T6_T7_T9_mT8_P12ihipStream_tbDpT10_ENKUlT_T0_E_clISt17integral_constantIbLb0EES19_IbLb1EEEEDaS15_S16_EUlS15_E_NS1_11comp_targetILNS1_3genE4ELNS1_11target_archE910ELNS1_3gpuE8ELNS1_3repE0EEENS1_30default_config_static_selectorELNS0_4arch9wavefront6targetE1EEEvT1_
    .private_segment_fixed_size: 0
    .sgpr_count:     4
    .sgpr_spill_count: 0
    .symbol:         _ZN7rocprim17ROCPRIM_400000_NS6detail17trampoline_kernelINS0_14default_configENS1_25partition_config_selectorILNS1_17partition_subalgoE8EyNS0_10empty_typeEbEEZZNS1_14partition_implILS5_8ELb0ES3_jN6thrust23THRUST_200600_302600_NS6detail15normal_iteratorINSA_10device_ptrIyEEEEPS6_PKS6_NS0_5tupleIJSF_S6_EEENSJ_IJSG_SG_EEENS0_18inequality_wrapperI22is_equal_div_10_uniqueIyEEEPmJS6_EEE10hipError_tPvRmT3_T4_T5_T6_T7_T9_mT8_P12ihipStream_tbDpT10_ENKUlT_T0_E_clISt17integral_constantIbLb0EES19_IbLb1EEEEDaS15_S16_EUlS15_E_NS1_11comp_targetILNS1_3genE4ELNS1_11target_archE910ELNS1_3gpuE8ELNS1_3repE0EEENS1_30default_config_static_selectorELNS0_4arch9wavefront6targetE1EEEvT1_.kd
    .uniform_work_group_size: 1
    .uses_dynamic_stack: false
    .vgpr_count:     0
    .vgpr_spill_count: 0
    .wavefront_size: 64
  - .args:
      - .offset:         0
        .size:           128
        .value_kind:     by_value
    .group_segment_fixed_size: 0
    .kernarg_segment_align: 8
    .kernarg_segment_size: 128
    .language:       OpenCL C
    .language_version:
      - 2
      - 0
    .max_flat_workgroup_size: 512
    .name:           _ZN7rocprim17ROCPRIM_400000_NS6detail17trampoline_kernelINS0_14default_configENS1_25partition_config_selectorILNS1_17partition_subalgoE8EyNS0_10empty_typeEbEEZZNS1_14partition_implILS5_8ELb0ES3_jN6thrust23THRUST_200600_302600_NS6detail15normal_iteratorINSA_10device_ptrIyEEEEPS6_PKS6_NS0_5tupleIJSF_S6_EEENSJ_IJSG_SG_EEENS0_18inequality_wrapperI22is_equal_div_10_uniqueIyEEEPmJS6_EEE10hipError_tPvRmT3_T4_T5_T6_T7_T9_mT8_P12ihipStream_tbDpT10_ENKUlT_T0_E_clISt17integral_constantIbLb0EES19_IbLb1EEEEDaS15_S16_EUlS15_E_NS1_11comp_targetILNS1_3genE3ELNS1_11target_archE908ELNS1_3gpuE7ELNS1_3repE0EEENS1_30default_config_static_selectorELNS0_4arch9wavefront6targetE1EEEvT1_
    .private_segment_fixed_size: 0
    .sgpr_count:     4
    .sgpr_spill_count: 0
    .symbol:         _ZN7rocprim17ROCPRIM_400000_NS6detail17trampoline_kernelINS0_14default_configENS1_25partition_config_selectorILNS1_17partition_subalgoE8EyNS0_10empty_typeEbEEZZNS1_14partition_implILS5_8ELb0ES3_jN6thrust23THRUST_200600_302600_NS6detail15normal_iteratorINSA_10device_ptrIyEEEEPS6_PKS6_NS0_5tupleIJSF_S6_EEENSJ_IJSG_SG_EEENS0_18inequality_wrapperI22is_equal_div_10_uniqueIyEEEPmJS6_EEE10hipError_tPvRmT3_T4_T5_T6_T7_T9_mT8_P12ihipStream_tbDpT10_ENKUlT_T0_E_clISt17integral_constantIbLb0EES19_IbLb1EEEEDaS15_S16_EUlS15_E_NS1_11comp_targetILNS1_3genE3ELNS1_11target_archE908ELNS1_3gpuE7ELNS1_3repE0EEENS1_30default_config_static_selectorELNS0_4arch9wavefront6targetE1EEEvT1_.kd
    .uniform_work_group_size: 1
    .uses_dynamic_stack: false
    .vgpr_count:     0
    .vgpr_spill_count: 0
    .wavefront_size: 64
  - .args:
      - .offset:         0
        .size:           128
        .value_kind:     by_value
    .group_segment_fixed_size: 14344
    .kernarg_segment_align: 8
    .kernarg_segment_size: 128
    .language:       OpenCL C
    .language_version:
      - 2
      - 0
    .max_flat_workgroup_size: 256
    .name:           _ZN7rocprim17ROCPRIM_400000_NS6detail17trampoline_kernelINS0_14default_configENS1_25partition_config_selectorILNS1_17partition_subalgoE8EyNS0_10empty_typeEbEEZZNS1_14partition_implILS5_8ELb0ES3_jN6thrust23THRUST_200600_302600_NS6detail15normal_iteratorINSA_10device_ptrIyEEEEPS6_PKS6_NS0_5tupleIJSF_S6_EEENSJ_IJSG_SG_EEENS0_18inequality_wrapperI22is_equal_div_10_uniqueIyEEEPmJS6_EEE10hipError_tPvRmT3_T4_T5_T6_T7_T9_mT8_P12ihipStream_tbDpT10_ENKUlT_T0_E_clISt17integral_constantIbLb0EES19_IbLb1EEEEDaS15_S16_EUlS15_E_NS1_11comp_targetILNS1_3genE2ELNS1_11target_archE906ELNS1_3gpuE6ELNS1_3repE0EEENS1_30default_config_static_selectorELNS0_4arch9wavefront6targetE1EEEvT1_
    .private_segment_fixed_size: 0
    .sgpr_count:     43
    .sgpr_spill_count: 0
    .symbol:         _ZN7rocprim17ROCPRIM_400000_NS6detail17trampoline_kernelINS0_14default_configENS1_25partition_config_selectorILNS1_17partition_subalgoE8EyNS0_10empty_typeEbEEZZNS1_14partition_implILS5_8ELb0ES3_jN6thrust23THRUST_200600_302600_NS6detail15normal_iteratorINSA_10device_ptrIyEEEEPS6_PKS6_NS0_5tupleIJSF_S6_EEENSJ_IJSG_SG_EEENS0_18inequality_wrapperI22is_equal_div_10_uniqueIyEEEPmJS6_EEE10hipError_tPvRmT3_T4_T5_T6_T7_T9_mT8_P12ihipStream_tbDpT10_ENKUlT_T0_E_clISt17integral_constantIbLb0EES19_IbLb1EEEEDaS15_S16_EUlS15_E_NS1_11comp_targetILNS1_3genE2ELNS1_11target_archE906ELNS1_3gpuE6ELNS1_3repE0EEENS1_30default_config_static_selectorELNS0_4arch9wavefront6targetE1EEEvT1_.kd
    .uniform_work_group_size: 1
    .uses_dynamic_stack: false
    .vgpr_count:     60
    .vgpr_spill_count: 0
    .wavefront_size: 64
  - .args:
      - .offset:         0
        .size:           128
        .value_kind:     by_value
    .group_segment_fixed_size: 0
    .kernarg_segment_align: 8
    .kernarg_segment_size: 128
    .language:       OpenCL C
    .language_version:
      - 2
      - 0
    .max_flat_workgroup_size: 384
    .name:           _ZN7rocprim17ROCPRIM_400000_NS6detail17trampoline_kernelINS0_14default_configENS1_25partition_config_selectorILNS1_17partition_subalgoE8EyNS0_10empty_typeEbEEZZNS1_14partition_implILS5_8ELb0ES3_jN6thrust23THRUST_200600_302600_NS6detail15normal_iteratorINSA_10device_ptrIyEEEEPS6_PKS6_NS0_5tupleIJSF_S6_EEENSJ_IJSG_SG_EEENS0_18inequality_wrapperI22is_equal_div_10_uniqueIyEEEPmJS6_EEE10hipError_tPvRmT3_T4_T5_T6_T7_T9_mT8_P12ihipStream_tbDpT10_ENKUlT_T0_E_clISt17integral_constantIbLb0EES19_IbLb1EEEEDaS15_S16_EUlS15_E_NS1_11comp_targetILNS1_3genE10ELNS1_11target_archE1200ELNS1_3gpuE4ELNS1_3repE0EEENS1_30default_config_static_selectorELNS0_4arch9wavefront6targetE1EEEvT1_
    .private_segment_fixed_size: 0
    .sgpr_count:     4
    .sgpr_spill_count: 0
    .symbol:         _ZN7rocprim17ROCPRIM_400000_NS6detail17trampoline_kernelINS0_14default_configENS1_25partition_config_selectorILNS1_17partition_subalgoE8EyNS0_10empty_typeEbEEZZNS1_14partition_implILS5_8ELb0ES3_jN6thrust23THRUST_200600_302600_NS6detail15normal_iteratorINSA_10device_ptrIyEEEEPS6_PKS6_NS0_5tupleIJSF_S6_EEENSJ_IJSG_SG_EEENS0_18inequality_wrapperI22is_equal_div_10_uniqueIyEEEPmJS6_EEE10hipError_tPvRmT3_T4_T5_T6_T7_T9_mT8_P12ihipStream_tbDpT10_ENKUlT_T0_E_clISt17integral_constantIbLb0EES19_IbLb1EEEEDaS15_S16_EUlS15_E_NS1_11comp_targetILNS1_3genE10ELNS1_11target_archE1200ELNS1_3gpuE4ELNS1_3repE0EEENS1_30default_config_static_selectorELNS0_4arch9wavefront6targetE1EEEvT1_.kd
    .uniform_work_group_size: 1
    .uses_dynamic_stack: false
    .vgpr_count:     0
    .vgpr_spill_count: 0
    .wavefront_size: 64
  - .args:
      - .offset:         0
        .size:           128
        .value_kind:     by_value
    .group_segment_fixed_size: 0
    .kernarg_segment_align: 8
    .kernarg_segment_size: 128
    .language:       OpenCL C
    .language_version:
      - 2
      - 0
    .max_flat_workgroup_size: 512
    .name:           _ZN7rocprim17ROCPRIM_400000_NS6detail17trampoline_kernelINS0_14default_configENS1_25partition_config_selectorILNS1_17partition_subalgoE8EyNS0_10empty_typeEbEEZZNS1_14partition_implILS5_8ELb0ES3_jN6thrust23THRUST_200600_302600_NS6detail15normal_iteratorINSA_10device_ptrIyEEEEPS6_PKS6_NS0_5tupleIJSF_S6_EEENSJ_IJSG_SG_EEENS0_18inequality_wrapperI22is_equal_div_10_uniqueIyEEEPmJS6_EEE10hipError_tPvRmT3_T4_T5_T6_T7_T9_mT8_P12ihipStream_tbDpT10_ENKUlT_T0_E_clISt17integral_constantIbLb0EES19_IbLb1EEEEDaS15_S16_EUlS15_E_NS1_11comp_targetILNS1_3genE9ELNS1_11target_archE1100ELNS1_3gpuE3ELNS1_3repE0EEENS1_30default_config_static_selectorELNS0_4arch9wavefront6targetE1EEEvT1_
    .private_segment_fixed_size: 0
    .sgpr_count:     4
    .sgpr_spill_count: 0
    .symbol:         _ZN7rocprim17ROCPRIM_400000_NS6detail17trampoline_kernelINS0_14default_configENS1_25partition_config_selectorILNS1_17partition_subalgoE8EyNS0_10empty_typeEbEEZZNS1_14partition_implILS5_8ELb0ES3_jN6thrust23THRUST_200600_302600_NS6detail15normal_iteratorINSA_10device_ptrIyEEEEPS6_PKS6_NS0_5tupleIJSF_S6_EEENSJ_IJSG_SG_EEENS0_18inequality_wrapperI22is_equal_div_10_uniqueIyEEEPmJS6_EEE10hipError_tPvRmT3_T4_T5_T6_T7_T9_mT8_P12ihipStream_tbDpT10_ENKUlT_T0_E_clISt17integral_constantIbLb0EES19_IbLb1EEEEDaS15_S16_EUlS15_E_NS1_11comp_targetILNS1_3genE9ELNS1_11target_archE1100ELNS1_3gpuE3ELNS1_3repE0EEENS1_30default_config_static_selectorELNS0_4arch9wavefront6targetE1EEEvT1_.kd
    .uniform_work_group_size: 1
    .uses_dynamic_stack: false
    .vgpr_count:     0
    .vgpr_spill_count: 0
    .wavefront_size: 64
  - .args:
      - .offset:         0
        .size:           128
        .value_kind:     by_value
    .group_segment_fixed_size: 0
    .kernarg_segment_align: 8
    .kernarg_segment_size: 128
    .language:       OpenCL C
    .language_version:
      - 2
      - 0
    .max_flat_workgroup_size: 512
    .name:           _ZN7rocprim17ROCPRIM_400000_NS6detail17trampoline_kernelINS0_14default_configENS1_25partition_config_selectorILNS1_17partition_subalgoE8EyNS0_10empty_typeEbEEZZNS1_14partition_implILS5_8ELb0ES3_jN6thrust23THRUST_200600_302600_NS6detail15normal_iteratorINSA_10device_ptrIyEEEEPS6_PKS6_NS0_5tupleIJSF_S6_EEENSJ_IJSG_SG_EEENS0_18inequality_wrapperI22is_equal_div_10_uniqueIyEEEPmJS6_EEE10hipError_tPvRmT3_T4_T5_T6_T7_T9_mT8_P12ihipStream_tbDpT10_ENKUlT_T0_E_clISt17integral_constantIbLb0EES19_IbLb1EEEEDaS15_S16_EUlS15_E_NS1_11comp_targetILNS1_3genE8ELNS1_11target_archE1030ELNS1_3gpuE2ELNS1_3repE0EEENS1_30default_config_static_selectorELNS0_4arch9wavefront6targetE1EEEvT1_
    .private_segment_fixed_size: 0
    .sgpr_count:     4
    .sgpr_spill_count: 0
    .symbol:         _ZN7rocprim17ROCPRIM_400000_NS6detail17trampoline_kernelINS0_14default_configENS1_25partition_config_selectorILNS1_17partition_subalgoE8EyNS0_10empty_typeEbEEZZNS1_14partition_implILS5_8ELb0ES3_jN6thrust23THRUST_200600_302600_NS6detail15normal_iteratorINSA_10device_ptrIyEEEEPS6_PKS6_NS0_5tupleIJSF_S6_EEENSJ_IJSG_SG_EEENS0_18inequality_wrapperI22is_equal_div_10_uniqueIyEEEPmJS6_EEE10hipError_tPvRmT3_T4_T5_T6_T7_T9_mT8_P12ihipStream_tbDpT10_ENKUlT_T0_E_clISt17integral_constantIbLb0EES19_IbLb1EEEEDaS15_S16_EUlS15_E_NS1_11comp_targetILNS1_3genE8ELNS1_11target_archE1030ELNS1_3gpuE2ELNS1_3repE0EEENS1_30default_config_static_selectorELNS0_4arch9wavefront6targetE1EEEvT1_.kd
    .uniform_work_group_size: 1
    .uses_dynamic_stack: false
    .vgpr_count:     0
    .vgpr_spill_count: 0
    .wavefront_size: 64
  - .args:
      - .offset:         0
        .size:           16
        .value_kind:     by_value
      - .offset:         16
        .size:           8
        .value_kind:     by_value
      - .offset:         24
        .size:           8
        .value_kind:     by_value
    .group_segment_fixed_size: 0
    .kernarg_segment_align: 8
    .kernarg_segment_size: 32
    .language:       OpenCL C
    .language_version:
      - 2
      - 0
    .max_flat_workgroup_size: 256
    .name:           _ZN6thrust23THRUST_200600_302600_NS11hip_rocprim14__parallel_for6kernelILj256ENS1_20__uninitialized_fill7functorINS0_10device_ptrIjEEjEEmLj1EEEvT0_T1_SA_
    .private_segment_fixed_size: 0
    .sgpr_count:     20
    .sgpr_spill_count: 0
    .symbol:         _ZN6thrust23THRUST_200600_302600_NS11hip_rocprim14__parallel_for6kernelILj256ENS1_20__uninitialized_fill7functorINS0_10device_ptrIjEEjEEmLj1EEEvT0_T1_SA_.kd
    .uniform_work_group_size: 1
    .uses_dynamic_stack: false
    .vgpr_count:     4
    .vgpr_spill_count: 0
    .wavefront_size: 64
  - .args:
      - .offset:         0
        .size:           112
        .value_kind:     by_value
    .group_segment_fixed_size: 0
    .kernarg_segment_align: 8
    .kernarg_segment_size: 112
    .language:       OpenCL C
    .language_version:
      - 2
      - 0
    .max_flat_workgroup_size: 512
    .name:           _ZN7rocprim17ROCPRIM_400000_NS6detail17trampoline_kernelINS0_14default_configENS1_25partition_config_selectorILNS1_17partition_subalgoE8EjNS0_10empty_typeEbEEZZNS1_14partition_implILS5_8ELb0ES3_jN6thrust23THRUST_200600_302600_NS6detail15normal_iteratorINSA_10device_ptrIjEEEEPS6_PKS6_NS0_5tupleIJSF_S6_EEENSJ_IJSG_SG_EEENS0_18inequality_wrapperINSA_8equal_toIjEEEEPmJS6_EEE10hipError_tPvRmT3_T4_T5_T6_T7_T9_mT8_P12ihipStream_tbDpT10_ENKUlT_T0_E_clISt17integral_constantIbLb0EES1A_EEDaS15_S16_EUlS15_E_NS1_11comp_targetILNS1_3genE0ELNS1_11target_archE4294967295ELNS1_3gpuE0ELNS1_3repE0EEENS1_30default_config_static_selectorELNS0_4arch9wavefront6targetE1EEEvT1_
    .private_segment_fixed_size: 0
    .sgpr_count:     4
    .sgpr_spill_count: 0
    .symbol:         _ZN7rocprim17ROCPRIM_400000_NS6detail17trampoline_kernelINS0_14default_configENS1_25partition_config_selectorILNS1_17partition_subalgoE8EjNS0_10empty_typeEbEEZZNS1_14partition_implILS5_8ELb0ES3_jN6thrust23THRUST_200600_302600_NS6detail15normal_iteratorINSA_10device_ptrIjEEEEPS6_PKS6_NS0_5tupleIJSF_S6_EEENSJ_IJSG_SG_EEENS0_18inequality_wrapperINSA_8equal_toIjEEEEPmJS6_EEE10hipError_tPvRmT3_T4_T5_T6_T7_T9_mT8_P12ihipStream_tbDpT10_ENKUlT_T0_E_clISt17integral_constantIbLb0EES1A_EEDaS15_S16_EUlS15_E_NS1_11comp_targetILNS1_3genE0ELNS1_11target_archE4294967295ELNS1_3gpuE0ELNS1_3repE0EEENS1_30default_config_static_selectorELNS0_4arch9wavefront6targetE1EEEvT1_.kd
    .uniform_work_group_size: 1
    .uses_dynamic_stack: false
    .vgpr_count:     0
    .vgpr_spill_count: 0
    .wavefront_size: 64
  - .args:
      - .offset:         0
        .size:           112
        .value_kind:     by_value
    .group_segment_fixed_size: 0
    .kernarg_segment_align: 8
    .kernarg_segment_size: 112
    .language:       OpenCL C
    .language_version:
      - 2
      - 0
    .max_flat_workgroup_size: 512
    .name:           _ZN7rocprim17ROCPRIM_400000_NS6detail17trampoline_kernelINS0_14default_configENS1_25partition_config_selectorILNS1_17partition_subalgoE8EjNS0_10empty_typeEbEEZZNS1_14partition_implILS5_8ELb0ES3_jN6thrust23THRUST_200600_302600_NS6detail15normal_iteratorINSA_10device_ptrIjEEEEPS6_PKS6_NS0_5tupleIJSF_S6_EEENSJ_IJSG_SG_EEENS0_18inequality_wrapperINSA_8equal_toIjEEEEPmJS6_EEE10hipError_tPvRmT3_T4_T5_T6_T7_T9_mT8_P12ihipStream_tbDpT10_ENKUlT_T0_E_clISt17integral_constantIbLb0EES1A_EEDaS15_S16_EUlS15_E_NS1_11comp_targetILNS1_3genE5ELNS1_11target_archE942ELNS1_3gpuE9ELNS1_3repE0EEENS1_30default_config_static_selectorELNS0_4arch9wavefront6targetE1EEEvT1_
    .private_segment_fixed_size: 0
    .sgpr_count:     4
    .sgpr_spill_count: 0
    .symbol:         _ZN7rocprim17ROCPRIM_400000_NS6detail17trampoline_kernelINS0_14default_configENS1_25partition_config_selectorILNS1_17partition_subalgoE8EjNS0_10empty_typeEbEEZZNS1_14partition_implILS5_8ELb0ES3_jN6thrust23THRUST_200600_302600_NS6detail15normal_iteratorINSA_10device_ptrIjEEEEPS6_PKS6_NS0_5tupleIJSF_S6_EEENSJ_IJSG_SG_EEENS0_18inequality_wrapperINSA_8equal_toIjEEEEPmJS6_EEE10hipError_tPvRmT3_T4_T5_T6_T7_T9_mT8_P12ihipStream_tbDpT10_ENKUlT_T0_E_clISt17integral_constantIbLb0EES1A_EEDaS15_S16_EUlS15_E_NS1_11comp_targetILNS1_3genE5ELNS1_11target_archE942ELNS1_3gpuE9ELNS1_3repE0EEENS1_30default_config_static_selectorELNS0_4arch9wavefront6targetE1EEEvT1_.kd
    .uniform_work_group_size: 1
    .uses_dynamic_stack: false
    .vgpr_count:     0
    .vgpr_spill_count: 0
    .wavefront_size: 64
  - .args:
      - .offset:         0
        .size:           112
        .value_kind:     by_value
    .group_segment_fixed_size: 0
    .kernarg_segment_align: 8
    .kernarg_segment_size: 112
    .language:       OpenCL C
    .language_version:
      - 2
      - 0
    .max_flat_workgroup_size: 256
    .name:           _ZN7rocprim17ROCPRIM_400000_NS6detail17trampoline_kernelINS0_14default_configENS1_25partition_config_selectorILNS1_17partition_subalgoE8EjNS0_10empty_typeEbEEZZNS1_14partition_implILS5_8ELb0ES3_jN6thrust23THRUST_200600_302600_NS6detail15normal_iteratorINSA_10device_ptrIjEEEEPS6_PKS6_NS0_5tupleIJSF_S6_EEENSJ_IJSG_SG_EEENS0_18inequality_wrapperINSA_8equal_toIjEEEEPmJS6_EEE10hipError_tPvRmT3_T4_T5_T6_T7_T9_mT8_P12ihipStream_tbDpT10_ENKUlT_T0_E_clISt17integral_constantIbLb0EES1A_EEDaS15_S16_EUlS15_E_NS1_11comp_targetILNS1_3genE4ELNS1_11target_archE910ELNS1_3gpuE8ELNS1_3repE0EEENS1_30default_config_static_selectorELNS0_4arch9wavefront6targetE1EEEvT1_
    .private_segment_fixed_size: 0
    .sgpr_count:     4
    .sgpr_spill_count: 0
    .symbol:         _ZN7rocprim17ROCPRIM_400000_NS6detail17trampoline_kernelINS0_14default_configENS1_25partition_config_selectorILNS1_17partition_subalgoE8EjNS0_10empty_typeEbEEZZNS1_14partition_implILS5_8ELb0ES3_jN6thrust23THRUST_200600_302600_NS6detail15normal_iteratorINSA_10device_ptrIjEEEEPS6_PKS6_NS0_5tupleIJSF_S6_EEENSJ_IJSG_SG_EEENS0_18inequality_wrapperINSA_8equal_toIjEEEEPmJS6_EEE10hipError_tPvRmT3_T4_T5_T6_T7_T9_mT8_P12ihipStream_tbDpT10_ENKUlT_T0_E_clISt17integral_constantIbLb0EES1A_EEDaS15_S16_EUlS15_E_NS1_11comp_targetILNS1_3genE4ELNS1_11target_archE910ELNS1_3gpuE8ELNS1_3repE0EEENS1_30default_config_static_selectorELNS0_4arch9wavefront6targetE1EEEvT1_.kd
    .uniform_work_group_size: 1
    .uses_dynamic_stack: false
    .vgpr_count:     0
    .vgpr_spill_count: 0
    .wavefront_size: 64
  - .args:
      - .offset:         0
        .size:           112
        .value_kind:     by_value
    .group_segment_fixed_size: 0
    .kernarg_segment_align: 8
    .kernarg_segment_size: 112
    .language:       OpenCL C
    .language_version:
      - 2
      - 0
    .max_flat_workgroup_size: 512
    .name:           _ZN7rocprim17ROCPRIM_400000_NS6detail17trampoline_kernelINS0_14default_configENS1_25partition_config_selectorILNS1_17partition_subalgoE8EjNS0_10empty_typeEbEEZZNS1_14partition_implILS5_8ELb0ES3_jN6thrust23THRUST_200600_302600_NS6detail15normal_iteratorINSA_10device_ptrIjEEEEPS6_PKS6_NS0_5tupleIJSF_S6_EEENSJ_IJSG_SG_EEENS0_18inequality_wrapperINSA_8equal_toIjEEEEPmJS6_EEE10hipError_tPvRmT3_T4_T5_T6_T7_T9_mT8_P12ihipStream_tbDpT10_ENKUlT_T0_E_clISt17integral_constantIbLb0EES1A_EEDaS15_S16_EUlS15_E_NS1_11comp_targetILNS1_3genE3ELNS1_11target_archE908ELNS1_3gpuE7ELNS1_3repE0EEENS1_30default_config_static_selectorELNS0_4arch9wavefront6targetE1EEEvT1_
    .private_segment_fixed_size: 0
    .sgpr_count:     4
    .sgpr_spill_count: 0
    .symbol:         _ZN7rocprim17ROCPRIM_400000_NS6detail17trampoline_kernelINS0_14default_configENS1_25partition_config_selectorILNS1_17partition_subalgoE8EjNS0_10empty_typeEbEEZZNS1_14partition_implILS5_8ELb0ES3_jN6thrust23THRUST_200600_302600_NS6detail15normal_iteratorINSA_10device_ptrIjEEEEPS6_PKS6_NS0_5tupleIJSF_S6_EEENSJ_IJSG_SG_EEENS0_18inequality_wrapperINSA_8equal_toIjEEEEPmJS6_EEE10hipError_tPvRmT3_T4_T5_T6_T7_T9_mT8_P12ihipStream_tbDpT10_ENKUlT_T0_E_clISt17integral_constantIbLb0EES1A_EEDaS15_S16_EUlS15_E_NS1_11comp_targetILNS1_3genE3ELNS1_11target_archE908ELNS1_3gpuE7ELNS1_3repE0EEENS1_30default_config_static_selectorELNS0_4arch9wavefront6targetE1EEEvT1_.kd
    .uniform_work_group_size: 1
    .uses_dynamic_stack: false
    .vgpr_count:     0
    .vgpr_spill_count: 0
    .wavefront_size: 64
  - .args:
      - .offset:         0
        .size:           112
        .value_kind:     by_value
    .group_segment_fixed_size: 16904
    .kernarg_segment_align: 8
    .kernarg_segment_size: 112
    .language:       OpenCL C
    .language_version:
      - 2
      - 0
    .max_flat_workgroup_size: 256
    .name:           _ZN7rocprim17ROCPRIM_400000_NS6detail17trampoline_kernelINS0_14default_configENS1_25partition_config_selectorILNS1_17partition_subalgoE8EjNS0_10empty_typeEbEEZZNS1_14partition_implILS5_8ELb0ES3_jN6thrust23THRUST_200600_302600_NS6detail15normal_iteratorINSA_10device_ptrIjEEEEPS6_PKS6_NS0_5tupleIJSF_S6_EEENSJ_IJSG_SG_EEENS0_18inequality_wrapperINSA_8equal_toIjEEEEPmJS6_EEE10hipError_tPvRmT3_T4_T5_T6_T7_T9_mT8_P12ihipStream_tbDpT10_ENKUlT_T0_E_clISt17integral_constantIbLb0EES1A_EEDaS15_S16_EUlS15_E_NS1_11comp_targetILNS1_3genE2ELNS1_11target_archE906ELNS1_3gpuE6ELNS1_3repE0EEENS1_30default_config_static_selectorELNS0_4arch9wavefront6targetE1EEEvT1_
    .private_segment_fixed_size: 0
    .sgpr_count:     60
    .sgpr_spill_count: 0
    .symbol:         _ZN7rocprim17ROCPRIM_400000_NS6detail17trampoline_kernelINS0_14default_configENS1_25partition_config_selectorILNS1_17partition_subalgoE8EjNS0_10empty_typeEbEEZZNS1_14partition_implILS5_8ELb0ES3_jN6thrust23THRUST_200600_302600_NS6detail15normal_iteratorINSA_10device_ptrIjEEEEPS6_PKS6_NS0_5tupleIJSF_S6_EEENSJ_IJSG_SG_EEENS0_18inequality_wrapperINSA_8equal_toIjEEEEPmJS6_EEE10hipError_tPvRmT3_T4_T5_T6_T7_T9_mT8_P12ihipStream_tbDpT10_ENKUlT_T0_E_clISt17integral_constantIbLb0EES1A_EEDaS15_S16_EUlS15_E_NS1_11comp_targetILNS1_3genE2ELNS1_11target_archE906ELNS1_3gpuE6ELNS1_3repE0EEENS1_30default_config_static_selectorELNS0_4arch9wavefront6targetE1EEEvT1_.kd
    .uniform_work_group_size: 1
    .uses_dynamic_stack: false
    .vgpr_count:     75
    .vgpr_spill_count: 0
    .wavefront_size: 64
  - .args:
      - .offset:         0
        .size:           112
        .value_kind:     by_value
    .group_segment_fixed_size: 0
    .kernarg_segment_align: 8
    .kernarg_segment_size: 112
    .language:       OpenCL C
    .language_version:
      - 2
      - 0
    .max_flat_workgroup_size: 384
    .name:           _ZN7rocprim17ROCPRIM_400000_NS6detail17trampoline_kernelINS0_14default_configENS1_25partition_config_selectorILNS1_17partition_subalgoE8EjNS0_10empty_typeEbEEZZNS1_14partition_implILS5_8ELb0ES3_jN6thrust23THRUST_200600_302600_NS6detail15normal_iteratorINSA_10device_ptrIjEEEEPS6_PKS6_NS0_5tupleIJSF_S6_EEENSJ_IJSG_SG_EEENS0_18inequality_wrapperINSA_8equal_toIjEEEEPmJS6_EEE10hipError_tPvRmT3_T4_T5_T6_T7_T9_mT8_P12ihipStream_tbDpT10_ENKUlT_T0_E_clISt17integral_constantIbLb0EES1A_EEDaS15_S16_EUlS15_E_NS1_11comp_targetILNS1_3genE10ELNS1_11target_archE1200ELNS1_3gpuE4ELNS1_3repE0EEENS1_30default_config_static_selectorELNS0_4arch9wavefront6targetE1EEEvT1_
    .private_segment_fixed_size: 0
    .sgpr_count:     4
    .sgpr_spill_count: 0
    .symbol:         _ZN7rocprim17ROCPRIM_400000_NS6detail17trampoline_kernelINS0_14default_configENS1_25partition_config_selectorILNS1_17partition_subalgoE8EjNS0_10empty_typeEbEEZZNS1_14partition_implILS5_8ELb0ES3_jN6thrust23THRUST_200600_302600_NS6detail15normal_iteratorINSA_10device_ptrIjEEEEPS6_PKS6_NS0_5tupleIJSF_S6_EEENSJ_IJSG_SG_EEENS0_18inequality_wrapperINSA_8equal_toIjEEEEPmJS6_EEE10hipError_tPvRmT3_T4_T5_T6_T7_T9_mT8_P12ihipStream_tbDpT10_ENKUlT_T0_E_clISt17integral_constantIbLb0EES1A_EEDaS15_S16_EUlS15_E_NS1_11comp_targetILNS1_3genE10ELNS1_11target_archE1200ELNS1_3gpuE4ELNS1_3repE0EEENS1_30default_config_static_selectorELNS0_4arch9wavefront6targetE1EEEvT1_.kd
    .uniform_work_group_size: 1
    .uses_dynamic_stack: false
    .vgpr_count:     0
    .vgpr_spill_count: 0
    .wavefront_size: 64
  - .args:
      - .offset:         0
        .size:           112
        .value_kind:     by_value
    .group_segment_fixed_size: 0
    .kernarg_segment_align: 8
    .kernarg_segment_size: 112
    .language:       OpenCL C
    .language_version:
      - 2
      - 0
    .max_flat_workgroup_size: 384
    .name:           _ZN7rocprim17ROCPRIM_400000_NS6detail17trampoline_kernelINS0_14default_configENS1_25partition_config_selectorILNS1_17partition_subalgoE8EjNS0_10empty_typeEbEEZZNS1_14partition_implILS5_8ELb0ES3_jN6thrust23THRUST_200600_302600_NS6detail15normal_iteratorINSA_10device_ptrIjEEEEPS6_PKS6_NS0_5tupleIJSF_S6_EEENSJ_IJSG_SG_EEENS0_18inequality_wrapperINSA_8equal_toIjEEEEPmJS6_EEE10hipError_tPvRmT3_T4_T5_T6_T7_T9_mT8_P12ihipStream_tbDpT10_ENKUlT_T0_E_clISt17integral_constantIbLb0EES1A_EEDaS15_S16_EUlS15_E_NS1_11comp_targetILNS1_3genE9ELNS1_11target_archE1100ELNS1_3gpuE3ELNS1_3repE0EEENS1_30default_config_static_selectorELNS0_4arch9wavefront6targetE1EEEvT1_
    .private_segment_fixed_size: 0
    .sgpr_count:     4
    .sgpr_spill_count: 0
    .symbol:         _ZN7rocprim17ROCPRIM_400000_NS6detail17trampoline_kernelINS0_14default_configENS1_25partition_config_selectorILNS1_17partition_subalgoE8EjNS0_10empty_typeEbEEZZNS1_14partition_implILS5_8ELb0ES3_jN6thrust23THRUST_200600_302600_NS6detail15normal_iteratorINSA_10device_ptrIjEEEEPS6_PKS6_NS0_5tupleIJSF_S6_EEENSJ_IJSG_SG_EEENS0_18inequality_wrapperINSA_8equal_toIjEEEEPmJS6_EEE10hipError_tPvRmT3_T4_T5_T6_T7_T9_mT8_P12ihipStream_tbDpT10_ENKUlT_T0_E_clISt17integral_constantIbLb0EES1A_EEDaS15_S16_EUlS15_E_NS1_11comp_targetILNS1_3genE9ELNS1_11target_archE1100ELNS1_3gpuE3ELNS1_3repE0EEENS1_30default_config_static_selectorELNS0_4arch9wavefront6targetE1EEEvT1_.kd
    .uniform_work_group_size: 1
    .uses_dynamic_stack: false
    .vgpr_count:     0
    .vgpr_spill_count: 0
    .wavefront_size: 64
  - .args:
      - .offset:         0
        .size:           112
        .value_kind:     by_value
    .group_segment_fixed_size: 0
    .kernarg_segment_align: 8
    .kernarg_segment_size: 112
    .language:       OpenCL C
    .language_version:
      - 2
      - 0
    .max_flat_workgroup_size: 512
    .name:           _ZN7rocprim17ROCPRIM_400000_NS6detail17trampoline_kernelINS0_14default_configENS1_25partition_config_selectorILNS1_17partition_subalgoE8EjNS0_10empty_typeEbEEZZNS1_14partition_implILS5_8ELb0ES3_jN6thrust23THRUST_200600_302600_NS6detail15normal_iteratorINSA_10device_ptrIjEEEEPS6_PKS6_NS0_5tupleIJSF_S6_EEENSJ_IJSG_SG_EEENS0_18inequality_wrapperINSA_8equal_toIjEEEEPmJS6_EEE10hipError_tPvRmT3_T4_T5_T6_T7_T9_mT8_P12ihipStream_tbDpT10_ENKUlT_T0_E_clISt17integral_constantIbLb0EES1A_EEDaS15_S16_EUlS15_E_NS1_11comp_targetILNS1_3genE8ELNS1_11target_archE1030ELNS1_3gpuE2ELNS1_3repE0EEENS1_30default_config_static_selectorELNS0_4arch9wavefront6targetE1EEEvT1_
    .private_segment_fixed_size: 0
    .sgpr_count:     4
    .sgpr_spill_count: 0
    .symbol:         _ZN7rocprim17ROCPRIM_400000_NS6detail17trampoline_kernelINS0_14default_configENS1_25partition_config_selectorILNS1_17partition_subalgoE8EjNS0_10empty_typeEbEEZZNS1_14partition_implILS5_8ELb0ES3_jN6thrust23THRUST_200600_302600_NS6detail15normal_iteratorINSA_10device_ptrIjEEEEPS6_PKS6_NS0_5tupleIJSF_S6_EEENSJ_IJSG_SG_EEENS0_18inequality_wrapperINSA_8equal_toIjEEEEPmJS6_EEE10hipError_tPvRmT3_T4_T5_T6_T7_T9_mT8_P12ihipStream_tbDpT10_ENKUlT_T0_E_clISt17integral_constantIbLb0EES1A_EEDaS15_S16_EUlS15_E_NS1_11comp_targetILNS1_3genE8ELNS1_11target_archE1030ELNS1_3gpuE2ELNS1_3repE0EEENS1_30default_config_static_selectorELNS0_4arch9wavefront6targetE1EEEvT1_.kd
    .uniform_work_group_size: 1
    .uses_dynamic_stack: false
    .vgpr_count:     0
    .vgpr_spill_count: 0
    .wavefront_size: 64
  - .args:
      - .offset:         0
        .size:           128
        .value_kind:     by_value
    .group_segment_fixed_size: 0
    .kernarg_segment_align: 8
    .kernarg_segment_size: 128
    .language:       OpenCL C
    .language_version:
      - 2
      - 0
    .max_flat_workgroup_size: 512
    .name:           _ZN7rocprim17ROCPRIM_400000_NS6detail17trampoline_kernelINS0_14default_configENS1_25partition_config_selectorILNS1_17partition_subalgoE8EjNS0_10empty_typeEbEEZZNS1_14partition_implILS5_8ELb0ES3_jN6thrust23THRUST_200600_302600_NS6detail15normal_iteratorINSA_10device_ptrIjEEEEPS6_PKS6_NS0_5tupleIJSF_S6_EEENSJ_IJSG_SG_EEENS0_18inequality_wrapperINSA_8equal_toIjEEEEPmJS6_EEE10hipError_tPvRmT3_T4_T5_T6_T7_T9_mT8_P12ihipStream_tbDpT10_ENKUlT_T0_E_clISt17integral_constantIbLb1EES1A_EEDaS15_S16_EUlS15_E_NS1_11comp_targetILNS1_3genE0ELNS1_11target_archE4294967295ELNS1_3gpuE0ELNS1_3repE0EEENS1_30default_config_static_selectorELNS0_4arch9wavefront6targetE1EEEvT1_
    .private_segment_fixed_size: 0
    .sgpr_count:     4
    .sgpr_spill_count: 0
    .symbol:         _ZN7rocprim17ROCPRIM_400000_NS6detail17trampoline_kernelINS0_14default_configENS1_25partition_config_selectorILNS1_17partition_subalgoE8EjNS0_10empty_typeEbEEZZNS1_14partition_implILS5_8ELb0ES3_jN6thrust23THRUST_200600_302600_NS6detail15normal_iteratorINSA_10device_ptrIjEEEEPS6_PKS6_NS0_5tupleIJSF_S6_EEENSJ_IJSG_SG_EEENS0_18inequality_wrapperINSA_8equal_toIjEEEEPmJS6_EEE10hipError_tPvRmT3_T4_T5_T6_T7_T9_mT8_P12ihipStream_tbDpT10_ENKUlT_T0_E_clISt17integral_constantIbLb1EES1A_EEDaS15_S16_EUlS15_E_NS1_11comp_targetILNS1_3genE0ELNS1_11target_archE4294967295ELNS1_3gpuE0ELNS1_3repE0EEENS1_30default_config_static_selectorELNS0_4arch9wavefront6targetE1EEEvT1_.kd
    .uniform_work_group_size: 1
    .uses_dynamic_stack: false
    .vgpr_count:     0
    .vgpr_spill_count: 0
    .wavefront_size: 64
  - .args:
      - .offset:         0
        .size:           128
        .value_kind:     by_value
    .group_segment_fixed_size: 0
    .kernarg_segment_align: 8
    .kernarg_segment_size: 128
    .language:       OpenCL C
    .language_version:
      - 2
      - 0
    .max_flat_workgroup_size: 512
    .name:           _ZN7rocprim17ROCPRIM_400000_NS6detail17trampoline_kernelINS0_14default_configENS1_25partition_config_selectorILNS1_17partition_subalgoE8EjNS0_10empty_typeEbEEZZNS1_14partition_implILS5_8ELb0ES3_jN6thrust23THRUST_200600_302600_NS6detail15normal_iteratorINSA_10device_ptrIjEEEEPS6_PKS6_NS0_5tupleIJSF_S6_EEENSJ_IJSG_SG_EEENS0_18inequality_wrapperINSA_8equal_toIjEEEEPmJS6_EEE10hipError_tPvRmT3_T4_T5_T6_T7_T9_mT8_P12ihipStream_tbDpT10_ENKUlT_T0_E_clISt17integral_constantIbLb1EES1A_EEDaS15_S16_EUlS15_E_NS1_11comp_targetILNS1_3genE5ELNS1_11target_archE942ELNS1_3gpuE9ELNS1_3repE0EEENS1_30default_config_static_selectorELNS0_4arch9wavefront6targetE1EEEvT1_
    .private_segment_fixed_size: 0
    .sgpr_count:     4
    .sgpr_spill_count: 0
    .symbol:         _ZN7rocprim17ROCPRIM_400000_NS6detail17trampoline_kernelINS0_14default_configENS1_25partition_config_selectorILNS1_17partition_subalgoE8EjNS0_10empty_typeEbEEZZNS1_14partition_implILS5_8ELb0ES3_jN6thrust23THRUST_200600_302600_NS6detail15normal_iteratorINSA_10device_ptrIjEEEEPS6_PKS6_NS0_5tupleIJSF_S6_EEENSJ_IJSG_SG_EEENS0_18inequality_wrapperINSA_8equal_toIjEEEEPmJS6_EEE10hipError_tPvRmT3_T4_T5_T6_T7_T9_mT8_P12ihipStream_tbDpT10_ENKUlT_T0_E_clISt17integral_constantIbLb1EES1A_EEDaS15_S16_EUlS15_E_NS1_11comp_targetILNS1_3genE5ELNS1_11target_archE942ELNS1_3gpuE9ELNS1_3repE0EEENS1_30default_config_static_selectorELNS0_4arch9wavefront6targetE1EEEvT1_.kd
    .uniform_work_group_size: 1
    .uses_dynamic_stack: false
    .vgpr_count:     0
    .vgpr_spill_count: 0
    .wavefront_size: 64
  - .args:
      - .offset:         0
        .size:           128
        .value_kind:     by_value
    .group_segment_fixed_size: 0
    .kernarg_segment_align: 8
    .kernarg_segment_size: 128
    .language:       OpenCL C
    .language_version:
      - 2
      - 0
    .max_flat_workgroup_size: 256
    .name:           _ZN7rocprim17ROCPRIM_400000_NS6detail17trampoline_kernelINS0_14default_configENS1_25partition_config_selectorILNS1_17partition_subalgoE8EjNS0_10empty_typeEbEEZZNS1_14partition_implILS5_8ELb0ES3_jN6thrust23THRUST_200600_302600_NS6detail15normal_iteratorINSA_10device_ptrIjEEEEPS6_PKS6_NS0_5tupleIJSF_S6_EEENSJ_IJSG_SG_EEENS0_18inequality_wrapperINSA_8equal_toIjEEEEPmJS6_EEE10hipError_tPvRmT3_T4_T5_T6_T7_T9_mT8_P12ihipStream_tbDpT10_ENKUlT_T0_E_clISt17integral_constantIbLb1EES1A_EEDaS15_S16_EUlS15_E_NS1_11comp_targetILNS1_3genE4ELNS1_11target_archE910ELNS1_3gpuE8ELNS1_3repE0EEENS1_30default_config_static_selectorELNS0_4arch9wavefront6targetE1EEEvT1_
    .private_segment_fixed_size: 0
    .sgpr_count:     4
    .sgpr_spill_count: 0
    .symbol:         _ZN7rocprim17ROCPRIM_400000_NS6detail17trampoline_kernelINS0_14default_configENS1_25partition_config_selectorILNS1_17partition_subalgoE8EjNS0_10empty_typeEbEEZZNS1_14partition_implILS5_8ELb0ES3_jN6thrust23THRUST_200600_302600_NS6detail15normal_iteratorINSA_10device_ptrIjEEEEPS6_PKS6_NS0_5tupleIJSF_S6_EEENSJ_IJSG_SG_EEENS0_18inequality_wrapperINSA_8equal_toIjEEEEPmJS6_EEE10hipError_tPvRmT3_T4_T5_T6_T7_T9_mT8_P12ihipStream_tbDpT10_ENKUlT_T0_E_clISt17integral_constantIbLb1EES1A_EEDaS15_S16_EUlS15_E_NS1_11comp_targetILNS1_3genE4ELNS1_11target_archE910ELNS1_3gpuE8ELNS1_3repE0EEENS1_30default_config_static_selectorELNS0_4arch9wavefront6targetE1EEEvT1_.kd
    .uniform_work_group_size: 1
    .uses_dynamic_stack: false
    .vgpr_count:     0
    .vgpr_spill_count: 0
    .wavefront_size: 64
  - .args:
      - .offset:         0
        .size:           128
        .value_kind:     by_value
    .group_segment_fixed_size: 0
    .kernarg_segment_align: 8
    .kernarg_segment_size: 128
    .language:       OpenCL C
    .language_version:
      - 2
      - 0
    .max_flat_workgroup_size: 512
    .name:           _ZN7rocprim17ROCPRIM_400000_NS6detail17trampoline_kernelINS0_14default_configENS1_25partition_config_selectorILNS1_17partition_subalgoE8EjNS0_10empty_typeEbEEZZNS1_14partition_implILS5_8ELb0ES3_jN6thrust23THRUST_200600_302600_NS6detail15normal_iteratorINSA_10device_ptrIjEEEEPS6_PKS6_NS0_5tupleIJSF_S6_EEENSJ_IJSG_SG_EEENS0_18inequality_wrapperINSA_8equal_toIjEEEEPmJS6_EEE10hipError_tPvRmT3_T4_T5_T6_T7_T9_mT8_P12ihipStream_tbDpT10_ENKUlT_T0_E_clISt17integral_constantIbLb1EES1A_EEDaS15_S16_EUlS15_E_NS1_11comp_targetILNS1_3genE3ELNS1_11target_archE908ELNS1_3gpuE7ELNS1_3repE0EEENS1_30default_config_static_selectorELNS0_4arch9wavefront6targetE1EEEvT1_
    .private_segment_fixed_size: 0
    .sgpr_count:     4
    .sgpr_spill_count: 0
    .symbol:         _ZN7rocprim17ROCPRIM_400000_NS6detail17trampoline_kernelINS0_14default_configENS1_25partition_config_selectorILNS1_17partition_subalgoE8EjNS0_10empty_typeEbEEZZNS1_14partition_implILS5_8ELb0ES3_jN6thrust23THRUST_200600_302600_NS6detail15normal_iteratorINSA_10device_ptrIjEEEEPS6_PKS6_NS0_5tupleIJSF_S6_EEENSJ_IJSG_SG_EEENS0_18inequality_wrapperINSA_8equal_toIjEEEEPmJS6_EEE10hipError_tPvRmT3_T4_T5_T6_T7_T9_mT8_P12ihipStream_tbDpT10_ENKUlT_T0_E_clISt17integral_constantIbLb1EES1A_EEDaS15_S16_EUlS15_E_NS1_11comp_targetILNS1_3genE3ELNS1_11target_archE908ELNS1_3gpuE7ELNS1_3repE0EEENS1_30default_config_static_selectorELNS0_4arch9wavefront6targetE1EEEvT1_.kd
    .uniform_work_group_size: 1
    .uses_dynamic_stack: false
    .vgpr_count:     0
    .vgpr_spill_count: 0
    .wavefront_size: 64
  - .args:
      - .offset:         0
        .size:           128
        .value_kind:     by_value
    .group_segment_fixed_size: 0
    .kernarg_segment_align: 8
    .kernarg_segment_size: 128
    .language:       OpenCL C
    .language_version:
      - 2
      - 0
    .max_flat_workgroup_size: 256
    .name:           _ZN7rocprim17ROCPRIM_400000_NS6detail17trampoline_kernelINS0_14default_configENS1_25partition_config_selectorILNS1_17partition_subalgoE8EjNS0_10empty_typeEbEEZZNS1_14partition_implILS5_8ELb0ES3_jN6thrust23THRUST_200600_302600_NS6detail15normal_iteratorINSA_10device_ptrIjEEEEPS6_PKS6_NS0_5tupleIJSF_S6_EEENSJ_IJSG_SG_EEENS0_18inequality_wrapperINSA_8equal_toIjEEEEPmJS6_EEE10hipError_tPvRmT3_T4_T5_T6_T7_T9_mT8_P12ihipStream_tbDpT10_ENKUlT_T0_E_clISt17integral_constantIbLb1EES1A_EEDaS15_S16_EUlS15_E_NS1_11comp_targetILNS1_3genE2ELNS1_11target_archE906ELNS1_3gpuE6ELNS1_3repE0EEENS1_30default_config_static_selectorELNS0_4arch9wavefront6targetE1EEEvT1_
    .private_segment_fixed_size: 0
    .sgpr_count:     4
    .sgpr_spill_count: 0
    .symbol:         _ZN7rocprim17ROCPRIM_400000_NS6detail17trampoline_kernelINS0_14default_configENS1_25partition_config_selectorILNS1_17partition_subalgoE8EjNS0_10empty_typeEbEEZZNS1_14partition_implILS5_8ELb0ES3_jN6thrust23THRUST_200600_302600_NS6detail15normal_iteratorINSA_10device_ptrIjEEEEPS6_PKS6_NS0_5tupleIJSF_S6_EEENSJ_IJSG_SG_EEENS0_18inequality_wrapperINSA_8equal_toIjEEEEPmJS6_EEE10hipError_tPvRmT3_T4_T5_T6_T7_T9_mT8_P12ihipStream_tbDpT10_ENKUlT_T0_E_clISt17integral_constantIbLb1EES1A_EEDaS15_S16_EUlS15_E_NS1_11comp_targetILNS1_3genE2ELNS1_11target_archE906ELNS1_3gpuE6ELNS1_3repE0EEENS1_30default_config_static_selectorELNS0_4arch9wavefront6targetE1EEEvT1_.kd
    .uniform_work_group_size: 1
    .uses_dynamic_stack: false
    .vgpr_count:     0
    .vgpr_spill_count: 0
    .wavefront_size: 64
  - .args:
      - .offset:         0
        .size:           128
        .value_kind:     by_value
    .group_segment_fixed_size: 0
    .kernarg_segment_align: 8
    .kernarg_segment_size: 128
    .language:       OpenCL C
    .language_version:
      - 2
      - 0
    .max_flat_workgroup_size: 384
    .name:           _ZN7rocprim17ROCPRIM_400000_NS6detail17trampoline_kernelINS0_14default_configENS1_25partition_config_selectorILNS1_17partition_subalgoE8EjNS0_10empty_typeEbEEZZNS1_14partition_implILS5_8ELb0ES3_jN6thrust23THRUST_200600_302600_NS6detail15normal_iteratorINSA_10device_ptrIjEEEEPS6_PKS6_NS0_5tupleIJSF_S6_EEENSJ_IJSG_SG_EEENS0_18inequality_wrapperINSA_8equal_toIjEEEEPmJS6_EEE10hipError_tPvRmT3_T4_T5_T6_T7_T9_mT8_P12ihipStream_tbDpT10_ENKUlT_T0_E_clISt17integral_constantIbLb1EES1A_EEDaS15_S16_EUlS15_E_NS1_11comp_targetILNS1_3genE10ELNS1_11target_archE1200ELNS1_3gpuE4ELNS1_3repE0EEENS1_30default_config_static_selectorELNS0_4arch9wavefront6targetE1EEEvT1_
    .private_segment_fixed_size: 0
    .sgpr_count:     4
    .sgpr_spill_count: 0
    .symbol:         _ZN7rocprim17ROCPRIM_400000_NS6detail17trampoline_kernelINS0_14default_configENS1_25partition_config_selectorILNS1_17partition_subalgoE8EjNS0_10empty_typeEbEEZZNS1_14partition_implILS5_8ELb0ES3_jN6thrust23THRUST_200600_302600_NS6detail15normal_iteratorINSA_10device_ptrIjEEEEPS6_PKS6_NS0_5tupleIJSF_S6_EEENSJ_IJSG_SG_EEENS0_18inequality_wrapperINSA_8equal_toIjEEEEPmJS6_EEE10hipError_tPvRmT3_T4_T5_T6_T7_T9_mT8_P12ihipStream_tbDpT10_ENKUlT_T0_E_clISt17integral_constantIbLb1EES1A_EEDaS15_S16_EUlS15_E_NS1_11comp_targetILNS1_3genE10ELNS1_11target_archE1200ELNS1_3gpuE4ELNS1_3repE0EEENS1_30default_config_static_selectorELNS0_4arch9wavefront6targetE1EEEvT1_.kd
    .uniform_work_group_size: 1
    .uses_dynamic_stack: false
    .vgpr_count:     0
    .vgpr_spill_count: 0
    .wavefront_size: 64
  - .args:
      - .offset:         0
        .size:           128
        .value_kind:     by_value
    .group_segment_fixed_size: 0
    .kernarg_segment_align: 8
    .kernarg_segment_size: 128
    .language:       OpenCL C
    .language_version:
      - 2
      - 0
    .max_flat_workgroup_size: 384
    .name:           _ZN7rocprim17ROCPRIM_400000_NS6detail17trampoline_kernelINS0_14default_configENS1_25partition_config_selectorILNS1_17partition_subalgoE8EjNS0_10empty_typeEbEEZZNS1_14partition_implILS5_8ELb0ES3_jN6thrust23THRUST_200600_302600_NS6detail15normal_iteratorINSA_10device_ptrIjEEEEPS6_PKS6_NS0_5tupleIJSF_S6_EEENSJ_IJSG_SG_EEENS0_18inequality_wrapperINSA_8equal_toIjEEEEPmJS6_EEE10hipError_tPvRmT3_T4_T5_T6_T7_T9_mT8_P12ihipStream_tbDpT10_ENKUlT_T0_E_clISt17integral_constantIbLb1EES1A_EEDaS15_S16_EUlS15_E_NS1_11comp_targetILNS1_3genE9ELNS1_11target_archE1100ELNS1_3gpuE3ELNS1_3repE0EEENS1_30default_config_static_selectorELNS0_4arch9wavefront6targetE1EEEvT1_
    .private_segment_fixed_size: 0
    .sgpr_count:     4
    .sgpr_spill_count: 0
    .symbol:         _ZN7rocprim17ROCPRIM_400000_NS6detail17trampoline_kernelINS0_14default_configENS1_25partition_config_selectorILNS1_17partition_subalgoE8EjNS0_10empty_typeEbEEZZNS1_14partition_implILS5_8ELb0ES3_jN6thrust23THRUST_200600_302600_NS6detail15normal_iteratorINSA_10device_ptrIjEEEEPS6_PKS6_NS0_5tupleIJSF_S6_EEENSJ_IJSG_SG_EEENS0_18inequality_wrapperINSA_8equal_toIjEEEEPmJS6_EEE10hipError_tPvRmT3_T4_T5_T6_T7_T9_mT8_P12ihipStream_tbDpT10_ENKUlT_T0_E_clISt17integral_constantIbLb1EES1A_EEDaS15_S16_EUlS15_E_NS1_11comp_targetILNS1_3genE9ELNS1_11target_archE1100ELNS1_3gpuE3ELNS1_3repE0EEENS1_30default_config_static_selectorELNS0_4arch9wavefront6targetE1EEEvT1_.kd
    .uniform_work_group_size: 1
    .uses_dynamic_stack: false
    .vgpr_count:     0
    .vgpr_spill_count: 0
    .wavefront_size: 64
  - .args:
      - .offset:         0
        .size:           128
        .value_kind:     by_value
    .group_segment_fixed_size: 0
    .kernarg_segment_align: 8
    .kernarg_segment_size: 128
    .language:       OpenCL C
    .language_version:
      - 2
      - 0
    .max_flat_workgroup_size: 512
    .name:           _ZN7rocprim17ROCPRIM_400000_NS6detail17trampoline_kernelINS0_14default_configENS1_25partition_config_selectorILNS1_17partition_subalgoE8EjNS0_10empty_typeEbEEZZNS1_14partition_implILS5_8ELb0ES3_jN6thrust23THRUST_200600_302600_NS6detail15normal_iteratorINSA_10device_ptrIjEEEEPS6_PKS6_NS0_5tupleIJSF_S6_EEENSJ_IJSG_SG_EEENS0_18inequality_wrapperINSA_8equal_toIjEEEEPmJS6_EEE10hipError_tPvRmT3_T4_T5_T6_T7_T9_mT8_P12ihipStream_tbDpT10_ENKUlT_T0_E_clISt17integral_constantIbLb1EES1A_EEDaS15_S16_EUlS15_E_NS1_11comp_targetILNS1_3genE8ELNS1_11target_archE1030ELNS1_3gpuE2ELNS1_3repE0EEENS1_30default_config_static_selectorELNS0_4arch9wavefront6targetE1EEEvT1_
    .private_segment_fixed_size: 0
    .sgpr_count:     4
    .sgpr_spill_count: 0
    .symbol:         _ZN7rocprim17ROCPRIM_400000_NS6detail17trampoline_kernelINS0_14default_configENS1_25partition_config_selectorILNS1_17partition_subalgoE8EjNS0_10empty_typeEbEEZZNS1_14partition_implILS5_8ELb0ES3_jN6thrust23THRUST_200600_302600_NS6detail15normal_iteratorINSA_10device_ptrIjEEEEPS6_PKS6_NS0_5tupleIJSF_S6_EEENSJ_IJSG_SG_EEENS0_18inequality_wrapperINSA_8equal_toIjEEEEPmJS6_EEE10hipError_tPvRmT3_T4_T5_T6_T7_T9_mT8_P12ihipStream_tbDpT10_ENKUlT_T0_E_clISt17integral_constantIbLb1EES1A_EEDaS15_S16_EUlS15_E_NS1_11comp_targetILNS1_3genE8ELNS1_11target_archE1030ELNS1_3gpuE2ELNS1_3repE0EEENS1_30default_config_static_selectorELNS0_4arch9wavefront6targetE1EEEvT1_.kd
    .uniform_work_group_size: 1
    .uses_dynamic_stack: false
    .vgpr_count:     0
    .vgpr_spill_count: 0
    .wavefront_size: 64
  - .args:
      - .offset:         0
        .size:           112
        .value_kind:     by_value
    .group_segment_fixed_size: 0
    .kernarg_segment_align: 8
    .kernarg_segment_size: 112
    .language:       OpenCL C
    .language_version:
      - 2
      - 0
    .max_flat_workgroup_size: 512
    .name:           _ZN7rocprim17ROCPRIM_400000_NS6detail17trampoline_kernelINS0_14default_configENS1_25partition_config_selectorILNS1_17partition_subalgoE8EjNS0_10empty_typeEbEEZZNS1_14partition_implILS5_8ELb0ES3_jN6thrust23THRUST_200600_302600_NS6detail15normal_iteratorINSA_10device_ptrIjEEEEPS6_PKS6_NS0_5tupleIJSF_S6_EEENSJ_IJSG_SG_EEENS0_18inequality_wrapperINSA_8equal_toIjEEEEPmJS6_EEE10hipError_tPvRmT3_T4_T5_T6_T7_T9_mT8_P12ihipStream_tbDpT10_ENKUlT_T0_E_clISt17integral_constantIbLb1EES19_IbLb0EEEEDaS15_S16_EUlS15_E_NS1_11comp_targetILNS1_3genE0ELNS1_11target_archE4294967295ELNS1_3gpuE0ELNS1_3repE0EEENS1_30default_config_static_selectorELNS0_4arch9wavefront6targetE1EEEvT1_
    .private_segment_fixed_size: 0
    .sgpr_count:     4
    .sgpr_spill_count: 0
    .symbol:         _ZN7rocprim17ROCPRIM_400000_NS6detail17trampoline_kernelINS0_14default_configENS1_25partition_config_selectorILNS1_17partition_subalgoE8EjNS0_10empty_typeEbEEZZNS1_14partition_implILS5_8ELb0ES3_jN6thrust23THRUST_200600_302600_NS6detail15normal_iteratorINSA_10device_ptrIjEEEEPS6_PKS6_NS0_5tupleIJSF_S6_EEENSJ_IJSG_SG_EEENS0_18inequality_wrapperINSA_8equal_toIjEEEEPmJS6_EEE10hipError_tPvRmT3_T4_T5_T6_T7_T9_mT8_P12ihipStream_tbDpT10_ENKUlT_T0_E_clISt17integral_constantIbLb1EES19_IbLb0EEEEDaS15_S16_EUlS15_E_NS1_11comp_targetILNS1_3genE0ELNS1_11target_archE4294967295ELNS1_3gpuE0ELNS1_3repE0EEENS1_30default_config_static_selectorELNS0_4arch9wavefront6targetE1EEEvT1_.kd
    .uniform_work_group_size: 1
    .uses_dynamic_stack: false
    .vgpr_count:     0
    .vgpr_spill_count: 0
    .wavefront_size: 64
  - .args:
      - .offset:         0
        .size:           112
        .value_kind:     by_value
    .group_segment_fixed_size: 0
    .kernarg_segment_align: 8
    .kernarg_segment_size: 112
    .language:       OpenCL C
    .language_version:
      - 2
      - 0
    .max_flat_workgroup_size: 512
    .name:           _ZN7rocprim17ROCPRIM_400000_NS6detail17trampoline_kernelINS0_14default_configENS1_25partition_config_selectorILNS1_17partition_subalgoE8EjNS0_10empty_typeEbEEZZNS1_14partition_implILS5_8ELb0ES3_jN6thrust23THRUST_200600_302600_NS6detail15normal_iteratorINSA_10device_ptrIjEEEEPS6_PKS6_NS0_5tupleIJSF_S6_EEENSJ_IJSG_SG_EEENS0_18inequality_wrapperINSA_8equal_toIjEEEEPmJS6_EEE10hipError_tPvRmT3_T4_T5_T6_T7_T9_mT8_P12ihipStream_tbDpT10_ENKUlT_T0_E_clISt17integral_constantIbLb1EES19_IbLb0EEEEDaS15_S16_EUlS15_E_NS1_11comp_targetILNS1_3genE5ELNS1_11target_archE942ELNS1_3gpuE9ELNS1_3repE0EEENS1_30default_config_static_selectorELNS0_4arch9wavefront6targetE1EEEvT1_
    .private_segment_fixed_size: 0
    .sgpr_count:     4
    .sgpr_spill_count: 0
    .symbol:         _ZN7rocprim17ROCPRIM_400000_NS6detail17trampoline_kernelINS0_14default_configENS1_25partition_config_selectorILNS1_17partition_subalgoE8EjNS0_10empty_typeEbEEZZNS1_14partition_implILS5_8ELb0ES3_jN6thrust23THRUST_200600_302600_NS6detail15normal_iteratorINSA_10device_ptrIjEEEEPS6_PKS6_NS0_5tupleIJSF_S6_EEENSJ_IJSG_SG_EEENS0_18inequality_wrapperINSA_8equal_toIjEEEEPmJS6_EEE10hipError_tPvRmT3_T4_T5_T6_T7_T9_mT8_P12ihipStream_tbDpT10_ENKUlT_T0_E_clISt17integral_constantIbLb1EES19_IbLb0EEEEDaS15_S16_EUlS15_E_NS1_11comp_targetILNS1_3genE5ELNS1_11target_archE942ELNS1_3gpuE9ELNS1_3repE0EEENS1_30default_config_static_selectorELNS0_4arch9wavefront6targetE1EEEvT1_.kd
    .uniform_work_group_size: 1
    .uses_dynamic_stack: false
    .vgpr_count:     0
    .vgpr_spill_count: 0
    .wavefront_size: 64
  - .args:
      - .offset:         0
        .size:           112
        .value_kind:     by_value
    .group_segment_fixed_size: 0
    .kernarg_segment_align: 8
    .kernarg_segment_size: 112
    .language:       OpenCL C
    .language_version:
      - 2
      - 0
    .max_flat_workgroup_size: 256
    .name:           _ZN7rocprim17ROCPRIM_400000_NS6detail17trampoline_kernelINS0_14default_configENS1_25partition_config_selectorILNS1_17partition_subalgoE8EjNS0_10empty_typeEbEEZZNS1_14partition_implILS5_8ELb0ES3_jN6thrust23THRUST_200600_302600_NS6detail15normal_iteratorINSA_10device_ptrIjEEEEPS6_PKS6_NS0_5tupleIJSF_S6_EEENSJ_IJSG_SG_EEENS0_18inequality_wrapperINSA_8equal_toIjEEEEPmJS6_EEE10hipError_tPvRmT3_T4_T5_T6_T7_T9_mT8_P12ihipStream_tbDpT10_ENKUlT_T0_E_clISt17integral_constantIbLb1EES19_IbLb0EEEEDaS15_S16_EUlS15_E_NS1_11comp_targetILNS1_3genE4ELNS1_11target_archE910ELNS1_3gpuE8ELNS1_3repE0EEENS1_30default_config_static_selectorELNS0_4arch9wavefront6targetE1EEEvT1_
    .private_segment_fixed_size: 0
    .sgpr_count:     4
    .sgpr_spill_count: 0
    .symbol:         _ZN7rocprim17ROCPRIM_400000_NS6detail17trampoline_kernelINS0_14default_configENS1_25partition_config_selectorILNS1_17partition_subalgoE8EjNS0_10empty_typeEbEEZZNS1_14partition_implILS5_8ELb0ES3_jN6thrust23THRUST_200600_302600_NS6detail15normal_iteratorINSA_10device_ptrIjEEEEPS6_PKS6_NS0_5tupleIJSF_S6_EEENSJ_IJSG_SG_EEENS0_18inequality_wrapperINSA_8equal_toIjEEEEPmJS6_EEE10hipError_tPvRmT3_T4_T5_T6_T7_T9_mT8_P12ihipStream_tbDpT10_ENKUlT_T0_E_clISt17integral_constantIbLb1EES19_IbLb0EEEEDaS15_S16_EUlS15_E_NS1_11comp_targetILNS1_3genE4ELNS1_11target_archE910ELNS1_3gpuE8ELNS1_3repE0EEENS1_30default_config_static_selectorELNS0_4arch9wavefront6targetE1EEEvT1_.kd
    .uniform_work_group_size: 1
    .uses_dynamic_stack: false
    .vgpr_count:     0
    .vgpr_spill_count: 0
    .wavefront_size: 64
  - .args:
      - .offset:         0
        .size:           112
        .value_kind:     by_value
    .group_segment_fixed_size: 0
    .kernarg_segment_align: 8
    .kernarg_segment_size: 112
    .language:       OpenCL C
    .language_version:
      - 2
      - 0
    .max_flat_workgroup_size: 512
    .name:           _ZN7rocprim17ROCPRIM_400000_NS6detail17trampoline_kernelINS0_14default_configENS1_25partition_config_selectorILNS1_17partition_subalgoE8EjNS0_10empty_typeEbEEZZNS1_14partition_implILS5_8ELb0ES3_jN6thrust23THRUST_200600_302600_NS6detail15normal_iteratorINSA_10device_ptrIjEEEEPS6_PKS6_NS0_5tupleIJSF_S6_EEENSJ_IJSG_SG_EEENS0_18inequality_wrapperINSA_8equal_toIjEEEEPmJS6_EEE10hipError_tPvRmT3_T4_T5_T6_T7_T9_mT8_P12ihipStream_tbDpT10_ENKUlT_T0_E_clISt17integral_constantIbLb1EES19_IbLb0EEEEDaS15_S16_EUlS15_E_NS1_11comp_targetILNS1_3genE3ELNS1_11target_archE908ELNS1_3gpuE7ELNS1_3repE0EEENS1_30default_config_static_selectorELNS0_4arch9wavefront6targetE1EEEvT1_
    .private_segment_fixed_size: 0
    .sgpr_count:     4
    .sgpr_spill_count: 0
    .symbol:         _ZN7rocprim17ROCPRIM_400000_NS6detail17trampoline_kernelINS0_14default_configENS1_25partition_config_selectorILNS1_17partition_subalgoE8EjNS0_10empty_typeEbEEZZNS1_14partition_implILS5_8ELb0ES3_jN6thrust23THRUST_200600_302600_NS6detail15normal_iteratorINSA_10device_ptrIjEEEEPS6_PKS6_NS0_5tupleIJSF_S6_EEENSJ_IJSG_SG_EEENS0_18inequality_wrapperINSA_8equal_toIjEEEEPmJS6_EEE10hipError_tPvRmT3_T4_T5_T6_T7_T9_mT8_P12ihipStream_tbDpT10_ENKUlT_T0_E_clISt17integral_constantIbLb1EES19_IbLb0EEEEDaS15_S16_EUlS15_E_NS1_11comp_targetILNS1_3genE3ELNS1_11target_archE908ELNS1_3gpuE7ELNS1_3repE0EEENS1_30default_config_static_selectorELNS0_4arch9wavefront6targetE1EEEvT1_.kd
    .uniform_work_group_size: 1
    .uses_dynamic_stack: false
    .vgpr_count:     0
    .vgpr_spill_count: 0
    .wavefront_size: 64
  - .args:
      - .offset:         0
        .size:           112
        .value_kind:     by_value
    .group_segment_fixed_size: 0
    .kernarg_segment_align: 8
    .kernarg_segment_size: 112
    .language:       OpenCL C
    .language_version:
      - 2
      - 0
    .max_flat_workgroup_size: 256
    .name:           _ZN7rocprim17ROCPRIM_400000_NS6detail17trampoline_kernelINS0_14default_configENS1_25partition_config_selectorILNS1_17partition_subalgoE8EjNS0_10empty_typeEbEEZZNS1_14partition_implILS5_8ELb0ES3_jN6thrust23THRUST_200600_302600_NS6detail15normal_iteratorINSA_10device_ptrIjEEEEPS6_PKS6_NS0_5tupleIJSF_S6_EEENSJ_IJSG_SG_EEENS0_18inequality_wrapperINSA_8equal_toIjEEEEPmJS6_EEE10hipError_tPvRmT3_T4_T5_T6_T7_T9_mT8_P12ihipStream_tbDpT10_ENKUlT_T0_E_clISt17integral_constantIbLb1EES19_IbLb0EEEEDaS15_S16_EUlS15_E_NS1_11comp_targetILNS1_3genE2ELNS1_11target_archE906ELNS1_3gpuE6ELNS1_3repE0EEENS1_30default_config_static_selectorELNS0_4arch9wavefront6targetE1EEEvT1_
    .private_segment_fixed_size: 0
    .sgpr_count:     4
    .sgpr_spill_count: 0
    .symbol:         _ZN7rocprim17ROCPRIM_400000_NS6detail17trampoline_kernelINS0_14default_configENS1_25partition_config_selectorILNS1_17partition_subalgoE8EjNS0_10empty_typeEbEEZZNS1_14partition_implILS5_8ELb0ES3_jN6thrust23THRUST_200600_302600_NS6detail15normal_iteratorINSA_10device_ptrIjEEEEPS6_PKS6_NS0_5tupleIJSF_S6_EEENSJ_IJSG_SG_EEENS0_18inequality_wrapperINSA_8equal_toIjEEEEPmJS6_EEE10hipError_tPvRmT3_T4_T5_T6_T7_T9_mT8_P12ihipStream_tbDpT10_ENKUlT_T0_E_clISt17integral_constantIbLb1EES19_IbLb0EEEEDaS15_S16_EUlS15_E_NS1_11comp_targetILNS1_3genE2ELNS1_11target_archE906ELNS1_3gpuE6ELNS1_3repE0EEENS1_30default_config_static_selectorELNS0_4arch9wavefront6targetE1EEEvT1_.kd
    .uniform_work_group_size: 1
    .uses_dynamic_stack: false
    .vgpr_count:     0
    .vgpr_spill_count: 0
    .wavefront_size: 64
  - .args:
      - .offset:         0
        .size:           112
        .value_kind:     by_value
    .group_segment_fixed_size: 0
    .kernarg_segment_align: 8
    .kernarg_segment_size: 112
    .language:       OpenCL C
    .language_version:
      - 2
      - 0
    .max_flat_workgroup_size: 384
    .name:           _ZN7rocprim17ROCPRIM_400000_NS6detail17trampoline_kernelINS0_14default_configENS1_25partition_config_selectorILNS1_17partition_subalgoE8EjNS0_10empty_typeEbEEZZNS1_14partition_implILS5_8ELb0ES3_jN6thrust23THRUST_200600_302600_NS6detail15normal_iteratorINSA_10device_ptrIjEEEEPS6_PKS6_NS0_5tupleIJSF_S6_EEENSJ_IJSG_SG_EEENS0_18inequality_wrapperINSA_8equal_toIjEEEEPmJS6_EEE10hipError_tPvRmT3_T4_T5_T6_T7_T9_mT8_P12ihipStream_tbDpT10_ENKUlT_T0_E_clISt17integral_constantIbLb1EES19_IbLb0EEEEDaS15_S16_EUlS15_E_NS1_11comp_targetILNS1_3genE10ELNS1_11target_archE1200ELNS1_3gpuE4ELNS1_3repE0EEENS1_30default_config_static_selectorELNS0_4arch9wavefront6targetE1EEEvT1_
    .private_segment_fixed_size: 0
    .sgpr_count:     4
    .sgpr_spill_count: 0
    .symbol:         _ZN7rocprim17ROCPRIM_400000_NS6detail17trampoline_kernelINS0_14default_configENS1_25partition_config_selectorILNS1_17partition_subalgoE8EjNS0_10empty_typeEbEEZZNS1_14partition_implILS5_8ELb0ES3_jN6thrust23THRUST_200600_302600_NS6detail15normal_iteratorINSA_10device_ptrIjEEEEPS6_PKS6_NS0_5tupleIJSF_S6_EEENSJ_IJSG_SG_EEENS0_18inequality_wrapperINSA_8equal_toIjEEEEPmJS6_EEE10hipError_tPvRmT3_T4_T5_T6_T7_T9_mT8_P12ihipStream_tbDpT10_ENKUlT_T0_E_clISt17integral_constantIbLb1EES19_IbLb0EEEEDaS15_S16_EUlS15_E_NS1_11comp_targetILNS1_3genE10ELNS1_11target_archE1200ELNS1_3gpuE4ELNS1_3repE0EEENS1_30default_config_static_selectorELNS0_4arch9wavefront6targetE1EEEvT1_.kd
    .uniform_work_group_size: 1
    .uses_dynamic_stack: false
    .vgpr_count:     0
    .vgpr_spill_count: 0
    .wavefront_size: 64
  - .args:
      - .offset:         0
        .size:           112
        .value_kind:     by_value
    .group_segment_fixed_size: 0
    .kernarg_segment_align: 8
    .kernarg_segment_size: 112
    .language:       OpenCL C
    .language_version:
      - 2
      - 0
    .max_flat_workgroup_size: 384
    .name:           _ZN7rocprim17ROCPRIM_400000_NS6detail17trampoline_kernelINS0_14default_configENS1_25partition_config_selectorILNS1_17partition_subalgoE8EjNS0_10empty_typeEbEEZZNS1_14partition_implILS5_8ELb0ES3_jN6thrust23THRUST_200600_302600_NS6detail15normal_iteratorINSA_10device_ptrIjEEEEPS6_PKS6_NS0_5tupleIJSF_S6_EEENSJ_IJSG_SG_EEENS0_18inequality_wrapperINSA_8equal_toIjEEEEPmJS6_EEE10hipError_tPvRmT3_T4_T5_T6_T7_T9_mT8_P12ihipStream_tbDpT10_ENKUlT_T0_E_clISt17integral_constantIbLb1EES19_IbLb0EEEEDaS15_S16_EUlS15_E_NS1_11comp_targetILNS1_3genE9ELNS1_11target_archE1100ELNS1_3gpuE3ELNS1_3repE0EEENS1_30default_config_static_selectorELNS0_4arch9wavefront6targetE1EEEvT1_
    .private_segment_fixed_size: 0
    .sgpr_count:     4
    .sgpr_spill_count: 0
    .symbol:         _ZN7rocprim17ROCPRIM_400000_NS6detail17trampoline_kernelINS0_14default_configENS1_25partition_config_selectorILNS1_17partition_subalgoE8EjNS0_10empty_typeEbEEZZNS1_14partition_implILS5_8ELb0ES3_jN6thrust23THRUST_200600_302600_NS6detail15normal_iteratorINSA_10device_ptrIjEEEEPS6_PKS6_NS0_5tupleIJSF_S6_EEENSJ_IJSG_SG_EEENS0_18inequality_wrapperINSA_8equal_toIjEEEEPmJS6_EEE10hipError_tPvRmT3_T4_T5_T6_T7_T9_mT8_P12ihipStream_tbDpT10_ENKUlT_T0_E_clISt17integral_constantIbLb1EES19_IbLb0EEEEDaS15_S16_EUlS15_E_NS1_11comp_targetILNS1_3genE9ELNS1_11target_archE1100ELNS1_3gpuE3ELNS1_3repE0EEENS1_30default_config_static_selectorELNS0_4arch9wavefront6targetE1EEEvT1_.kd
    .uniform_work_group_size: 1
    .uses_dynamic_stack: false
    .vgpr_count:     0
    .vgpr_spill_count: 0
    .wavefront_size: 64
  - .args:
      - .offset:         0
        .size:           112
        .value_kind:     by_value
    .group_segment_fixed_size: 0
    .kernarg_segment_align: 8
    .kernarg_segment_size: 112
    .language:       OpenCL C
    .language_version:
      - 2
      - 0
    .max_flat_workgroup_size: 512
    .name:           _ZN7rocprim17ROCPRIM_400000_NS6detail17trampoline_kernelINS0_14default_configENS1_25partition_config_selectorILNS1_17partition_subalgoE8EjNS0_10empty_typeEbEEZZNS1_14partition_implILS5_8ELb0ES3_jN6thrust23THRUST_200600_302600_NS6detail15normal_iteratorINSA_10device_ptrIjEEEEPS6_PKS6_NS0_5tupleIJSF_S6_EEENSJ_IJSG_SG_EEENS0_18inequality_wrapperINSA_8equal_toIjEEEEPmJS6_EEE10hipError_tPvRmT3_T4_T5_T6_T7_T9_mT8_P12ihipStream_tbDpT10_ENKUlT_T0_E_clISt17integral_constantIbLb1EES19_IbLb0EEEEDaS15_S16_EUlS15_E_NS1_11comp_targetILNS1_3genE8ELNS1_11target_archE1030ELNS1_3gpuE2ELNS1_3repE0EEENS1_30default_config_static_selectorELNS0_4arch9wavefront6targetE1EEEvT1_
    .private_segment_fixed_size: 0
    .sgpr_count:     4
    .sgpr_spill_count: 0
    .symbol:         _ZN7rocprim17ROCPRIM_400000_NS6detail17trampoline_kernelINS0_14default_configENS1_25partition_config_selectorILNS1_17partition_subalgoE8EjNS0_10empty_typeEbEEZZNS1_14partition_implILS5_8ELb0ES3_jN6thrust23THRUST_200600_302600_NS6detail15normal_iteratorINSA_10device_ptrIjEEEEPS6_PKS6_NS0_5tupleIJSF_S6_EEENSJ_IJSG_SG_EEENS0_18inequality_wrapperINSA_8equal_toIjEEEEPmJS6_EEE10hipError_tPvRmT3_T4_T5_T6_T7_T9_mT8_P12ihipStream_tbDpT10_ENKUlT_T0_E_clISt17integral_constantIbLb1EES19_IbLb0EEEEDaS15_S16_EUlS15_E_NS1_11comp_targetILNS1_3genE8ELNS1_11target_archE1030ELNS1_3gpuE2ELNS1_3repE0EEENS1_30default_config_static_selectorELNS0_4arch9wavefront6targetE1EEEvT1_.kd
    .uniform_work_group_size: 1
    .uses_dynamic_stack: false
    .vgpr_count:     0
    .vgpr_spill_count: 0
    .wavefront_size: 64
  - .args:
      - .offset:         0
        .size:           128
        .value_kind:     by_value
    .group_segment_fixed_size: 0
    .kernarg_segment_align: 8
    .kernarg_segment_size: 128
    .language:       OpenCL C
    .language_version:
      - 2
      - 0
    .max_flat_workgroup_size: 512
    .name:           _ZN7rocprim17ROCPRIM_400000_NS6detail17trampoline_kernelINS0_14default_configENS1_25partition_config_selectorILNS1_17partition_subalgoE8EjNS0_10empty_typeEbEEZZNS1_14partition_implILS5_8ELb0ES3_jN6thrust23THRUST_200600_302600_NS6detail15normal_iteratorINSA_10device_ptrIjEEEEPS6_PKS6_NS0_5tupleIJSF_S6_EEENSJ_IJSG_SG_EEENS0_18inequality_wrapperINSA_8equal_toIjEEEEPmJS6_EEE10hipError_tPvRmT3_T4_T5_T6_T7_T9_mT8_P12ihipStream_tbDpT10_ENKUlT_T0_E_clISt17integral_constantIbLb0EES19_IbLb1EEEEDaS15_S16_EUlS15_E_NS1_11comp_targetILNS1_3genE0ELNS1_11target_archE4294967295ELNS1_3gpuE0ELNS1_3repE0EEENS1_30default_config_static_selectorELNS0_4arch9wavefront6targetE1EEEvT1_
    .private_segment_fixed_size: 0
    .sgpr_count:     4
    .sgpr_spill_count: 0
    .symbol:         _ZN7rocprim17ROCPRIM_400000_NS6detail17trampoline_kernelINS0_14default_configENS1_25partition_config_selectorILNS1_17partition_subalgoE8EjNS0_10empty_typeEbEEZZNS1_14partition_implILS5_8ELb0ES3_jN6thrust23THRUST_200600_302600_NS6detail15normal_iteratorINSA_10device_ptrIjEEEEPS6_PKS6_NS0_5tupleIJSF_S6_EEENSJ_IJSG_SG_EEENS0_18inequality_wrapperINSA_8equal_toIjEEEEPmJS6_EEE10hipError_tPvRmT3_T4_T5_T6_T7_T9_mT8_P12ihipStream_tbDpT10_ENKUlT_T0_E_clISt17integral_constantIbLb0EES19_IbLb1EEEEDaS15_S16_EUlS15_E_NS1_11comp_targetILNS1_3genE0ELNS1_11target_archE4294967295ELNS1_3gpuE0ELNS1_3repE0EEENS1_30default_config_static_selectorELNS0_4arch9wavefront6targetE1EEEvT1_.kd
    .uniform_work_group_size: 1
    .uses_dynamic_stack: false
    .vgpr_count:     0
    .vgpr_spill_count: 0
    .wavefront_size: 64
  - .args:
      - .offset:         0
        .size:           128
        .value_kind:     by_value
    .group_segment_fixed_size: 0
    .kernarg_segment_align: 8
    .kernarg_segment_size: 128
    .language:       OpenCL C
    .language_version:
      - 2
      - 0
    .max_flat_workgroup_size: 512
    .name:           _ZN7rocprim17ROCPRIM_400000_NS6detail17trampoline_kernelINS0_14default_configENS1_25partition_config_selectorILNS1_17partition_subalgoE8EjNS0_10empty_typeEbEEZZNS1_14partition_implILS5_8ELb0ES3_jN6thrust23THRUST_200600_302600_NS6detail15normal_iteratorINSA_10device_ptrIjEEEEPS6_PKS6_NS0_5tupleIJSF_S6_EEENSJ_IJSG_SG_EEENS0_18inequality_wrapperINSA_8equal_toIjEEEEPmJS6_EEE10hipError_tPvRmT3_T4_T5_T6_T7_T9_mT8_P12ihipStream_tbDpT10_ENKUlT_T0_E_clISt17integral_constantIbLb0EES19_IbLb1EEEEDaS15_S16_EUlS15_E_NS1_11comp_targetILNS1_3genE5ELNS1_11target_archE942ELNS1_3gpuE9ELNS1_3repE0EEENS1_30default_config_static_selectorELNS0_4arch9wavefront6targetE1EEEvT1_
    .private_segment_fixed_size: 0
    .sgpr_count:     4
    .sgpr_spill_count: 0
    .symbol:         _ZN7rocprim17ROCPRIM_400000_NS6detail17trampoline_kernelINS0_14default_configENS1_25partition_config_selectorILNS1_17partition_subalgoE8EjNS0_10empty_typeEbEEZZNS1_14partition_implILS5_8ELb0ES3_jN6thrust23THRUST_200600_302600_NS6detail15normal_iteratorINSA_10device_ptrIjEEEEPS6_PKS6_NS0_5tupleIJSF_S6_EEENSJ_IJSG_SG_EEENS0_18inequality_wrapperINSA_8equal_toIjEEEEPmJS6_EEE10hipError_tPvRmT3_T4_T5_T6_T7_T9_mT8_P12ihipStream_tbDpT10_ENKUlT_T0_E_clISt17integral_constantIbLb0EES19_IbLb1EEEEDaS15_S16_EUlS15_E_NS1_11comp_targetILNS1_3genE5ELNS1_11target_archE942ELNS1_3gpuE9ELNS1_3repE0EEENS1_30default_config_static_selectorELNS0_4arch9wavefront6targetE1EEEvT1_.kd
    .uniform_work_group_size: 1
    .uses_dynamic_stack: false
    .vgpr_count:     0
    .vgpr_spill_count: 0
    .wavefront_size: 64
  - .args:
      - .offset:         0
        .size:           128
        .value_kind:     by_value
    .group_segment_fixed_size: 0
    .kernarg_segment_align: 8
    .kernarg_segment_size: 128
    .language:       OpenCL C
    .language_version:
      - 2
      - 0
    .max_flat_workgroup_size: 256
    .name:           _ZN7rocprim17ROCPRIM_400000_NS6detail17trampoline_kernelINS0_14default_configENS1_25partition_config_selectorILNS1_17partition_subalgoE8EjNS0_10empty_typeEbEEZZNS1_14partition_implILS5_8ELb0ES3_jN6thrust23THRUST_200600_302600_NS6detail15normal_iteratorINSA_10device_ptrIjEEEEPS6_PKS6_NS0_5tupleIJSF_S6_EEENSJ_IJSG_SG_EEENS0_18inequality_wrapperINSA_8equal_toIjEEEEPmJS6_EEE10hipError_tPvRmT3_T4_T5_T6_T7_T9_mT8_P12ihipStream_tbDpT10_ENKUlT_T0_E_clISt17integral_constantIbLb0EES19_IbLb1EEEEDaS15_S16_EUlS15_E_NS1_11comp_targetILNS1_3genE4ELNS1_11target_archE910ELNS1_3gpuE8ELNS1_3repE0EEENS1_30default_config_static_selectorELNS0_4arch9wavefront6targetE1EEEvT1_
    .private_segment_fixed_size: 0
    .sgpr_count:     4
    .sgpr_spill_count: 0
    .symbol:         _ZN7rocprim17ROCPRIM_400000_NS6detail17trampoline_kernelINS0_14default_configENS1_25partition_config_selectorILNS1_17partition_subalgoE8EjNS0_10empty_typeEbEEZZNS1_14partition_implILS5_8ELb0ES3_jN6thrust23THRUST_200600_302600_NS6detail15normal_iteratorINSA_10device_ptrIjEEEEPS6_PKS6_NS0_5tupleIJSF_S6_EEENSJ_IJSG_SG_EEENS0_18inequality_wrapperINSA_8equal_toIjEEEEPmJS6_EEE10hipError_tPvRmT3_T4_T5_T6_T7_T9_mT8_P12ihipStream_tbDpT10_ENKUlT_T0_E_clISt17integral_constantIbLb0EES19_IbLb1EEEEDaS15_S16_EUlS15_E_NS1_11comp_targetILNS1_3genE4ELNS1_11target_archE910ELNS1_3gpuE8ELNS1_3repE0EEENS1_30default_config_static_selectorELNS0_4arch9wavefront6targetE1EEEvT1_.kd
    .uniform_work_group_size: 1
    .uses_dynamic_stack: false
    .vgpr_count:     0
    .vgpr_spill_count: 0
    .wavefront_size: 64
  - .args:
      - .offset:         0
        .size:           128
        .value_kind:     by_value
    .group_segment_fixed_size: 0
    .kernarg_segment_align: 8
    .kernarg_segment_size: 128
    .language:       OpenCL C
    .language_version:
      - 2
      - 0
    .max_flat_workgroup_size: 512
    .name:           _ZN7rocprim17ROCPRIM_400000_NS6detail17trampoline_kernelINS0_14default_configENS1_25partition_config_selectorILNS1_17partition_subalgoE8EjNS0_10empty_typeEbEEZZNS1_14partition_implILS5_8ELb0ES3_jN6thrust23THRUST_200600_302600_NS6detail15normal_iteratorINSA_10device_ptrIjEEEEPS6_PKS6_NS0_5tupleIJSF_S6_EEENSJ_IJSG_SG_EEENS0_18inequality_wrapperINSA_8equal_toIjEEEEPmJS6_EEE10hipError_tPvRmT3_T4_T5_T6_T7_T9_mT8_P12ihipStream_tbDpT10_ENKUlT_T0_E_clISt17integral_constantIbLb0EES19_IbLb1EEEEDaS15_S16_EUlS15_E_NS1_11comp_targetILNS1_3genE3ELNS1_11target_archE908ELNS1_3gpuE7ELNS1_3repE0EEENS1_30default_config_static_selectorELNS0_4arch9wavefront6targetE1EEEvT1_
    .private_segment_fixed_size: 0
    .sgpr_count:     4
    .sgpr_spill_count: 0
    .symbol:         _ZN7rocprim17ROCPRIM_400000_NS6detail17trampoline_kernelINS0_14default_configENS1_25partition_config_selectorILNS1_17partition_subalgoE8EjNS0_10empty_typeEbEEZZNS1_14partition_implILS5_8ELb0ES3_jN6thrust23THRUST_200600_302600_NS6detail15normal_iteratorINSA_10device_ptrIjEEEEPS6_PKS6_NS0_5tupleIJSF_S6_EEENSJ_IJSG_SG_EEENS0_18inequality_wrapperINSA_8equal_toIjEEEEPmJS6_EEE10hipError_tPvRmT3_T4_T5_T6_T7_T9_mT8_P12ihipStream_tbDpT10_ENKUlT_T0_E_clISt17integral_constantIbLb0EES19_IbLb1EEEEDaS15_S16_EUlS15_E_NS1_11comp_targetILNS1_3genE3ELNS1_11target_archE908ELNS1_3gpuE7ELNS1_3repE0EEENS1_30default_config_static_selectorELNS0_4arch9wavefront6targetE1EEEvT1_.kd
    .uniform_work_group_size: 1
    .uses_dynamic_stack: false
    .vgpr_count:     0
    .vgpr_spill_count: 0
    .wavefront_size: 64
  - .args:
      - .offset:         0
        .size:           128
        .value_kind:     by_value
    .group_segment_fixed_size: 16904
    .kernarg_segment_align: 8
    .kernarg_segment_size: 128
    .language:       OpenCL C
    .language_version:
      - 2
      - 0
    .max_flat_workgroup_size: 256
    .name:           _ZN7rocprim17ROCPRIM_400000_NS6detail17trampoline_kernelINS0_14default_configENS1_25partition_config_selectorILNS1_17partition_subalgoE8EjNS0_10empty_typeEbEEZZNS1_14partition_implILS5_8ELb0ES3_jN6thrust23THRUST_200600_302600_NS6detail15normal_iteratorINSA_10device_ptrIjEEEEPS6_PKS6_NS0_5tupleIJSF_S6_EEENSJ_IJSG_SG_EEENS0_18inequality_wrapperINSA_8equal_toIjEEEEPmJS6_EEE10hipError_tPvRmT3_T4_T5_T6_T7_T9_mT8_P12ihipStream_tbDpT10_ENKUlT_T0_E_clISt17integral_constantIbLb0EES19_IbLb1EEEEDaS15_S16_EUlS15_E_NS1_11comp_targetILNS1_3genE2ELNS1_11target_archE906ELNS1_3gpuE6ELNS1_3repE0EEENS1_30default_config_static_selectorELNS0_4arch9wavefront6targetE1EEEvT1_
    .private_segment_fixed_size: 0
    .sgpr_count:     61
    .sgpr_spill_count: 0
    .symbol:         _ZN7rocprim17ROCPRIM_400000_NS6detail17trampoline_kernelINS0_14default_configENS1_25partition_config_selectorILNS1_17partition_subalgoE8EjNS0_10empty_typeEbEEZZNS1_14partition_implILS5_8ELb0ES3_jN6thrust23THRUST_200600_302600_NS6detail15normal_iteratorINSA_10device_ptrIjEEEEPS6_PKS6_NS0_5tupleIJSF_S6_EEENSJ_IJSG_SG_EEENS0_18inequality_wrapperINSA_8equal_toIjEEEEPmJS6_EEE10hipError_tPvRmT3_T4_T5_T6_T7_T9_mT8_P12ihipStream_tbDpT10_ENKUlT_T0_E_clISt17integral_constantIbLb0EES19_IbLb1EEEEDaS15_S16_EUlS15_E_NS1_11comp_targetILNS1_3genE2ELNS1_11target_archE906ELNS1_3gpuE6ELNS1_3repE0EEENS1_30default_config_static_selectorELNS0_4arch9wavefront6targetE1EEEvT1_.kd
    .uniform_work_group_size: 1
    .uses_dynamic_stack: false
    .vgpr_count:     77
    .vgpr_spill_count: 0
    .wavefront_size: 64
  - .args:
      - .offset:         0
        .size:           128
        .value_kind:     by_value
    .group_segment_fixed_size: 0
    .kernarg_segment_align: 8
    .kernarg_segment_size: 128
    .language:       OpenCL C
    .language_version:
      - 2
      - 0
    .max_flat_workgroup_size: 384
    .name:           _ZN7rocprim17ROCPRIM_400000_NS6detail17trampoline_kernelINS0_14default_configENS1_25partition_config_selectorILNS1_17partition_subalgoE8EjNS0_10empty_typeEbEEZZNS1_14partition_implILS5_8ELb0ES3_jN6thrust23THRUST_200600_302600_NS6detail15normal_iteratorINSA_10device_ptrIjEEEEPS6_PKS6_NS0_5tupleIJSF_S6_EEENSJ_IJSG_SG_EEENS0_18inequality_wrapperINSA_8equal_toIjEEEEPmJS6_EEE10hipError_tPvRmT3_T4_T5_T6_T7_T9_mT8_P12ihipStream_tbDpT10_ENKUlT_T0_E_clISt17integral_constantIbLb0EES19_IbLb1EEEEDaS15_S16_EUlS15_E_NS1_11comp_targetILNS1_3genE10ELNS1_11target_archE1200ELNS1_3gpuE4ELNS1_3repE0EEENS1_30default_config_static_selectorELNS0_4arch9wavefront6targetE1EEEvT1_
    .private_segment_fixed_size: 0
    .sgpr_count:     4
    .sgpr_spill_count: 0
    .symbol:         _ZN7rocprim17ROCPRIM_400000_NS6detail17trampoline_kernelINS0_14default_configENS1_25partition_config_selectorILNS1_17partition_subalgoE8EjNS0_10empty_typeEbEEZZNS1_14partition_implILS5_8ELb0ES3_jN6thrust23THRUST_200600_302600_NS6detail15normal_iteratorINSA_10device_ptrIjEEEEPS6_PKS6_NS0_5tupleIJSF_S6_EEENSJ_IJSG_SG_EEENS0_18inequality_wrapperINSA_8equal_toIjEEEEPmJS6_EEE10hipError_tPvRmT3_T4_T5_T6_T7_T9_mT8_P12ihipStream_tbDpT10_ENKUlT_T0_E_clISt17integral_constantIbLb0EES19_IbLb1EEEEDaS15_S16_EUlS15_E_NS1_11comp_targetILNS1_3genE10ELNS1_11target_archE1200ELNS1_3gpuE4ELNS1_3repE0EEENS1_30default_config_static_selectorELNS0_4arch9wavefront6targetE1EEEvT1_.kd
    .uniform_work_group_size: 1
    .uses_dynamic_stack: false
    .vgpr_count:     0
    .vgpr_spill_count: 0
    .wavefront_size: 64
  - .args:
      - .offset:         0
        .size:           128
        .value_kind:     by_value
    .group_segment_fixed_size: 0
    .kernarg_segment_align: 8
    .kernarg_segment_size: 128
    .language:       OpenCL C
    .language_version:
      - 2
      - 0
    .max_flat_workgroup_size: 384
    .name:           _ZN7rocprim17ROCPRIM_400000_NS6detail17trampoline_kernelINS0_14default_configENS1_25partition_config_selectorILNS1_17partition_subalgoE8EjNS0_10empty_typeEbEEZZNS1_14partition_implILS5_8ELb0ES3_jN6thrust23THRUST_200600_302600_NS6detail15normal_iteratorINSA_10device_ptrIjEEEEPS6_PKS6_NS0_5tupleIJSF_S6_EEENSJ_IJSG_SG_EEENS0_18inequality_wrapperINSA_8equal_toIjEEEEPmJS6_EEE10hipError_tPvRmT3_T4_T5_T6_T7_T9_mT8_P12ihipStream_tbDpT10_ENKUlT_T0_E_clISt17integral_constantIbLb0EES19_IbLb1EEEEDaS15_S16_EUlS15_E_NS1_11comp_targetILNS1_3genE9ELNS1_11target_archE1100ELNS1_3gpuE3ELNS1_3repE0EEENS1_30default_config_static_selectorELNS0_4arch9wavefront6targetE1EEEvT1_
    .private_segment_fixed_size: 0
    .sgpr_count:     4
    .sgpr_spill_count: 0
    .symbol:         _ZN7rocprim17ROCPRIM_400000_NS6detail17trampoline_kernelINS0_14default_configENS1_25partition_config_selectorILNS1_17partition_subalgoE8EjNS0_10empty_typeEbEEZZNS1_14partition_implILS5_8ELb0ES3_jN6thrust23THRUST_200600_302600_NS6detail15normal_iteratorINSA_10device_ptrIjEEEEPS6_PKS6_NS0_5tupleIJSF_S6_EEENSJ_IJSG_SG_EEENS0_18inequality_wrapperINSA_8equal_toIjEEEEPmJS6_EEE10hipError_tPvRmT3_T4_T5_T6_T7_T9_mT8_P12ihipStream_tbDpT10_ENKUlT_T0_E_clISt17integral_constantIbLb0EES19_IbLb1EEEEDaS15_S16_EUlS15_E_NS1_11comp_targetILNS1_3genE9ELNS1_11target_archE1100ELNS1_3gpuE3ELNS1_3repE0EEENS1_30default_config_static_selectorELNS0_4arch9wavefront6targetE1EEEvT1_.kd
    .uniform_work_group_size: 1
    .uses_dynamic_stack: false
    .vgpr_count:     0
    .vgpr_spill_count: 0
    .wavefront_size: 64
  - .args:
      - .offset:         0
        .size:           128
        .value_kind:     by_value
    .group_segment_fixed_size: 0
    .kernarg_segment_align: 8
    .kernarg_segment_size: 128
    .language:       OpenCL C
    .language_version:
      - 2
      - 0
    .max_flat_workgroup_size: 512
    .name:           _ZN7rocprim17ROCPRIM_400000_NS6detail17trampoline_kernelINS0_14default_configENS1_25partition_config_selectorILNS1_17partition_subalgoE8EjNS0_10empty_typeEbEEZZNS1_14partition_implILS5_8ELb0ES3_jN6thrust23THRUST_200600_302600_NS6detail15normal_iteratorINSA_10device_ptrIjEEEEPS6_PKS6_NS0_5tupleIJSF_S6_EEENSJ_IJSG_SG_EEENS0_18inequality_wrapperINSA_8equal_toIjEEEEPmJS6_EEE10hipError_tPvRmT3_T4_T5_T6_T7_T9_mT8_P12ihipStream_tbDpT10_ENKUlT_T0_E_clISt17integral_constantIbLb0EES19_IbLb1EEEEDaS15_S16_EUlS15_E_NS1_11comp_targetILNS1_3genE8ELNS1_11target_archE1030ELNS1_3gpuE2ELNS1_3repE0EEENS1_30default_config_static_selectorELNS0_4arch9wavefront6targetE1EEEvT1_
    .private_segment_fixed_size: 0
    .sgpr_count:     4
    .sgpr_spill_count: 0
    .symbol:         _ZN7rocprim17ROCPRIM_400000_NS6detail17trampoline_kernelINS0_14default_configENS1_25partition_config_selectorILNS1_17partition_subalgoE8EjNS0_10empty_typeEbEEZZNS1_14partition_implILS5_8ELb0ES3_jN6thrust23THRUST_200600_302600_NS6detail15normal_iteratorINSA_10device_ptrIjEEEEPS6_PKS6_NS0_5tupleIJSF_S6_EEENSJ_IJSG_SG_EEENS0_18inequality_wrapperINSA_8equal_toIjEEEEPmJS6_EEE10hipError_tPvRmT3_T4_T5_T6_T7_T9_mT8_P12ihipStream_tbDpT10_ENKUlT_T0_E_clISt17integral_constantIbLb0EES19_IbLb1EEEEDaS15_S16_EUlS15_E_NS1_11comp_targetILNS1_3genE8ELNS1_11target_archE1030ELNS1_3gpuE2ELNS1_3repE0EEENS1_30default_config_static_selectorELNS0_4arch9wavefront6targetE1EEEvT1_.kd
    .uniform_work_group_size: 1
    .uses_dynamic_stack: false
    .vgpr_count:     0
    .vgpr_spill_count: 0
    .wavefront_size: 64
  - .args:
      - .offset:         0
        .size:           112
        .value_kind:     by_value
    .group_segment_fixed_size: 0
    .kernarg_segment_align: 8
    .kernarg_segment_size: 112
    .language:       OpenCL C
    .language_version:
      - 2
      - 0
    .max_flat_workgroup_size: 512
    .name:           _ZN7rocprim17ROCPRIM_400000_NS6detail17trampoline_kernelINS0_14default_configENS1_25partition_config_selectorILNS1_17partition_subalgoE8EjNS0_10empty_typeEbEEZZNS1_14partition_implILS5_8ELb0ES3_jN6thrust23THRUST_200600_302600_NS6detail15normal_iteratorINSA_10device_ptrIjEEEEPS6_PKS6_NS0_5tupleIJSF_S6_EEENSJ_IJSG_SG_EEENS0_18inequality_wrapperI22is_equal_div_10_uniqueIjEEEPmJS6_EEE10hipError_tPvRmT3_T4_T5_T6_T7_T9_mT8_P12ihipStream_tbDpT10_ENKUlT_T0_E_clISt17integral_constantIbLb0EES1A_EEDaS15_S16_EUlS15_E_NS1_11comp_targetILNS1_3genE0ELNS1_11target_archE4294967295ELNS1_3gpuE0ELNS1_3repE0EEENS1_30default_config_static_selectorELNS0_4arch9wavefront6targetE1EEEvT1_
    .private_segment_fixed_size: 0
    .sgpr_count:     4
    .sgpr_spill_count: 0
    .symbol:         _ZN7rocprim17ROCPRIM_400000_NS6detail17trampoline_kernelINS0_14default_configENS1_25partition_config_selectorILNS1_17partition_subalgoE8EjNS0_10empty_typeEbEEZZNS1_14partition_implILS5_8ELb0ES3_jN6thrust23THRUST_200600_302600_NS6detail15normal_iteratorINSA_10device_ptrIjEEEEPS6_PKS6_NS0_5tupleIJSF_S6_EEENSJ_IJSG_SG_EEENS0_18inequality_wrapperI22is_equal_div_10_uniqueIjEEEPmJS6_EEE10hipError_tPvRmT3_T4_T5_T6_T7_T9_mT8_P12ihipStream_tbDpT10_ENKUlT_T0_E_clISt17integral_constantIbLb0EES1A_EEDaS15_S16_EUlS15_E_NS1_11comp_targetILNS1_3genE0ELNS1_11target_archE4294967295ELNS1_3gpuE0ELNS1_3repE0EEENS1_30default_config_static_selectorELNS0_4arch9wavefront6targetE1EEEvT1_.kd
    .uniform_work_group_size: 1
    .uses_dynamic_stack: false
    .vgpr_count:     0
    .vgpr_spill_count: 0
    .wavefront_size: 64
  - .args:
      - .offset:         0
        .size:           112
        .value_kind:     by_value
    .group_segment_fixed_size: 0
    .kernarg_segment_align: 8
    .kernarg_segment_size: 112
    .language:       OpenCL C
    .language_version:
      - 2
      - 0
    .max_flat_workgroup_size: 512
    .name:           _ZN7rocprim17ROCPRIM_400000_NS6detail17trampoline_kernelINS0_14default_configENS1_25partition_config_selectorILNS1_17partition_subalgoE8EjNS0_10empty_typeEbEEZZNS1_14partition_implILS5_8ELb0ES3_jN6thrust23THRUST_200600_302600_NS6detail15normal_iteratorINSA_10device_ptrIjEEEEPS6_PKS6_NS0_5tupleIJSF_S6_EEENSJ_IJSG_SG_EEENS0_18inequality_wrapperI22is_equal_div_10_uniqueIjEEEPmJS6_EEE10hipError_tPvRmT3_T4_T5_T6_T7_T9_mT8_P12ihipStream_tbDpT10_ENKUlT_T0_E_clISt17integral_constantIbLb0EES1A_EEDaS15_S16_EUlS15_E_NS1_11comp_targetILNS1_3genE5ELNS1_11target_archE942ELNS1_3gpuE9ELNS1_3repE0EEENS1_30default_config_static_selectorELNS0_4arch9wavefront6targetE1EEEvT1_
    .private_segment_fixed_size: 0
    .sgpr_count:     4
    .sgpr_spill_count: 0
    .symbol:         _ZN7rocprim17ROCPRIM_400000_NS6detail17trampoline_kernelINS0_14default_configENS1_25partition_config_selectorILNS1_17partition_subalgoE8EjNS0_10empty_typeEbEEZZNS1_14partition_implILS5_8ELb0ES3_jN6thrust23THRUST_200600_302600_NS6detail15normal_iteratorINSA_10device_ptrIjEEEEPS6_PKS6_NS0_5tupleIJSF_S6_EEENSJ_IJSG_SG_EEENS0_18inequality_wrapperI22is_equal_div_10_uniqueIjEEEPmJS6_EEE10hipError_tPvRmT3_T4_T5_T6_T7_T9_mT8_P12ihipStream_tbDpT10_ENKUlT_T0_E_clISt17integral_constantIbLb0EES1A_EEDaS15_S16_EUlS15_E_NS1_11comp_targetILNS1_3genE5ELNS1_11target_archE942ELNS1_3gpuE9ELNS1_3repE0EEENS1_30default_config_static_selectorELNS0_4arch9wavefront6targetE1EEEvT1_.kd
    .uniform_work_group_size: 1
    .uses_dynamic_stack: false
    .vgpr_count:     0
    .vgpr_spill_count: 0
    .wavefront_size: 64
  - .args:
      - .offset:         0
        .size:           112
        .value_kind:     by_value
    .group_segment_fixed_size: 0
    .kernarg_segment_align: 8
    .kernarg_segment_size: 112
    .language:       OpenCL C
    .language_version:
      - 2
      - 0
    .max_flat_workgroup_size: 256
    .name:           _ZN7rocprim17ROCPRIM_400000_NS6detail17trampoline_kernelINS0_14default_configENS1_25partition_config_selectorILNS1_17partition_subalgoE8EjNS0_10empty_typeEbEEZZNS1_14partition_implILS5_8ELb0ES3_jN6thrust23THRUST_200600_302600_NS6detail15normal_iteratorINSA_10device_ptrIjEEEEPS6_PKS6_NS0_5tupleIJSF_S6_EEENSJ_IJSG_SG_EEENS0_18inequality_wrapperI22is_equal_div_10_uniqueIjEEEPmJS6_EEE10hipError_tPvRmT3_T4_T5_T6_T7_T9_mT8_P12ihipStream_tbDpT10_ENKUlT_T0_E_clISt17integral_constantIbLb0EES1A_EEDaS15_S16_EUlS15_E_NS1_11comp_targetILNS1_3genE4ELNS1_11target_archE910ELNS1_3gpuE8ELNS1_3repE0EEENS1_30default_config_static_selectorELNS0_4arch9wavefront6targetE1EEEvT1_
    .private_segment_fixed_size: 0
    .sgpr_count:     4
    .sgpr_spill_count: 0
    .symbol:         _ZN7rocprim17ROCPRIM_400000_NS6detail17trampoline_kernelINS0_14default_configENS1_25partition_config_selectorILNS1_17partition_subalgoE8EjNS0_10empty_typeEbEEZZNS1_14partition_implILS5_8ELb0ES3_jN6thrust23THRUST_200600_302600_NS6detail15normal_iteratorINSA_10device_ptrIjEEEEPS6_PKS6_NS0_5tupleIJSF_S6_EEENSJ_IJSG_SG_EEENS0_18inequality_wrapperI22is_equal_div_10_uniqueIjEEEPmJS6_EEE10hipError_tPvRmT3_T4_T5_T6_T7_T9_mT8_P12ihipStream_tbDpT10_ENKUlT_T0_E_clISt17integral_constantIbLb0EES1A_EEDaS15_S16_EUlS15_E_NS1_11comp_targetILNS1_3genE4ELNS1_11target_archE910ELNS1_3gpuE8ELNS1_3repE0EEENS1_30default_config_static_selectorELNS0_4arch9wavefront6targetE1EEEvT1_.kd
    .uniform_work_group_size: 1
    .uses_dynamic_stack: false
    .vgpr_count:     0
    .vgpr_spill_count: 0
    .wavefront_size: 64
  - .args:
      - .offset:         0
        .size:           112
        .value_kind:     by_value
    .group_segment_fixed_size: 0
    .kernarg_segment_align: 8
    .kernarg_segment_size: 112
    .language:       OpenCL C
    .language_version:
      - 2
      - 0
    .max_flat_workgroup_size: 512
    .name:           _ZN7rocprim17ROCPRIM_400000_NS6detail17trampoline_kernelINS0_14default_configENS1_25partition_config_selectorILNS1_17partition_subalgoE8EjNS0_10empty_typeEbEEZZNS1_14partition_implILS5_8ELb0ES3_jN6thrust23THRUST_200600_302600_NS6detail15normal_iteratorINSA_10device_ptrIjEEEEPS6_PKS6_NS0_5tupleIJSF_S6_EEENSJ_IJSG_SG_EEENS0_18inequality_wrapperI22is_equal_div_10_uniqueIjEEEPmJS6_EEE10hipError_tPvRmT3_T4_T5_T6_T7_T9_mT8_P12ihipStream_tbDpT10_ENKUlT_T0_E_clISt17integral_constantIbLb0EES1A_EEDaS15_S16_EUlS15_E_NS1_11comp_targetILNS1_3genE3ELNS1_11target_archE908ELNS1_3gpuE7ELNS1_3repE0EEENS1_30default_config_static_selectorELNS0_4arch9wavefront6targetE1EEEvT1_
    .private_segment_fixed_size: 0
    .sgpr_count:     4
    .sgpr_spill_count: 0
    .symbol:         _ZN7rocprim17ROCPRIM_400000_NS6detail17trampoline_kernelINS0_14default_configENS1_25partition_config_selectorILNS1_17partition_subalgoE8EjNS0_10empty_typeEbEEZZNS1_14partition_implILS5_8ELb0ES3_jN6thrust23THRUST_200600_302600_NS6detail15normal_iteratorINSA_10device_ptrIjEEEEPS6_PKS6_NS0_5tupleIJSF_S6_EEENSJ_IJSG_SG_EEENS0_18inequality_wrapperI22is_equal_div_10_uniqueIjEEEPmJS6_EEE10hipError_tPvRmT3_T4_T5_T6_T7_T9_mT8_P12ihipStream_tbDpT10_ENKUlT_T0_E_clISt17integral_constantIbLb0EES1A_EEDaS15_S16_EUlS15_E_NS1_11comp_targetILNS1_3genE3ELNS1_11target_archE908ELNS1_3gpuE7ELNS1_3repE0EEENS1_30default_config_static_selectorELNS0_4arch9wavefront6targetE1EEEvT1_.kd
    .uniform_work_group_size: 1
    .uses_dynamic_stack: false
    .vgpr_count:     0
    .vgpr_spill_count: 0
    .wavefront_size: 64
  - .args:
      - .offset:         0
        .size:           112
        .value_kind:     by_value
    .group_segment_fixed_size: 16904
    .kernarg_segment_align: 8
    .kernarg_segment_size: 112
    .language:       OpenCL C
    .language_version:
      - 2
      - 0
    .max_flat_workgroup_size: 256
    .name:           _ZN7rocprim17ROCPRIM_400000_NS6detail17trampoline_kernelINS0_14default_configENS1_25partition_config_selectorILNS1_17partition_subalgoE8EjNS0_10empty_typeEbEEZZNS1_14partition_implILS5_8ELb0ES3_jN6thrust23THRUST_200600_302600_NS6detail15normal_iteratorINSA_10device_ptrIjEEEEPS6_PKS6_NS0_5tupleIJSF_S6_EEENSJ_IJSG_SG_EEENS0_18inequality_wrapperI22is_equal_div_10_uniqueIjEEEPmJS6_EEE10hipError_tPvRmT3_T4_T5_T6_T7_T9_mT8_P12ihipStream_tbDpT10_ENKUlT_T0_E_clISt17integral_constantIbLb0EES1A_EEDaS15_S16_EUlS15_E_NS1_11comp_targetILNS1_3genE2ELNS1_11target_archE906ELNS1_3gpuE6ELNS1_3repE0EEENS1_30default_config_static_selectorELNS0_4arch9wavefront6targetE1EEEvT1_
    .private_segment_fixed_size: 0
    .sgpr_count:     60
    .sgpr_spill_count: 0
    .symbol:         _ZN7rocprim17ROCPRIM_400000_NS6detail17trampoline_kernelINS0_14default_configENS1_25partition_config_selectorILNS1_17partition_subalgoE8EjNS0_10empty_typeEbEEZZNS1_14partition_implILS5_8ELb0ES3_jN6thrust23THRUST_200600_302600_NS6detail15normal_iteratorINSA_10device_ptrIjEEEEPS6_PKS6_NS0_5tupleIJSF_S6_EEENSJ_IJSG_SG_EEENS0_18inequality_wrapperI22is_equal_div_10_uniqueIjEEEPmJS6_EEE10hipError_tPvRmT3_T4_T5_T6_T7_T9_mT8_P12ihipStream_tbDpT10_ENKUlT_T0_E_clISt17integral_constantIbLb0EES1A_EEDaS15_S16_EUlS15_E_NS1_11comp_targetILNS1_3genE2ELNS1_11target_archE906ELNS1_3gpuE6ELNS1_3repE0EEENS1_30default_config_static_selectorELNS0_4arch9wavefront6targetE1EEEvT1_.kd
    .uniform_work_group_size: 1
    .uses_dynamic_stack: false
    .vgpr_count:     75
    .vgpr_spill_count: 0
    .wavefront_size: 64
  - .args:
      - .offset:         0
        .size:           112
        .value_kind:     by_value
    .group_segment_fixed_size: 0
    .kernarg_segment_align: 8
    .kernarg_segment_size: 112
    .language:       OpenCL C
    .language_version:
      - 2
      - 0
    .max_flat_workgroup_size: 384
    .name:           _ZN7rocprim17ROCPRIM_400000_NS6detail17trampoline_kernelINS0_14default_configENS1_25partition_config_selectorILNS1_17partition_subalgoE8EjNS0_10empty_typeEbEEZZNS1_14partition_implILS5_8ELb0ES3_jN6thrust23THRUST_200600_302600_NS6detail15normal_iteratorINSA_10device_ptrIjEEEEPS6_PKS6_NS0_5tupleIJSF_S6_EEENSJ_IJSG_SG_EEENS0_18inequality_wrapperI22is_equal_div_10_uniqueIjEEEPmJS6_EEE10hipError_tPvRmT3_T4_T5_T6_T7_T9_mT8_P12ihipStream_tbDpT10_ENKUlT_T0_E_clISt17integral_constantIbLb0EES1A_EEDaS15_S16_EUlS15_E_NS1_11comp_targetILNS1_3genE10ELNS1_11target_archE1200ELNS1_3gpuE4ELNS1_3repE0EEENS1_30default_config_static_selectorELNS0_4arch9wavefront6targetE1EEEvT1_
    .private_segment_fixed_size: 0
    .sgpr_count:     4
    .sgpr_spill_count: 0
    .symbol:         _ZN7rocprim17ROCPRIM_400000_NS6detail17trampoline_kernelINS0_14default_configENS1_25partition_config_selectorILNS1_17partition_subalgoE8EjNS0_10empty_typeEbEEZZNS1_14partition_implILS5_8ELb0ES3_jN6thrust23THRUST_200600_302600_NS6detail15normal_iteratorINSA_10device_ptrIjEEEEPS6_PKS6_NS0_5tupleIJSF_S6_EEENSJ_IJSG_SG_EEENS0_18inequality_wrapperI22is_equal_div_10_uniqueIjEEEPmJS6_EEE10hipError_tPvRmT3_T4_T5_T6_T7_T9_mT8_P12ihipStream_tbDpT10_ENKUlT_T0_E_clISt17integral_constantIbLb0EES1A_EEDaS15_S16_EUlS15_E_NS1_11comp_targetILNS1_3genE10ELNS1_11target_archE1200ELNS1_3gpuE4ELNS1_3repE0EEENS1_30default_config_static_selectorELNS0_4arch9wavefront6targetE1EEEvT1_.kd
    .uniform_work_group_size: 1
    .uses_dynamic_stack: false
    .vgpr_count:     0
    .vgpr_spill_count: 0
    .wavefront_size: 64
  - .args:
      - .offset:         0
        .size:           112
        .value_kind:     by_value
    .group_segment_fixed_size: 0
    .kernarg_segment_align: 8
    .kernarg_segment_size: 112
    .language:       OpenCL C
    .language_version:
      - 2
      - 0
    .max_flat_workgroup_size: 384
    .name:           _ZN7rocprim17ROCPRIM_400000_NS6detail17trampoline_kernelINS0_14default_configENS1_25partition_config_selectorILNS1_17partition_subalgoE8EjNS0_10empty_typeEbEEZZNS1_14partition_implILS5_8ELb0ES3_jN6thrust23THRUST_200600_302600_NS6detail15normal_iteratorINSA_10device_ptrIjEEEEPS6_PKS6_NS0_5tupleIJSF_S6_EEENSJ_IJSG_SG_EEENS0_18inequality_wrapperI22is_equal_div_10_uniqueIjEEEPmJS6_EEE10hipError_tPvRmT3_T4_T5_T6_T7_T9_mT8_P12ihipStream_tbDpT10_ENKUlT_T0_E_clISt17integral_constantIbLb0EES1A_EEDaS15_S16_EUlS15_E_NS1_11comp_targetILNS1_3genE9ELNS1_11target_archE1100ELNS1_3gpuE3ELNS1_3repE0EEENS1_30default_config_static_selectorELNS0_4arch9wavefront6targetE1EEEvT1_
    .private_segment_fixed_size: 0
    .sgpr_count:     4
    .sgpr_spill_count: 0
    .symbol:         _ZN7rocprim17ROCPRIM_400000_NS6detail17trampoline_kernelINS0_14default_configENS1_25partition_config_selectorILNS1_17partition_subalgoE8EjNS0_10empty_typeEbEEZZNS1_14partition_implILS5_8ELb0ES3_jN6thrust23THRUST_200600_302600_NS6detail15normal_iteratorINSA_10device_ptrIjEEEEPS6_PKS6_NS0_5tupleIJSF_S6_EEENSJ_IJSG_SG_EEENS0_18inequality_wrapperI22is_equal_div_10_uniqueIjEEEPmJS6_EEE10hipError_tPvRmT3_T4_T5_T6_T7_T9_mT8_P12ihipStream_tbDpT10_ENKUlT_T0_E_clISt17integral_constantIbLb0EES1A_EEDaS15_S16_EUlS15_E_NS1_11comp_targetILNS1_3genE9ELNS1_11target_archE1100ELNS1_3gpuE3ELNS1_3repE0EEENS1_30default_config_static_selectorELNS0_4arch9wavefront6targetE1EEEvT1_.kd
    .uniform_work_group_size: 1
    .uses_dynamic_stack: false
    .vgpr_count:     0
    .vgpr_spill_count: 0
    .wavefront_size: 64
  - .args:
      - .offset:         0
        .size:           112
        .value_kind:     by_value
    .group_segment_fixed_size: 0
    .kernarg_segment_align: 8
    .kernarg_segment_size: 112
    .language:       OpenCL C
    .language_version:
      - 2
      - 0
    .max_flat_workgroup_size: 512
    .name:           _ZN7rocprim17ROCPRIM_400000_NS6detail17trampoline_kernelINS0_14default_configENS1_25partition_config_selectorILNS1_17partition_subalgoE8EjNS0_10empty_typeEbEEZZNS1_14partition_implILS5_8ELb0ES3_jN6thrust23THRUST_200600_302600_NS6detail15normal_iteratorINSA_10device_ptrIjEEEEPS6_PKS6_NS0_5tupleIJSF_S6_EEENSJ_IJSG_SG_EEENS0_18inequality_wrapperI22is_equal_div_10_uniqueIjEEEPmJS6_EEE10hipError_tPvRmT3_T4_T5_T6_T7_T9_mT8_P12ihipStream_tbDpT10_ENKUlT_T0_E_clISt17integral_constantIbLb0EES1A_EEDaS15_S16_EUlS15_E_NS1_11comp_targetILNS1_3genE8ELNS1_11target_archE1030ELNS1_3gpuE2ELNS1_3repE0EEENS1_30default_config_static_selectorELNS0_4arch9wavefront6targetE1EEEvT1_
    .private_segment_fixed_size: 0
    .sgpr_count:     4
    .sgpr_spill_count: 0
    .symbol:         _ZN7rocprim17ROCPRIM_400000_NS6detail17trampoline_kernelINS0_14default_configENS1_25partition_config_selectorILNS1_17partition_subalgoE8EjNS0_10empty_typeEbEEZZNS1_14partition_implILS5_8ELb0ES3_jN6thrust23THRUST_200600_302600_NS6detail15normal_iteratorINSA_10device_ptrIjEEEEPS6_PKS6_NS0_5tupleIJSF_S6_EEENSJ_IJSG_SG_EEENS0_18inequality_wrapperI22is_equal_div_10_uniqueIjEEEPmJS6_EEE10hipError_tPvRmT3_T4_T5_T6_T7_T9_mT8_P12ihipStream_tbDpT10_ENKUlT_T0_E_clISt17integral_constantIbLb0EES1A_EEDaS15_S16_EUlS15_E_NS1_11comp_targetILNS1_3genE8ELNS1_11target_archE1030ELNS1_3gpuE2ELNS1_3repE0EEENS1_30default_config_static_selectorELNS0_4arch9wavefront6targetE1EEEvT1_.kd
    .uniform_work_group_size: 1
    .uses_dynamic_stack: false
    .vgpr_count:     0
    .vgpr_spill_count: 0
    .wavefront_size: 64
  - .args:
      - .offset:         0
        .size:           128
        .value_kind:     by_value
    .group_segment_fixed_size: 0
    .kernarg_segment_align: 8
    .kernarg_segment_size: 128
    .language:       OpenCL C
    .language_version:
      - 2
      - 0
    .max_flat_workgroup_size: 512
    .name:           _ZN7rocprim17ROCPRIM_400000_NS6detail17trampoline_kernelINS0_14default_configENS1_25partition_config_selectorILNS1_17partition_subalgoE8EjNS0_10empty_typeEbEEZZNS1_14partition_implILS5_8ELb0ES3_jN6thrust23THRUST_200600_302600_NS6detail15normal_iteratorINSA_10device_ptrIjEEEEPS6_PKS6_NS0_5tupleIJSF_S6_EEENSJ_IJSG_SG_EEENS0_18inequality_wrapperI22is_equal_div_10_uniqueIjEEEPmJS6_EEE10hipError_tPvRmT3_T4_T5_T6_T7_T9_mT8_P12ihipStream_tbDpT10_ENKUlT_T0_E_clISt17integral_constantIbLb1EES1A_EEDaS15_S16_EUlS15_E_NS1_11comp_targetILNS1_3genE0ELNS1_11target_archE4294967295ELNS1_3gpuE0ELNS1_3repE0EEENS1_30default_config_static_selectorELNS0_4arch9wavefront6targetE1EEEvT1_
    .private_segment_fixed_size: 0
    .sgpr_count:     4
    .sgpr_spill_count: 0
    .symbol:         _ZN7rocprim17ROCPRIM_400000_NS6detail17trampoline_kernelINS0_14default_configENS1_25partition_config_selectorILNS1_17partition_subalgoE8EjNS0_10empty_typeEbEEZZNS1_14partition_implILS5_8ELb0ES3_jN6thrust23THRUST_200600_302600_NS6detail15normal_iteratorINSA_10device_ptrIjEEEEPS6_PKS6_NS0_5tupleIJSF_S6_EEENSJ_IJSG_SG_EEENS0_18inequality_wrapperI22is_equal_div_10_uniqueIjEEEPmJS6_EEE10hipError_tPvRmT3_T4_T5_T6_T7_T9_mT8_P12ihipStream_tbDpT10_ENKUlT_T0_E_clISt17integral_constantIbLb1EES1A_EEDaS15_S16_EUlS15_E_NS1_11comp_targetILNS1_3genE0ELNS1_11target_archE4294967295ELNS1_3gpuE0ELNS1_3repE0EEENS1_30default_config_static_selectorELNS0_4arch9wavefront6targetE1EEEvT1_.kd
    .uniform_work_group_size: 1
    .uses_dynamic_stack: false
    .vgpr_count:     0
    .vgpr_spill_count: 0
    .wavefront_size: 64
  - .args:
      - .offset:         0
        .size:           128
        .value_kind:     by_value
    .group_segment_fixed_size: 0
    .kernarg_segment_align: 8
    .kernarg_segment_size: 128
    .language:       OpenCL C
    .language_version:
      - 2
      - 0
    .max_flat_workgroup_size: 512
    .name:           _ZN7rocprim17ROCPRIM_400000_NS6detail17trampoline_kernelINS0_14default_configENS1_25partition_config_selectorILNS1_17partition_subalgoE8EjNS0_10empty_typeEbEEZZNS1_14partition_implILS5_8ELb0ES3_jN6thrust23THRUST_200600_302600_NS6detail15normal_iteratorINSA_10device_ptrIjEEEEPS6_PKS6_NS0_5tupleIJSF_S6_EEENSJ_IJSG_SG_EEENS0_18inequality_wrapperI22is_equal_div_10_uniqueIjEEEPmJS6_EEE10hipError_tPvRmT3_T4_T5_T6_T7_T9_mT8_P12ihipStream_tbDpT10_ENKUlT_T0_E_clISt17integral_constantIbLb1EES1A_EEDaS15_S16_EUlS15_E_NS1_11comp_targetILNS1_3genE5ELNS1_11target_archE942ELNS1_3gpuE9ELNS1_3repE0EEENS1_30default_config_static_selectorELNS0_4arch9wavefront6targetE1EEEvT1_
    .private_segment_fixed_size: 0
    .sgpr_count:     4
    .sgpr_spill_count: 0
    .symbol:         _ZN7rocprim17ROCPRIM_400000_NS6detail17trampoline_kernelINS0_14default_configENS1_25partition_config_selectorILNS1_17partition_subalgoE8EjNS0_10empty_typeEbEEZZNS1_14partition_implILS5_8ELb0ES3_jN6thrust23THRUST_200600_302600_NS6detail15normal_iteratorINSA_10device_ptrIjEEEEPS6_PKS6_NS0_5tupleIJSF_S6_EEENSJ_IJSG_SG_EEENS0_18inequality_wrapperI22is_equal_div_10_uniqueIjEEEPmJS6_EEE10hipError_tPvRmT3_T4_T5_T6_T7_T9_mT8_P12ihipStream_tbDpT10_ENKUlT_T0_E_clISt17integral_constantIbLb1EES1A_EEDaS15_S16_EUlS15_E_NS1_11comp_targetILNS1_3genE5ELNS1_11target_archE942ELNS1_3gpuE9ELNS1_3repE0EEENS1_30default_config_static_selectorELNS0_4arch9wavefront6targetE1EEEvT1_.kd
    .uniform_work_group_size: 1
    .uses_dynamic_stack: false
    .vgpr_count:     0
    .vgpr_spill_count: 0
    .wavefront_size: 64
  - .args:
      - .offset:         0
        .size:           128
        .value_kind:     by_value
    .group_segment_fixed_size: 0
    .kernarg_segment_align: 8
    .kernarg_segment_size: 128
    .language:       OpenCL C
    .language_version:
      - 2
      - 0
    .max_flat_workgroup_size: 256
    .name:           _ZN7rocprim17ROCPRIM_400000_NS6detail17trampoline_kernelINS0_14default_configENS1_25partition_config_selectorILNS1_17partition_subalgoE8EjNS0_10empty_typeEbEEZZNS1_14partition_implILS5_8ELb0ES3_jN6thrust23THRUST_200600_302600_NS6detail15normal_iteratorINSA_10device_ptrIjEEEEPS6_PKS6_NS0_5tupleIJSF_S6_EEENSJ_IJSG_SG_EEENS0_18inequality_wrapperI22is_equal_div_10_uniqueIjEEEPmJS6_EEE10hipError_tPvRmT3_T4_T5_T6_T7_T9_mT8_P12ihipStream_tbDpT10_ENKUlT_T0_E_clISt17integral_constantIbLb1EES1A_EEDaS15_S16_EUlS15_E_NS1_11comp_targetILNS1_3genE4ELNS1_11target_archE910ELNS1_3gpuE8ELNS1_3repE0EEENS1_30default_config_static_selectorELNS0_4arch9wavefront6targetE1EEEvT1_
    .private_segment_fixed_size: 0
    .sgpr_count:     4
    .sgpr_spill_count: 0
    .symbol:         _ZN7rocprim17ROCPRIM_400000_NS6detail17trampoline_kernelINS0_14default_configENS1_25partition_config_selectorILNS1_17partition_subalgoE8EjNS0_10empty_typeEbEEZZNS1_14partition_implILS5_8ELb0ES3_jN6thrust23THRUST_200600_302600_NS6detail15normal_iteratorINSA_10device_ptrIjEEEEPS6_PKS6_NS0_5tupleIJSF_S6_EEENSJ_IJSG_SG_EEENS0_18inequality_wrapperI22is_equal_div_10_uniqueIjEEEPmJS6_EEE10hipError_tPvRmT3_T4_T5_T6_T7_T9_mT8_P12ihipStream_tbDpT10_ENKUlT_T0_E_clISt17integral_constantIbLb1EES1A_EEDaS15_S16_EUlS15_E_NS1_11comp_targetILNS1_3genE4ELNS1_11target_archE910ELNS1_3gpuE8ELNS1_3repE0EEENS1_30default_config_static_selectorELNS0_4arch9wavefront6targetE1EEEvT1_.kd
    .uniform_work_group_size: 1
    .uses_dynamic_stack: false
    .vgpr_count:     0
    .vgpr_spill_count: 0
    .wavefront_size: 64
  - .args:
      - .offset:         0
        .size:           128
        .value_kind:     by_value
    .group_segment_fixed_size: 0
    .kernarg_segment_align: 8
    .kernarg_segment_size: 128
    .language:       OpenCL C
    .language_version:
      - 2
      - 0
    .max_flat_workgroup_size: 512
    .name:           _ZN7rocprim17ROCPRIM_400000_NS6detail17trampoline_kernelINS0_14default_configENS1_25partition_config_selectorILNS1_17partition_subalgoE8EjNS0_10empty_typeEbEEZZNS1_14partition_implILS5_8ELb0ES3_jN6thrust23THRUST_200600_302600_NS6detail15normal_iteratorINSA_10device_ptrIjEEEEPS6_PKS6_NS0_5tupleIJSF_S6_EEENSJ_IJSG_SG_EEENS0_18inequality_wrapperI22is_equal_div_10_uniqueIjEEEPmJS6_EEE10hipError_tPvRmT3_T4_T5_T6_T7_T9_mT8_P12ihipStream_tbDpT10_ENKUlT_T0_E_clISt17integral_constantIbLb1EES1A_EEDaS15_S16_EUlS15_E_NS1_11comp_targetILNS1_3genE3ELNS1_11target_archE908ELNS1_3gpuE7ELNS1_3repE0EEENS1_30default_config_static_selectorELNS0_4arch9wavefront6targetE1EEEvT1_
    .private_segment_fixed_size: 0
    .sgpr_count:     4
    .sgpr_spill_count: 0
    .symbol:         _ZN7rocprim17ROCPRIM_400000_NS6detail17trampoline_kernelINS0_14default_configENS1_25partition_config_selectorILNS1_17partition_subalgoE8EjNS0_10empty_typeEbEEZZNS1_14partition_implILS5_8ELb0ES3_jN6thrust23THRUST_200600_302600_NS6detail15normal_iteratorINSA_10device_ptrIjEEEEPS6_PKS6_NS0_5tupleIJSF_S6_EEENSJ_IJSG_SG_EEENS0_18inequality_wrapperI22is_equal_div_10_uniqueIjEEEPmJS6_EEE10hipError_tPvRmT3_T4_T5_T6_T7_T9_mT8_P12ihipStream_tbDpT10_ENKUlT_T0_E_clISt17integral_constantIbLb1EES1A_EEDaS15_S16_EUlS15_E_NS1_11comp_targetILNS1_3genE3ELNS1_11target_archE908ELNS1_3gpuE7ELNS1_3repE0EEENS1_30default_config_static_selectorELNS0_4arch9wavefront6targetE1EEEvT1_.kd
    .uniform_work_group_size: 1
    .uses_dynamic_stack: false
    .vgpr_count:     0
    .vgpr_spill_count: 0
    .wavefront_size: 64
  - .args:
      - .offset:         0
        .size:           128
        .value_kind:     by_value
    .group_segment_fixed_size: 0
    .kernarg_segment_align: 8
    .kernarg_segment_size: 128
    .language:       OpenCL C
    .language_version:
      - 2
      - 0
    .max_flat_workgroup_size: 256
    .name:           _ZN7rocprim17ROCPRIM_400000_NS6detail17trampoline_kernelINS0_14default_configENS1_25partition_config_selectorILNS1_17partition_subalgoE8EjNS0_10empty_typeEbEEZZNS1_14partition_implILS5_8ELb0ES3_jN6thrust23THRUST_200600_302600_NS6detail15normal_iteratorINSA_10device_ptrIjEEEEPS6_PKS6_NS0_5tupleIJSF_S6_EEENSJ_IJSG_SG_EEENS0_18inequality_wrapperI22is_equal_div_10_uniqueIjEEEPmJS6_EEE10hipError_tPvRmT3_T4_T5_T6_T7_T9_mT8_P12ihipStream_tbDpT10_ENKUlT_T0_E_clISt17integral_constantIbLb1EES1A_EEDaS15_S16_EUlS15_E_NS1_11comp_targetILNS1_3genE2ELNS1_11target_archE906ELNS1_3gpuE6ELNS1_3repE0EEENS1_30default_config_static_selectorELNS0_4arch9wavefront6targetE1EEEvT1_
    .private_segment_fixed_size: 0
    .sgpr_count:     4
    .sgpr_spill_count: 0
    .symbol:         _ZN7rocprim17ROCPRIM_400000_NS6detail17trampoline_kernelINS0_14default_configENS1_25partition_config_selectorILNS1_17partition_subalgoE8EjNS0_10empty_typeEbEEZZNS1_14partition_implILS5_8ELb0ES3_jN6thrust23THRUST_200600_302600_NS6detail15normal_iteratorINSA_10device_ptrIjEEEEPS6_PKS6_NS0_5tupleIJSF_S6_EEENSJ_IJSG_SG_EEENS0_18inequality_wrapperI22is_equal_div_10_uniqueIjEEEPmJS6_EEE10hipError_tPvRmT3_T4_T5_T6_T7_T9_mT8_P12ihipStream_tbDpT10_ENKUlT_T0_E_clISt17integral_constantIbLb1EES1A_EEDaS15_S16_EUlS15_E_NS1_11comp_targetILNS1_3genE2ELNS1_11target_archE906ELNS1_3gpuE6ELNS1_3repE0EEENS1_30default_config_static_selectorELNS0_4arch9wavefront6targetE1EEEvT1_.kd
    .uniform_work_group_size: 1
    .uses_dynamic_stack: false
    .vgpr_count:     0
    .vgpr_spill_count: 0
    .wavefront_size: 64
  - .args:
      - .offset:         0
        .size:           128
        .value_kind:     by_value
    .group_segment_fixed_size: 0
    .kernarg_segment_align: 8
    .kernarg_segment_size: 128
    .language:       OpenCL C
    .language_version:
      - 2
      - 0
    .max_flat_workgroup_size: 384
    .name:           _ZN7rocprim17ROCPRIM_400000_NS6detail17trampoline_kernelINS0_14default_configENS1_25partition_config_selectorILNS1_17partition_subalgoE8EjNS0_10empty_typeEbEEZZNS1_14partition_implILS5_8ELb0ES3_jN6thrust23THRUST_200600_302600_NS6detail15normal_iteratorINSA_10device_ptrIjEEEEPS6_PKS6_NS0_5tupleIJSF_S6_EEENSJ_IJSG_SG_EEENS0_18inequality_wrapperI22is_equal_div_10_uniqueIjEEEPmJS6_EEE10hipError_tPvRmT3_T4_T5_T6_T7_T9_mT8_P12ihipStream_tbDpT10_ENKUlT_T0_E_clISt17integral_constantIbLb1EES1A_EEDaS15_S16_EUlS15_E_NS1_11comp_targetILNS1_3genE10ELNS1_11target_archE1200ELNS1_3gpuE4ELNS1_3repE0EEENS1_30default_config_static_selectorELNS0_4arch9wavefront6targetE1EEEvT1_
    .private_segment_fixed_size: 0
    .sgpr_count:     4
    .sgpr_spill_count: 0
    .symbol:         _ZN7rocprim17ROCPRIM_400000_NS6detail17trampoline_kernelINS0_14default_configENS1_25partition_config_selectorILNS1_17partition_subalgoE8EjNS0_10empty_typeEbEEZZNS1_14partition_implILS5_8ELb0ES3_jN6thrust23THRUST_200600_302600_NS6detail15normal_iteratorINSA_10device_ptrIjEEEEPS6_PKS6_NS0_5tupleIJSF_S6_EEENSJ_IJSG_SG_EEENS0_18inequality_wrapperI22is_equal_div_10_uniqueIjEEEPmJS6_EEE10hipError_tPvRmT3_T4_T5_T6_T7_T9_mT8_P12ihipStream_tbDpT10_ENKUlT_T0_E_clISt17integral_constantIbLb1EES1A_EEDaS15_S16_EUlS15_E_NS1_11comp_targetILNS1_3genE10ELNS1_11target_archE1200ELNS1_3gpuE4ELNS1_3repE0EEENS1_30default_config_static_selectorELNS0_4arch9wavefront6targetE1EEEvT1_.kd
    .uniform_work_group_size: 1
    .uses_dynamic_stack: false
    .vgpr_count:     0
    .vgpr_spill_count: 0
    .wavefront_size: 64
  - .args:
      - .offset:         0
        .size:           128
        .value_kind:     by_value
    .group_segment_fixed_size: 0
    .kernarg_segment_align: 8
    .kernarg_segment_size: 128
    .language:       OpenCL C
    .language_version:
      - 2
      - 0
    .max_flat_workgroup_size: 384
    .name:           _ZN7rocprim17ROCPRIM_400000_NS6detail17trampoline_kernelINS0_14default_configENS1_25partition_config_selectorILNS1_17partition_subalgoE8EjNS0_10empty_typeEbEEZZNS1_14partition_implILS5_8ELb0ES3_jN6thrust23THRUST_200600_302600_NS6detail15normal_iteratorINSA_10device_ptrIjEEEEPS6_PKS6_NS0_5tupleIJSF_S6_EEENSJ_IJSG_SG_EEENS0_18inequality_wrapperI22is_equal_div_10_uniqueIjEEEPmJS6_EEE10hipError_tPvRmT3_T4_T5_T6_T7_T9_mT8_P12ihipStream_tbDpT10_ENKUlT_T0_E_clISt17integral_constantIbLb1EES1A_EEDaS15_S16_EUlS15_E_NS1_11comp_targetILNS1_3genE9ELNS1_11target_archE1100ELNS1_3gpuE3ELNS1_3repE0EEENS1_30default_config_static_selectorELNS0_4arch9wavefront6targetE1EEEvT1_
    .private_segment_fixed_size: 0
    .sgpr_count:     4
    .sgpr_spill_count: 0
    .symbol:         _ZN7rocprim17ROCPRIM_400000_NS6detail17trampoline_kernelINS0_14default_configENS1_25partition_config_selectorILNS1_17partition_subalgoE8EjNS0_10empty_typeEbEEZZNS1_14partition_implILS5_8ELb0ES3_jN6thrust23THRUST_200600_302600_NS6detail15normal_iteratorINSA_10device_ptrIjEEEEPS6_PKS6_NS0_5tupleIJSF_S6_EEENSJ_IJSG_SG_EEENS0_18inequality_wrapperI22is_equal_div_10_uniqueIjEEEPmJS6_EEE10hipError_tPvRmT3_T4_T5_T6_T7_T9_mT8_P12ihipStream_tbDpT10_ENKUlT_T0_E_clISt17integral_constantIbLb1EES1A_EEDaS15_S16_EUlS15_E_NS1_11comp_targetILNS1_3genE9ELNS1_11target_archE1100ELNS1_3gpuE3ELNS1_3repE0EEENS1_30default_config_static_selectorELNS0_4arch9wavefront6targetE1EEEvT1_.kd
    .uniform_work_group_size: 1
    .uses_dynamic_stack: false
    .vgpr_count:     0
    .vgpr_spill_count: 0
    .wavefront_size: 64
  - .args:
      - .offset:         0
        .size:           128
        .value_kind:     by_value
    .group_segment_fixed_size: 0
    .kernarg_segment_align: 8
    .kernarg_segment_size: 128
    .language:       OpenCL C
    .language_version:
      - 2
      - 0
    .max_flat_workgroup_size: 512
    .name:           _ZN7rocprim17ROCPRIM_400000_NS6detail17trampoline_kernelINS0_14default_configENS1_25partition_config_selectorILNS1_17partition_subalgoE8EjNS0_10empty_typeEbEEZZNS1_14partition_implILS5_8ELb0ES3_jN6thrust23THRUST_200600_302600_NS6detail15normal_iteratorINSA_10device_ptrIjEEEEPS6_PKS6_NS0_5tupleIJSF_S6_EEENSJ_IJSG_SG_EEENS0_18inequality_wrapperI22is_equal_div_10_uniqueIjEEEPmJS6_EEE10hipError_tPvRmT3_T4_T5_T6_T7_T9_mT8_P12ihipStream_tbDpT10_ENKUlT_T0_E_clISt17integral_constantIbLb1EES1A_EEDaS15_S16_EUlS15_E_NS1_11comp_targetILNS1_3genE8ELNS1_11target_archE1030ELNS1_3gpuE2ELNS1_3repE0EEENS1_30default_config_static_selectorELNS0_4arch9wavefront6targetE1EEEvT1_
    .private_segment_fixed_size: 0
    .sgpr_count:     4
    .sgpr_spill_count: 0
    .symbol:         _ZN7rocprim17ROCPRIM_400000_NS6detail17trampoline_kernelINS0_14default_configENS1_25partition_config_selectorILNS1_17partition_subalgoE8EjNS0_10empty_typeEbEEZZNS1_14partition_implILS5_8ELb0ES3_jN6thrust23THRUST_200600_302600_NS6detail15normal_iteratorINSA_10device_ptrIjEEEEPS6_PKS6_NS0_5tupleIJSF_S6_EEENSJ_IJSG_SG_EEENS0_18inequality_wrapperI22is_equal_div_10_uniqueIjEEEPmJS6_EEE10hipError_tPvRmT3_T4_T5_T6_T7_T9_mT8_P12ihipStream_tbDpT10_ENKUlT_T0_E_clISt17integral_constantIbLb1EES1A_EEDaS15_S16_EUlS15_E_NS1_11comp_targetILNS1_3genE8ELNS1_11target_archE1030ELNS1_3gpuE2ELNS1_3repE0EEENS1_30default_config_static_selectorELNS0_4arch9wavefront6targetE1EEEvT1_.kd
    .uniform_work_group_size: 1
    .uses_dynamic_stack: false
    .vgpr_count:     0
    .vgpr_spill_count: 0
    .wavefront_size: 64
  - .args:
      - .offset:         0
        .size:           112
        .value_kind:     by_value
    .group_segment_fixed_size: 0
    .kernarg_segment_align: 8
    .kernarg_segment_size: 112
    .language:       OpenCL C
    .language_version:
      - 2
      - 0
    .max_flat_workgroup_size: 512
    .name:           _ZN7rocprim17ROCPRIM_400000_NS6detail17trampoline_kernelINS0_14default_configENS1_25partition_config_selectorILNS1_17partition_subalgoE8EjNS0_10empty_typeEbEEZZNS1_14partition_implILS5_8ELb0ES3_jN6thrust23THRUST_200600_302600_NS6detail15normal_iteratorINSA_10device_ptrIjEEEEPS6_PKS6_NS0_5tupleIJSF_S6_EEENSJ_IJSG_SG_EEENS0_18inequality_wrapperI22is_equal_div_10_uniqueIjEEEPmJS6_EEE10hipError_tPvRmT3_T4_T5_T6_T7_T9_mT8_P12ihipStream_tbDpT10_ENKUlT_T0_E_clISt17integral_constantIbLb1EES19_IbLb0EEEEDaS15_S16_EUlS15_E_NS1_11comp_targetILNS1_3genE0ELNS1_11target_archE4294967295ELNS1_3gpuE0ELNS1_3repE0EEENS1_30default_config_static_selectorELNS0_4arch9wavefront6targetE1EEEvT1_
    .private_segment_fixed_size: 0
    .sgpr_count:     4
    .sgpr_spill_count: 0
    .symbol:         _ZN7rocprim17ROCPRIM_400000_NS6detail17trampoline_kernelINS0_14default_configENS1_25partition_config_selectorILNS1_17partition_subalgoE8EjNS0_10empty_typeEbEEZZNS1_14partition_implILS5_8ELb0ES3_jN6thrust23THRUST_200600_302600_NS6detail15normal_iteratorINSA_10device_ptrIjEEEEPS6_PKS6_NS0_5tupleIJSF_S6_EEENSJ_IJSG_SG_EEENS0_18inequality_wrapperI22is_equal_div_10_uniqueIjEEEPmJS6_EEE10hipError_tPvRmT3_T4_T5_T6_T7_T9_mT8_P12ihipStream_tbDpT10_ENKUlT_T0_E_clISt17integral_constantIbLb1EES19_IbLb0EEEEDaS15_S16_EUlS15_E_NS1_11comp_targetILNS1_3genE0ELNS1_11target_archE4294967295ELNS1_3gpuE0ELNS1_3repE0EEENS1_30default_config_static_selectorELNS0_4arch9wavefront6targetE1EEEvT1_.kd
    .uniform_work_group_size: 1
    .uses_dynamic_stack: false
    .vgpr_count:     0
    .vgpr_spill_count: 0
    .wavefront_size: 64
  - .args:
      - .offset:         0
        .size:           112
        .value_kind:     by_value
    .group_segment_fixed_size: 0
    .kernarg_segment_align: 8
    .kernarg_segment_size: 112
    .language:       OpenCL C
    .language_version:
      - 2
      - 0
    .max_flat_workgroup_size: 512
    .name:           _ZN7rocprim17ROCPRIM_400000_NS6detail17trampoline_kernelINS0_14default_configENS1_25partition_config_selectorILNS1_17partition_subalgoE8EjNS0_10empty_typeEbEEZZNS1_14partition_implILS5_8ELb0ES3_jN6thrust23THRUST_200600_302600_NS6detail15normal_iteratorINSA_10device_ptrIjEEEEPS6_PKS6_NS0_5tupleIJSF_S6_EEENSJ_IJSG_SG_EEENS0_18inequality_wrapperI22is_equal_div_10_uniqueIjEEEPmJS6_EEE10hipError_tPvRmT3_T4_T5_T6_T7_T9_mT8_P12ihipStream_tbDpT10_ENKUlT_T0_E_clISt17integral_constantIbLb1EES19_IbLb0EEEEDaS15_S16_EUlS15_E_NS1_11comp_targetILNS1_3genE5ELNS1_11target_archE942ELNS1_3gpuE9ELNS1_3repE0EEENS1_30default_config_static_selectorELNS0_4arch9wavefront6targetE1EEEvT1_
    .private_segment_fixed_size: 0
    .sgpr_count:     4
    .sgpr_spill_count: 0
    .symbol:         _ZN7rocprim17ROCPRIM_400000_NS6detail17trampoline_kernelINS0_14default_configENS1_25partition_config_selectorILNS1_17partition_subalgoE8EjNS0_10empty_typeEbEEZZNS1_14partition_implILS5_8ELb0ES3_jN6thrust23THRUST_200600_302600_NS6detail15normal_iteratorINSA_10device_ptrIjEEEEPS6_PKS6_NS0_5tupleIJSF_S6_EEENSJ_IJSG_SG_EEENS0_18inequality_wrapperI22is_equal_div_10_uniqueIjEEEPmJS6_EEE10hipError_tPvRmT3_T4_T5_T6_T7_T9_mT8_P12ihipStream_tbDpT10_ENKUlT_T0_E_clISt17integral_constantIbLb1EES19_IbLb0EEEEDaS15_S16_EUlS15_E_NS1_11comp_targetILNS1_3genE5ELNS1_11target_archE942ELNS1_3gpuE9ELNS1_3repE0EEENS1_30default_config_static_selectorELNS0_4arch9wavefront6targetE1EEEvT1_.kd
    .uniform_work_group_size: 1
    .uses_dynamic_stack: false
    .vgpr_count:     0
    .vgpr_spill_count: 0
    .wavefront_size: 64
  - .args:
      - .offset:         0
        .size:           112
        .value_kind:     by_value
    .group_segment_fixed_size: 0
    .kernarg_segment_align: 8
    .kernarg_segment_size: 112
    .language:       OpenCL C
    .language_version:
      - 2
      - 0
    .max_flat_workgroup_size: 256
    .name:           _ZN7rocprim17ROCPRIM_400000_NS6detail17trampoline_kernelINS0_14default_configENS1_25partition_config_selectorILNS1_17partition_subalgoE8EjNS0_10empty_typeEbEEZZNS1_14partition_implILS5_8ELb0ES3_jN6thrust23THRUST_200600_302600_NS6detail15normal_iteratorINSA_10device_ptrIjEEEEPS6_PKS6_NS0_5tupleIJSF_S6_EEENSJ_IJSG_SG_EEENS0_18inequality_wrapperI22is_equal_div_10_uniqueIjEEEPmJS6_EEE10hipError_tPvRmT3_T4_T5_T6_T7_T9_mT8_P12ihipStream_tbDpT10_ENKUlT_T0_E_clISt17integral_constantIbLb1EES19_IbLb0EEEEDaS15_S16_EUlS15_E_NS1_11comp_targetILNS1_3genE4ELNS1_11target_archE910ELNS1_3gpuE8ELNS1_3repE0EEENS1_30default_config_static_selectorELNS0_4arch9wavefront6targetE1EEEvT1_
    .private_segment_fixed_size: 0
    .sgpr_count:     4
    .sgpr_spill_count: 0
    .symbol:         _ZN7rocprim17ROCPRIM_400000_NS6detail17trampoline_kernelINS0_14default_configENS1_25partition_config_selectorILNS1_17partition_subalgoE8EjNS0_10empty_typeEbEEZZNS1_14partition_implILS5_8ELb0ES3_jN6thrust23THRUST_200600_302600_NS6detail15normal_iteratorINSA_10device_ptrIjEEEEPS6_PKS6_NS0_5tupleIJSF_S6_EEENSJ_IJSG_SG_EEENS0_18inequality_wrapperI22is_equal_div_10_uniqueIjEEEPmJS6_EEE10hipError_tPvRmT3_T4_T5_T6_T7_T9_mT8_P12ihipStream_tbDpT10_ENKUlT_T0_E_clISt17integral_constantIbLb1EES19_IbLb0EEEEDaS15_S16_EUlS15_E_NS1_11comp_targetILNS1_3genE4ELNS1_11target_archE910ELNS1_3gpuE8ELNS1_3repE0EEENS1_30default_config_static_selectorELNS0_4arch9wavefront6targetE1EEEvT1_.kd
    .uniform_work_group_size: 1
    .uses_dynamic_stack: false
    .vgpr_count:     0
    .vgpr_spill_count: 0
    .wavefront_size: 64
  - .args:
      - .offset:         0
        .size:           112
        .value_kind:     by_value
    .group_segment_fixed_size: 0
    .kernarg_segment_align: 8
    .kernarg_segment_size: 112
    .language:       OpenCL C
    .language_version:
      - 2
      - 0
    .max_flat_workgroup_size: 512
    .name:           _ZN7rocprim17ROCPRIM_400000_NS6detail17trampoline_kernelINS0_14default_configENS1_25partition_config_selectorILNS1_17partition_subalgoE8EjNS0_10empty_typeEbEEZZNS1_14partition_implILS5_8ELb0ES3_jN6thrust23THRUST_200600_302600_NS6detail15normal_iteratorINSA_10device_ptrIjEEEEPS6_PKS6_NS0_5tupleIJSF_S6_EEENSJ_IJSG_SG_EEENS0_18inequality_wrapperI22is_equal_div_10_uniqueIjEEEPmJS6_EEE10hipError_tPvRmT3_T4_T5_T6_T7_T9_mT8_P12ihipStream_tbDpT10_ENKUlT_T0_E_clISt17integral_constantIbLb1EES19_IbLb0EEEEDaS15_S16_EUlS15_E_NS1_11comp_targetILNS1_3genE3ELNS1_11target_archE908ELNS1_3gpuE7ELNS1_3repE0EEENS1_30default_config_static_selectorELNS0_4arch9wavefront6targetE1EEEvT1_
    .private_segment_fixed_size: 0
    .sgpr_count:     4
    .sgpr_spill_count: 0
    .symbol:         _ZN7rocprim17ROCPRIM_400000_NS6detail17trampoline_kernelINS0_14default_configENS1_25partition_config_selectorILNS1_17partition_subalgoE8EjNS0_10empty_typeEbEEZZNS1_14partition_implILS5_8ELb0ES3_jN6thrust23THRUST_200600_302600_NS6detail15normal_iteratorINSA_10device_ptrIjEEEEPS6_PKS6_NS0_5tupleIJSF_S6_EEENSJ_IJSG_SG_EEENS0_18inequality_wrapperI22is_equal_div_10_uniqueIjEEEPmJS6_EEE10hipError_tPvRmT3_T4_T5_T6_T7_T9_mT8_P12ihipStream_tbDpT10_ENKUlT_T0_E_clISt17integral_constantIbLb1EES19_IbLb0EEEEDaS15_S16_EUlS15_E_NS1_11comp_targetILNS1_3genE3ELNS1_11target_archE908ELNS1_3gpuE7ELNS1_3repE0EEENS1_30default_config_static_selectorELNS0_4arch9wavefront6targetE1EEEvT1_.kd
    .uniform_work_group_size: 1
    .uses_dynamic_stack: false
    .vgpr_count:     0
    .vgpr_spill_count: 0
    .wavefront_size: 64
  - .args:
      - .offset:         0
        .size:           112
        .value_kind:     by_value
    .group_segment_fixed_size: 0
    .kernarg_segment_align: 8
    .kernarg_segment_size: 112
    .language:       OpenCL C
    .language_version:
      - 2
      - 0
    .max_flat_workgroup_size: 256
    .name:           _ZN7rocprim17ROCPRIM_400000_NS6detail17trampoline_kernelINS0_14default_configENS1_25partition_config_selectorILNS1_17partition_subalgoE8EjNS0_10empty_typeEbEEZZNS1_14partition_implILS5_8ELb0ES3_jN6thrust23THRUST_200600_302600_NS6detail15normal_iteratorINSA_10device_ptrIjEEEEPS6_PKS6_NS0_5tupleIJSF_S6_EEENSJ_IJSG_SG_EEENS0_18inequality_wrapperI22is_equal_div_10_uniqueIjEEEPmJS6_EEE10hipError_tPvRmT3_T4_T5_T6_T7_T9_mT8_P12ihipStream_tbDpT10_ENKUlT_T0_E_clISt17integral_constantIbLb1EES19_IbLb0EEEEDaS15_S16_EUlS15_E_NS1_11comp_targetILNS1_3genE2ELNS1_11target_archE906ELNS1_3gpuE6ELNS1_3repE0EEENS1_30default_config_static_selectorELNS0_4arch9wavefront6targetE1EEEvT1_
    .private_segment_fixed_size: 0
    .sgpr_count:     4
    .sgpr_spill_count: 0
    .symbol:         _ZN7rocprim17ROCPRIM_400000_NS6detail17trampoline_kernelINS0_14default_configENS1_25partition_config_selectorILNS1_17partition_subalgoE8EjNS0_10empty_typeEbEEZZNS1_14partition_implILS5_8ELb0ES3_jN6thrust23THRUST_200600_302600_NS6detail15normal_iteratorINSA_10device_ptrIjEEEEPS6_PKS6_NS0_5tupleIJSF_S6_EEENSJ_IJSG_SG_EEENS0_18inequality_wrapperI22is_equal_div_10_uniqueIjEEEPmJS6_EEE10hipError_tPvRmT3_T4_T5_T6_T7_T9_mT8_P12ihipStream_tbDpT10_ENKUlT_T0_E_clISt17integral_constantIbLb1EES19_IbLb0EEEEDaS15_S16_EUlS15_E_NS1_11comp_targetILNS1_3genE2ELNS1_11target_archE906ELNS1_3gpuE6ELNS1_3repE0EEENS1_30default_config_static_selectorELNS0_4arch9wavefront6targetE1EEEvT1_.kd
    .uniform_work_group_size: 1
    .uses_dynamic_stack: false
    .vgpr_count:     0
    .vgpr_spill_count: 0
    .wavefront_size: 64
  - .args:
      - .offset:         0
        .size:           112
        .value_kind:     by_value
    .group_segment_fixed_size: 0
    .kernarg_segment_align: 8
    .kernarg_segment_size: 112
    .language:       OpenCL C
    .language_version:
      - 2
      - 0
    .max_flat_workgroup_size: 384
    .name:           _ZN7rocprim17ROCPRIM_400000_NS6detail17trampoline_kernelINS0_14default_configENS1_25partition_config_selectorILNS1_17partition_subalgoE8EjNS0_10empty_typeEbEEZZNS1_14partition_implILS5_8ELb0ES3_jN6thrust23THRUST_200600_302600_NS6detail15normal_iteratorINSA_10device_ptrIjEEEEPS6_PKS6_NS0_5tupleIJSF_S6_EEENSJ_IJSG_SG_EEENS0_18inequality_wrapperI22is_equal_div_10_uniqueIjEEEPmJS6_EEE10hipError_tPvRmT3_T4_T5_T6_T7_T9_mT8_P12ihipStream_tbDpT10_ENKUlT_T0_E_clISt17integral_constantIbLb1EES19_IbLb0EEEEDaS15_S16_EUlS15_E_NS1_11comp_targetILNS1_3genE10ELNS1_11target_archE1200ELNS1_3gpuE4ELNS1_3repE0EEENS1_30default_config_static_selectorELNS0_4arch9wavefront6targetE1EEEvT1_
    .private_segment_fixed_size: 0
    .sgpr_count:     4
    .sgpr_spill_count: 0
    .symbol:         _ZN7rocprim17ROCPRIM_400000_NS6detail17trampoline_kernelINS0_14default_configENS1_25partition_config_selectorILNS1_17partition_subalgoE8EjNS0_10empty_typeEbEEZZNS1_14partition_implILS5_8ELb0ES3_jN6thrust23THRUST_200600_302600_NS6detail15normal_iteratorINSA_10device_ptrIjEEEEPS6_PKS6_NS0_5tupleIJSF_S6_EEENSJ_IJSG_SG_EEENS0_18inequality_wrapperI22is_equal_div_10_uniqueIjEEEPmJS6_EEE10hipError_tPvRmT3_T4_T5_T6_T7_T9_mT8_P12ihipStream_tbDpT10_ENKUlT_T0_E_clISt17integral_constantIbLb1EES19_IbLb0EEEEDaS15_S16_EUlS15_E_NS1_11comp_targetILNS1_3genE10ELNS1_11target_archE1200ELNS1_3gpuE4ELNS1_3repE0EEENS1_30default_config_static_selectorELNS0_4arch9wavefront6targetE1EEEvT1_.kd
    .uniform_work_group_size: 1
    .uses_dynamic_stack: false
    .vgpr_count:     0
    .vgpr_spill_count: 0
    .wavefront_size: 64
  - .args:
      - .offset:         0
        .size:           112
        .value_kind:     by_value
    .group_segment_fixed_size: 0
    .kernarg_segment_align: 8
    .kernarg_segment_size: 112
    .language:       OpenCL C
    .language_version:
      - 2
      - 0
    .max_flat_workgroup_size: 384
    .name:           _ZN7rocprim17ROCPRIM_400000_NS6detail17trampoline_kernelINS0_14default_configENS1_25partition_config_selectorILNS1_17partition_subalgoE8EjNS0_10empty_typeEbEEZZNS1_14partition_implILS5_8ELb0ES3_jN6thrust23THRUST_200600_302600_NS6detail15normal_iteratorINSA_10device_ptrIjEEEEPS6_PKS6_NS0_5tupleIJSF_S6_EEENSJ_IJSG_SG_EEENS0_18inequality_wrapperI22is_equal_div_10_uniqueIjEEEPmJS6_EEE10hipError_tPvRmT3_T4_T5_T6_T7_T9_mT8_P12ihipStream_tbDpT10_ENKUlT_T0_E_clISt17integral_constantIbLb1EES19_IbLb0EEEEDaS15_S16_EUlS15_E_NS1_11comp_targetILNS1_3genE9ELNS1_11target_archE1100ELNS1_3gpuE3ELNS1_3repE0EEENS1_30default_config_static_selectorELNS0_4arch9wavefront6targetE1EEEvT1_
    .private_segment_fixed_size: 0
    .sgpr_count:     4
    .sgpr_spill_count: 0
    .symbol:         _ZN7rocprim17ROCPRIM_400000_NS6detail17trampoline_kernelINS0_14default_configENS1_25partition_config_selectorILNS1_17partition_subalgoE8EjNS0_10empty_typeEbEEZZNS1_14partition_implILS5_8ELb0ES3_jN6thrust23THRUST_200600_302600_NS6detail15normal_iteratorINSA_10device_ptrIjEEEEPS6_PKS6_NS0_5tupleIJSF_S6_EEENSJ_IJSG_SG_EEENS0_18inequality_wrapperI22is_equal_div_10_uniqueIjEEEPmJS6_EEE10hipError_tPvRmT3_T4_T5_T6_T7_T9_mT8_P12ihipStream_tbDpT10_ENKUlT_T0_E_clISt17integral_constantIbLb1EES19_IbLb0EEEEDaS15_S16_EUlS15_E_NS1_11comp_targetILNS1_3genE9ELNS1_11target_archE1100ELNS1_3gpuE3ELNS1_3repE0EEENS1_30default_config_static_selectorELNS0_4arch9wavefront6targetE1EEEvT1_.kd
    .uniform_work_group_size: 1
    .uses_dynamic_stack: false
    .vgpr_count:     0
    .vgpr_spill_count: 0
    .wavefront_size: 64
  - .args:
      - .offset:         0
        .size:           112
        .value_kind:     by_value
    .group_segment_fixed_size: 0
    .kernarg_segment_align: 8
    .kernarg_segment_size: 112
    .language:       OpenCL C
    .language_version:
      - 2
      - 0
    .max_flat_workgroup_size: 512
    .name:           _ZN7rocprim17ROCPRIM_400000_NS6detail17trampoline_kernelINS0_14default_configENS1_25partition_config_selectorILNS1_17partition_subalgoE8EjNS0_10empty_typeEbEEZZNS1_14partition_implILS5_8ELb0ES3_jN6thrust23THRUST_200600_302600_NS6detail15normal_iteratorINSA_10device_ptrIjEEEEPS6_PKS6_NS0_5tupleIJSF_S6_EEENSJ_IJSG_SG_EEENS0_18inequality_wrapperI22is_equal_div_10_uniqueIjEEEPmJS6_EEE10hipError_tPvRmT3_T4_T5_T6_T7_T9_mT8_P12ihipStream_tbDpT10_ENKUlT_T0_E_clISt17integral_constantIbLb1EES19_IbLb0EEEEDaS15_S16_EUlS15_E_NS1_11comp_targetILNS1_3genE8ELNS1_11target_archE1030ELNS1_3gpuE2ELNS1_3repE0EEENS1_30default_config_static_selectorELNS0_4arch9wavefront6targetE1EEEvT1_
    .private_segment_fixed_size: 0
    .sgpr_count:     4
    .sgpr_spill_count: 0
    .symbol:         _ZN7rocprim17ROCPRIM_400000_NS6detail17trampoline_kernelINS0_14default_configENS1_25partition_config_selectorILNS1_17partition_subalgoE8EjNS0_10empty_typeEbEEZZNS1_14partition_implILS5_8ELb0ES3_jN6thrust23THRUST_200600_302600_NS6detail15normal_iteratorINSA_10device_ptrIjEEEEPS6_PKS6_NS0_5tupleIJSF_S6_EEENSJ_IJSG_SG_EEENS0_18inequality_wrapperI22is_equal_div_10_uniqueIjEEEPmJS6_EEE10hipError_tPvRmT3_T4_T5_T6_T7_T9_mT8_P12ihipStream_tbDpT10_ENKUlT_T0_E_clISt17integral_constantIbLb1EES19_IbLb0EEEEDaS15_S16_EUlS15_E_NS1_11comp_targetILNS1_3genE8ELNS1_11target_archE1030ELNS1_3gpuE2ELNS1_3repE0EEENS1_30default_config_static_selectorELNS0_4arch9wavefront6targetE1EEEvT1_.kd
    .uniform_work_group_size: 1
    .uses_dynamic_stack: false
    .vgpr_count:     0
    .vgpr_spill_count: 0
    .wavefront_size: 64
  - .args:
      - .offset:         0
        .size:           128
        .value_kind:     by_value
    .group_segment_fixed_size: 0
    .kernarg_segment_align: 8
    .kernarg_segment_size: 128
    .language:       OpenCL C
    .language_version:
      - 2
      - 0
    .max_flat_workgroup_size: 512
    .name:           _ZN7rocprim17ROCPRIM_400000_NS6detail17trampoline_kernelINS0_14default_configENS1_25partition_config_selectorILNS1_17partition_subalgoE8EjNS0_10empty_typeEbEEZZNS1_14partition_implILS5_8ELb0ES3_jN6thrust23THRUST_200600_302600_NS6detail15normal_iteratorINSA_10device_ptrIjEEEEPS6_PKS6_NS0_5tupleIJSF_S6_EEENSJ_IJSG_SG_EEENS0_18inequality_wrapperI22is_equal_div_10_uniqueIjEEEPmJS6_EEE10hipError_tPvRmT3_T4_T5_T6_T7_T9_mT8_P12ihipStream_tbDpT10_ENKUlT_T0_E_clISt17integral_constantIbLb0EES19_IbLb1EEEEDaS15_S16_EUlS15_E_NS1_11comp_targetILNS1_3genE0ELNS1_11target_archE4294967295ELNS1_3gpuE0ELNS1_3repE0EEENS1_30default_config_static_selectorELNS0_4arch9wavefront6targetE1EEEvT1_
    .private_segment_fixed_size: 0
    .sgpr_count:     4
    .sgpr_spill_count: 0
    .symbol:         _ZN7rocprim17ROCPRIM_400000_NS6detail17trampoline_kernelINS0_14default_configENS1_25partition_config_selectorILNS1_17partition_subalgoE8EjNS0_10empty_typeEbEEZZNS1_14partition_implILS5_8ELb0ES3_jN6thrust23THRUST_200600_302600_NS6detail15normal_iteratorINSA_10device_ptrIjEEEEPS6_PKS6_NS0_5tupleIJSF_S6_EEENSJ_IJSG_SG_EEENS0_18inequality_wrapperI22is_equal_div_10_uniqueIjEEEPmJS6_EEE10hipError_tPvRmT3_T4_T5_T6_T7_T9_mT8_P12ihipStream_tbDpT10_ENKUlT_T0_E_clISt17integral_constantIbLb0EES19_IbLb1EEEEDaS15_S16_EUlS15_E_NS1_11comp_targetILNS1_3genE0ELNS1_11target_archE4294967295ELNS1_3gpuE0ELNS1_3repE0EEENS1_30default_config_static_selectorELNS0_4arch9wavefront6targetE1EEEvT1_.kd
    .uniform_work_group_size: 1
    .uses_dynamic_stack: false
    .vgpr_count:     0
    .vgpr_spill_count: 0
    .wavefront_size: 64
  - .args:
      - .offset:         0
        .size:           128
        .value_kind:     by_value
    .group_segment_fixed_size: 0
    .kernarg_segment_align: 8
    .kernarg_segment_size: 128
    .language:       OpenCL C
    .language_version:
      - 2
      - 0
    .max_flat_workgroup_size: 512
    .name:           _ZN7rocprim17ROCPRIM_400000_NS6detail17trampoline_kernelINS0_14default_configENS1_25partition_config_selectorILNS1_17partition_subalgoE8EjNS0_10empty_typeEbEEZZNS1_14partition_implILS5_8ELb0ES3_jN6thrust23THRUST_200600_302600_NS6detail15normal_iteratorINSA_10device_ptrIjEEEEPS6_PKS6_NS0_5tupleIJSF_S6_EEENSJ_IJSG_SG_EEENS0_18inequality_wrapperI22is_equal_div_10_uniqueIjEEEPmJS6_EEE10hipError_tPvRmT3_T4_T5_T6_T7_T9_mT8_P12ihipStream_tbDpT10_ENKUlT_T0_E_clISt17integral_constantIbLb0EES19_IbLb1EEEEDaS15_S16_EUlS15_E_NS1_11comp_targetILNS1_3genE5ELNS1_11target_archE942ELNS1_3gpuE9ELNS1_3repE0EEENS1_30default_config_static_selectorELNS0_4arch9wavefront6targetE1EEEvT1_
    .private_segment_fixed_size: 0
    .sgpr_count:     4
    .sgpr_spill_count: 0
    .symbol:         _ZN7rocprim17ROCPRIM_400000_NS6detail17trampoline_kernelINS0_14default_configENS1_25partition_config_selectorILNS1_17partition_subalgoE8EjNS0_10empty_typeEbEEZZNS1_14partition_implILS5_8ELb0ES3_jN6thrust23THRUST_200600_302600_NS6detail15normal_iteratorINSA_10device_ptrIjEEEEPS6_PKS6_NS0_5tupleIJSF_S6_EEENSJ_IJSG_SG_EEENS0_18inequality_wrapperI22is_equal_div_10_uniqueIjEEEPmJS6_EEE10hipError_tPvRmT3_T4_T5_T6_T7_T9_mT8_P12ihipStream_tbDpT10_ENKUlT_T0_E_clISt17integral_constantIbLb0EES19_IbLb1EEEEDaS15_S16_EUlS15_E_NS1_11comp_targetILNS1_3genE5ELNS1_11target_archE942ELNS1_3gpuE9ELNS1_3repE0EEENS1_30default_config_static_selectorELNS0_4arch9wavefront6targetE1EEEvT1_.kd
    .uniform_work_group_size: 1
    .uses_dynamic_stack: false
    .vgpr_count:     0
    .vgpr_spill_count: 0
    .wavefront_size: 64
  - .args:
      - .offset:         0
        .size:           128
        .value_kind:     by_value
    .group_segment_fixed_size: 0
    .kernarg_segment_align: 8
    .kernarg_segment_size: 128
    .language:       OpenCL C
    .language_version:
      - 2
      - 0
    .max_flat_workgroup_size: 256
    .name:           _ZN7rocprim17ROCPRIM_400000_NS6detail17trampoline_kernelINS0_14default_configENS1_25partition_config_selectorILNS1_17partition_subalgoE8EjNS0_10empty_typeEbEEZZNS1_14partition_implILS5_8ELb0ES3_jN6thrust23THRUST_200600_302600_NS6detail15normal_iteratorINSA_10device_ptrIjEEEEPS6_PKS6_NS0_5tupleIJSF_S6_EEENSJ_IJSG_SG_EEENS0_18inequality_wrapperI22is_equal_div_10_uniqueIjEEEPmJS6_EEE10hipError_tPvRmT3_T4_T5_T6_T7_T9_mT8_P12ihipStream_tbDpT10_ENKUlT_T0_E_clISt17integral_constantIbLb0EES19_IbLb1EEEEDaS15_S16_EUlS15_E_NS1_11comp_targetILNS1_3genE4ELNS1_11target_archE910ELNS1_3gpuE8ELNS1_3repE0EEENS1_30default_config_static_selectorELNS0_4arch9wavefront6targetE1EEEvT1_
    .private_segment_fixed_size: 0
    .sgpr_count:     4
    .sgpr_spill_count: 0
    .symbol:         _ZN7rocprim17ROCPRIM_400000_NS6detail17trampoline_kernelINS0_14default_configENS1_25partition_config_selectorILNS1_17partition_subalgoE8EjNS0_10empty_typeEbEEZZNS1_14partition_implILS5_8ELb0ES3_jN6thrust23THRUST_200600_302600_NS6detail15normal_iteratorINSA_10device_ptrIjEEEEPS6_PKS6_NS0_5tupleIJSF_S6_EEENSJ_IJSG_SG_EEENS0_18inequality_wrapperI22is_equal_div_10_uniqueIjEEEPmJS6_EEE10hipError_tPvRmT3_T4_T5_T6_T7_T9_mT8_P12ihipStream_tbDpT10_ENKUlT_T0_E_clISt17integral_constantIbLb0EES19_IbLb1EEEEDaS15_S16_EUlS15_E_NS1_11comp_targetILNS1_3genE4ELNS1_11target_archE910ELNS1_3gpuE8ELNS1_3repE0EEENS1_30default_config_static_selectorELNS0_4arch9wavefront6targetE1EEEvT1_.kd
    .uniform_work_group_size: 1
    .uses_dynamic_stack: false
    .vgpr_count:     0
    .vgpr_spill_count: 0
    .wavefront_size: 64
  - .args:
      - .offset:         0
        .size:           128
        .value_kind:     by_value
    .group_segment_fixed_size: 0
    .kernarg_segment_align: 8
    .kernarg_segment_size: 128
    .language:       OpenCL C
    .language_version:
      - 2
      - 0
    .max_flat_workgroup_size: 512
    .name:           _ZN7rocprim17ROCPRIM_400000_NS6detail17trampoline_kernelINS0_14default_configENS1_25partition_config_selectorILNS1_17partition_subalgoE8EjNS0_10empty_typeEbEEZZNS1_14partition_implILS5_8ELb0ES3_jN6thrust23THRUST_200600_302600_NS6detail15normal_iteratorINSA_10device_ptrIjEEEEPS6_PKS6_NS0_5tupleIJSF_S6_EEENSJ_IJSG_SG_EEENS0_18inequality_wrapperI22is_equal_div_10_uniqueIjEEEPmJS6_EEE10hipError_tPvRmT3_T4_T5_T6_T7_T9_mT8_P12ihipStream_tbDpT10_ENKUlT_T0_E_clISt17integral_constantIbLb0EES19_IbLb1EEEEDaS15_S16_EUlS15_E_NS1_11comp_targetILNS1_3genE3ELNS1_11target_archE908ELNS1_3gpuE7ELNS1_3repE0EEENS1_30default_config_static_selectorELNS0_4arch9wavefront6targetE1EEEvT1_
    .private_segment_fixed_size: 0
    .sgpr_count:     4
    .sgpr_spill_count: 0
    .symbol:         _ZN7rocprim17ROCPRIM_400000_NS6detail17trampoline_kernelINS0_14default_configENS1_25partition_config_selectorILNS1_17partition_subalgoE8EjNS0_10empty_typeEbEEZZNS1_14partition_implILS5_8ELb0ES3_jN6thrust23THRUST_200600_302600_NS6detail15normal_iteratorINSA_10device_ptrIjEEEEPS6_PKS6_NS0_5tupleIJSF_S6_EEENSJ_IJSG_SG_EEENS0_18inequality_wrapperI22is_equal_div_10_uniqueIjEEEPmJS6_EEE10hipError_tPvRmT3_T4_T5_T6_T7_T9_mT8_P12ihipStream_tbDpT10_ENKUlT_T0_E_clISt17integral_constantIbLb0EES19_IbLb1EEEEDaS15_S16_EUlS15_E_NS1_11comp_targetILNS1_3genE3ELNS1_11target_archE908ELNS1_3gpuE7ELNS1_3repE0EEENS1_30default_config_static_selectorELNS0_4arch9wavefront6targetE1EEEvT1_.kd
    .uniform_work_group_size: 1
    .uses_dynamic_stack: false
    .vgpr_count:     0
    .vgpr_spill_count: 0
    .wavefront_size: 64
  - .args:
      - .offset:         0
        .size:           128
        .value_kind:     by_value
    .group_segment_fixed_size: 16904
    .kernarg_segment_align: 8
    .kernarg_segment_size: 128
    .language:       OpenCL C
    .language_version:
      - 2
      - 0
    .max_flat_workgroup_size: 256
    .name:           _ZN7rocprim17ROCPRIM_400000_NS6detail17trampoline_kernelINS0_14default_configENS1_25partition_config_selectorILNS1_17partition_subalgoE8EjNS0_10empty_typeEbEEZZNS1_14partition_implILS5_8ELb0ES3_jN6thrust23THRUST_200600_302600_NS6detail15normal_iteratorINSA_10device_ptrIjEEEEPS6_PKS6_NS0_5tupleIJSF_S6_EEENSJ_IJSG_SG_EEENS0_18inequality_wrapperI22is_equal_div_10_uniqueIjEEEPmJS6_EEE10hipError_tPvRmT3_T4_T5_T6_T7_T9_mT8_P12ihipStream_tbDpT10_ENKUlT_T0_E_clISt17integral_constantIbLb0EES19_IbLb1EEEEDaS15_S16_EUlS15_E_NS1_11comp_targetILNS1_3genE2ELNS1_11target_archE906ELNS1_3gpuE6ELNS1_3repE0EEENS1_30default_config_static_selectorELNS0_4arch9wavefront6targetE1EEEvT1_
    .private_segment_fixed_size: 0
    .sgpr_count:     61
    .sgpr_spill_count: 0
    .symbol:         _ZN7rocprim17ROCPRIM_400000_NS6detail17trampoline_kernelINS0_14default_configENS1_25partition_config_selectorILNS1_17partition_subalgoE8EjNS0_10empty_typeEbEEZZNS1_14partition_implILS5_8ELb0ES3_jN6thrust23THRUST_200600_302600_NS6detail15normal_iteratorINSA_10device_ptrIjEEEEPS6_PKS6_NS0_5tupleIJSF_S6_EEENSJ_IJSG_SG_EEENS0_18inequality_wrapperI22is_equal_div_10_uniqueIjEEEPmJS6_EEE10hipError_tPvRmT3_T4_T5_T6_T7_T9_mT8_P12ihipStream_tbDpT10_ENKUlT_T0_E_clISt17integral_constantIbLb0EES19_IbLb1EEEEDaS15_S16_EUlS15_E_NS1_11comp_targetILNS1_3genE2ELNS1_11target_archE906ELNS1_3gpuE6ELNS1_3repE0EEENS1_30default_config_static_selectorELNS0_4arch9wavefront6targetE1EEEvT1_.kd
    .uniform_work_group_size: 1
    .uses_dynamic_stack: false
    .vgpr_count:     77
    .vgpr_spill_count: 0
    .wavefront_size: 64
  - .args:
      - .offset:         0
        .size:           128
        .value_kind:     by_value
    .group_segment_fixed_size: 0
    .kernarg_segment_align: 8
    .kernarg_segment_size: 128
    .language:       OpenCL C
    .language_version:
      - 2
      - 0
    .max_flat_workgroup_size: 384
    .name:           _ZN7rocprim17ROCPRIM_400000_NS6detail17trampoline_kernelINS0_14default_configENS1_25partition_config_selectorILNS1_17partition_subalgoE8EjNS0_10empty_typeEbEEZZNS1_14partition_implILS5_8ELb0ES3_jN6thrust23THRUST_200600_302600_NS6detail15normal_iteratorINSA_10device_ptrIjEEEEPS6_PKS6_NS0_5tupleIJSF_S6_EEENSJ_IJSG_SG_EEENS0_18inequality_wrapperI22is_equal_div_10_uniqueIjEEEPmJS6_EEE10hipError_tPvRmT3_T4_T5_T6_T7_T9_mT8_P12ihipStream_tbDpT10_ENKUlT_T0_E_clISt17integral_constantIbLb0EES19_IbLb1EEEEDaS15_S16_EUlS15_E_NS1_11comp_targetILNS1_3genE10ELNS1_11target_archE1200ELNS1_3gpuE4ELNS1_3repE0EEENS1_30default_config_static_selectorELNS0_4arch9wavefront6targetE1EEEvT1_
    .private_segment_fixed_size: 0
    .sgpr_count:     4
    .sgpr_spill_count: 0
    .symbol:         _ZN7rocprim17ROCPRIM_400000_NS6detail17trampoline_kernelINS0_14default_configENS1_25partition_config_selectorILNS1_17partition_subalgoE8EjNS0_10empty_typeEbEEZZNS1_14partition_implILS5_8ELb0ES3_jN6thrust23THRUST_200600_302600_NS6detail15normal_iteratorINSA_10device_ptrIjEEEEPS6_PKS6_NS0_5tupleIJSF_S6_EEENSJ_IJSG_SG_EEENS0_18inequality_wrapperI22is_equal_div_10_uniqueIjEEEPmJS6_EEE10hipError_tPvRmT3_T4_T5_T6_T7_T9_mT8_P12ihipStream_tbDpT10_ENKUlT_T0_E_clISt17integral_constantIbLb0EES19_IbLb1EEEEDaS15_S16_EUlS15_E_NS1_11comp_targetILNS1_3genE10ELNS1_11target_archE1200ELNS1_3gpuE4ELNS1_3repE0EEENS1_30default_config_static_selectorELNS0_4arch9wavefront6targetE1EEEvT1_.kd
    .uniform_work_group_size: 1
    .uses_dynamic_stack: false
    .vgpr_count:     0
    .vgpr_spill_count: 0
    .wavefront_size: 64
  - .args:
      - .offset:         0
        .size:           128
        .value_kind:     by_value
    .group_segment_fixed_size: 0
    .kernarg_segment_align: 8
    .kernarg_segment_size: 128
    .language:       OpenCL C
    .language_version:
      - 2
      - 0
    .max_flat_workgroup_size: 384
    .name:           _ZN7rocprim17ROCPRIM_400000_NS6detail17trampoline_kernelINS0_14default_configENS1_25partition_config_selectorILNS1_17partition_subalgoE8EjNS0_10empty_typeEbEEZZNS1_14partition_implILS5_8ELb0ES3_jN6thrust23THRUST_200600_302600_NS6detail15normal_iteratorINSA_10device_ptrIjEEEEPS6_PKS6_NS0_5tupleIJSF_S6_EEENSJ_IJSG_SG_EEENS0_18inequality_wrapperI22is_equal_div_10_uniqueIjEEEPmJS6_EEE10hipError_tPvRmT3_T4_T5_T6_T7_T9_mT8_P12ihipStream_tbDpT10_ENKUlT_T0_E_clISt17integral_constantIbLb0EES19_IbLb1EEEEDaS15_S16_EUlS15_E_NS1_11comp_targetILNS1_3genE9ELNS1_11target_archE1100ELNS1_3gpuE3ELNS1_3repE0EEENS1_30default_config_static_selectorELNS0_4arch9wavefront6targetE1EEEvT1_
    .private_segment_fixed_size: 0
    .sgpr_count:     4
    .sgpr_spill_count: 0
    .symbol:         _ZN7rocprim17ROCPRIM_400000_NS6detail17trampoline_kernelINS0_14default_configENS1_25partition_config_selectorILNS1_17partition_subalgoE8EjNS0_10empty_typeEbEEZZNS1_14partition_implILS5_8ELb0ES3_jN6thrust23THRUST_200600_302600_NS6detail15normal_iteratorINSA_10device_ptrIjEEEEPS6_PKS6_NS0_5tupleIJSF_S6_EEENSJ_IJSG_SG_EEENS0_18inequality_wrapperI22is_equal_div_10_uniqueIjEEEPmJS6_EEE10hipError_tPvRmT3_T4_T5_T6_T7_T9_mT8_P12ihipStream_tbDpT10_ENKUlT_T0_E_clISt17integral_constantIbLb0EES19_IbLb1EEEEDaS15_S16_EUlS15_E_NS1_11comp_targetILNS1_3genE9ELNS1_11target_archE1100ELNS1_3gpuE3ELNS1_3repE0EEENS1_30default_config_static_selectorELNS0_4arch9wavefront6targetE1EEEvT1_.kd
    .uniform_work_group_size: 1
    .uses_dynamic_stack: false
    .vgpr_count:     0
    .vgpr_spill_count: 0
    .wavefront_size: 64
  - .args:
      - .offset:         0
        .size:           128
        .value_kind:     by_value
    .group_segment_fixed_size: 0
    .kernarg_segment_align: 8
    .kernarg_segment_size: 128
    .language:       OpenCL C
    .language_version:
      - 2
      - 0
    .max_flat_workgroup_size: 512
    .name:           _ZN7rocprim17ROCPRIM_400000_NS6detail17trampoline_kernelINS0_14default_configENS1_25partition_config_selectorILNS1_17partition_subalgoE8EjNS0_10empty_typeEbEEZZNS1_14partition_implILS5_8ELb0ES3_jN6thrust23THRUST_200600_302600_NS6detail15normal_iteratorINSA_10device_ptrIjEEEEPS6_PKS6_NS0_5tupleIJSF_S6_EEENSJ_IJSG_SG_EEENS0_18inequality_wrapperI22is_equal_div_10_uniqueIjEEEPmJS6_EEE10hipError_tPvRmT3_T4_T5_T6_T7_T9_mT8_P12ihipStream_tbDpT10_ENKUlT_T0_E_clISt17integral_constantIbLb0EES19_IbLb1EEEEDaS15_S16_EUlS15_E_NS1_11comp_targetILNS1_3genE8ELNS1_11target_archE1030ELNS1_3gpuE2ELNS1_3repE0EEENS1_30default_config_static_selectorELNS0_4arch9wavefront6targetE1EEEvT1_
    .private_segment_fixed_size: 0
    .sgpr_count:     4
    .sgpr_spill_count: 0
    .symbol:         _ZN7rocprim17ROCPRIM_400000_NS6detail17trampoline_kernelINS0_14default_configENS1_25partition_config_selectorILNS1_17partition_subalgoE8EjNS0_10empty_typeEbEEZZNS1_14partition_implILS5_8ELb0ES3_jN6thrust23THRUST_200600_302600_NS6detail15normal_iteratorINSA_10device_ptrIjEEEEPS6_PKS6_NS0_5tupleIJSF_S6_EEENSJ_IJSG_SG_EEENS0_18inequality_wrapperI22is_equal_div_10_uniqueIjEEEPmJS6_EEE10hipError_tPvRmT3_T4_T5_T6_T7_T9_mT8_P12ihipStream_tbDpT10_ENKUlT_T0_E_clISt17integral_constantIbLb0EES19_IbLb1EEEEDaS15_S16_EUlS15_E_NS1_11comp_targetILNS1_3genE8ELNS1_11target_archE1030ELNS1_3gpuE2ELNS1_3repE0EEENS1_30default_config_static_selectorELNS0_4arch9wavefront6targetE1EEEvT1_.kd
    .uniform_work_group_size: 1
    .uses_dynamic_stack: false
    .vgpr_count:     0
    .vgpr_spill_count: 0
    .wavefront_size: 64
  - .args:
      - .offset:         0
        .size:           16
        .value_kind:     by_value
      - .offset:         16
        .size:           8
        .value_kind:     by_value
      - .offset:         24
        .size:           8
        .value_kind:     by_value
    .group_segment_fixed_size: 0
    .kernarg_segment_align: 8
    .kernarg_segment_size: 32
    .language:       OpenCL C
    .language_version:
      - 2
      - 0
    .max_flat_workgroup_size: 256
    .name:           _ZN6thrust23THRUST_200600_302600_NS11hip_rocprim14__parallel_for6kernelILj256ENS1_20__uninitialized_fill7functorINS0_10device_ptrItEEtEEmLj1EEEvT0_T1_SA_
    .private_segment_fixed_size: 0
    .sgpr_count:     20
    .sgpr_spill_count: 0
    .symbol:         _ZN6thrust23THRUST_200600_302600_NS11hip_rocprim14__parallel_for6kernelILj256ENS1_20__uninitialized_fill7functorINS0_10device_ptrItEEtEEmLj1EEEvT0_T1_SA_.kd
    .uniform_work_group_size: 1
    .uses_dynamic_stack: false
    .vgpr_count:     4
    .vgpr_spill_count: 0
    .wavefront_size: 64
  - .args:
      - .offset:         0
        .size:           112
        .value_kind:     by_value
    .group_segment_fixed_size: 0
    .kernarg_segment_align: 8
    .kernarg_segment_size: 112
    .language:       OpenCL C
    .language_version:
      - 2
      - 0
    .max_flat_workgroup_size: 256
    .name:           _ZN7rocprim17ROCPRIM_400000_NS6detail17trampoline_kernelINS0_14default_configENS1_25partition_config_selectorILNS1_17partition_subalgoE8EtNS0_10empty_typeEbEEZZNS1_14partition_implILS5_8ELb0ES3_jN6thrust23THRUST_200600_302600_NS6detail15normal_iteratorINSA_10device_ptrItEEEEPS6_PKS6_NS0_5tupleIJSF_S6_EEENSJ_IJSG_SG_EEENS0_18inequality_wrapperINSA_8equal_toItEEEEPmJS6_EEE10hipError_tPvRmT3_T4_T5_T6_T7_T9_mT8_P12ihipStream_tbDpT10_ENKUlT_T0_E_clISt17integral_constantIbLb0EES1A_EEDaS15_S16_EUlS15_E_NS1_11comp_targetILNS1_3genE0ELNS1_11target_archE4294967295ELNS1_3gpuE0ELNS1_3repE0EEENS1_30default_config_static_selectorELNS0_4arch9wavefront6targetE1EEEvT1_
    .private_segment_fixed_size: 0
    .sgpr_count:     4
    .sgpr_spill_count: 0
    .symbol:         _ZN7rocprim17ROCPRIM_400000_NS6detail17trampoline_kernelINS0_14default_configENS1_25partition_config_selectorILNS1_17partition_subalgoE8EtNS0_10empty_typeEbEEZZNS1_14partition_implILS5_8ELb0ES3_jN6thrust23THRUST_200600_302600_NS6detail15normal_iteratorINSA_10device_ptrItEEEEPS6_PKS6_NS0_5tupleIJSF_S6_EEENSJ_IJSG_SG_EEENS0_18inequality_wrapperINSA_8equal_toItEEEEPmJS6_EEE10hipError_tPvRmT3_T4_T5_T6_T7_T9_mT8_P12ihipStream_tbDpT10_ENKUlT_T0_E_clISt17integral_constantIbLb0EES1A_EEDaS15_S16_EUlS15_E_NS1_11comp_targetILNS1_3genE0ELNS1_11target_archE4294967295ELNS1_3gpuE0ELNS1_3repE0EEENS1_30default_config_static_selectorELNS0_4arch9wavefront6targetE1EEEvT1_.kd
    .uniform_work_group_size: 1
    .uses_dynamic_stack: false
    .vgpr_count:     0
    .vgpr_spill_count: 0
    .wavefront_size: 64
  - .args:
      - .offset:         0
        .size:           112
        .value_kind:     by_value
    .group_segment_fixed_size: 0
    .kernarg_segment_align: 8
    .kernarg_segment_size: 112
    .language:       OpenCL C
    .language_version:
      - 2
      - 0
    .max_flat_workgroup_size: 512
    .name:           _ZN7rocprim17ROCPRIM_400000_NS6detail17trampoline_kernelINS0_14default_configENS1_25partition_config_selectorILNS1_17partition_subalgoE8EtNS0_10empty_typeEbEEZZNS1_14partition_implILS5_8ELb0ES3_jN6thrust23THRUST_200600_302600_NS6detail15normal_iteratorINSA_10device_ptrItEEEEPS6_PKS6_NS0_5tupleIJSF_S6_EEENSJ_IJSG_SG_EEENS0_18inequality_wrapperINSA_8equal_toItEEEEPmJS6_EEE10hipError_tPvRmT3_T4_T5_T6_T7_T9_mT8_P12ihipStream_tbDpT10_ENKUlT_T0_E_clISt17integral_constantIbLb0EES1A_EEDaS15_S16_EUlS15_E_NS1_11comp_targetILNS1_3genE5ELNS1_11target_archE942ELNS1_3gpuE9ELNS1_3repE0EEENS1_30default_config_static_selectorELNS0_4arch9wavefront6targetE1EEEvT1_
    .private_segment_fixed_size: 0
    .sgpr_count:     4
    .sgpr_spill_count: 0
    .symbol:         _ZN7rocprim17ROCPRIM_400000_NS6detail17trampoline_kernelINS0_14default_configENS1_25partition_config_selectorILNS1_17partition_subalgoE8EtNS0_10empty_typeEbEEZZNS1_14partition_implILS5_8ELb0ES3_jN6thrust23THRUST_200600_302600_NS6detail15normal_iteratorINSA_10device_ptrItEEEEPS6_PKS6_NS0_5tupleIJSF_S6_EEENSJ_IJSG_SG_EEENS0_18inequality_wrapperINSA_8equal_toItEEEEPmJS6_EEE10hipError_tPvRmT3_T4_T5_T6_T7_T9_mT8_P12ihipStream_tbDpT10_ENKUlT_T0_E_clISt17integral_constantIbLb0EES1A_EEDaS15_S16_EUlS15_E_NS1_11comp_targetILNS1_3genE5ELNS1_11target_archE942ELNS1_3gpuE9ELNS1_3repE0EEENS1_30default_config_static_selectorELNS0_4arch9wavefront6targetE1EEEvT1_.kd
    .uniform_work_group_size: 1
    .uses_dynamic_stack: false
    .vgpr_count:     0
    .vgpr_spill_count: 0
    .wavefront_size: 64
  - .args:
      - .offset:         0
        .size:           112
        .value_kind:     by_value
    .group_segment_fixed_size: 0
    .kernarg_segment_align: 8
    .kernarg_segment_size: 112
    .language:       OpenCL C
    .language_version:
      - 2
      - 0
    .max_flat_workgroup_size: 256
    .name:           _ZN7rocprim17ROCPRIM_400000_NS6detail17trampoline_kernelINS0_14default_configENS1_25partition_config_selectorILNS1_17partition_subalgoE8EtNS0_10empty_typeEbEEZZNS1_14partition_implILS5_8ELb0ES3_jN6thrust23THRUST_200600_302600_NS6detail15normal_iteratorINSA_10device_ptrItEEEEPS6_PKS6_NS0_5tupleIJSF_S6_EEENSJ_IJSG_SG_EEENS0_18inequality_wrapperINSA_8equal_toItEEEEPmJS6_EEE10hipError_tPvRmT3_T4_T5_T6_T7_T9_mT8_P12ihipStream_tbDpT10_ENKUlT_T0_E_clISt17integral_constantIbLb0EES1A_EEDaS15_S16_EUlS15_E_NS1_11comp_targetILNS1_3genE4ELNS1_11target_archE910ELNS1_3gpuE8ELNS1_3repE0EEENS1_30default_config_static_selectorELNS0_4arch9wavefront6targetE1EEEvT1_
    .private_segment_fixed_size: 0
    .sgpr_count:     4
    .sgpr_spill_count: 0
    .symbol:         _ZN7rocprim17ROCPRIM_400000_NS6detail17trampoline_kernelINS0_14default_configENS1_25partition_config_selectorILNS1_17partition_subalgoE8EtNS0_10empty_typeEbEEZZNS1_14partition_implILS5_8ELb0ES3_jN6thrust23THRUST_200600_302600_NS6detail15normal_iteratorINSA_10device_ptrItEEEEPS6_PKS6_NS0_5tupleIJSF_S6_EEENSJ_IJSG_SG_EEENS0_18inequality_wrapperINSA_8equal_toItEEEEPmJS6_EEE10hipError_tPvRmT3_T4_T5_T6_T7_T9_mT8_P12ihipStream_tbDpT10_ENKUlT_T0_E_clISt17integral_constantIbLb0EES1A_EEDaS15_S16_EUlS15_E_NS1_11comp_targetILNS1_3genE4ELNS1_11target_archE910ELNS1_3gpuE8ELNS1_3repE0EEENS1_30default_config_static_selectorELNS0_4arch9wavefront6targetE1EEEvT1_.kd
    .uniform_work_group_size: 1
    .uses_dynamic_stack: false
    .vgpr_count:     0
    .vgpr_spill_count: 0
    .wavefront_size: 64
  - .args:
      - .offset:         0
        .size:           112
        .value_kind:     by_value
    .group_segment_fixed_size: 0
    .kernarg_segment_align: 8
    .kernarg_segment_size: 112
    .language:       OpenCL C
    .language_version:
      - 2
      - 0
    .max_flat_workgroup_size: 256
    .name:           _ZN7rocprim17ROCPRIM_400000_NS6detail17trampoline_kernelINS0_14default_configENS1_25partition_config_selectorILNS1_17partition_subalgoE8EtNS0_10empty_typeEbEEZZNS1_14partition_implILS5_8ELb0ES3_jN6thrust23THRUST_200600_302600_NS6detail15normal_iteratorINSA_10device_ptrItEEEEPS6_PKS6_NS0_5tupleIJSF_S6_EEENSJ_IJSG_SG_EEENS0_18inequality_wrapperINSA_8equal_toItEEEEPmJS6_EEE10hipError_tPvRmT3_T4_T5_T6_T7_T9_mT8_P12ihipStream_tbDpT10_ENKUlT_T0_E_clISt17integral_constantIbLb0EES1A_EEDaS15_S16_EUlS15_E_NS1_11comp_targetILNS1_3genE3ELNS1_11target_archE908ELNS1_3gpuE7ELNS1_3repE0EEENS1_30default_config_static_selectorELNS0_4arch9wavefront6targetE1EEEvT1_
    .private_segment_fixed_size: 0
    .sgpr_count:     4
    .sgpr_spill_count: 0
    .symbol:         _ZN7rocprim17ROCPRIM_400000_NS6detail17trampoline_kernelINS0_14default_configENS1_25partition_config_selectorILNS1_17partition_subalgoE8EtNS0_10empty_typeEbEEZZNS1_14partition_implILS5_8ELb0ES3_jN6thrust23THRUST_200600_302600_NS6detail15normal_iteratorINSA_10device_ptrItEEEEPS6_PKS6_NS0_5tupleIJSF_S6_EEENSJ_IJSG_SG_EEENS0_18inequality_wrapperINSA_8equal_toItEEEEPmJS6_EEE10hipError_tPvRmT3_T4_T5_T6_T7_T9_mT8_P12ihipStream_tbDpT10_ENKUlT_T0_E_clISt17integral_constantIbLb0EES1A_EEDaS15_S16_EUlS15_E_NS1_11comp_targetILNS1_3genE3ELNS1_11target_archE908ELNS1_3gpuE7ELNS1_3repE0EEENS1_30default_config_static_selectorELNS0_4arch9wavefront6targetE1EEEvT1_.kd
    .uniform_work_group_size: 1
    .uses_dynamic_stack: false
    .vgpr_count:     0
    .vgpr_spill_count: 0
    .wavefront_size: 64
  - .args:
      - .offset:         0
        .size:           112
        .value_kind:     by_value
    .group_segment_fixed_size: 6920
    .kernarg_segment_align: 8
    .kernarg_segment_size: 112
    .language:       OpenCL C
    .language_version:
      - 2
      - 0
    .max_flat_workgroup_size: 192
    .name:           _ZN7rocprim17ROCPRIM_400000_NS6detail17trampoline_kernelINS0_14default_configENS1_25partition_config_selectorILNS1_17partition_subalgoE8EtNS0_10empty_typeEbEEZZNS1_14partition_implILS5_8ELb0ES3_jN6thrust23THRUST_200600_302600_NS6detail15normal_iteratorINSA_10device_ptrItEEEEPS6_PKS6_NS0_5tupleIJSF_S6_EEENSJ_IJSG_SG_EEENS0_18inequality_wrapperINSA_8equal_toItEEEEPmJS6_EEE10hipError_tPvRmT3_T4_T5_T6_T7_T9_mT8_P12ihipStream_tbDpT10_ENKUlT_T0_E_clISt17integral_constantIbLb0EES1A_EEDaS15_S16_EUlS15_E_NS1_11comp_targetILNS1_3genE2ELNS1_11target_archE906ELNS1_3gpuE6ELNS1_3repE0EEENS1_30default_config_static_selectorELNS0_4arch9wavefront6targetE1EEEvT1_
    .private_segment_fixed_size: 0
    .sgpr_count:     64
    .sgpr_spill_count: 0
    .symbol:         _ZN7rocprim17ROCPRIM_400000_NS6detail17trampoline_kernelINS0_14default_configENS1_25partition_config_selectorILNS1_17partition_subalgoE8EtNS0_10empty_typeEbEEZZNS1_14partition_implILS5_8ELb0ES3_jN6thrust23THRUST_200600_302600_NS6detail15normal_iteratorINSA_10device_ptrItEEEEPS6_PKS6_NS0_5tupleIJSF_S6_EEENSJ_IJSG_SG_EEENS0_18inequality_wrapperINSA_8equal_toItEEEEPmJS6_EEE10hipError_tPvRmT3_T4_T5_T6_T7_T9_mT8_P12ihipStream_tbDpT10_ENKUlT_T0_E_clISt17integral_constantIbLb0EES1A_EEDaS15_S16_EUlS15_E_NS1_11comp_targetILNS1_3genE2ELNS1_11target_archE906ELNS1_3gpuE6ELNS1_3repE0EEENS1_30default_config_static_selectorELNS0_4arch9wavefront6targetE1EEEvT1_.kd
    .uniform_work_group_size: 1
    .uses_dynamic_stack: false
    .vgpr_count:     82
    .vgpr_spill_count: 0
    .wavefront_size: 64
  - .args:
      - .offset:         0
        .size:           112
        .value_kind:     by_value
    .group_segment_fixed_size: 0
    .kernarg_segment_align: 8
    .kernarg_segment_size: 112
    .language:       OpenCL C
    .language_version:
      - 2
      - 0
    .max_flat_workgroup_size: 256
    .name:           _ZN7rocprim17ROCPRIM_400000_NS6detail17trampoline_kernelINS0_14default_configENS1_25partition_config_selectorILNS1_17partition_subalgoE8EtNS0_10empty_typeEbEEZZNS1_14partition_implILS5_8ELb0ES3_jN6thrust23THRUST_200600_302600_NS6detail15normal_iteratorINSA_10device_ptrItEEEEPS6_PKS6_NS0_5tupleIJSF_S6_EEENSJ_IJSG_SG_EEENS0_18inequality_wrapperINSA_8equal_toItEEEEPmJS6_EEE10hipError_tPvRmT3_T4_T5_T6_T7_T9_mT8_P12ihipStream_tbDpT10_ENKUlT_T0_E_clISt17integral_constantIbLb0EES1A_EEDaS15_S16_EUlS15_E_NS1_11comp_targetILNS1_3genE10ELNS1_11target_archE1200ELNS1_3gpuE4ELNS1_3repE0EEENS1_30default_config_static_selectorELNS0_4arch9wavefront6targetE1EEEvT1_
    .private_segment_fixed_size: 0
    .sgpr_count:     4
    .sgpr_spill_count: 0
    .symbol:         _ZN7rocprim17ROCPRIM_400000_NS6detail17trampoline_kernelINS0_14default_configENS1_25partition_config_selectorILNS1_17partition_subalgoE8EtNS0_10empty_typeEbEEZZNS1_14partition_implILS5_8ELb0ES3_jN6thrust23THRUST_200600_302600_NS6detail15normal_iteratorINSA_10device_ptrItEEEEPS6_PKS6_NS0_5tupleIJSF_S6_EEENSJ_IJSG_SG_EEENS0_18inequality_wrapperINSA_8equal_toItEEEEPmJS6_EEE10hipError_tPvRmT3_T4_T5_T6_T7_T9_mT8_P12ihipStream_tbDpT10_ENKUlT_T0_E_clISt17integral_constantIbLb0EES1A_EEDaS15_S16_EUlS15_E_NS1_11comp_targetILNS1_3genE10ELNS1_11target_archE1200ELNS1_3gpuE4ELNS1_3repE0EEENS1_30default_config_static_selectorELNS0_4arch9wavefront6targetE1EEEvT1_.kd
    .uniform_work_group_size: 1
    .uses_dynamic_stack: false
    .vgpr_count:     0
    .vgpr_spill_count: 0
    .wavefront_size: 64
  - .args:
      - .offset:         0
        .size:           112
        .value_kind:     by_value
    .group_segment_fixed_size: 0
    .kernarg_segment_align: 8
    .kernarg_segment_size: 112
    .language:       OpenCL C
    .language_version:
      - 2
      - 0
    .max_flat_workgroup_size: 128
    .name:           _ZN7rocprim17ROCPRIM_400000_NS6detail17trampoline_kernelINS0_14default_configENS1_25partition_config_selectorILNS1_17partition_subalgoE8EtNS0_10empty_typeEbEEZZNS1_14partition_implILS5_8ELb0ES3_jN6thrust23THRUST_200600_302600_NS6detail15normal_iteratorINSA_10device_ptrItEEEEPS6_PKS6_NS0_5tupleIJSF_S6_EEENSJ_IJSG_SG_EEENS0_18inequality_wrapperINSA_8equal_toItEEEEPmJS6_EEE10hipError_tPvRmT3_T4_T5_T6_T7_T9_mT8_P12ihipStream_tbDpT10_ENKUlT_T0_E_clISt17integral_constantIbLb0EES1A_EEDaS15_S16_EUlS15_E_NS1_11comp_targetILNS1_3genE9ELNS1_11target_archE1100ELNS1_3gpuE3ELNS1_3repE0EEENS1_30default_config_static_selectorELNS0_4arch9wavefront6targetE1EEEvT1_
    .private_segment_fixed_size: 0
    .sgpr_count:     4
    .sgpr_spill_count: 0
    .symbol:         _ZN7rocprim17ROCPRIM_400000_NS6detail17trampoline_kernelINS0_14default_configENS1_25partition_config_selectorILNS1_17partition_subalgoE8EtNS0_10empty_typeEbEEZZNS1_14partition_implILS5_8ELb0ES3_jN6thrust23THRUST_200600_302600_NS6detail15normal_iteratorINSA_10device_ptrItEEEEPS6_PKS6_NS0_5tupleIJSF_S6_EEENSJ_IJSG_SG_EEENS0_18inequality_wrapperINSA_8equal_toItEEEEPmJS6_EEE10hipError_tPvRmT3_T4_T5_T6_T7_T9_mT8_P12ihipStream_tbDpT10_ENKUlT_T0_E_clISt17integral_constantIbLb0EES1A_EEDaS15_S16_EUlS15_E_NS1_11comp_targetILNS1_3genE9ELNS1_11target_archE1100ELNS1_3gpuE3ELNS1_3repE0EEENS1_30default_config_static_selectorELNS0_4arch9wavefront6targetE1EEEvT1_.kd
    .uniform_work_group_size: 1
    .uses_dynamic_stack: false
    .vgpr_count:     0
    .vgpr_spill_count: 0
    .wavefront_size: 64
  - .args:
      - .offset:         0
        .size:           112
        .value_kind:     by_value
    .group_segment_fixed_size: 0
    .kernarg_segment_align: 8
    .kernarg_segment_size: 112
    .language:       OpenCL C
    .language_version:
      - 2
      - 0
    .max_flat_workgroup_size: 384
    .name:           _ZN7rocprim17ROCPRIM_400000_NS6detail17trampoline_kernelINS0_14default_configENS1_25partition_config_selectorILNS1_17partition_subalgoE8EtNS0_10empty_typeEbEEZZNS1_14partition_implILS5_8ELb0ES3_jN6thrust23THRUST_200600_302600_NS6detail15normal_iteratorINSA_10device_ptrItEEEEPS6_PKS6_NS0_5tupleIJSF_S6_EEENSJ_IJSG_SG_EEENS0_18inequality_wrapperINSA_8equal_toItEEEEPmJS6_EEE10hipError_tPvRmT3_T4_T5_T6_T7_T9_mT8_P12ihipStream_tbDpT10_ENKUlT_T0_E_clISt17integral_constantIbLb0EES1A_EEDaS15_S16_EUlS15_E_NS1_11comp_targetILNS1_3genE8ELNS1_11target_archE1030ELNS1_3gpuE2ELNS1_3repE0EEENS1_30default_config_static_selectorELNS0_4arch9wavefront6targetE1EEEvT1_
    .private_segment_fixed_size: 0
    .sgpr_count:     4
    .sgpr_spill_count: 0
    .symbol:         _ZN7rocprim17ROCPRIM_400000_NS6detail17trampoline_kernelINS0_14default_configENS1_25partition_config_selectorILNS1_17partition_subalgoE8EtNS0_10empty_typeEbEEZZNS1_14partition_implILS5_8ELb0ES3_jN6thrust23THRUST_200600_302600_NS6detail15normal_iteratorINSA_10device_ptrItEEEEPS6_PKS6_NS0_5tupleIJSF_S6_EEENSJ_IJSG_SG_EEENS0_18inequality_wrapperINSA_8equal_toItEEEEPmJS6_EEE10hipError_tPvRmT3_T4_T5_T6_T7_T9_mT8_P12ihipStream_tbDpT10_ENKUlT_T0_E_clISt17integral_constantIbLb0EES1A_EEDaS15_S16_EUlS15_E_NS1_11comp_targetILNS1_3genE8ELNS1_11target_archE1030ELNS1_3gpuE2ELNS1_3repE0EEENS1_30default_config_static_selectorELNS0_4arch9wavefront6targetE1EEEvT1_.kd
    .uniform_work_group_size: 1
    .uses_dynamic_stack: false
    .vgpr_count:     0
    .vgpr_spill_count: 0
    .wavefront_size: 64
  - .args:
      - .offset:         0
        .size:           128
        .value_kind:     by_value
    .group_segment_fixed_size: 0
    .kernarg_segment_align: 8
    .kernarg_segment_size: 128
    .language:       OpenCL C
    .language_version:
      - 2
      - 0
    .max_flat_workgroup_size: 256
    .name:           _ZN7rocprim17ROCPRIM_400000_NS6detail17trampoline_kernelINS0_14default_configENS1_25partition_config_selectorILNS1_17partition_subalgoE8EtNS0_10empty_typeEbEEZZNS1_14partition_implILS5_8ELb0ES3_jN6thrust23THRUST_200600_302600_NS6detail15normal_iteratorINSA_10device_ptrItEEEEPS6_PKS6_NS0_5tupleIJSF_S6_EEENSJ_IJSG_SG_EEENS0_18inequality_wrapperINSA_8equal_toItEEEEPmJS6_EEE10hipError_tPvRmT3_T4_T5_T6_T7_T9_mT8_P12ihipStream_tbDpT10_ENKUlT_T0_E_clISt17integral_constantIbLb1EES1A_EEDaS15_S16_EUlS15_E_NS1_11comp_targetILNS1_3genE0ELNS1_11target_archE4294967295ELNS1_3gpuE0ELNS1_3repE0EEENS1_30default_config_static_selectorELNS0_4arch9wavefront6targetE1EEEvT1_
    .private_segment_fixed_size: 0
    .sgpr_count:     4
    .sgpr_spill_count: 0
    .symbol:         _ZN7rocprim17ROCPRIM_400000_NS6detail17trampoline_kernelINS0_14default_configENS1_25partition_config_selectorILNS1_17partition_subalgoE8EtNS0_10empty_typeEbEEZZNS1_14partition_implILS5_8ELb0ES3_jN6thrust23THRUST_200600_302600_NS6detail15normal_iteratorINSA_10device_ptrItEEEEPS6_PKS6_NS0_5tupleIJSF_S6_EEENSJ_IJSG_SG_EEENS0_18inequality_wrapperINSA_8equal_toItEEEEPmJS6_EEE10hipError_tPvRmT3_T4_T5_T6_T7_T9_mT8_P12ihipStream_tbDpT10_ENKUlT_T0_E_clISt17integral_constantIbLb1EES1A_EEDaS15_S16_EUlS15_E_NS1_11comp_targetILNS1_3genE0ELNS1_11target_archE4294967295ELNS1_3gpuE0ELNS1_3repE0EEENS1_30default_config_static_selectorELNS0_4arch9wavefront6targetE1EEEvT1_.kd
    .uniform_work_group_size: 1
    .uses_dynamic_stack: false
    .vgpr_count:     0
    .vgpr_spill_count: 0
    .wavefront_size: 64
  - .args:
      - .offset:         0
        .size:           128
        .value_kind:     by_value
    .group_segment_fixed_size: 0
    .kernarg_segment_align: 8
    .kernarg_segment_size: 128
    .language:       OpenCL C
    .language_version:
      - 2
      - 0
    .max_flat_workgroup_size: 512
    .name:           _ZN7rocprim17ROCPRIM_400000_NS6detail17trampoline_kernelINS0_14default_configENS1_25partition_config_selectorILNS1_17partition_subalgoE8EtNS0_10empty_typeEbEEZZNS1_14partition_implILS5_8ELb0ES3_jN6thrust23THRUST_200600_302600_NS6detail15normal_iteratorINSA_10device_ptrItEEEEPS6_PKS6_NS0_5tupleIJSF_S6_EEENSJ_IJSG_SG_EEENS0_18inequality_wrapperINSA_8equal_toItEEEEPmJS6_EEE10hipError_tPvRmT3_T4_T5_T6_T7_T9_mT8_P12ihipStream_tbDpT10_ENKUlT_T0_E_clISt17integral_constantIbLb1EES1A_EEDaS15_S16_EUlS15_E_NS1_11comp_targetILNS1_3genE5ELNS1_11target_archE942ELNS1_3gpuE9ELNS1_3repE0EEENS1_30default_config_static_selectorELNS0_4arch9wavefront6targetE1EEEvT1_
    .private_segment_fixed_size: 0
    .sgpr_count:     4
    .sgpr_spill_count: 0
    .symbol:         _ZN7rocprim17ROCPRIM_400000_NS6detail17trampoline_kernelINS0_14default_configENS1_25partition_config_selectorILNS1_17partition_subalgoE8EtNS0_10empty_typeEbEEZZNS1_14partition_implILS5_8ELb0ES3_jN6thrust23THRUST_200600_302600_NS6detail15normal_iteratorINSA_10device_ptrItEEEEPS6_PKS6_NS0_5tupleIJSF_S6_EEENSJ_IJSG_SG_EEENS0_18inequality_wrapperINSA_8equal_toItEEEEPmJS6_EEE10hipError_tPvRmT3_T4_T5_T6_T7_T9_mT8_P12ihipStream_tbDpT10_ENKUlT_T0_E_clISt17integral_constantIbLb1EES1A_EEDaS15_S16_EUlS15_E_NS1_11comp_targetILNS1_3genE5ELNS1_11target_archE942ELNS1_3gpuE9ELNS1_3repE0EEENS1_30default_config_static_selectorELNS0_4arch9wavefront6targetE1EEEvT1_.kd
    .uniform_work_group_size: 1
    .uses_dynamic_stack: false
    .vgpr_count:     0
    .vgpr_spill_count: 0
    .wavefront_size: 64
  - .args:
      - .offset:         0
        .size:           128
        .value_kind:     by_value
    .group_segment_fixed_size: 0
    .kernarg_segment_align: 8
    .kernarg_segment_size: 128
    .language:       OpenCL C
    .language_version:
      - 2
      - 0
    .max_flat_workgroup_size: 256
    .name:           _ZN7rocprim17ROCPRIM_400000_NS6detail17trampoline_kernelINS0_14default_configENS1_25partition_config_selectorILNS1_17partition_subalgoE8EtNS0_10empty_typeEbEEZZNS1_14partition_implILS5_8ELb0ES3_jN6thrust23THRUST_200600_302600_NS6detail15normal_iteratorINSA_10device_ptrItEEEEPS6_PKS6_NS0_5tupleIJSF_S6_EEENSJ_IJSG_SG_EEENS0_18inequality_wrapperINSA_8equal_toItEEEEPmJS6_EEE10hipError_tPvRmT3_T4_T5_T6_T7_T9_mT8_P12ihipStream_tbDpT10_ENKUlT_T0_E_clISt17integral_constantIbLb1EES1A_EEDaS15_S16_EUlS15_E_NS1_11comp_targetILNS1_3genE4ELNS1_11target_archE910ELNS1_3gpuE8ELNS1_3repE0EEENS1_30default_config_static_selectorELNS0_4arch9wavefront6targetE1EEEvT1_
    .private_segment_fixed_size: 0
    .sgpr_count:     4
    .sgpr_spill_count: 0
    .symbol:         _ZN7rocprim17ROCPRIM_400000_NS6detail17trampoline_kernelINS0_14default_configENS1_25partition_config_selectorILNS1_17partition_subalgoE8EtNS0_10empty_typeEbEEZZNS1_14partition_implILS5_8ELb0ES3_jN6thrust23THRUST_200600_302600_NS6detail15normal_iteratorINSA_10device_ptrItEEEEPS6_PKS6_NS0_5tupleIJSF_S6_EEENSJ_IJSG_SG_EEENS0_18inequality_wrapperINSA_8equal_toItEEEEPmJS6_EEE10hipError_tPvRmT3_T4_T5_T6_T7_T9_mT8_P12ihipStream_tbDpT10_ENKUlT_T0_E_clISt17integral_constantIbLb1EES1A_EEDaS15_S16_EUlS15_E_NS1_11comp_targetILNS1_3genE4ELNS1_11target_archE910ELNS1_3gpuE8ELNS1_3repE0EEENS1_30default_config_static_selectorELNS0_4arch9wavefront6targetE1EEEvT1_.kd
    .uniform_work_group_size: 1
    .uses_dynamic_stack: false
    .vgpr_count:     0
    .vgpr_spill_count: 0
    .wavefront_size: 64
  - .args:
      - .offset:         0
        .size:           128
        .value_kind:     by_value
    .group_segment_fixed_size: 0
    .kernarg_segment_align: 8
    .kernarg_segment_size: 128
    .language:       OpenCL C
    .language_version:
      - 2
      - 0
    .max_flat_workgroup_size: 256
    .name:           _ZN7rocprim17ROCPRIM_400000_NS6detail17trampoline_kernelINS0_14default_configENS1_25partition_config_selectorILNS1_17partition_subalgoE8EtNS0_10empty_typeEbEEZZNS1_14partition_implILS5_8ELb0ES3_jN6thrust23THRUST_200600_302600_NS6detail15normal_iteratorINSA_10device_ptrItEEEEPS6_PKS6_NS0_5tupleIJSF_S6_EEENSJ_IJSG_SG_EEENS0_18inequality_wrapperINSA_8equal_toItEEEEPmJS6_EEE10hipError_tPvRmT3_T4_T5_T6_T7_T9_mT8_P12ihipStream_tbDpT10_ENKUlT_T0_E_clISt17integral_constantIbLb1EES1A_EEDaS15_S16_EUlS15_E_NS1_11comp_targetILNS1_3genE3ELNS1_11target_archE908ELNS1_3gpuE7ELNS1_3repE0EEENS1_30default_config_static_selectorELNS0_4arch9wavefront6targetE1EEEvT1_
    .private_segment_fixed_size: 0
    .sgpr_count:     4
    .sgpr_spill_count: 0
    .symbol:         _ZN7rocprim17ROCPRIM_400000_NS6detail17trampoline_kernelINS0_14default_configENS1_25partition_config_selectorILNS1_17partition_subalgoE8EtNS0_10empty_typeEbEEZZNS1_14partition_implILS5_8ELb0ES3_jN6thrust23THRUST_200600_302600_NS6detail15normal_iteratorINSA_10device_ptrItEEEEPS6_PKS6_NS0_5tupleIJSF_S6_EEENSJ_IJSG_SG_EEENS0_18inequality_wrapperINSA_8equal_toItEEEEPmJS6_EEE10hipError_tPvRmT3_T4_T5_T6_T7_T9_mT8_P12ihipStream_tbDpT10_ENKUlT_T0_E_clISt17integral_constantIbLb1EES1A_EEDaS15_S16_EUlS15_E_NS1_11comp_targetILNS1_3genE3ELNS1_11target_archE908ELNS1_3gpuE7ELNS1_3repE0EEENS1_30default_config_static_selectorELNS0_4arch9wavefront6targetE1EEEvT1_.kd
    .uniform_work_group_size: 1
    .uses_dynamic_stack: false
    .vgpr_count:     0
    .vgpr_spill_count: 0
    .wavefront_size: 64
  - .args:
      - .offset:         0
        .size:           128
        .value_kind:     by_value
    .group_segment_fixed_size: 0
    .kernarg_segment_align: 8
    .kernarg_segment_size: 128
    .language:       OpenCL C
    .language_version:
      - 2
      - 0
    .max_flat_workgroup_size: 192
    .name:           _ZN7rocprim17ROCPRIM_400000_NS6detail17trampoline_kernelINS0_14default_configENS1_25partition_config_selectorILNS1_17partition_subalgoE8EtNS0_10empty_typeEbEEZZNS1_14partition_implILS5_8ELb0ES3_jN6thrust23THRUST_200600_302600_NS6detail15normal_iteratorINSA_10device_ptrItEEEEPS6_PKS6_NS0_5tupleIJSF_S6_EEENSJ_IJSG_SG_EEENS0_18inequality_wrapperINSA_8equal_toItEEEEPmJS6_EEE10hipError_tPvRmT3_T4_T5_T6_T7_T9_mT8_P12ihipStream_tbDpT10_ENKUlT_T0_E_clISt17integral_constantIbLb1EES1A_EEDaS15_S16_EUlS15_E_NS1_11comp_targetILNS1_3genE2ELNS1_11target_archE906ELNS1_3gpuE6ELNS1_3repE0EEENS1_30default_config_static_selectorELNS0_4arch9wavefront6targetE1EEEvT1_
    .private_segment_fixed_size: 0
    .sgpr_count:     4
    .sgpr_spill_count: 0
    .symbol:         _ZN7rocprim17ROCPRIM_400000_NS6detail17trampoline_kernelINS0_14default_configENS1_25partition_config_selectorILNS1_17partition_subalgoE8EtNS0_10empty_typeEbEEZZNS1_14partition_implILS5_8ELb0ES3_jN6thrust23THRUST_200600_302600_NS6detail15normal_iteratorINSA_10device_ptrItEEEEPS6_PKS6_NS0_5tupleIJSF_S6_EEENSJ_IJSG_SG_EEENS0_18inequality_wrapperINSA_8equal_toItEEEEPmJS6_EEE10hipError_tPvRmT3_T4_T5_T6_T7_T9_mT8_P12ihipStream_tbDpT10_ENKUlT_T0_E_clISt17integral_constantIbLb1EES1A_EEDaS15_S16_EUlS15_E_NS1_11comp_targetILNS1_3genE2ELNS1_11target_archE906ELNS1_3gpuE6ELNS1_3repE0EEENS1_30default_config_static_selectorELNS0_4arch9wavefront6targetE1EEEvT1_.kd
    .uniform_work_group_size: 1
    .uses_dynamic_stack: false
    .vgpr_count:     0
    .vgpr_spill_count: 0
    .wavefront_size: 64
  - .args:
      - .offset:         0
        .size:           128
        .value_kind:     by_value
    .group_segment_fixed_size: 0
    .kernarg_segment_align: 8
    .kernarg_segment_size: 128
    .language:       OpenCL C
    .language_version:
      - 2
      - 0
    .max_flat_workgroup_size: 256
    .name:           _ZN7rocprim17ROCPRIM_400000_NS6detail17trampoline_kernelINS0_14default_configENS1_25partition_config_selectorILNS1_17partition_subalgoE8EtNS0_10empty_typeEbEEZZNS1_14partition_implILS5_8ELb0ES3_jN6thrust23THRUST_200600_302600_NS6detail15normal_iteratorINSA_10device_ptrItEEEEPS6_PKS6_NS0_5tupleIJSF_S6_EEENSJ_IJSG_SG_EEENS0_18inequality_wrapperINSA_8equal_toItEEEEPmJS6_EEE10hipError_tPvRmT3_T4_T5_T6_T7_T9_mT8_P12ihipStream_tbDpT10_ENKUlT_T0_E_clISt17integral_constantIbLb1EES1A_EEDaS15_S16_EUlS15_E_NS1_11comp_targetILNS1_3genE10ELNS1_11target_archE1200ELNS1_3gpuE4ELNS1_3repE0EEENS1_30default_config_static_selectorELNS0_4arch9wavefront6targetE1EEEvT1_
    .private_segment_fixed_size: 0
    .sgpr_count:     4
    .sgpr_spill_count: 0
    .symbol:         _ZN7rocprim17ROCPRIM_400000_NS6detail17trampoline_kernelINS0_14default_configENS1_25partition_config_selectorILNS1_17partition_subalgoE8EtNS0_10empty_typeEbEEZZNS1_14partition_implILS5_8ELb0ES3_jN6thrust23THRUST_200600_302600_NS6detail15normal_iteratorINSA_10device_ptrItEEEEPS6_PKS6_NS0_5tupleIJSF_S6_EEENSJ_IJSG_SG_EEENS0_18inequality_wrapperINSA_8equal_toItEEEEPmJS6_EEE10hipError_tPvRmT3_T4_T5_T6_T7_T9_mT8_P12ihipStream_tbDpT10_ENKUlT_T0_E_clISt17integral_constantIbLb1EES1A_EEDaS15_S16_EUlS15_E_NS1_11comp_targetILNS1_3genE10ELNS1_11target_archE1200ELNS1_3gpuE4ELNS1_3repE0EEENS1_30default_config_static_selectorELNS0_4arch9wavefront6targetE1EEEvT1_.kd
    .uniform_work_group_size: 1
    .uses_dynamic_stack: false
    .vgpr_count:     0
    .vgpr_spill_count: 0
    .wavefront_size: 64
  - .args:
      - .offset:         0
        .size:           128
        .value_kind:     by_value
    .group_segment_fixed_size: 0
    .kernarg_segment_align: 8
    .kernarg_segment_size: 128
    .language:       OpenCL C
    .language_version:
      - 2
      - 0
    .max_flat_workgroup_size: 128
    .name:           _ZN7rocprim17ROCPRIM_400000_NS6detail17trampoline_kernelINS0_14default_configENS1_25partition_config_selectorILNS1_17partition_subalgoE8EtNS0_10empty_typeEbEEZZNS1_14partition_implILS5_8ELb0ES3_jN6thrust23THRUST_200600_302600_NS6detail15normal_iteratorINSA_10device_ptrItEEEEPS6_PKS6_NS0_5tupleIJSF_S6_EEENSJ_IJSG_SG_EEENS0_18inequality_wrapperINSA_8equal_toItEEEEPmJS6_EEE10hipError_tPvRmT3_T4_T5_T6_T7_T9_mT8_P12ihipStream_tbDpT10_ENKUlT_T0_E_clISt17integral_constantIbLb1EES1A_EEDaS15_S16_EUlS15_E_NS1_11comp_targetILNS1_3genE9ELNS1_11target_archE1100ELNS1_3gpuE3ELNS1_3repE0EEENS1_30default_config_static_selectorELNS0_4arch9wavefront6targetE1EEEvT1_
    .private_segment_fixed_size: 0
    .sgpr_count:     4
    .sgpr_spill_count: 0
    .symbol:         _ZN7rocprim17ROCPRIM_400000_NS6detail17trampoline_kernelINS0_14default_configENS1_25partition_config_selectorILNS1_17partition_subalgoE8EtNS0_10empty_typeEbEEZZNS1_14partition_implILS5_8ELb0ES3_jN6thrust23THRUST_200600_302600_NS6detail15normal_iteratorINSA_10device_ptrItEEEEPS6_PKS6_NS0_5tupleIJSF_S6_EEENSJ_IJSG_SG_EEENS0_18inequality_wrapperINSA_8equal_toItEEEEPmJS6_EEE10hipError_tPvRmT3_T4_T5_T6_T7_T9_mT8_P12ihipStream_tbDpT10_ENKUlT_T0_E_clISt17integral_constantIbLb1EES1A_EEDaS15_S16_EUlS15_E_NS1_11comp_targetILNS1_3genE9ELNS1_11target_archE1100ELNS1_3gpuE3ELNS1_3repE0EEENS1_30default_config_static_selectorELNS0_4arch9wavefront6targetE1EEEvT1_.kd
    .uniform_work_group_size: 1
    .uses_dynamic_stack: false
    .vgpr_count:     0
    .vgpr_spill_count: 0
    .wavefront_size: 64
  - .args:
      - .offset:         0
        .size:           128
        .value_kind:     by_value
    .group_segment_fixed_size: 0
    .kernarg_segment_align: 8
    .kernarg_segment_size: 128
    .language:       OpenCL C
    .language_version:
      - 2
      - 0
    .max_flat_workgroup_size: 384
    .name:           _ZN7rocprim17ROCPRIM_400000_NS6detail17trampoline_kernelINS0_14default_configENS1_25partition_config_selectorILNS1_17partition_subalgoE8EtNS0_10empty_typeEbEEZZNS1_14partition_implILS5_8ELb0ES3_jN6thrust23THRUST_200600_302600_NS6detail15normal_iteratorINSA_10device_ptrItEEEEPS6_PKS6_NS0_5tupleIJSF_S6_EEENSJ_IJSG_SG_EEENS0_18inequality_wrapperINSA_8equal_toItEEEEPmJS6_EEE10hipError_tPvRmT3_T4_T5_T6_T7_T9_mT8_P12ihipStream_tbDpT10_ENKUlT_T0_E_clISt17integral_constantIbLb1EES1A_EEDaS15_S16_EUlS15_E_NS1_11comp_targetILNS1_3genE8ELNS1_11target_archE1030ELNS1_3gpuE2ELNS1_3repE0EEENS1_30default_config_static_selectorELNS0_4arch9wavefront6targetE1EEEvT1_
    .private_segment_fixed_size: 0
    .sgpr_count:     4
    .sgpr_spill_count: 0
    .symbol:         _ZN7rocprim17ROCPRIM_400000_NS6detail17trampoline_kernelINS0_14default_configENS1_25partition_config_selectorILNS1_17partition_subalgoE8EtNS0_10empty_typeEbEEZZNS1_14partition_implILS5_8ELb0ES3_jN6thrust23THRUST_200600_302600_NS6detail15normal_iteratorINSA_10device_ptrItEEEEPS6_PKS6_NS0_5tupleIJSF_S6_EEENSJ_IJSG_SG_EEENS0_18inequality_wrapperINSA_8equal_toItEEEEPmJS6_EEE10hipError_tPvRmT3_T4_T5_T6_T7_T9_mT8_P12ihipStream_tbDpT10_ENKUlT_T0_E_clISt17integral_constantIbLb1EES1A_EEDaS15_S16_EUlS15_E_NS1_11comp_targetILNS1_3genE8ELNS1_11target_archE1030ELNS1_3gpuE2ELNS1_3repE0EEENS1_30default_config_static_selectorELNS0_4arch9wavefront6targetE1EEEvT1_.kd
    .uniform_work_group_size: 1
    .uses_dynamic_stack: false
    .vgpr_count:     0
    .vgpr_spill_count: 0
    .wavefront_size: 64
  - .args:
      - .offset:         0
        .size:           112
        .value_kind:     by_value
    .group_segment_fixed_size: 0
    .kernarg_segment_align: 8
    .kernarg_segment_size: 112
    .language:       OpenCL C
    .language_version:
      - 2
      - 0
    .max_flat_workgroup_size: 256
    .name:           _ZN7rocprim17ROCPRIM_400000_NS6detail17trampoline_kernelINS0_14default_configENS1_25partition_config_selectorILNS1_17partition_subalgoE8EtNS0_10empty_typeEbEEZZNS1_14partition_implILS5_8ELb0ES3_jN6thrust23THRUST_200600_302600_NS6detail15normal_iteratorINSA_10device_ptrItEEEEPS6_PKS6_NS0_5tupleIJSF_S6_EEENSJ_IJSG_SG_EEENS0_18inequality_wrapperINSA_8equal_toItEEEEPmJS6_EEE10hipError_tPvRmT3_T4_T5_T6_T7_T9_mT8_P12ihipStream_tbDpT10_ENKUlT_T0_E_clISt17integral_constantIbLb1EES19_IbLb0EEEEDaS15_S16_EUlS15_E_NS1_11comp_targetILNS1_3genE0ELNS1_11target_archE4294967295ELNS1_3gpuE0ELNS1_3repE0EEENS1_30default_config_static_selectorELNS0_4arch9wavefront6targetE1EEEvT1_
    .private_segment_fixed_size: 0
    .sgpr_count:     4
    .sgpr_spill_count: 0
    .symbol:         _ZN7rocprim17ROCPRIM_400000_NS6detail17trampoline_kernelINS0_14default_configENS1_25partition_config_selectorILNS1_17partition_subalgoE8EtNS0_10empty_typeEbEEZZNS1_14partition_implILS5_8ELb0ES3_jN6thrust23THRUST_200600_302600_NS6detail15normal_iteratorINSA_10device_ptrItEEEEPS6_PKS6_NS0_5tupleIJSF_S6_EEENSJ_IJSG_SG_EEENS0_18inequality_wrapperINSA_8equal_toItEEEEPmJS6_EEE10hipError_tPvRmT3_T4_T5_T6_T7_T9_mT8_P12ihipStream_tbDpT10_ENKUlT_T0_E_clISt17integral_constantIbLb1EES19_IbLb0EEEEDaS15_S16_EUlS15_E_NS1_11comp_targetILNS1_3genE0ELNS1_11target_archE4294967295ELNS1_3gpuE0ELNS1_3repE0EEENS1_30default_config_static_selectorELNS0_4arch9wavefront6targetE1EEEvT1_.kd
    .uniform_work_group_size: 1
    .uses_dynamic_stack: false
    .vgpr_count:     0
    .vgpr_spill_count: 0
    .wavefront_size: 64
  - .args:
      - .offset:         0
        .size:           112
        .value_kind:     by_value
    .group_segment_fixed_size: 0
    .kernarg_segment_align: 8
    .kernarg_segment_size: 112
    .language:       OpenCL C
    .language_version:
      - 2
      - 0
    .max_flat_workgroup_size: 512
    .name:           _ZN7rocprim17ROCPRIM_400000_NS6detail17trampoline_kernelINS0_14default_configENS1_25partition_config_selectorILNS1_17partition_subalgoE8EtNS0_10empty_typeEbEEZZNS1_14partition_implILS5_8ELb0ES3_jN6thrust23THRUST_200600_302600_NS6detail15normal_iteratorINSA_10device_ptrItEEEEPS6_PKS6_NS0_5tupleIJSF_S6_EEENSJ_IJSG_SG_EEENS0_18inequality_wrapperINSA_8equal_toItEEEEPmJS6_EEE10hipError_tPvRmT3_T4_T5_T6_T7_T9_mT8_P12ihipStream_tbDpT10_ENKUlT_T0_E_clISt17integral_constantIbLb1EES19_IbLb0EEEEDaS15_S16_EUlS15_E_NS1_11comp_targetILNS1_3genE5ELNS1_11target_archE942ELNS1_3gpuE9ELNS1_3repE0EEENS1_30default_config_static_selectorELNS0_4arch9wavefront6targetE1EEEvT1_
    .private_segment_fixed_size: 0
    .sgpr_count:     4
    .sgpr_spill_count: 0
    .symbol:         _ZN7rocprim17ROCPRIM_400000_NS6detail17trampoline_kernelINS0_14default_configENS1_25partition_config_selectorILNS1_17partition_subalgoE8EtNS0_10empty_typeEbEEZZNS1_14partition_implILS5_8ELb0ES3_jN6thrust23THRUST_200600_302600_NS6detail15normal_iteratorINSA_10device_ptrItEEEEPS6_PKS6_NS0_5tupleIJSF_S6_EEENSJ_IJSG_SG_EEENS0_18inequality_wrapperINSA_8equal_toItEEEEPmJS6_EEE10hipError_tPvRmT3_T4_T5_T6_T7_T9_mT8_P12ihipStream_tbDpT10_ENKUlT_T0_E_clISt17integral_constantIbLb1EES19_IbLb0EEEEDaS15_S16_EUlS15_E_NS1_11comp_targetILNS1_3genE5ELNS1_11target_archE942ELNS1_3gpuE9ELNS1_3repE0EEENS1_30default_config_static_selectorELNS0_4arch9wavefront6targetE1EEEvT1_.kd
    .uniform_work_group_size: 1
    .uses_dynamic_stack: false
    .vgpr_count:     0
    .vgpr_spill_count: 0
    .wavefront_size: 64
  - .args:
      - .offset:         0
        .size:           112
        .value_kind:     by_value
    .group_segment_fixed_size: 0
    .kernarg_segment_align: 8
    .kernarg_segment_size: 112
    .language:       OpenCL C
    .language_version:
      - 2
      - 0
    .max_flat_workgroup_size: 256
    .name:           _ZN7rocprim17ROCPRIM_400000_NS6detail17trampoline_kernelINS0_14default_configENS1_25partition_config_selectorILNS1_17partition_subalgoE8EtNS0_10empty_typeEbEEZZNS1_14partition_implILS5_8ELb0ES3_jN6thrust23THRUST_200600_302600_NS6detail15normal_iteratorINSA_10device_ptrItEEEEPS6_PKS6_NS0_5tupleIJSF_S6_EEENSJ_IJSG_SG_EEENS0_18inequality_wrapperINSA_8equal_toItEEEEPmJS6_EEE10hipError_tPvRmT3_T4_T5_T6_T7_T9_mT8_P12ihipStream_tbDpT10_ENKUlT_T0_E_clISt17integral_constantIbLb1EES19_IbLb0EEEEDaS15_S16_EUlS15_E_NS1_11comp_targetILNS1_3genE4ELNS1_11target_archE910ELNS1_3gpuE8ELNS1_3repE0EEENS1_30default_config_static_selectorELNS0_4arch9wavefront6targetE1EEEvT1_
    .private_segment_fixed_size: 0
    .sgpr_count:     4
    .sgpr_spill_count: 0
    .symbol:         _ZN7rocprim17ROCPRIM_400000_NS6detail17trampoline_kernelINS0_14default_configENS1_25partition_config_selectorILNS1_17partition_subalgoE8EtNS0_10empty_typeEbEEZZNS1_14partition_implILS5_8ELb0ES3_jN6thrust23THRUST_200600_302600_NS6detail15normal_iteratorINSA_10device_ptrItEEEEPS6_PKS6_NS0_5tupleIJSF_S6_EEENSJ_IJSG_SG_EEENS0_18inequality_wrapperINSA_8equal_toItEEEEPmJS6_EEE10hipError_tPvRmT3_T4_T5_T6_T7_T9_mT8_P12ihipStream_tbDpT10_ENKUlT_T0_E_clISt17integral_constantIbLb1EES19_IbLb0EEEEDaS15_S16_EUlS15_E_NS1_11comp_targetILNS1_3genE4ELNS1_11target_archE910ELNS1_3gpuE8ELNS1_3repE0EEENS1_30default_config_static_selectorELNS0_4arch9wavefront6targetE1EEEvT1_.kd
    .uniform_work_group_size: 1
    .uses_dynamic_stack: false
    .vgpr_count:     0
    .vgpr_spill_count: 0
    .wavefront_size: 64
  - .args:
      - .offset:         0
        .size:           112
        .value_kind:     by_value
    .group_segment_fixed_size: 0
    .kernarg_segment_align: 8
    .kernarg_segment_size: 112
    .language:       OpenCL C
    .language_version:
      - 2
      - 0
    .max_flat_workgroup_size: 256
    .name:           _ZN7rocprim17ROCPRIM_400000_NS6detail17trampoline_kernelINS0_14default_configENS1_25partition_config_selectorILNS1_17partition_subalgoE8EtNS0_10empty_typeEbEEZZNS1_14partition_implILS5_8ELb0ES3_jN6thrust23THRUST_200600_302600_NS6detail15normal_iteratorINSA_10device_ptrItEEEEPS6_PKS6_NS0_5tupleIJSF_S6_EEENSJ_IJSG_SG_EEENS0_18inequality_wrapperINSA_8equal_toItEEEEPmJS6_EEE10hipError_tPvRmT3_T4_T5_T6_T7_T9_mT8_P12ihipStream_tbDpT10_ENKUlT_T0_E_clISt17integral_constantIbLb1EES19_IbLb0EEEEDaS15_S16_EUlS15_E_NS1_11comp_targetILNS1_3genE3ELNS1_11target_archE908ELNS1_3gpuE7ELNS1_3repE0EEENS1_30default_config_static_selectorELNS0_4arch9wavefront6targetE1EEEvT1_
    .private_segment_fixed_size: 0
    .sgpr_count:     4
    .sgpr_spill_count: 0
    .symbol:         _ZN7rocprim17ROCPRIM_400000_NS6detail17trampoline_kernelINS0_14default_configENS1_25partition_config_selectorILNS1_17partition_subalgoE8EtNS0_10empty_typeEbEEZZNS1_14partition_implILS5_8ELb0ES3_jN6thrust23THRUST_200600_302600_NS6detail15normal_iteratorINSA_10device_ptrItEEEEPS6_PKS6_NS0_5tupleIJSF_S6_EEENSJ_IJSG_SG_EEENS0_18inequality_wrapperINSA_8equal_toItEEEEPmJS6_EEE10hipError_tPvRmT3_T4_T5_T6_T7_T9_mT8_P12ihipStream_tbDpT10_ENKUlT_T0_E_clISt17integral_constantIbLb1EES19_IbLb0EEEEDaS15_S16_EUlS15_E_NS1_11comp_targetILNS1_3genE3ELNS1_11target_archE908ELNS1_3gpuE7ELNS1_3repE0EEENS1_30default_config_static_selectorELNS0_4arch9wavefront6targetE1EEEvT1_.kd
    .uniform_work_group_size: 1
    .uses_dynamic_stack: false
    .vgpr_count:     0
    .vgpr_spill_count: 0
    .wavefront_size: 64
  - .args:
      - .offset:         0
        .size:           112
        .value_kind:     by_value
    .group_segment_fixed_size: 0
    .kernarg_segment_align: 8
    .kernarg_segment_size: 112
    .language:       OpenCL C
    .language_version:
      - 2
      - 0
    .max_flat_workgroup_size: 192
    .name:           _ZN7rocprim17ROCPRIM_400000_NS6detail17trampoline_kernelINS0_14default_configENS1_25partition_config_selectorILNS1_17partition_subalgoE8EtNS0_10empty_typeEbEEZZNS1_14partition_implILS5_8ELb0ES3_jN6thrust23THRUST_200600_302600_NS6detail15normal_iteratorINSA_10device_ptrItEEEEPS6_PKS6_NS0_5tupleIJSF_S6_EEENSJ_IJSG_SG_EEENS0_18inequality_wrapperINSA_8equal_toItEEEEPmJS6_EEE10hipError_tPvRmT3_T4_T5_T6_T7_T9_mT8_P12ihipStream_tbDpT10_ENKUlT_T0_E_clISt17integral_constantIbLb1EES19_IbLb0EEEEDaS15_S16_EUlS15_E_NS1_11comp_targetILNS1_3genE2ELNS1_11target_archE906ELNS1_3gpuE6ELNS1_3repE0EEENS1_30default_config_static_selectorELNS0_4arch9wavefront6targetE1EEEvT1_
    .private_segment_fixed_size: 0
    .sgpr_count:     4
    .sgpr_spill_count: 0
    .symbol:         _ZN7rocprim17ROCPRIM_400000_NS6detail17trampoline_kernelINS0_14default_configENS1_25partition_config_selectorILNS1_17partition_subalgoE8EtNS0_10empty_typeEbEEZZNS1_14partition_implILS5_8ELb0ES3_jN6thrust23THRUST_200600_302600_NS6detail15normal_iteratorINSA_10device_ptrItEEEEPS6_PKS6_NS0_5tupleIJSF_S6_EEENSJ_IJSG_SG_EEENS0_18inequality_wrapperINSA_8equal_toItEEEEPmJS6_EEE10hipError_tPvRmT3_T4_T5_T6_T7_T9_mT8_P12ihipStream_tbDpT10_ENKUlT_T0_E_clISt17integral_constantIbLb1EES19_IbLb0EEEEDaS15_S16_EUlS15_E_NS1_11comp_targetILNS1_3genE2ELNS1_11target_archE906ELNS1_3gpuE6ELNS1_3repE0EEENS1_30default_config_static_selectorELNS0_4arch9wavefront6targetE1EEEvT1_.kd
    .uniform_work_group_size: 1
    .uses_dynamic_stack: false
    .vgpr_count:     0
    .vgpr_spill_count: 0
    .wavefront_size: 64
  - .args:
      - .offset:         0
        .size:           112
        .value_kind:     by_value
    .group_segment_fixed_size: 0
    .kernarg_segment_align: 8
    .kernarg_segment_size: 112
    .language:       OpenCL C
    .language_version:
      - 2
      - 0
    .max_flat_workgroup_size: 256
    .name:           _ZN7rocprim17ROCPRIM_400000_NS6detail17trampoline_kernelINS0_14default_configENS1_25partition_config_selectorILNS1_17partition_subalgoE8EtNS0_10empty_typeEbEEZZNS1_14partition_implILS5_8ELb0ES3_jN6thrust23THRUST_200600_302600_NS6detail15normal_iteratorINSA_10device_ptrItEEEEPS6_PKS6_NS0_5tupleIJSF_S6_EEENSJ_IJSG_SG_EEENS0_18inequality_wrapperINSA_8equal_toItEEEEPmJS6_EEE10hipError_tPvRmT3_T4_T5_T6_T7_T9_mT8_P12ihipStream_tbDpT10_ENKUlT_T0_E_clISt17integral_constantIbLb1EES19_IbLb0EEEEDaS15_S16_EUlS15_E_NS1_11comp_targetILNS1_3genE10ELNS1_11target_archE1200ELNS1_3gpuE4ELNS1_3repE0EEENS1_30default_config_static_selectorELNS0_4arch9wavefront6targetE1EEEvT1_
    .private_segment_fixed_size: 0
    .sgpr_count:     4
    .sgpr_spill_count: 0
    .symbol:         _ZN7rocprim17ROCPRIM_400000_NS6detail17trampoline_kernelINS0_14default_configENS1_25partition_config_selectorILNS1_17partition_subalgoE8EtNS0_10empty_typeEbEEZZNS1_14partition_implILS5_8ELb0ES3_jN6thrust23THRUST_200600_302600_NS6detail15normal_iteratorINSA_10device_ptrItEEEEPS6_PKS6_NS0_5tupleIJSF_S6_EEENSJ_IJSG_SG_EEENS0_18inequality_wrapperINSA_8equal_toItEEEEPmJS6_EEE10hipError_tPvRmT3_T4_T5_T6_T7_T9_mT8_P12ihipStream_tbDpT10_ENKUlT_T0_E_clISt17integral_constantIbLb1EES19_IbLb0EEEEDaS15_S16_EUlS15_E_NS1_11comp_targetILNS1_3genE10ELNS1_11target_archE1200ELNS1_3gpuE4ELNS1_3repE0EEENS1_30default_config_static_selectorELNS0_4arch9wavefront6targetE1EEEvT1_.kd
    .uniform_work_group_size: 1
    .uses_dynamic_stack: false
    .vgpr_count:     0
    .vgpr_spill_count: 0
    .wavefront_size: 64
  - .args:
      - .offset:         0
        .size:           112
        .value_kind:     by_value
    .group_segment_fixed_size: 0
    .kernarg_segment_align: 8
    .kernarg_segment_size: 112
    .language:       OpenCL C
    .language_version:
      - 2
      - 0
    .max_flat_workgroup_size: 128
    .name:           _ZN7rocprim17ROCPRIM_400000_NS6detail17trampoline_kernelINS0_14default_configENS1_25partition_config_selectorILNS1_17partition_subalgoE8EtNS0_10empty_typeEbEEZZNS1_14partition_implILS5_8ELb0ES3_jN6thrust23THRUST_200600_302600_NS6detail15normal_iteratorINSA_10device_ptrItEEEEPS6_PKS6_NS0_5tupleIJSF_S6_EEENSJ_IJSG_SG_EEENS0_18inequality_wrapperINSA_8equal_toItEEEEPmJS6_EEE10hipError_tPvRmT3_T4_T5_T6_T7_T9_mT8_P12ihipStream_tbDpT10_ENKUlT_T0_E_clISt17integral_constantIbLb1EES19_IbLb0EEEEDaS15_S16_EUlS15_E_NS1_11comp_targetILNS1_3genE9ELNS1_11target_archE1100ELNS1_3gpuE3ELNS1_3repE0EEENS1_30default_config_static_selectorELNS0_4arch9wavefront6targetE1EEEvT1_
    .private_segment_fixed_size: 0
    .sgpr_count:     4
    .sgpr_spill_count: 0
    .symbol:         _ZN7rocprim17ROCPRIM_400000_NS6detail17trampoline_kernelINS0_14default_configENS1_25partition_config_selectorILNS1_17partition_subalgoE8EtNS0_10empty_typeEbEEZZNS1_14partition_implILS5_8ELb0ES3_jN6thrust23THRUST_200600_302600_NS6detail15normal_iteratorINSA_10device_ptrItEEEEPS6_PKS6_NS0_5tupleIJSF_S6_EEENSJ_IJSG_SG_EEENS0_18inequality_wrapperINSA_8equal_toItEEEEPmJS6_EEE10hipError_tPvRmT3_T4_T5_T6_T7_T9_mT8_P12ihipStream_tbDpT10_ENKUlT_T0_E_clISt17integral_constantIbLb1EES19_IbLb0EEEEDaS15_S16_EUlS15_E_NS1_11comp_targetILNS1_3genE9ELNS1_11target_archE1100ELNS1_3gpuE3ELNS1_3repE0EEENS1_30default_config_static_selectorELNS0_4arch9wavefront6targetE1EEEvT1_.kd
    .uniform_work_group_size: 1
    .uses_dynamic_stack: false
    .vgpr_count:     0
    .vgpr_spill_count: 0
    .wavefront_size: 64
  - .args:
      - .offset:         0
        .size:           112
        .value_kind:     by_value
    .group_segment_fixed_size: 0
    .kernarg_segment_align: 8
    .kernarg_segment_size: 112
    .language:       OpenCL C
    .language_version:
      - 2
      - 0
    .max_flat_workgroup_size: 384
    .name:           _ZN7rocprim17ROCPRIM_400000_NS6detail17trampoline_kernelINS0_14default_configENS1_25partition_config_selectorILNS1_17partition_subalgoE8EtNS0_10empty_typeEbEEZZNS1_14partition_implILS5_8ELb0ES3_jN6thrust23THRUST_200600_302600_NS6detail15normal_iteratorINSA_10device_ptrItEEEEPS6_PKS6_NS0_5tupleIJSF_S6_EEENSJ_IJSG_SG_EEENS0_18inequality_wrapperINSA_8equal_toItEEEEPmJS6_EEE10hipError_tPvRmT3_T4_T5_T6_T7_T9_mT8_P12ihipStream_tbDpT10_ENKUlT_T0_E_clISt17integral_constantIbLb1EES19_IbLb0EEEEDaS15_S16_EUlS15_E_NS1_11comp_targetILNS1_3genE8ELNS1_11target_archE1030ELNS1_3gpuE2ELNS1_3repE0EEENS1_30default_config_static_selectorELNS0_4arch9wavefront6targetE1EEEvT1_
    .private_segment_fixed_size: 0
    .sgpr_count:     4
    .sgpr_spill_count: 0
    .symbol:         _ZN7rocprim17ROCPRIM_400000_NS6detail17trampoline_kernelINS0_14default_configENS1_25partition_config_selectorILNS1_17partition_subalgoE8EtNS0_10empty_typeEbEEZZNS1_14partition_implILS5_8ELb0ES3_jN6thrust23THRUST_200600_302600_NS6detail15normal_iteratorINSA_10device_ptrItEEEEPS6_PKS6_NS0_5tupleIJSF_S6_EEENSJ_IJSG_SG_EEENS0_18inequality_wrapperINSA_8equal_toItEEEEPmJS6_EEE10hipError_tPvRmT3_T4_T5_T6_T7_T9_mT8_P12ihipStream_tbDpT10_ENKUlT_T0_E_clISt17integral_constantIbLb1EES19_IbLb0EEEEDaS15_S16_EUlS15_E_NS1_11comp_targetILNS1_3genE8ELNS1_11target_archE1030ELNS1_3gpuE2ELNS1_3repE0EEENS1_30default_config_static_selectorELNS0_4arch9wavefront6targetE1EEEvT1_.kd
    .uniform_work_group_size: 1
    .uses_dynamic_stack: false
    .vgpr_count:     0
    .vgpr_spill_count: 0
    .wavefront_size: 64
  - .args:
      - .offset:         0
        .size:           128
        .value_kind:     by_value
    .group_segment_fixed_size: 0
    .kernarg_segment_align: 8
    .kernarg_segment_size: 128
    .language:       OpenCL C
    .language_version:
      - 2
      - 0
    .max_flat_workgroup_size: 256
    .name:           _ZN7rocprim17ROCPRIM_400000_NS6detail17trampoline_kernelINS0_14default_configENS1_25partition_config_selectorILNS1_17partition_subalgoE8EtNS0_10empty_typeEbEEZZNS1_14partition_implILS5_8ELb0ES3_jN6thrust23THRUST_200600_302600_NS6detail15normal_iteratorINSA_10device_ptrItEEEEPS6_PKS6_NS0_5tupleIJSF_S6_EEENSJ_IJSG_SG_EEENS0_18inequality_wrapperINSA_8equal_toItEEEEPmJS6_EEE10hipError_tPvRmT3_T4_T5_T6_T7_T9_mT8_P12ihipStream_tbDpT10_ENKUlT_T0_E_clISt17integral_constantIbLb0EES19_IbLb1EEEEDaS15_S16_EUlS15_E_NS1_11comp_targetILNS1_3genE0ELNS1_11target_archE4294967295ELNS1_3gpuE0ELNS1_3repE0EEENS1_30default_config_static_selectorELNS0_4arch9wavefront6targetE1EEEvT1_
    .private_segment_fixed_size: 0
    .sgpr_count:     4
    .sgpr_spill_count: 0
    .symbol:         _ZN7rocprim17ROCPRIM_400000_NS6detail17trampoline_kernelINS0_14default_configENS1_25partition_config_selectorILNS1_17partition_subalgoE8EtNS0_10empty_typeEbEEZZNS1_14partition_implILS5_8ELb0ES3_jN6thrust23THRUST_200600_302600_NS6detail15normal_iteratorINSA_10device_ptrItEEEEPS6_PKS6_NS0_5tupleIJSF_S6_EEENSJ_IJSG_SG_EEENS0_18inequality_wrapperINSA_8equal_toItEEEEPmJS6_EEE10hipError_tPvRmT3_T4_T5_T6_T7_T9_mT8_P12ihipStream_tbDpT10_ENKUlT_T0_E_clISt17integral_constantIbLb0EES19_IbLb1EEEEDaS15_S16_EUlS15_E_NS1_11comp_targetILNS1_3genE0ELNS1_11target_archE4294967295ELNS1_3gpuE0ELNS1_3repE0EEENS1_30default_config_static_selectorELNS0_4arch9wavefront6targetE1EEEvT1_.kd
    .uniform_work_group_size: 1
    .uses_dynamic_stack: false
    .vgpr_count:     0
    .vgpr_spill_count: 0
    .wavefront_size: 64
  - .args:
      - .offset:         0
        .size:           128
        .value_kind:     by_value
    .group_segment_fixed_size: 0
    .kernarg_segment_align: 8
    .kernarg_segment_size: 128
    .language:       OpenCL C
    .language_version:
      - 2
      - 0
    .max_flat_workgroup_size: 512
    .name:           _ZN7rocprim17ROCPRIM_400000_NS6detail17trampoline_kernelINS0_14default_configENS1_25partition_config_selectorILNS1_17partition_subalgoE8EtNS0_10empty_typeEbEEZZNS1_14partition_implILS5_8ELb0ES3_jN6thrust23THRUST_200600_302600_NS6detail15normal_iteratorINSA_10device_ptrItEEEEPS6_PKS6_NS0_5tupleIJSF_S6_EEENSJ_IJSG_SG_EEENS0_18inequality_wrapperINSA_8equal_toItEEEEPmJS6_EEE10hipError_tPvRmT3_T4_T5_T6_T7_T9_mT8_P12ihipStream_tbDpT10_ENKUlT_T0_E_clISt17integral_constantIbLb0EES19_IbLb1EEEEDaS15_S16_EUlS15_E_NS1_11comp_targetILNS1_3genE5ELNS1_11target_archE942ELNS1_3gpuE9ELNS1_3repE0EEENS1_30default_config_static_selectorELNS0_4arch9wavefront6targetE1EEEvT1_
    .private_segment_fixed_size: 0
    .sgpr_count:     4
    .sgpr_spill_count: 0
    .symbol:         _ZN7rocprim17ROCPRIM_400000_NS6detail17trampoline_kernelINS0_14default_configENS1_25partition_config_selectorILNS1_17partition_subalgoE8EtNS0_10empty_typeEbEEZZNS1_14partition_implILS5_8ELb0ES3_jN6thrust23THRUST_200600_302600_NS6detail15normal_iteratorINSA_10device_ptrItEEEEPS6_PKS6_NS0_5tupleIJSF_S6_EEENSJ_IJSG_SG_EEENS0_18inequality_wrapperINSA_8equal_toItEEEEPmJS6_EEE10hipError_tPvRmT3_T4_T5_T6_T7_T9_mT8_P12ihipStream_tbDpT10_ENKUlT_T0_E_clISt17integral_constantIbLb0EES19_IbLb1EEEEDaS15_S16_EUlS15_E_NS1_11comp_targetILNS1_3genE5ELNS1_11target_archE942ELNS1_3gpuE9ELNS1_3repE0EEENS1_30default_config_static_selectorELNS0_4arch9wavefront6targetE1EEEvT1_.kd
    .uniform_work_group_size: 1
    .uses_dynamic_stack: false
    .vgpr_count:     0
    .vgpr_spill_count: 0
    .wavefront_size: 64
  - .args:
      - .offset:         0
        .size:           128
        .value_kind:     by_value
    .group_segment_fixed_size: 0
    .kernarg_segment_align: 8
    .kernarg_segment_size: 128
    .language:       OpenCL C
    .language_version:
      - 2
      - 0
    .max_flat_workgroup_size: 256
    .name:           _ZN7rocprim17ROCPRIM_400000_NS6detail17trampoline_kernelINS0_14default_configENS1_25partition_config_selectorILNS1_17partition_subalgoE8EtNS0_10empty_typeEbEEZZNS1_14partition_implILS5_8ELb0ES3_jN6thrust23THRUST_200600_302600_NS6detail15normal_iteratorINSA_10device_ptrItEEEEPS6_PKS6_NS0_5tupleIJSF_S6_EEENSJ_IJSG_SG_EEENS0_18inequality_wrapperINSA_8equal_toItEEEEPmJS6_EEE10hipError_tPvRmT3_T4_T5_T6_T7_T9_mT8_P12ihipStream_tbDpT10_ENKUlT_T0_E_clISt17integral_constantIbLb0EES19_IbLb1EEEEDaS15_S16_EUlS15_E_NS1_11comp_targetILNS1_3genE4ELNS1_11target_archE910ELNS1_3gpuE8ELNS1_3repE0EEENS1_30default_config_static_selectorELNS0_4arch9wavefront6targetE1EEEvT1_
    .private_segment_fixed_size: 0
    .sgpr_count:     4
    .sgpr_spill_count: 0
    .symbol:         _ZN7rocprim17ROCPRIM_400000_NS6detail17trampoline_kernelINS0_14default_configENS1_25partition_config_selectorILNS1_17partition_subalgoE8EtNS0_10empty_typeEbEEZZNS1_14partition_implILS5_8ELb0ES3_jN6thrust23THRUST_200600_302600_NS6detail15normal_iteratorINSA_10device_ptrItEEEEPS6_PKS6_NS0_5tupleIJSF_S6_EEENSJ_IJSG_SG_EEENS0_18inequality_wrapperINSA_8equal_toItEEEEPmJS6_EEE10hipError_tPvRmT3_T4_T5_T6_T7_T9_mT8_P12ihipStream_tbDpT10_ENKUlT_T0_E_clISt17integral_constantIbLb0EES19_IbLb1EEEEDaS15_S16_EUlS15_E_NS1_11comp_targetILNS1_3genE4ELNS1_11target_archE910ELNS1_3gpuE8ELNS1_3repE0EEENS1_30default_config_static_selectorELNS0_4arch9wavefront6targetE1EEEvT1_.kd
    .uniform_work_group_size: 1
    .uses_dynamic_stack: false
    .vgpr_count:     0
    .vgpr_spill_count: 0
    .wavefront_size: 64
  - .args:
      - .offset:         0
        .size:           128
        .value_kind:     by_value
    .group_segment_fixed_size: 0
    .kernarg_segment_align: 8
    .kernarg_segment_size: 128
    .language:       OpenCL C
    .language_version:
      - 2
      - 0
    .max_flat_workgroup_size: 256
    .name:           _ZN7rocprim17ROCPRIM_400000_NS6detail17trampoline_kernelINS0_14default_configENS1_25partition_config_selectorILNS1_17partition_subalgoE8EtNS0_10empty_typeEbEEZZNS1_14partition_implILS5_8ELb0ES3_jN6thrust23THRUST_200600_302600_NS6detail15normal_iteratorINSA_10device_ptrItEEEEPS6_PKS6_NS0_5tupleIJSF_S6_EEENSJ_IJSG_SG_EEENS0_18inequality_wrapperINSA_8equal_toItEEEEPmJS6_EEE10hipError_tPvRmT3_T4_T5_T6_T7_T9_mT8_P12ihipStream_tbDpT10_ENKUlT_T0_E_clISt17integral_constantIbLb0EES19_IbLb1EEEEDaS15_S16_EUlS15_E_NS1_11comp_targetILNS1_3genE3ELNS1_11target_archE908ELNS1_3gpuE7ELNS1_3repE0EEENS1_30default_config_static_selectorELNS0_4arch9wavefront6targetE1EEEvT1_
    .private_segment_fixed_size: 0
    .sgpr_count:     4
    .sgpr_spill_count: 0
    .symbol:         _ZN7rocprim17ROCPRIM_400000_NS6detail17trampoline_kernelINS0_14default_configENS1_25partition_config_selectorILNS1_17partition_subalgoE8EtNS0_10empty_typeEbEEZZNS1_14partition_implILS5_8ELb0ES3_jN6thrust23THRUST_200600_302600_NS6detail15normal_iteratorINSA_10device_ptrItEEEEPS6_PKS6_NS0_5tupleIJSF_S6_EEENSJ_IJSG_SG_EEENS0_18inequality_wrapperINSA_8equal_toItEEEEPmJS6_EEE10hipError_tPvRmT3_T4_T5_T6_T7_T9_mT8_P12ihipStream_tbDpT10_ENKUlT_T0_E_clISt17integral_constantIbLb0EES19_IbLb1EEEEDaS15_S16_EUlS15_E_NS1_11comp_targetILNS1_3genE3ELNS1_11target_archE908ELNS1_3gpuE7ELNS1_3repE0EEENS1_30default_config_static_selectorELNS0_4arch9wavefront6targetE1EEEvT1_.kd
    .uniform_work_group_size: 1
    .uses_dynamic_stack: false
    .vgpr_count:     0
    .vgpr_spill_count: 0
    .wavefront_size: 64
  - .args:
      - .offset:         0
        .size:           128
        .value_kind:     by_value
    .group_segment_fixed_size: 6920
    .kernarg_segment_align: 8
    .kernarg_segment_size: 128
    .language:       OpenCL C
    .language_version:
      - 2
      - 0
    .max_flat_workgroup_size: 192
    .name:           _ZN7rocprim17ROCPRIM_400000_NS6detail17trampoline_kernelINS0_14default_configENS1_25partition_config_selectorILNS1_17partition_subalgoE8EtNS0_10empty_typeEbEEZZNS1_14partition_implILS5_8ELb0ES3_jN6thrust23THRUST_200600_302600_NS6detail15normal_iteratorINSA_10device_ptrItEEEEPS6_PKS6_NS0_5tupleIJSF_S6_EEENSJ_IJSG_SG_EEENS0_18inequality_wrapperINSA_8equal_toItEEEEPmJS6_EEE10hipError_tPvRmT3_T4_T5_T6_T7_T9_mT8_P12ihipStream_tbDpT10_ENKUlT_T0_E_clISt17integral_constantIbLb0EES19_IbLb1EEEEDaS15_S16_EUlS15_E_NS1_11comp_targetILNS1_3genE2ELNS1_11target_archE906ELNS1_3gpuE6ELNS1_3repE0EEENS1_30default_config_static_selectorELNS0_4arch9wavefront6targetE1EEEvT1_
    .private_segment_fixed_size: 0
    .sgpr_count:     65
    .sgpr_spill_count: 0
    .symbol:         _ZN7rocprim17ROCPRIM_400000_NS6detail17trampoline_kernelINS0_14default_configENS1_25partition_config_selectorILNS1_17partition_subalgoE8EtNS0_10empty_typeEbEEZZNS1_14partition_implILS5_8ELb0ES3_jN6thrust23THRUST_200600_302600_NS6detail15normal_iteratorINSA_10device_ptrItEEEEPS6_PKS6_NS0_5tupleIJSF_S6_EEENSJ_IJSG_SG_EEENS0_18inequality_wrapperINSA_8equal_toItEEEEPmJS6_EEE10hipError_tPvRmT3_T4_T5_T6_T7_T9_mT8_P12ihipStream_tbDpT10_ENKUlT_T0_E_clISt17integral_constantIbLb0EES19_IbLb1EEEEDaS15_S16_EUlS15_E_NS1_11comp_targetILNS1_3genE2ELNS1_11target_archE906ELNS1_3gpuE6ELNS1_3repE0EEENS1_30default_config_static_selectorELNS0_4arch9wavefront6targetE1EEEvT1_.kd
    .uniform_work_group_size: 1
    .uses_dynamic_stack: false
    .vgpr_count:     84
    .vgpr_spill_count: 0
    .wavefront_size: 64
  - .args:
      - .offset:         0
        .size:           128
        .value_kind:     by_value
    .group_segment_fixed_size: 0
    .kernarg_segment_align: 8
    .kernarg_segment_size: 128
    .language:       OpenCL C
    .language_version:
      - 2
      - 0
    .max_flat_workgroup_size: 256
    .name:           _ZN7rocprim17ROCPRIM_400000_NS6detail17trampoline_kernelINS0_14default_configENS1_25partition_config_selectorILNS1_17partition_subalgoE8EtNS0_10empty_typeEbEEZZNS1_14partition_implILS5_8ELb0ES3_jN6thrust23THRUST_200600_302600_NS6detail15normal_iteratorINSA_10device_ptrItEEEEPS6_PKS6_NS0_5tupleIJSF_S6_EEENSJ_IJSG_SG_EEENS0_18inequality_wrapperINSA_8equal_toItEEEEPmJS6_EEE10hipError_tPvRmT3_T4_T5_T6_T7_T9_mT8_P12ihipStream_tbDpT10_ENKUlT_T0_E_clISt17integral_constantIbLb0EES19_IbLb1EEEEDaS15_S16_EUlS15_E_NS1_11comp_targetILNS1_3genE10ELNS1_11target_archE1200ELNS1_3gpuE4ELNS1_3repE0EEENS1_30default_config_static_selectorELNS0_4arch9wavefront6targetE1EEEvT1_
    .private_segment_fixed_size: 0
    .sgpr_count:     4
    .sgpr_spill_count: 0
    .symbol:         _ZN7rocprim17ROCPRIM_400000_NS6detail17trampoline_kernelINS0_14default_configENS1_25partition_config_selectorILNS1_17partition_subalgoE8EtNS0_10empty_typeEbEEZZNS1_14partition_implILS5_8ELb0ES3_jN6thrust23THRUST_200600_302600_NS6detail15normal_iteratorINSA_10device_ptrItEEEEPS6_PKS6_NS0_5tupleIJSF_S6_EEENSJ_IJSG_SG_EEENS0_18inequality_wrapperINSA_8equal_toItEEEEPmJS6_EEE10hipError_tPvRmT3_T4_T5_T6_T7_T9_mT8_P12ihipStream_tbDpT10_ENKUlT_T0_E_clISt17integral_constantIbLb0EES19_IbLb1EEEEDaS15_S16_EUlS15_E_NS1_11comp_targetILNS1_3genE10ELNS1_11target_archE1200ELNS1_3gpuE4ELNS1_3repE0EEENS1_30default_config_static_selectorELNS0_4arch9wavefront6targetE1EEEvT1_.kd
    .uniform_work_group_size: 1
    .uses_dynamic_stack: false
    .vgpr_count:     0
    .vgpr_spill_count: 0
    .wavefront_size: 64
  - .args:
      - .offset:         0
        .size:           128
        .value_kind:     by_value
    .group_segment_fixed_size: 0
    .kernarg_segment_align: 8
    .kernarg_segment_size: 128
    .language:       OpenCL C
    .language_version:
      - 2
      - 0
    .max_flat_workgroup_size: 128
    .name:           _ZN7rocprim17ROCPRIM_400000_NS6detail17trampoline_kernelINS0_14default_configENS1_25partition_config_selectorILNS1_17partition_subalgoE8EtNS0_10empty_typeEbEEZZNS1_14partition_implILS5_8ELb0ES3_jN6thrust23THRUST_200600_302600_NS6detail15normal_iteratorINSA_10device_ptrItEEEEPS6_PKS6_NS0_5tupleIJSF_S6_EEENSJ_IJSG_SG_EEENS0_18inequality_wrapperINSA_8equal_toItEEEEPmJS6_EEE10hipError_tPvRmT3_T4_T5_T6_T7_T9_mT8_P12ihipStream_tbDpT10_ENKUlT_T0_E_clISt17integral_constantIbLb0EES19_IbLb1EEEEDaS15_S16_EUlS15_E_NS1_11comp_targetILNS1_3genE9ELNS1_11target_archE1100ELNS1_3gpuE3ELNS1_3repE0EEENS1_30default_config_static_selectorELNS0_4arch9wavefront6targetE1EEEvT1_
    .private_segment_fixed_size: 0
    .sgpr_count:     4
    .sgpr_spill_count: 0
    .symbol:         _ZN7rocprim17ROCPRIM_400000_NS6detail17trampoline_kernelINS0_14default_configENS1_25partition_config_selectorILNS1_17partition_subalgoE8EtNS0_10empty_typeEbEEZZNS1_14partition_implILS5_8ELb0ES3_jN6thrust23THRUST_200600_302600_NS6detail15normal_iteratorINSA_10device_ptrItEEEEPS6_PKS6_NS0_5tupleIJSF_S6_EEENSJ_IJSG_SG_EEENS0_18inequality_wrapperINSA_8equal_toItEEEEPmJS6_EEE10hipError_tPvRmT3_T4_T5_T6_T7_T9_mT8_P12ihipStream_tbDpT10_ENKUlT_T0_E_clISt17integral_constantIbLb0EES19_IbLb1EEEEDaS15_S16_EUlS15_E_NS1_11comp_targetILNS1_3genE9ELNS1_11target_archE1100ELNS1_3gpuE3ELNS1_3repE0EEENS1_30default_config_static_selectorELNS0_4arch9wavefront6targetE1EEEvT1_.kd
    .uniform_work_group_size: 1
    .uses_dynamic_stack: false
    .vgpr_count:     0
    .vgpr_spill_count: 0
    .wavefront_size: 64
  - .args:
      - .offset:         0
        .size:           128
        .value_kind:     by_value
    .group_segment_fixed_size: 0
    .kernarg_segment_align: 8
    .kernarg_segment_size: 128
    .language:       OpenCL C
    .language_version:
      - 2
      - 0
    .max_flat_workgroup_size: 384
    .name:           _ZN7rocprim17ROCPRIM_400000_NS6detail17trampoline_kernelINS0_14default_configENS1_25partition_config_selectorILNS1_17partition_subalgoE8EtNS0_10empty_typeEbEEZZNS1_14partition_implILS5_8ELb0ES3_jN6thrust23THRUST_200600_302600_NS6detail15normal_iteratorINSA_10device_ptrItEEEEPS6_PKS6_NS0_5tupleIJSF_S6_EEENSJ_IJSG_SG_EEENS0_18inequality_wrapperINSA_8equal_toItEEEEPmJS6_EEE10hipError_tPvRmT3_T4_T5_T6_T7_T9_mT8_P12ihipStream_tbDpT10_ENKUlT_T0_E_clISt17integral_constantIbLb0EES19_IbLb1EEEEDaS15_S16_EUlS15_E_NS1_11comp_targetILNS1_3genE8ELNS1_11target_archE1030ELNS1_3gpuE2ELNS1_3repE0EEENS1_30default_config_static_selectorELNS0_4arch9wavefront6targetE1EEEvT1_
    .private_segment_fixed_size: 0
    .sgpr_count:     4
    .sgpr_spill_count: 0
    .symbol:         _ZN7rocprim17ROCPRIM_400000_NS6detail17trampoline_kernelINS0_14default_configENS1_25partition_config_selectorILNS1_17partition_subalgoE8EtNS0_10empty_typeEbEEZZNS1_14partition_implILS5_8ELb0ES3_jN6thrust23THRUST_200600_302600_NS6detail15normal_iteratorINSA_10device_ptrItEEEEPS6_PKS6_NS0_5tupleIJSF_S6_EEENSJ_IJSG_SG_EEENS0_18inequality_wrapperINSA_8equal_toItEEEEPmJS6_EEE10hipError_tPvRmT3_T4_T5_T6_T7_T9_mT8_P12ihipStream_tbDpT10_ENKUlT_T0_E_clISt17integral_constantIbLb0EES19_IbLb1EEEEDaS15_S16_EUlS15_E_NS1_11comp_targetILNS1_3genE8ELNS1_11target_archE1030ELNS1_3gpuE2ELNS1_3repE0EEENS1_30default_config_static_selectorELNS0_4arch9wavefront6targetE1EEEvT1_.kd
    .uniform_work_group_size: 1
    .uses_dynamic_stack: false
    .vgpr_count:     0
    .vgpr_spill_count: 0
    .wavefront_size: 64
  - .args:
      - .offset:         0
        .size:           112
        .value_kind:     by_value
    .group_segment_fixed_size: 0
    .kernarg_segment_align: 8
    .kernarg_segment_size: 112
    .language:       OpenCL C
    .language_version:
      - 2
      - 0
    .max_flat_workgroup_size: 256
    .name:           _ZN7rocprim17ROCPRIM_400000_NS6detail17trampoline_kernelINS0_14default_configENS1_25partition_config_selectorILNS1_17partition_subalgoE8EtNS0_10empty_typeEbEEZZNS1_14partition_implILS5_8ELb0ES3_jN6thrust23THRUST_200600_302600_NS6detail15normal_iteratorINSA_10device_ptrItEEEEPS6_PKS6_NS0_5tupleIJSF_S6_EEENSJ_IJSG_SG_EEENS0_18inequality_wrapperI22is_equal_div_10_uniqueItEEEPmJS6_EEE10hipError_tPvRmT3_T4_T5_T6_T7_T9_mT8_P12ihipStream_tbDpT10_ENKUlT_T0_E_clISt17integral_constantIbLb0EES1A_EEDaS15_S16_EUlS15_E_NS1_11comp_targetILNS1_3genE0ELNS1_11target_archE4294967295ELNS1_3gpuE0ELNS1_3repE0EEENS1_30default_config_static_selectorELNS0_4arch9wavefront6targetE1EEEvT1_
    .private_segment_fixed_size: 0
    .sgpr_count:     4
    .sgpr_spill_count: 0
    .symbol:         _ZN7rocprim17ROCPRIM_400000_NS6detail17trampoline_kernelINS0_14default_configENS1_25partition_config_selectorILNS1_17partition_subalgoE8EtNS0_10empty_typeEbEEZZNS1_14partition_implILS5_8ELb0ES3_jN6thrust23THRUST_200600_302600_NS6detail15normal_iteratorINSA_10device_ptrItEEEEPS6_PKS6_NS0_5tupleIJSF_S6_EEENSJ_IJSG_SG_EEENS0_18inequality_wrapperI22is_equal_div_10_uniqueItEEEPmJS6_EEE10hipError_tPvRmT3_T4_T5_T6_T7_T9_mT8_P12ihipStream_tbDpT10_ENKUlT_T0_E_clISt17integral_constantIbLb0EES1A_EEDaS15_S16_EUlS15_E_NS1_11comp_targetILNS1_3genE0ELNS1_11target_archE4294967295ELNS1_3gpuE0ELNS1_3repE0EEENS1_30default_config_static_selectorELNS0_4arch9wavefront6targetE1EEEvT1_.kd
    .uniform_work_group_size: 1
    .uses_dynamic_stack: false
    .vgpr_count:     0
    .vgpr_spill_count: 0
    .wavefront_size: 64
  - .args:
      - .offset:         0
        .size:           112
        .value_kind:     by_value
    .group_segment_fixed_size: 0
    .kernarg_segment_align: 8
    .kernarg_segment_size: 112
    .language:       OpenCL C
    .language_version:
      - 2
      - 0
    .max_flat_workgroup_size: 512
    .name:           _ZN7rocprim17ROCPRIM_400000_NS6detail17trampoline_kernelINS0_14default_configENS1_25partition_config_selectorILNS1_17partition_subalgoE8EtNS0_10empty_typeEbEEZZNS1_14partition_implILS5_8ELb0ES3_jN6thrust23THRUST_200600_302600_NS6detail15normal_iteratorINSA_10device_ptrItEEEEPS6_PKS6_NS0_5tupleIJSF_S6_EEENSJ_IJSG_SG_EEENS0_18inequality_wrapperI22is_equal_div_10_uniqueItEEEPmJS6_EEE10hipError_tPvRmT3_T4_T5_T6_T7_T9_mT8_P12ihipStream_tbDpT10_ENKUlT_T0_E_clISt17integral_constantIbLb0EES1A_EEDaS15_S16_EUlS15_E_NS1_11comp_targetILNS1_3genE5ELNS1_11target_archE942ELNS1_3gpuE9ELNS1_3repE0EEENS1_30default_config_static_selectorELNS0_4arch9wavefront6targetE1EEEvT1_
    .private_segment_fixed_size: 0
    .sgpr_count:     4
    .sgpr_spill_count: 0
    .symbol:         _ZN7rocprim17ROCPRIM_400000_NS6detail17trampoline_kernelINS0_14default_configENS1_25partition_config_selectorILNS1_17partition_subalgoE8EtNS0_10empty_typeEbEEZZNS1_14partition_implILS5_8ELb0ES3_jN6thrust23THRUST_200600_302600_NS6detail15normal_iteratorINSA_10device_ptrItEEEEPS6_PKS6_NS0_5tupleIJSF_S6_EEENSJ_IJSG_SG_EEENS0_18inequality_wrapperI22is_equal_div_10_uniqueItEEEPmJS6_EEE10hipError_tPvRmT3_T4_T5_T6_T7_T9_mT8_P12ihipStream_tbDpT10_ENKUlT_T0_E_clISt17integral_constantIbLb0EES1A_EEDaS15_S16_EUlS15_E_NS1_11comp_targetILNS1_3genE5ELNS1_11target_archE942ELNS1_3gpuE9ELNS1_3repE0EEENS1_30default_config_static_selectorELNS0_4arch9wavefront6targetE1EEEvT1_.kd
    .uniform_work_group_size: 1
    .uses_dynamic_stack: false
    .vgpr_count:     0
    .vgpr_spill_count: 0
    .wavefront_size: 64
  - .args:
      - .offset:         0
        .size:           112
        .value_kind:     by_value
    .group_segment_fixed_size: 0
    .kernarg_segment_align: 8
    .kernarg_segment_size: 112
    .language:       OpenCL C
    .language_version:
      - 2
      - 0
    .max_flat_workgroup_size: 256
    .name:           _ZN7rocprim17ROCPRIM_400000_NS6detail17trampoline_kernelINS0_14default_configENS1_25partition_config_selectorILNS1_17partition_subalgoE8EtNS0_10empty_typeEbEEZZNS1_14partition_implILS5_8ELb0ES3_jN6thrust23THRUST_200600_302600_NS6detail15normal_iteratorINSA_10device_ptrItEEEEPS6_PKS6_NS0_5tupleIJSF_S6_EEENSJ_IJSG_SG_EEENS0_18inequality_wrapperI22is_equal_div_10_uniqueItEEEPmJS6_EEE10hipError_tPvRmT3_T4_T5_T6_T7_T9_mT8_P12ihipStream_tbDpT10_ENKUlT_T0_E_clISt17integral_constantIbLb0EES1A_EEDaS15_S16_EUlS15_E_NS1_11comp_targetILNS1_3genE4ELNS1_11target_archE910ELNS1_3gpuE8ELNS1_3repE0EEENS1_30default_config_static_selectorELNS0_4arch9wavefront6targetE1EEEvT1_
    .private_segment_fixed_size: 0
    .sgpr_count:     4
    .sgpr_spill_count: 0
    .symbol:         _ZN7rocprim17ROCPRIM_400000_NS6detail17trampoline_kernelINS0_14default_configENS1_25partition_config_selectorILNS1_17partition_subalgoE8EtNS0_10empty_typeEbEEZZNS1_14partition_implILS5_8ELb0ES3_jN6thrust23THRUST_200600_302600_NS6detail15normal_iteratorINSA_10device_ptrItEEEEPS6_PKS6_NS0_5tupleIJSF_S6_EEENSJ_IJSG_SG_EEENS0_18inequality_wrapperI22is_equal_div_10_uniqueItEEEPmJS6_EEE10hipError_tPvRmT3_T4_T5_T6_T7_T9_mT8_P12ihipStream_tbDpT10_ENKUlT_T0_E_clISt17integral_constantIbLb0EES1A_EEDaS15_S16_EUlS15_E_NS1_11comp_targetILNS1_3genE4ELNS1_11target_archE910ELNS1_3gpuE8ELNS1_3repE0EEENS1_30default_config_static_selectorELNS0_4arch9wavefront6targetE1EEEvT1_.kd
    .uniform_work_group_size: 1
    .uses_dynamic_stack: false
    .vgpr_count:     0
    .vgpr_spill_count: 0
    .wavefront_size: 64
  - .args:
      - .offset:         0
        .size:           112
        .value_kind:     by_value
    .group_segment_fixed_size: 0
    .kernarg_segment_align: 8
    .kernarg_segment_size: 112
    .language:       OpenCL C
    .language_version:
      - 2
      - 0
    .max_flat_workgroup_size: 256
    .name:           _ZN7rocprim17ROCPRIM_400000_NS6detail17trampoline_kernelINS0_14default_configENS1_25partition_config_selectorILNS1_17partition_subalgoE8EtNS0_10empty_typeEbEEZZNS1_14partition_implILS5_8ELb0ES3_jN6thrust23THRUST_200600_302600_NS6detail15normal_iteratorINSA_10device_ptrItEEEEPS6_PKS6_NS0_5tupleIJSF_S6_EEENSJ_IJSG_SG_EEENS0_18inequality_wrapperI22is_equal_div_10_uniqueItEEEPmJS6_EEE10hipError_tPvRmT3_T4_T5_T6_T7_T9_mT8_P12ihipStream_tbDpT10_ENKUlT_T0_E_clISt17integral_constantIbLb0EES1A_EEDaS15_S16_EUlS15_E_NS1_11comp_targetILNS1_3genE3ELNS1_11target_archE908ELNS1_3gpuE7ELNS1_3repE0EEENS1_30default_config_static_selectorELNS0_4arch9wavefront6targetE1EEEvT1_
    .private_segment_fixed_size: 0
    .sgpr_count:     4
    .sgpr_spill_count: 0
    .symbol:         _ZN7rocprim17ROCPRIM_400000_NS6detail17trampoline_kernelINS0_14default_configENS1_25partition_config_selectorILNS1_17partition_subalgoE8EtNS0_10empty_typeEbEEZZNS1_14partition_implILS5_8ELb0ES3_jN6thrust23THRUST_200600_302600_NS6detail15normal_iteratorINSA_10device_ptrItEEEEPS6_PKS6_NS0_5tupleIJSF_S6_EEENSJ_IJSG_SG_EEENS0_18inequality_wrapperI22is_equal_div_10_uniqueItEEEPmJS6_EEE10hipError_tPvRmT3_T4_T5_T6_T7_T9_mT8_P12ihipStream_tbDpT10_ENKUlT_T0_E_clISt17integral_constantIbLb0EES1A_EEDaS15_S16_EUlS15_E_NS1_11comp_targetILNS1_3genE3ELNS1_11target_archE908ELNS1_3gpuE7ELNS1_3repE0EEENS1_30default_config_static_selectorELNS0_4arch9wavefront6targetE1EEEvT1_.kd
    .uniform_work_group_size: 1
    .uses_dynamic_stack: false
    .vgpr_count:     0
    .vgpr_spill_count: 0
    .wavefront_size: 64
  - .args:
      - .offset:         0
        .size:           112
        .value_kind:     by_value
    .group_segment_fixed_size: 6920
    .kernarg_segment_align: 8
    .kernarg_segment_size: 112
    .language:       OpenCL C
    .language_version:
      - 2
      - 0
    .max_flat_workgroup_size: 192
    .name:           _ZN7rocprim17ROCPRIM_400000_NS6detail17trampoline_kernelINS0_14default_configENS1_25partition_config_selectorILNS1_17partition_subalgoE8EtNS0_10empty_typeEbEEZZNS1_14partition_implILS5_8ELb0ES3_jN6thrust23THRUST_200600_302600_NS6detail15normal_iteratorINSA_10device_ptrItEEEEPS6_PKS6_NS0_5tupleIJSF_S6_EEENSJ_IJSG_SG_EEENS0_18inequality_wrapperI22is_equal_div_10_uniqueItEEEPmJS6_EEE10hipError_tPvRmT3_T4_T5_T6_T7_T9_mT8_P12ihipStream_tbDpT10_ENKUlT_T0_E_clISt17integral_constantIbLb0EES1A_EEDaS15_S16_EUlS15_E_NS1_11comp_targetILNS1_3genE2ELNS1_11target_archE906ELNS1_3gpuE6ELNS1_3repE0EEENS1_30default_config_static_selectorELNS0_4arch9wavefront6targetE1EEEvT1_
    .private_segment_fixed_size: 0
    .sgpr_count:     64
    .sgpr_spill_count: 0
    .symbol:         _ZN7rocprim17ROCPRIM_400000_NS6detail17trampoline_kernelINS0_14default_configENS1_25partition_config_selectorILNS1_17partition_subalgoE8EtNS0_10empty_typeEbEEZZNS1_14partition_implILS5_8ELb0ES3_jN6thrust23THRUST_200600_302600_NS6detail15normal_iteratorINSA_10device_ptrItEEEEPS6_PKS6_NS0_5tupleIJSF_S6_EEENSJ_IJSG_SG_EEENS0_18inequality_wrapperI22is_equal_div_10_uniqueItEEEPmJS6_EEE10hipError_tPvRmT3_T4_T5_T6_T7_T9_mT8_P12ihipStream_tbDpT10_ENKUlT_T0_E_clISt17integral_constantIbLb0EES1A_EEDaS15_S16_EUlS15_E_NS1_11comp_targetILNS1_3genE2ELNS1_11target_archE906ELNS1_3gpuE6ELNS1_3repE0EEENS1_30default_config_static_selectorELNS0_4arch9wavefront6targetE1EEEvT1_.kd
    .uniform_work_group_size: 1
    .uses_dynamic_stack: false
    .vgpr_count:     82
    .vgpr_spill_count: 0
    .wavefront_size: 64
  - .args:
      - .offset:         0
        .size:           112
        .value_kind:     by_value
    .group_segment_fixed_size: 0
    .kernarg_segment_align: 8
    .kernarg_segment_size: 112
    .language:       OpenCL C
    .language_version:
      - 2
      - 0
    .max_flat_workgroup_size: 256
    .name:           _ZN7rocprim17ROCPRIM_400000_NS6detail17trampoline_kernelINS0_14default_configENS1_25partition_config_selectorILNS1_17partition_subalgoE8EtNS0_10empty_typeEbEEZZNS1_14partition_implILS5_8ELb0ES3_jN6thrust23THRUST_200600_302600_NS6detail15normal_iteratorINSA_10device_ptrItEEEEPS6_PKS6_NS0_5tupleIJSF_S6_EEENSJ_IJSG_SG_EEENS0_18inequality_wrapperI22is_equal_div_10_uniqueItEEEPmJS6_EEE10hipError_tPvRmT3_T4_T5_T6_T7_T9_mT8_P12ihipStream_tbDpT10_ENKUlT_T0_E_clISt17integral_constantIbLb0EES1A_EEDaS15_S16_EUlS15_E_NS1_11comp_targetILNS1_3genE10ELNS1_11target_archE1200ELNS1_3gpuE4ELNS1_3repE0EEENS1_30default_config_static_selectorELNS0_4arch9wavefront6targetE1EEEvT1_
    .private_segment_fixed_size: 0
    .sgpr_count:     4
    .sgpr_spill_count: 0
    .symbol:         _ZN7rocprim17ROCPRIM_400000_NS6detail17trampoline_kernelINS0_14default_configENS1_25partition_config_selectorILNS1_17partition_subalgoE8EtNS0_10empty_typeEbEEZZNS1_14partition_implILS5_8ELb0ES3_jN6thrust23THRUST_200600_302600_NS6detail15normal_iteratorINSA_10device_ptrItEEEEPS6_PKS6_NS0_5tupleIJSF_S6_EEENSJ_IJSG_SG_EEENS0_18inequality_wrapperI22is_equal_div_10_uniqueItEEEPmJS6_EEE10hipError_tPvRmT3_T4_T5_T6_T7_T9_mT8_P12ihipStream_tbDpT10_ENKUlT_T0_E_clISt17integral_constantIbLb0EES1A_EEDaS15_S16_EUlS15_E_NS1_11comp_targetILNS1_3genE10ELNS1_11target_archE1200ELNS1_3gpuE4ELNS1_3repE0EEENS1_30default_config_static_selectorELNS0_4arch9wavefront6targetE1EEEvT1_.kd
    .uniform_work_group_size: 1
    .uses_dynamic_stack: false
    .vgpr_count:     0
    .vgpr_spill_count: 0
    .wavefront_size: 64
  - .args:
      - .offset:         0
        .size:           112
        .value_kind:     by_value
    .group_segment_fixed_size: 0
    .kernarg_segment_align: 8
    .kernarg_segment_size: 112
    .language:       OpenCL C
    .language_version:
      - 2
      - 0
    .max_flat_workgroup_size: 128
    .name:           _ZN7rocprim17ROCPRIM_400000_NS6detail17trampoline_kernelINS0_14default_configENS1_25partition_config_selectorILNS1_17partition_subalgoE8EtNS0_10empty_typeEbEEZZNS1_14partition_implILS5_8ELb0ES3_jN6thrust23THRUST_200600_302600_NS6detail15normal_iteratorINSA_10device_ptrItEEEEPS6_PKS6_NS0_5tupleIJSF_S6_EEENSJ_IJSG_SG_EEENS0_18inequality_wrapperI22is_equal_div_10_uniqueItEEEPmJS6_EEE10hipError_tPvRmT3_T4_T5_T6_T7_T9_mT8_P12ihipStream_tbDpT10_ENKUlT_T0_E_clISt17integral_constantIbLb0EES1A_EEDaS15_S16_EUlS15_E_NS1_11comp_targetILNS1_3genE9ELNS1_11target_archE1100ELNS1_3gpuE3ELNS1_3repE0EEENS1_30default_config_static_selectorELNS0_4arch9wavefront6targetE1EEEvT1_
    .private_segment_fixed_size: 0
    .sgpr_count:     4
    .sgpr_spill_count: 0
    .symbol:         _ZN7rocprim17ROCPRIM_400000_NS6detail17trampoline_kernelINS0_14default_configENS1_25partition_config_selectorILNS1_17partition_subalgoE8EtNS0_10empty_typeEbEEZZNS1_14partition_implILS5_8ELb0ES3_jN6thrust23THRUST_200600_302600_NS6detail15normal_iteratorINSA_10device_ptrItEEEEPS6_PKS6_NS0_5tupleIJSF_S6_EEENSJ_IJSG_SG_EEENS0_18inequality_wrapperI22is_equal_div_10_uniqueItEEEPmJS6_EEE10hipError_tPvRmT3_T4_T5_T6_T7_T9_mT8_P12ihipStream_tbDpT10_ENKUlT_T0_E_clISt17integral_constantIbLb0EES1A_EEDaS15_S16_EUlS15_E_NS1_11comp_targetILNS1_3genE9ELNS1_11target_archE1100ELNS1_3gpuE3ELNS1_3repE0EEENS1_30default_config_static_selectorELNS0_4arch9wavefront6targetE1EEEvT1_.kd
    .uniform_work_group_size: 1
    .uses_dynamic_stack: false
    .vgpr_count:     0
    .vgpr_spill_count: 0
    .wavefront_size: 64
  - .args:
      - .offset:         0
        .size:           112
        .value_kind:     by_value
    .group_segment_fixed_size: 0
    .kernarg_segment_align: 8
    .kernarg_segment_size: 112
    .language:       OpenCL C
    .language_version:
      - 2
      - 0
    .max_flat_workgroup_size: 384
    .name:           _ZN7rocprim17ROCPRIM_400000_NS6detail17trampoline_kernelINS0_14default_configENS1_25partition_config_selectorILNS1_17partition_subalgoE8EtNS0_10empty_typeEbEEZZNS1_14partition_implILS5_8ELb0ES3_jN6thrust23THRUST_200600_302600_NS6detail15normal_iteratorINSA_10device_ptrItEEEEPS6_PKS6_NS0_5tupleIJSF_S6_EEENSJ_IJSG_SG_EEENS0_18inequality_wrapperI22is_equal_div_10_uniqueItEEEPmJS6_EEE10hipError_tPvRmT3_T4_T5_T6_T7_T9_mT8_P12ihipStream_tbDpT10_ENKUlT_T0_E_clISt17integral_constantIbLb0EES1A_EEDaS15_S16_EUlS15_E_NS1_11comp_targetILNS1_3genE8ELNS1_11target_archE1030ELNS1_3gpuE2ELNS1_3repE0EEENS1_30default_config_static_selectorELNS0_4arch9wavefront6targetE1EEEvT1_
    .private_segment_fixed_size: 0
    .sgpr_count:     4
    .sgpr_spill_count: 0
    .symbol:         _ZN7rocprim17ROCPRIM_400000_NS6detail17trampoline_kernelINS0_14default_configENS1_25partition_config_selectorILNS1_17partition_subalgoE8EtNS0_10empty_typeEbEEZZNS1_14partition_implILS5_8ELb0ES3_jN6thrust23THRUST_200600_302600_NS6detail15normal_iteratorINSA_10device_ptrItEEEEPS6_PKS6_NS0_5tupleIJSF_S6_EEENSJ_IJSG_SG_EEENS0_18inequality_wrapperI22is_equal_div_10_uniqueItEEEPmJS6_EEE10hipError_tPvRmT3_T4_T5_T6_T7_T9_mT8_P12ihipStream_tbDpT10_ENKUlT_T0_E_clISt17integral_constantIbLb0EES1A_EEDaS15_S16_EUlS15_E_NS1_11comp_targetILNS1_3genE8ELNS1_11target_archE1030ELNS1_3gpuE2ELNS1_3repE0EEENS1_30default_config_static_selectorELNS0_4arch9wavefront6targetE1EEEvT1_.kd
    .uniform_work_group_size: 1
    .uses_dynamic_stack: false
    .vgpr_count:     0
    .vgpr_spill_count: 0
    .wavefront_size: 64
  - .args:
      - .offset:         0
        .size:           128
        .value_kind:     by_value
    .group_segment_fixed_size: 0
    .kernarg_segment_align: 8
    .kernarg_segment_size: 128
    .language:       OpenCL C
    .language_version:
      - 2
      - 0
    .max_flat_workgroup_size: 256
    .name:           _ZN7rocprim17ROCPRIM_400000_NS6detail17trampoline_kernelINS0_14default_configENS1_25partition_config_selectorILNS1_17partition_subalgoE8EtNS0_10empty_typeEbEEZZNS1_14partition_implILS5_8ELb0ES3_jN6thrust23THRUST_200600_302600_NS6detail15normal_iteratorINSA_10device_ptrItEEEEPS6_PKS6_NS0_5tupleIJSF_S6_EEENSJ_IJSG_SG_EEENS0_18inequality_wrapperI22is_equal_div_10_uniqueItEEEPmJS6_EEE10hipError_tPvRmT3_T4_T5_T6_T7_T9_mT8_P12ihipStream_tbDpT10_ENKUlT_T0_E_clISt17integral_constantIbLb1EES1A_EEDaS15_S16_EUlS15_E_NS1_11comp_targetILNS1_3genE0ELNS1_11target_archE4294967295ELNS1_3gpuE0ELNS1_3repE0EEENS1_30default_config_static_selectorELNS0_4arch9wavefront6targetE1EEEvT1_
    .private_segment_fixed_size: 0
    .sgpr_count:     4
    .sgpr_spill_count: 0
    .symbol:         _ZN7rocprim17ROCPRIM_400000_NS6detail17trampoline_kernelINS0_14default_configENS1_25partition_config_selectorILNS1_17partition_subalgoE8EtNS0_10empty_typeEbEEZZNS1_14partition_implILS5_8ELb0ES3_jN6thrust23THRUST_200600_302600_NS6detail15normal_iteratorINSA_10device_ptrItEEEEPS6_PKS6_NS0_5tupleIJSF_S6_EEENSJ_IJSG_SG_EEENS0_18inequality_wrapperI22is_equal_div_10_uniqueItEEEPmJS6_EEE10hipError_tPvRmT3_T4_T5_T6_T7_T9_mT8_P12ihipStream_tbDpT10_ENKUlT_T0_E_clISt17integral_constantIbLb1EES1A_EEDaS15_S16_EUlS15_E_NS1_11comp_targetILNS1_3genE0ELNS1_11target_archE4294967295ELNS1_3gpuE0ELNS1_3repE0EEENS1_30default_config_static_selectorELNS0_4arch9wavefront6targetE1EEEvT1_.kd
    .uniform_work_group_size: 1
    .uses_dynamic_stack: false
    .vgpr_count:     0
    .vgpr_spill_count: 0
    .wavefront_size: 64
  - .args:
      - .offset:         0
        .size:           128
        .value_kind:     by_value
    .group_segment_fixed_size: 0
    .kernarg_segment_align: 8
    .kernarg_segment_size: 128
    .language:       OpenCL C
    .language_version:
      - 2
      - 0
    .max_flat_workgroup_size: 512
    .name:           _ZN7rocprim17ROCPRIM_400000_NS6detail17trampoline_kernelINS0_14default_configENS1_25partition_config_selectorILNS1_17partition_subalgoE8EtNS0_10empty_typeEbEEZZNS1_14partition_implILS5_8ELb0ES3_jN6thrust23THRUST_200600_302600_NS6detail15normal_iteratorINSA_10device_ptrItEEEEPS6_PKS6_NS0_5tupleIJSF_S6_EEENSJ_IJSG_SG_EEENS0_18inequality_wrapperI22is_equal_div_10_uniqueItEEEPmJS6_EEE10hipError_tPvRmT3_T4_T5_T6_T7_T9_mT8_P12ihipStream_tbDpT10_ENKUlT_T0_E_clISt17integral_constantIbLb1EES1A_EEDaS15_S16_EUlS15_E_NS1_11comp_targetILNS1_3genE5ELNS1_11target_archE942ELNS1_3gpuE9ELNS1_3repE0EEENS1_30default_config_static_selectorELNS0_4arch9wavefront6targetE1EEEvT1_
    .private_segment_fixed_size: 0
    .sgpr_count:     4
    .sgpr_spill_count: 0
    .symbol:         _ZN7rocprim17ROCPRIM_400000_NS6detail17trampoline_kernelINS0_14default_configENS1_25partition_config_selectorILNS1_17partition_subalgoE8EtNS0_10empty_typeEbEEZZNS1_14partition_implILS5_8ELb0ES3_jN6thrust23THRUST_200600_302600_NS6detail15normal_iteratorINSA_10device_ptrItEEEEPS6_PKS6_NS0_5tupleIJSF_S6_EEENSJ_IJSG_SG_EEENS0_18inequality_wrapperI22is_equal_div_10_uniqueItEEEPmJS6_EEE10hipError_tPvRmT3_T4_T5_T6_T7_T9_mT8_P12ihipStream_tbDpT10_ENKUlT_T0_E_clISt17integral_constantIbLb1EES1A_EEDaS15_S16_EUlS15_E_NS1_11comp_targetILNS1_3genE5ELNS1_11target_archE942ELNS1_3gpuE9ELNS1_3repE0EEENS1_30default_config_static_selectorELNS0_4arch9wavefront6targetE1EEEvT1_.kd
    .uniform_work_group_size: 1
    .uses_dynamic_stack: false
    .vgpr_count:     0
    .vgpr_spill_count: 0
    .wavefront_size: 64
  - .args:
      - .offset:         0
        .size:           128
        .value_kind:     by_value
    .group_segment_fixed_size: 0
    .kernarg_segment_align: 8
    .kernarg_segment_size: 128
    .language:       OpenCL C
    .language_version:
      - 2
      - 0
    .max_flat_workgroup_size: 256
    .name:           _ZN7rocprim17ROCPRIM_400000_NS6detail17trampoline_kernelINS0_14default_configENS1_25partition_config_selectorILNS1_17partition_subalgoE8EtNS0_10empty_typeEbEEZZNS1_14partition_implILS5_8ELb0ES3_jN6thrust23THRUST_200600_302600_NS6detail15normal_iteratorINSA_10device_ptrItEEEEPS6_PKS6_NS0_5tupleIJSF_S6_EEENSJ_IJSG_SG_EEENS0_18inequality_wrapperI22is_equal_div_10_uniqueItEEEPmJS6_EEE10hipError_tPvRmT3_T4_T5_T6_T7_T9_mT8_P12ihipStream_tbDpT10_ENKUlT_T0_E_clISt17integral_constantIbLb1EES1A_EEDaS15_S16_EUlS15_E_NS1_11comp_targetILNS1_3genE4ELNS1_11target_archE910ELNS1_3gpuE8ELNS1_3repE0EEENS1_30default_config_static_selectorELNS0_4arch9wavefront6targetE1EEEvT1_
    .private_segment_fixed_size: 0
    .sgpr_count:     4
    .sgpr_spill_count: 0
    .symbol:         _ZN7rocprim17ROCPRIM_400000_NS6detail17trampoline_kernelINS0_14default_configENS1_25partition_config_selectorILNS1_17partition_subalgoE8EtNS0_10empty_typeEbEEZZNS1_14partition_implILS5_8ELb0ES3_jN6thrust23THRUST_200600_302600_NS6detail15normal_iteratorINSA_10device_ptrItEEEEPS6_PKS6_NS0_5tupleIJSF_S6_EEENSJ_IJSG_SG_EEENS0_18inequality_wrapperI22is_equal_div_10_uniqueItEEEPmJS6_EEE10hipError_tPvRmT3_T4_T5_T6_T7_T9_mT8_P12ihipStream_tbDpT10_ENKUlT_T0_E_clISt17integral_constantIbLb1EES1A_EEDaS15_S16_EUlS15_E_NS1_11comp_targetILNS1_3genE4ELNS1_11target_archE910ELNS1_3gpuE8ELNS1_3repE0EEENS1_30default_config_static_selectorELNS0_4arch9wavefront6targetE1EEEvT1_.kd
    .uniform_work_group_size: 1
    .uses_dynamic_stack: false
    .vgpr_count:     0
    .vgpr_spill_count: 0
    .wavefront_size: 64
  - .args:
      - .offset:         0
        .size:           128
        .value_kind:     by_value
    .group_segment_fixed_size: 0
    .kernarg_segment_align: 8
    .kernarg_segment_size: 128
    .language:       OpenCL C
    .language_version:
      - 2
      - 0
    .max_flat_workgroup_size: 256
    .name:           _ZN7rocprim17ROCPRIM_400000_NS6detail17trampoline_kernelINS0_14default_configENS1_25partition_config_selectorILNS1_17partition_subalgoE8EtNS0_10empty_typeEbEEZZNS1_14partition_implILS5_8ELb0ES3_jN6thrust23THRUST_200600_302600_NS6detail15normal_iteratorINSA_10device_ptrItEEEEPS6_PKS6_NS0_5tupleIJSF_S6_EEENSJ_IJSG_SG_EEENS0_18inequality_wrapperI22is_equal_div_10_uniqueItEEEPmJS6_EEE10hipError_tPvRmT3_T4_T5_T6_T7_T9_mT8_P12ihipStream_tbDpT10_ENKUlT_T0_E_clISt17integral_constantIbLb1EES1A_EEDaS15_S16_EUlS15_E_NS1_11comp_targetILNS1_3genE3ELNS1_11target_archE908ELNS1_3gpuE7ELNS1_3repE0EEENS1_30default_config_static_selectorELNS0_4arch9wavefront6targetE1EEEvT1_
    .private_segment_fixed_size: 0
    .sgpr_count:     4
    .sgpr_spill_count: 0
    .symbol:         _ZN7rocprim17ROCPRIM_400000_NS6detail17trampoline_kernelINS0_14default_configENS1_25partition_config_selectorILNS1_17partition_subalgoE8EtNS0_10empty_typeEbEEZZNS1_14partition_implILS5_8ELb0ES3_jN6thrust23THRUST_200600_302600_NS6detail15normal_iteratorINSA_10device_ptrItEEEEPS6_PKS6_NS0_5tupleIJSF_S6_EEENSJ_IJSG_SG_EEENS0_18inequality_wrapperI22is_equal_div_10_uniqueItEEEPmJS6_EEE10hipError_tPvRmT3_T4_T5_T6_T7_T9_mT8_P12ihipStream_tbDpT10_ENKUlT_T0_E_clISt17integral_constantIbLb1EES1A_EEDaS15_S16_EUlS15_E_NS1_11comp_targetILNS1_3genE3ELNS1_11target_archE908ELNS1_3gpuE7ELNS1_3repE0EEENS1_30default_config_static_selectorELNS0_4arch9wavefront6targetE1EEEvT1_.kd
    .uniform_work_group_size: 1
    .uses_dynamic_stack: false
    .vgpr_count:     0
    .vgpr_spill_count: 0
    .wavefront_size: 64
  - .args:
      - .offset:         0
        .size:           128
        .value_kind:     by_value
    .group_segment_fixed_size: 0
    .kernarg_segment_align: 8
    .kernarg_segment_size: 128
    .language:       OpenCL C
    .language_version:
      - 2
      - 0
    .max_flat_workgroup_size: 192
    .name:           _ZN7rocprim17ROCPRIM_400000_NS6detail17trampoline_kernelINS0_14default_configENS1_25partition_config_selectorILNS1_17partition_subalgoE8EtNS0_10empty_typeEbEEZZNS1_14partition_implILS5_8ELb0ES3_jN6thrust23THRUST_200600_302600_NS6detail15normal_iteratorINSA_10device_ptrItEEEEPS6_PKS6_NS0_5tupleIJSF_S6_EEENSJ_IJSG_SG_EEENS0_18inequality_wrapperI22is_equal_div_10_uniqueItEEEPmJS6_EEE10hipError_tPvRmT3_T4_T5_T6_T7_T9_mT8_P12ihipStream_tbDpT10_ENKUlT_T0_E_clISt17integral_constantIbLb1EES1A_EEDaS15_S16_EUlS15_E_NS1_11comp_targetILNS1_3genE2ELNS1_11target_archE906ELNS1_3gpuE6ELNS1_3repE0EEENS1_30default_config_static_selectorELNS0_4arch9wavefront6targetE1EEEvT1_
    .private_segment_fixed_size: 0
    .sgpr_count:     4
    .sgpr_spill_count: 0
    .symbol:         _ZN7rocprim17ROCPRIM_400000_NS6detail17trampoline_kernelINS0_14default_configENS1_25partition_config_selectorILNS1_17partition_subalgoE8EtNS0_10empty_typeEbEEZZNS1_14partition_implILS5_8ELb0ES3_jN6thrust23THRUST_200600_302600_NS6detail15normal_iteratorINSA_10device_ptrItEEEEPS6_PKS6_NS0_5tupleIJSF_S6_EEENSJ_IJSG_SG_EEENS0_18inequality_wrapperI22is_equal_div_10_uniqueItEEEPmJS6_EEE10hipError_tPvRmT3_T4_T5_T6_T7_T9_mT8_P12ihipStream_tbDpT10_ENKUlT_T0_E_clISt17integral_constantIbLb1EES1A_EEDaS15_S16_EUlS15_E_NS1_11comp_targetILNS1_3genE2ELNS1_11target_archE906ELNS1_3gpuE6ELNS1_3repE0EEENS1_30default_config_static_selectorELNS0_4arch9wavefront6targetE1EEEvT1_.kd
    .uniform_work_group_size: 1
    .uses_dynamic_stack: false
    .vgpr_count:     0
    .vgpr_spill_count: 0
    .wavefront_size: 64
  - .args:
      - .offset:         0
        .size:           128
        .value_kind:     by_value
    .group_segment_fixed_size: 0
    .kernarg_segment_align: 8
    .kernarg_segment_size: 128
    .language:       OpenCL C
    .language_version:
      - 2
      - 0
    .max_flat_workgroup_size: 256
    .name:           _ZN7rocprim17ROCPRIM_400000_NS6detail17trampoline_kernelINS0_14default_configENS1_25partition_config_selectorILNS1_17partition_subalgoE8EtNS0_10empty_typeEbEEZZNS1_14partition_implILS5_8ELb0ES3_jN6thrust23THRUST_200600_302600_NS6detail15normal_iteratorINSA_10device_ptrItEEEEPS6_PKS6_NS0_5tupleIJSF_S6_EEENSJ_IJSG_SG_EEENS0_18inequality_wrapperI22is_equal_div_10_uniqueItEEEPmJS6_EEE10hipError_tPvRmT3_T4_T5_T6_T7_T9_mT8_P12ihipStream_tbDpT10_ENKUlT_T0_E_clISt17integral_constantIbLb1EES1A_EEDaS15_S16_EUlS15_E_NS1_11comp_targetILNS1_3genE10ELNS1_11target_archE1200ELNS1_3gpuE4ELNS1_3repE0EEENS1_30default_config_static_selectorELNS0_4arch9wavefront6targetE1EEEvT1_
    .private_segment_fixed_size: 0
    .sgpr_count:     4
    .sgpr_spill_count: 0
    .symbol:         _ZN7rocprim17ROCPRIM_400000_NS6detail17trampoline_kernelINS0_14default_configENS1_25partition_config_selectorILNS1_17partition_subalgoE8EtNS0_10empty_typeEbEEZZNS1_14partition_implILS5_8ELb0ES3_jN6thrust23THRUST_200600_302600_NS6detail15normal_iteratorINSA_10device_ptrItEEEEPS6_PKS6_NS0_5tupleIJSF_S6_EEENSJ_IJSG_SG_EEENS0_18inequality_wrapperI22is_equal_div_10_uniqueItEEEPmJS6_EEE10hipError_tPvRmT3_T4_T5_T6_T7_T9_mT8_P12ihipStream_tbDpT10_ENKUlT_T0_E_clISt17integral_constantIbLb1EES1A_EEDaS15_S16_EUlS15_E_NS1_11comp_targetILNS1_3genE10ELNS1_11target_archE1200ELNS1_3gpuE4ELNS1_3repE0EEENS1_30default_config_static_selectorELNS0_4arch9wavefront6targetE1EEEvT1_.kd
    .uniform_work_group_size: 1
    .uses_dynamic_stack: false
    .vgpr_count:     0
    .vgpr_spill_count: 0
    .wavefront_size: 64
  - .args:
      - .offset:         0
        .size:           128
        .value_kind:     by_value
    .group_segment_fixed_size: 0
    .kernarg_segment_align: 8
    .kernarg_segment_size: 128
    .language:       OpenCL C
    .language_version:
      - 2
      - 0
    .max_flat_workgroup_size: 128
    .name:           _ZN7rocprim17ROCPRIM_400000_NS6detail17trampoline_kernelINS0_14default_configENS1_25partition_config_selectorILNS1_17partition_subalgoE8EtNS0_10empty_typeEbEEZZNS1_14partition_implILS5_8ELb0ES3_jN6thrust23THRUST_200600_302600_NS6detail15normal_iteratorINSA_10device_ptrItEEEEPS6_PKS6_NS0_5tupleIJSF_S6_EEENSJ_IJSG_SG_EEENS0_18inequality_wrapperI22is_equal_div_10_uniqueItEEEPmJS6_EEE10hipError_tPvRmT3_T4_T5_T6_T7_T9_mT8_P12ihipStream_tbDpT10_ENKUlT_T0_E_clISt17integral_constantIbLb1EES1A_EEDaS15_S16_EUlS15_E_NS1_11comp_targetILNS1_3genE9ELNS1_11target_archE1100ELNS1_3gpuE3ELNS1_3repE0EEENS1_30default_config_static_selectorELNS0_4arch9wavefront6targetE1EEEvT1_
    .private_segment_fixed_size: 0
    .sgpr_count:     4
    .sgpr_spill_count: 0
    .symbol:         _ZN7rocprim17ROCPRIM_400000_NS6detail17trampoline_kernelINS0_14default_configENS1_25partition_config_selectorILNS1_17partition_subalgoE8EtNS0_10empty_typeEbEEZZNS1_14partition_implILS5_8ELb0ES3_jN6thrust23THRUST_200600_302600_NS6detail15normal_iteratorINSA_10device_ptrItEEEEPS6_PKS6_NS0_5tupleIJSF_S6_EEENSJ_IJSG_SG_EEENS0_18inequality_wrapperI22is_equal_div_10_uniqueItEEEPmJS6_EEE10hipError_tPvRmT3_T4_T5_T6_T7_T9_mT8_P12ihipStream_tbDpT10_ENKUlT_T0_E_clISt17integral_constantIbLb1EES1A_EEDaS15_S16_EUlS15_E_NS1_11comp_targetILNS1_3genE9ELNS1_11target_archE1100ELNS1_3gpuE3ELNS1_3repE0EEENS1_30default_config_static_selectorELNS0_4arch9wavefront6targetE1EEEvT1_.kd
    .uniform_work_group_size: 1
    .uses_dynamic_stack: false
    .vgpr_count:     0
    .vgpr_spill_count: 0
    .wavefront_size: 64
  - .args:
      - .offset:         0
        .size:           128
        .value_kind:     by_value
    .group_segment_fixed_size: 0
    .kernarg_segment_align: 8
    .kernarg_segment_size: 128
    .language:       OpenCL C
    .language_version:
      - 2
      - 0
    .max_flat_workgroup_size: 384
    .name:           _ZN7rocprim17ROCPRIM_400000_NS6detail17trampoline_kernelINS0_14default_configENS1_25partition_config_selectorILNS1_17partition_subalgoE8EtNS0_10empty_typeEbEEZZNS1_14partition_implILS5_8ELb0ES3_jN6thrust23THRUST_200600_302600_NS6detail15normal_iteratorINSA_10device_ptrItEEEEPS6_PKS6_NS0_5tupleIJSF_S6_EEENSJ_IJSG_SG_EEENS0_18inequality_wrapperI22is_equal_div_10_uniqueItEEEPmJS6_EEE10hipError_tPvRmT3_T4_T5_T6_T7_T9_mT8_P12ihipStream_tbDpT10_ENKUlT_T0_E_clISt17integral_constantIbLb1EES1A_EEDaS15_S16_EUlS15_E_NS1_11comp_targetILNS1_3genE8ELNS1_11target_archE1030ELNS1_3gpuE2ELNS1_3repE0EEENS1_30default_config_static_selectorELNS0_4arch9wavefront6targetE1EEEvT1_
    .private_segment_fixed_size: 0
    .sgpr_count:     4
    .sgpr_spill_count: 0
    .symbol:         _ZN7rocprim17ROCPRIM_400000_NS6detail17trampoline_kernelINS0_14default_configENS1_25partition_config_selectorILNS1_17partition_subalgoE8EtNS0_10empty_typeEbEEZZNS1_14partition_implILS5_8ELb0ES3_jN6thrust23THRUST_200600_302600_NS6detail15normal_iteratorINSA_10device_ptrItEEEEPS6_PKS6_NS0_5tupleIJSF_S6_EEENSJ_IJSG_SG_EEENS0_18inequality_wrapperI22is_equal_div_10_uniqueItEEEPmJS6_EEE10hipError_tPvRmT3_T4_T5_T6_T7_T9_mT8_P12ihipStream_tbDpT10_ENKUlT_T0_E_clISt17integral_constantIbLb1EES1A_EEDaS15_S16_EUlS15_E_NS1_11comp_targetILNS1_3genE8ELNS1_11target_archE1030ELNS1_3gpuE2ELNS1_3repE0EEENS1_30default_config_static_selectorELNS0_4arch9wavefront6targetE1EEEvT1_.kd
    .uniform_work_group_size: 1
    .uses_dynamic_stack: false
    .vgpr_count:     0
    .vgpr_spill_count: 0
    .wavefront_size: 64
  - .args:
      - .offset:         0
        .size:           112
        .value_kind:     by_value
    .group_segment_fixed_size: 0
    .kernarg_segment_align: 8
    .kernarg_segment_size: 112
    .language:       OpenCL C
    .language_version:
      - 2
      - 0
    .max_flat_workgroup_size: 256
    .name:           _ZN7rocprim17ROCPRIM_400000_NS6detail17trampoline_kernelINS0_14default_configENS1_25partition_config_selectorILNS1_17partition_subalgoE8EtNS0_10empty_typeEbEEZZNS1_14partition_implILS5_8ELb0ES3_jN6thrust23THRUST_200600_302600_NS6detail15normal_iteratorINSA_10device_ptrItEEEEPS6_PKS6_NS0_5tupleIJSF_S6_EEENSJ_IJSG_SG_EEENS0_18inequality_wrapperI22is_equal_div_10_uniqueItEEEPmJS6_EEE10hipError_tPvRmT3_T4_T5_T6_T7_T9_mT8_P12ihipStream_tbDpT10_ENKUlT_T0_E_clISt17integral_constantIbLb1EES19_IbLb0EEEEDaS15_S16_EUlS15_E_NS1_11comp_targetILNS1_3genE0ELNS1_11target_archE4294967295ELNS1_3gpuE0ELNS1_3repE0EEENS1_30default_config_static_selectorELNS0_4arch9wavefront6targetE1EEEvT1_
    .private_segment_fixed_size: 0
    .sgpr_count:     4
    .sgpr_spill_count: 0
    .symbol:         _ZN7rocprim17ROCPRIM_400000_NS6detail17trampoline_kernelINS0_14default_configENS1_25partition_config_selectorILNS1_17partition_subalgoE8EtNS0_10empty_typeEbEEZZNS1_14partition_implILS5_8ELb0ES3_jN6thrust23THRUST_200600_302600_NS6detail15normal_iteratorINSA_10device_ptrItEEEEPS6_PKS6_NS0_5tupleIJSF_S6_EEENSJ_IJSG_SG_EEENS0_18inequality_wrapperI22is_equal_div_10_uniqueItEEEPmJS6_EEE10hipError_tPvRmT3_T4_T5_T6_T7_T9_mT8_P12ihipStream_tbDpT10_ENKUlT_T0_E_clISt17integral_constantIbLb1EES19_IbLb0EEEEDaS15_S16_EUlS15_E_NS1_11comp_targetILNS1_3genE0ELNS1_11target_archE4294967295ELNS1_3gpuE0ELNS1_3repE0EEENS1_30default_config_static_selectorELNS0_4arch9wavefront6targetE1EEEvT1_.kd
    .uniform_work_group_size: 1
    .uses_dynamic_stack: false
    .vgpr_count:     0
    .vgpr_spill_count: 0
    .wavefront_size: 64
  - .args:
      - .offset:         0
        .size:           112
        .value_kind:     by_value
    .group_segment_fixed_size: 0
    .kernarg_segment_align: 8
    .kernarg_segment_size: 112
    .language:       OpenCL C
    .language_version:
      - 2
      - 0
    .max_flat_workgroup_size: 512
    .name:           _ZN7rocprim17ROCPRIM_400000_NS6detail17trampoline_kernelINS0_14default_configENS1_25partition_config_selectorILNS1_17partition_subalgoE8EtNS0_10empty_typeEbEEZZNS1_14partition_implILS5_8ELb0ES3_jN6thrust23THRUST_200600_302600_NS6detail15normal_iteratorINSA_10device_ptrItEEEEPS6_PKS6_NS0_5tupleIJSF_S6_EEENSJ_IJSG_SG_EEENS0_18inequality_wrapperI22is_equal_div_10_uniqueItEEEPmJS6_EEE10hipError_tPvRmT3_T4_T5_T6_T7_T9_mT8_P12ihipStream_tbDpT10_ENKUlT_T0_E_clISt17integral_constantIbLb1EES19_IbLb0EEEEDaS15_S16_EUlS15_E_NS1_11comp_targetILNS1_3genE5ELNS1_11target_archE942ELNS1_3gpuE9ELNS1_3repE0EEENS1_30default_config_static_selectorELNS0_4arch9wavefront6targetE1EEEvT1_
    .private_segment_fixed_size: 0
    .sgpr_count:     4
    .sgpr_spill_count: 0
    .symbol:         _ZN7rocprim17ROCPRIM_400000_NS6detail17trampoline_kernelINS0_14default_configENS1_25partition_config_selectorILNS1_17partition_subalgoE8EtNS0_10empty_typeEbEEZZNS1_14partition_implILS5_8ELb0ES3_jN6thrust23THRUST_200600_302600_NS6detail15normal_iteratorINSA_10device_ptrItEEEEPS6_PKS6_NS0_5tupleIJSF_S6_EEENSJ_IJSG_SG_EEENS0_18inequality_wrapperI22is_equal_div_10_uniqueItEEEPmJS6_EEE10hipError_tPvRmT3_T4_T5_T6_T7_T9_mT8_P12ihipStream_tbDpT10_ENKUlT_T0_E_clISt17integral_constantIbLb1EES19_IbLb0EEEEDaS15_S16_EUlS15_E_NS1_11comp_targetILNS1_3genE5ELNS1_11target_archE942ELNS1_3gpuE9ELNS1_3repE0EEENS1_30default_config_static_selectorELNS0_4arch9wavefront6targetE1EEEvT1_.kd
    .uniform_work_group_size: 1
    .uses_dynamic_stack: false
    .vgpr_count:     0
    .vgpr_spill_count: 0
    .wavefront_size: 64
  - .args:
      - .offset:         0
        .size:           112
        .value_kind:     by_value
    .group_segment_fixed_size: 0
    .kernarg_segment_align: 8
    .kernarg_segment_size: 112
    .language:       OpenCL C
    .language_version:
      - 2
      - 0
    .max_flat_workgroup_size: 256
    .name:           _ZN7rocprim17ROCPRIM_400000_NS6detail17trampoline_kernelINS0_14default_configENS1_25partition_config_selectorILNS1_17partition_subalgoE8EtNS0_10empty_typeEbEEZZNS1_14partition_implILS5_8ELb0ES3_jN6thrust23THRUST_200600_302600_NS6detail15normal_iteratorINSA_10device_ptrItEEEEPS6_PKS6_NS0_5tupleIJSF_S6_EEENSJ_IJSG_SG_EEENS0_18inequality_wrapperI22is_equal_div_10_uniqueItEEEPmJS6_EEE10hipError_tPvRmT3_T4_T5_T6_T7_T9_mT8_P12ihipStream_tbDpT10_ENKUlT_T0_E_clISt17integral_constantIbLb1EES19_IbLb0EEEEDaS15_S16_EUlS15_E_NS1_11comp_targetILNS1_3genE4ELNS1_11target_archE910ELNS1_3gpuE8ELNS1_3repE0EEENS1_30default_config_static_selectorELNS0_4arch9wavefront6targetE1EEEvT1_
    .private_segment_fixed_size: 0
    .sgpr_count:     4
    .sgpr_spill_count: 0
    .symbol:         _ZN7rocprim17ROCPRIM_400000_NS6detail17trampoline_kernelINS0_14default_configENS1_25partition_config_selectorILNS1_17partition_subalgoE8EtNS0_10empty_typeEbEEZZNS1_14partition_implILS5_8ELb0ES3_jN6thrust23THRUST_200600_302600_NS6detail15normal_iteratorINSA_10device_ptrItEEEEPS6_PKS6_NS0_5tupleIJSF_S6_EEENSJ_IJSG_SG_EEENS0_18inequality_wrapperI22is_equal_div_10_uniqueItEEEPmJS6_EEE10hipError_tPvRmT3_T4_T5_T6_T7_T9_mT8_P12ihipStream_tbDpT10_ENKUlT_T0_E_clISt17integral_constantIbLb1EES19_IbLb0EEEEDaS15_S16_EUlS15_E_NS1_11comp_targetILNS1_3genE4ELNS1_11target_archE910ELNS1_3gpuE8ELNS1_3repE0EEENS1_30default_config_static_selectorELNS0_4arch9wavefront6targetE1EEEvT1_.kd
    .uniform_work_group_size: 1
    .uses_dynamic_stack: false
    .vgpr_count:     0
    .vgpr_spill_count: 0
    .wavefront_size: 64
  - .args:
      - .offset:         0
        .size:           112
        .value_kind:     by_value
    .group_segment_fixed_size: 0
    .kernarg_segment_align: 8
    .kernarg_segment_size: 112
    .language:       OpenCL C
    .language_version:
      - 2
      - 0
    .max_flat_workgroup_size: 256
    .name:           _ZN7rocprim17ROCPRIM_400000_NS6detail17trampoline_kernelINS0_14default_configENS1_25partition_config_selectorILNS1_17partition_subalgoE8EtNS0_10empty_typeEbEEZZNS1_14partition_implILS5_8ELb0ES3_jN6thrust23THRUST_200600_302600_NS6detail15normal_iteratorINSA_10device_ptrItEEEEPS6_PKS6_NS0_5tupleIJSF_S6_EEENSJ_IJSG_SG_EEENS0_18inequality_wrapperI22is_equal_div_10_uniqueItEEEPmJS6_EEE10hipError_tPvRmT3_T4_T5_T6_T7_T9_mT8_P12ihipStream_tbDpT10_ENKUlT_T0_E_clISt17integral_constantIbLb1EES19_IbLb0EEEEDaS15_S16_EUlS15_E_NS1_11comp_targetILNS1_3genE3ELNS1_11target_archE908ELNS1_3gpuE7ELNS1_3repE0EEENS1_30default_config_static_selectorELNS0_4arch9wavefront6targetE1EEEvT1_
    .private_segment_fixed_size: 0
    .sgpr_count:     4
    .sgpr_spill_count: 0
    .symbol:         _ZN7rocprim17ROCPRIM_400000_NS6detail17trampoline_kernelINS0_14default_configENS1_25partition_config_selectorILNS1_17partition_subalgoE8EtNS0_10empty_typeEbEEZZNS1_14partition_implILS5_8ELb0ES3_jN6thrust23THRUST_200600_302600_NS6detail15normal_iteratorINSA_10device_ptrItEEEEPS6_PKS6_NS0_5tupleIJSF_S6_EEENSJ_IJSG_SG_EEENS0_18inequality_wrapperI22is_equal_div_10_uniqueItEEEPmJS6_EEE10hipError_tPvRmT3_T4_T5_T6_T7_T9_mT8_P12ihipStream_tbDpT10_ENKUlT_T0_E_clISt17integral_constantIbLb1EES19_IbLb0EEEEDaS15_S16_EUlS15_E_NS1_11comp_targetILNS1_3genE3ELNS1_11target_archE908ELNS1_3gpuE7ELNS1_3repE0EEENS1_30default_config_static_selectorELNS0_4arch9wavefront6targetE1EEEvT1_.kd
    .uniform_work_group_size: 1
    .uses_dynamic_stack: false
    .vgpr_count:     0
    .vgpr_spill_count: 0
    .wavefront_size: 64
  - .args:
      - .offset:         0
        .size:           112
        .value_kind:     by_value
    .group_segment_fixed_size: 0
    .kernarg_segment_align: 8
    .kernarg_segment_size: 112
    .language:       OpenCL C
    .language_version:
      - 2
      - 0
    .max_flat_workgroup_size: 192
    .name:           _ZN7rocprim17ROCPRIM_400000_NS6detail17trampoline_kernelINS0_14default_configENS1_25partition_config_selectorILNS1_17partition_subalgoE8EtNS0_10empty_typeEbEEZZNS1_14partition_implILS5_8ELb0ES3_jN6thrust23THRUST_200600_302600_NS6detail15normal_iteratorINSA_10device_ptrItEEEEPS6_PKS6_NS0_5tupleIJSF_S6_EEENSJ_IJSG_SG_EEENS0_18inequality_wrapperI22is_equal_div_10_uniqueItEEEPmJS6_EEE10hipError_tPvRmT3_T4_T5_T6_T7_T9_mT8_P12ihipStream_tbDpT10_ENKUlT_T0_E_clISt17integral_constantIbLb1EES19_IbLb0EEEEDaS15_S16_EUlS15_E_NS1_11comp_targetILNS1_3genE2ELNS1_11target_archE906ELNS1_3gpuE6ELNS1_3repE0EEENS1_30default_config_static_selectorELNS0_4arch9wavefront6targetE1EEEvT1_
    .private_segment_fixed_size: 0
    .sgpr_count:     4
    .sgpr_spill_count: 0
    .symbol:         _ZN7rocprim17ROCPRIM_400000_NS6detail17trampoline_kernelINS0_14default_configENS1_25partition_config_selectorILNS1_17partition_subalgoE8EtNS0_10empty_typeEbEEZZNS1_14partition_implILS5_8ELb0ES3_jN6thrust23THRUST_200600_302600_NS6detail15normal_iteratorINSA_10device_ptrItEEEEPS6_PKS6_NS0_5tupleIJSF_S6_EEENSJ_IJSG_SG_EEENS0_18inequality_wrapperI22is_equal_div_10_uniqueItEEEPmJS6_EEE10hipError_tPvRmT3_T4_T5_T6_T7_T9_mT8_P12ihipStream_tbDpT10_ENKUlT_T0_E_clISt17integral_constantIbLb1EES19_IbLb0EEEEDaS15_S16_EUlS15_E_NS1_11comp_targetILNS1_3genE2ELNS1_11target_archE906ELNS1_3gpuE6ELNS1_3repE0EEENS1_30default_config_static_selectorELNS0_4arch9wavefront6targetE1EEEvT1_.kd
    .uniform_work_group_size: 1
    .uses_dynamic_stack: false
    .vgpr_count:     0
    .vgpr_spill_count: 0
    .wavefront_size: 64
  - .args:
      - .offset:         0
        .size:           112
        .value_kind:     by_value
    .group_segment_fixed_size: 0
    .kernarg_segment_align: 8
    .kernarg_segment_size: 112
    .language:       OpenCL C
    .language_version:
      - 2
      - 0
    .max_flat_workgroup_size: 256
    .name:           _ZN7rocprim17ROCPRIM_400000_NS6detail17trampoline_kernelINS0_14default_configENS1_25partition_config_selectorILNS1_17partition_subalgoE8EtNS0_10empty_typeEbEEZZNS1_14partition_implILS5_8ELb0ES3_jN6thrust23THRUST_200600_302600_NS6detail15normal_iteratorINSA_10device_ptrItEEEEPS6_PKS6_NS0_5tupleIJSF_S6_EEENSJ_IJSG_SG_EEENS0_18inequality_wrapperI22is_equal_div_10_uniqueItEEEPmJS6_EEE10hipError_tPvRmT3_T4_T5_T6_T7_T9_mT8_P12ihipStream_tbDpT10_ENKUlT_T0_E_clISt17integral_constantIbLb1EES19_IbLb0EEEEDaS15_S16_EUlS15_E_NS1_11comp_targetILNS1_3genE10ELNS1_11target_archE1200ELNS1_3gpuE4ELNS1_3repE0EEENS1_30default_config_static_selectorELNS0_4arch9wavefront6targetE1EEEvT1_
    .private_segment_fixed_size: 0
    .sgpr_count:     4
    .sgpr_spill_count: 0
    .symbol:         _ZN7rocprim17ROCPRIM_400000_NS6detail17trampoline_kernelINS0_14default_configENS1_25partition_config_selectorILNS1_17partition_subalgoE8EtNS0_10empty_typeEbEEZZNS1_14partition_implILS5_8ELb0ES3_jN6thrust23THRUST_200600_302600_NS6detail15normal_iteratorINSA_10device_ptrItEEEEPS6_PKS6_NS0_5tupleIJSF_S6_EEENSJ_IJSG_SG_EEENS0_18inequality_wrapperI22is_equal_div_10_uniqueItEEEPmJS6_EEE10hipError_tPvRmT3_T4_T5_T6_T7_T9_mT8_P12ihipStream_tbDpT10_ENKUlT_T0_E_clISt17integral_constantIbLb1EES19_IbLb0EEEEDaS15_S16_EUlS15_E_NS1_11comp_targetILNS1_3genE10ELNS1_11target_archE1200ELNS1_3gpuE4ELNS1_3repE0EEENS1_30default_config_static_selectorELNS0_4arch9wavefront6targetE1EEEvT1_.kd
    .uniform_work_group_size: 1
    .uses_dynamic_stack: false
    .vgpr_count:     0
    .vgpr_spill_count: 0
    .wavefront_size: 64
  - .args:
      - .offset:         0
        .size:           112
        .value_kind:     by_value
    .group_segment_fixed_size: 0
    .kernarg_segment_align: 8
    .kernarg_segment_size: 112
    .language:       OpenCL C
    .language_version:
      - 2
      - 0
    .max_flat_workgroup_size: 128
    .name:           _ZN7rocprim17ROCPRIM_400000_NS6detail17trampoline_kernelINS0_14default_configENS1_25partition_config_selectorILNS1_17partition_subalgoE8EtNS0_10empty_typeEbEEZZNS1_14partition_implILS5_8ELb0ES3_jN6thrust23THRUST_200600_302600_NS6detail15normal_iteratorINSA_10device_ptrItEEEEPS6_PKS6_NS0_5tupleIJSF_S6_EEENSJ_IJSG_SG_EEENS0_18inequality_wrapperI22is_equal_div_10_uniqueItEEEPmJS6_EEE10hipError_tPvRmT3_T4_T5_T6_T7_T9_mT8_P12ihipStream_tbDpT10_ENKUlT_T0_E_clISt17integral_constantIbLb1EES19_IbLb0EEEEDaS15_S16_EUlS15_E_NS1_11comp_targetILNS1_3genE9ELNS1_11target_archE1100ELNS1_3gpuE3ELNS1_3repE0EEENS1_30default_config_static_selectorELNS0_4arch9wavefront6targetE1EEEvT1_
    .private_segment_fixed_size: 0
    .sgpr_count:     4
    .sgpr_spill_count: 0
    .symbol:         _ZN7rocprim17ROCPRIM_400000_NS6detail17trampoline_kernelINS0_14default_configENS1_25partition_config_selectorILNS1_17partition_subalgoE8EtNS0_10empty_typeEbEEZZNS1_14partition_implILS5_8ELb0ES3_jN6thrust23THRUST_200600_302600_NS6detail15normal_iteratorINSA_10device_ptrItEEEEPS6_PKS6_NS0_5tupleIJSF_S6_EEENSJ_IJSG_SG_EEENS0_18inequality_wrapperI22is_equal_div_10_uniqueItEEEPmJS6_EEE10hipError_tPvRmT3_T4_T5_T6_T7_T9_mT8_P12ihipStream_tbDpT10_ENKUlT_T0_E_clISt17integral_constantIbLb1EES19_IbLb0EEEEDaS15_S16_EUlS15_E_NS1_11comp_targetILNS1_3genE9ELNS1_11target_archE1100ELNS1_3gpuE3ELNS1_3repE0EEENS1_30default_config_static_selectorELNS0_4arch9wavefront6targetE1EEEvT1_.kd
    .uniform_work_group_size: 1
    .uses_dynamic_stack: false
    .vgpr_count:     0
    .vgpr_spill_count: 0
    .wavefront_size: 64
  - .args:
      - .offset:         0
        .size:           112
        .value_kind:     by_value
    .group_segment_fixed_size: 0
    .kernarg_segment_align: 8
    .kernarg_segment_size: 112
    .language:       OpenCL C
    .language_version:
      - 2
      - 0
    .max_flat_workgroup_size: 384
    .name:           _ZN7rocprim17ROCPRIM_400000_NS6detail17trampoline_kernelINS0_14default_configENS1_25partition_config_selectorILNS1_17partition_subalgoE8EtNS0_10empty_typeEbEEZZNS1_14partition_implILS5_8ELb0ES3_jN6thrust23THRUST_200600_302600_NS6detail15normal_iteratorINSA_10device_ptrItEEEEPS6_PKS6_NS0_5tupleIJSF_S6_EEENSJ_IJSG_SG_EEENS0_18inequality_wrapperI22is_equal_div_10_uniqueItEEEPmJS6_EEE10hipError_tPvRmT3_T4_T5_T6_T7_T9_mT8_P12ihipStream_tbDpT10_ENKUlT_T0_E_clISt17integral_constantIbLb1EES19_IbLb0EEEEDaS15_S16_EUlS15_E_NS1_11comp_targetILNS1_3genE8ELNS1_11target_archE1030ELNS1_3gpuE2ELNS1_3repE0EEENS1_30default_config_static_selectorELNS0_4arch9wavefront6targetE1EEEvT1_
    .private_segment_fixed_size: 0
    .sgpr_count:     4
    .sgpr_spill_count: 0
    .symbol:         _ZN7rocprim17ROCPRIM_400000_NS6detail17trampoline_kernelINS0_14default_configENS1_25partition_config_selectorILNS1_17partition_subalgoE8EtNS0_10empty_typeEbEEZZNS1_14partition_implILS5_8ELb0ES3_jN6thrust23THRUST_200600_302600_NS6detail15normal_iteratorINSA_10device_ptrItEEEEPS6_PKS6_NS0_5tupleIJSF_S6_EEENSJ_IJSG_SG_EEENS0_18inequality_wrapperI22is_equal_div_10_uniqueItEEEPmJS6_EEE10hipError_tPvRmT3_T4_T5_T6_T7_T9_mT8_P12ihipStream_tbDpT10_ENKUlT_T0_E_clISt17integral_constantIbLb1EES19_IbLb0EEEEDaS15_S16_EUlS15_E_NS1_11comp_targetILNS1_3genE8ELNS1_11target_archE1030ELNS1_3gpuE2ELNS1_3repE0EEENS1_30default_config_static_selectorELNS0_4arch9wavefront6targetE1EEEvT1_.kd
    .uniform_work_group_size: 1
    .uses_dynamic_stack: false
    .vgpr_count:     0
    .vgpr_spill_count: 0
    .wavefront_size: 64
  - .args:
      - .offset:         0
        .size:           128
        .value_kind:     by_value
    .group_segment_fixed_size: 0
    .kernarg_segment_align: 8
    .kernarg_segment_size: 128
    .language:       OpenCL C
    .language_version:
      - 2
      - 0
    .max_flat_workgroup_size: 256
    .name:           _ZN7rocprim17ROCPRIM_400000_NS6detail17trampoline_kernelINS0_14default_configENS1_25partition_config_selectorILNS1_17partition_subalgoE8EtNS0_10empty_typeEbEEZZNS1_14partition_implILS5_8ELb0ES3_jN6thrust23THRUST_200600_302600_NS6detail15normal_iteratorINSA_10device_ptrItEEEEPS6_PKS6_NS0_5tupleIJSF_S6_EEENSJ_IJSG_SG_EEENS0_18inequality_wrapperI22is_equal_div_10_uniqueItEEEPmJS6_EEE10hipError_tPvRmT3_T4_T5_T6_T7_T9_mT8_P12ihipStream_tbDpT10_ENKUlT_T0_E_clISt17integral_constantIbLb0EES19_IbLb1EEEEDaS15_S16_EUlS15_E_NS1_11comp_targetILNS1_3genE0ELNS1_11target_archE4294967295ELNS1_3gpuE0ELNS1_3repE0EEENS1_30default_config_static_selectorELNS0_4arch9wavefront6targetE1EEEvT1_
    .private_segment_fixed_size: 0
    .sgpr_count:     4
    .sgpr_spill_count: 0
    .symbol:         _ZN7rocprim17ROCPRIM_400000_NS6detail17trampoline_kernelINS0_14default_configENS1_25partition_config_selectorILNS1_17partition_subalgoE8EtNS0_10empty_typeEbEEZZNS1_14partition_implILS5_8ELb0ES3_jN6thrust23THRUST_200600_302600_NS6detail15normal_iteratorINSA_10device_ptrItEEEEPS6_PKS6_NS0_5tupleIJSF_S6_EEENSJ_IJSG_SG_EEENS0_18inequality_wrapperI22is_equal_div_10_uniqueItEEEPmJS6_EEE10hipError_tPvRmT3_T4_T5_T6_T7_T9_mT8_P12ihipStream_tbDpT10_ENKUlT_T0_E_clISt17integral_constantIbLb0EES19_IbLb1EEEEDaS15_S16_EUlS15_E_NS1_11comp_targetILNS1_3genE0ELNS1_11target_archE4294967295ELNS1_3gpuE0ELNS1_3repE0EEENS1_30default_config_static_selectorELNS0_4arch9wavefront6targetE1EEEvT1_.kd
    .uniform_work_group_size: 1
    .uses_dynamic_stack: false
    .vgpr_count:     0
    .vgpr_spill_count: 0
    .wavefront_size: 64
  - .args:
      - .offset:         0
        .size:           128
        .value_kind:     by_value
    .group_segment_fixed_size: 0
    .kernarg_segment_align: 8
    .kernarg_segment_size: 128
    .language:       OpenCL C
    .language_version:
      - 2
      - 0
    .max_flat_workgroup_size: 512
    .name:           _ZN7rocprim17ROCPRIM_400000_NS6detail17trampoline_kernelINS0_14default_configENS1_25partition_config_selectorILNS1_17partition_subalgoE8EtNS0_10empty_typeEbEEZZNS1_14partition_implILS5_8ELb0ES3_jN6thrust23THRUST_200600_302600_NS6detail15normal_iteratorINSA_10device_ptrItEEEEPS6_PKS6_NS0_5tupleIJSF_S6_EEENSJ_IJSG_SG_EEENS0_18inequality_wrapperI22is_equal_div_10_uniqueItEEEPmJS6_EEE10hipError_tPvRmT3_T4_T5_T6_T7_T9_mT8_P12ihipStream_tbDpT10_ENKUlT_T0_E_clISt17integral_constantIbLb0EES19_IbLb1EEEEDaS15_S16_EUlS15_E_NS1_11comp_targetILNS1_3genE5ELNS1_11target_archE942ELNS1_3gpuE9ELNS1_3repE0EEENS1_30default_config_static_selectorELNS0_4arch9wavefront6targetE1EEEvT1_
    .private_segment_fixed_size: 0
    .sgpr_count:     4
    .sgpr_spill_count: 0
    .symbol:         _ZN7rocprim17ROCPRIM_400000_NS6detail17trampoline_kernelINS0_14default_configENS1_25partition_config_selectorILNS1_17partition_subalgoE8EtNS0_10empty_typeEbEEZZNS1_14partition_implILS5_8ELb0ES3_jN6thrust23THRUST_200600_302600_NS6detail15normal_iteratorINSA_10device_ptrItEEEEPS6_PKS6_NS0_5tupleIJSF_S6_EEENSJ_IJSG_SG_EEENS0_18inequality_wrapperI22is_equal_div_10_uniqueItEEEPmJS6_EEE10hipError_tPvRmT3_T4_T5_T6_T7_T9_mT8_P12ihipStream_tbDpT10_ENKUlT_T0_E_clISt17integral_constantIbLb0EES19_IbLb1EEEEDaS15_S16_EUlS15_E_NS1_11comp_targetILNS1_3genE5ELNS1_11target_archE942ELNS1_3gpuE9ELNS1_3repE0EEENS1_30default_config_static_selectorELNS0_4arch9wavefront6targetE1EEEvT1_.kd
    .uniform_work_group_size: 1
    .uses_dynamic_stack: false
    .vgpr_count:     0
    .vgpr_spill_count: 0
    .wavefront_size: 64
  - .args:
      - .offset:         0
        .size:           128
        .value_kind:     by_value
    .group_segment_fixed_size: 0
    .kernarg_segment_align: 8
    .kernarg_segment_size: 128
    .language:       OpenCL C
    .language_version:
      - 2
      - 0
    .max_flat_workgroup_size: 256
    .name:           _ZN7rocprim17ROCPRIM_400000_NS6detail17trampoline_kernelINS0_14default_configENS1_25partition_config_selectorILNS1_17partition_subalgoE8EtNS0_10empty_typeEbEEZZNS1_14partition_implILS5_8ELb0ES3_jN6thrust23THRUST_200600_302600_NS6detail15normal_iteratorINSA_10device_ptrItEEEEPS6_PKS6_NS0_5tupleIJSF_S6_EEENSJ_IJSG_SG_EEENS0_18inequality_wrapperI22is_equal_div_10_uniqueItEEEPmJS6_EEE10hipError_tPvRmT3_T4_T5_T6_T7_T9_mT8_P12ihipStream_tbDpT10_ENKUlT_T0_E_clISt17integral_constantIbLb0EES19_IbLb1EEEEDaS15_S16_EUlS15_E_NS1_11comp_targetILNS1_3genE4ELNS1_11target_archE910ELNS1_3gpuE8ELNS1_3repE0EEENS1_30default_config_static_selectorELNS0_4arch9wavefront6targetE1EEEvT1_
    .private_segment_fixed_size: 0
    .sgpr_count:     4
    .sgpr_spill_count: 0
    .symbol:         _ZN7rocprim17ROCPRIM_400000_NS6detail17trampoline_kernelINS0_14default_configENS1_25partition_config_selectorILNS1_17partition_subalgoE8EtNS0_10empty_typeEbEEZZNS1_14partition_implILS5_8ELb0ES3_jN6thrust23THRUST_200600_302600_NS6detail15normal_iteratorINSA_10device_ptrItEEEEPS6_PKS6_NS0_5tupleIJSF_S6_EEENSJ_IJSG_SG_EEENS0_18inequality_wrapperI22is_equal_div_10_uniqueItEEEPmJS6_EEE10hipError_tPvRmT3_T4_T5_T6_T7_T9_mT8_P12ihipStream_tbDpT10_ENKUlT_T0_E_clISt17integral_constantIbLb0EES19_IbLb1EEEEDaS15_S16_EUlS15_E_NS1_11comp_targetILNS1_3genE4ELNS1_11target_archE910ELNS1_3gpuE8ELNS1_3repE0EEENS1_30default_config_static_selectorELNS0_4arch9wavefront6targetE1EEEvT1_.kd
    .uniform_work_group_size: 1
    .uses_dynamic_stack: false
    .vgpr_count:     0
    .vgpr_spill_count: 0
    .wavefront_size: 64
  - .args:
      - .offset:         0
        .size:           128
        .value_kind:     by_value
    .group_segment_fixed_size: 0
    .kernarg_segment_align: 8
    .kernarg_segment_size: 128
    .language:       OpenCL C
    .language_version:
      - 2
      - 0
    .max_flat_workgroup_size: 256
    .name:           _ZN7rocprim17ROCPRIM_400000_NS6detail17trampoline_kernelINS0_14default_configENS1_25partition_config_selectorILNS1_17partition_subalgoE8EtNS0_10empty_typeEbEEZZNS1_14partition_implILS5_8ELb0ES3_jN6thrust23THRUST_200600_302600_NS6detail15normal_iteratorINSA_10device_ptrItEEEEPS6_PKS6_NS0_5tupleIJSF_S6_EEENSJ_IJSG_SG_EEENS0_18inequality_wrapperI22is_equal_div_10_uniqueItEEEPmJS6_EEE10hipError_tPvRmT3_T4_T5_T6_T7_T9_mT8_P12ihipStream_tbDpT10_ENKUlT_T0_E_clISt17integral_constantIbLb0EES19_IbLb1EEEEDaS15_S16_EUlS15_E_NS1_11comp_targetILNS1_3genE3ELNS1_11target_archE908ELNS1_3gpuE7ELNS1_3repE0EEENS1_30default_config_static_selectorELNS0_4arch9wavefront6targetE1EEEvT1_
    .private_segment_fixed_size: 0
    .sgpr_count:     4
    .sgpr_spill_count: 0
    .symbol:         _ZN7rocprim17ROCPRIM_400000_NS6detail17trampoline_kernelINS0_14default_configENS1_25partition_config_selectorILNS1_17partition_subalgoE8EtNS0_10empty_typeEbEEZZNS1_14partition_implILS5_8ELb0ES3_jN6thrust23THRUST_200600_302600_NS6detail15normal_iteratorINSA_10device_ptrItEEEEPS6_PKS6_NS0_5tupleIJSF_S6_EEENSJ_IJSG_SG_EEENS0_18inequality_wrapperI22is_equal_div_10_uniqueItEEEPmJS6_EEE10hipError_tPvRmT3_T4_T5_T6_T7_T9_mT8_P12ihipStream_tbDpT10_ENKUlT_T0_E_clISt17integral_constantIbLb0EES19_IbLb1EEEEDaS15_S16_EUlS15_E_NS1_11comp_targetILNS1_3genE3ELNS1_11target_archE908ELNS1_3gpuE7ELNS1_3repE0EEENS1_30default_config_static_selectorELNS0_4arch9wavefront6targetE1EEEvT1_.kd
    .uniform_work_group_size: 1
    .uses_dynamic_stack: false
    .vgpr_count:     0
    .vgpr_spill_count: 0
    .wavefront_size: 64
  - .args:
      - .offset:         0
        .size:           128
        .value_kind:     by_value
    .group_segment_fixed_size: 6920
    .kernarg_segment_align: 8
    .kernarg_segment_size: 128
    .language:       OpenCL C
    .language_version:
      - 2
      - 0
    .max_flat_workgroup_size: 192
    .name:           _ZN7rocprim17ROCPRIM_400000_NS6detail17trampoline_kernelINS0_14default_configENS1_25partition_config_selectorILNS1_17partition_subalgoE8EtNS0_10empty_typeEbEEZZNS1_14partition_implILS5_8ELb0ES3_jN6thrust23THRUST_200600_302600_NS6detail15normal_iteratorINSA_10device_ptrItEEEEPS6_PKS6_NS0_5tupleIJSF_S6_EEENSJ_IJSG_SG_EEENS0_18inequality_wrapperI22is_equal_div_10_uniqueItEEEPmJS6_EEE10hipError_tPvRmT3_T4_T5_T6_T7_T9_mT8_P12ihipStream_tbDpT10_ENKUlT_T0_E_clISt17integral_constantIbLb0EES19_IbLb1EEEEDaS15_S16_EUlS15_E_NS1_11comp_targetILNS1_3genE2ELNS1_11target_archE906ELNS1_3gpuE6ELNS1_3repE0EEENS1_30default_config_static_selectorELNS0_4arch9wavefront6targetE1EEEvT1_
    .private_segment_fixed_size: 0
    .sgpr_count:     65
    .sgpr_spill_count: 0
    .symbol:         _ZN7rocprim17ROCPRIM_400000_NS6detail17trampoline_kernelINS0_14default_configENS1_25partition_config_selectorILNS1_17partition_subalgoE8EtNS0_10empty_typeEbEEZZNS1_14partition_implILS5_8ELb0ES3_jN6thrust23THRUST_200600_302600_NS6detail15normal_iteratorINSA_10device_ptrItEEEEPS6_PKS6_NS0_5tupleIJSF_S6_EEENSJ_IJSG_SG_EEENS0_18inequality_wrapperI22is_equal_div_10_uniqueItEEEPmJS6_EEE10hipError_tPvRmT3_T4_T5_T6_T7_T9_mT8_P12ihipStream_tbDpT10_ENKUlT_T0_E_clISt17integral_constantIbLb0EES19_IbLb1EEEEDaS15_S16_EUlS15_E_NS1_11comp_targetILNS1_3genE2ELNS1_11target_archE906ELNS1_3gpuE6ELNS1_3repE0EEENS1_30default_config_static_selectorELNS0_4arch9wavefront6targetE1EEEvT1_.kd
    .uniform_work_group_size: 1
    .uses_dynamic_stack: false
    .vgpr_count:     84
    .vgpr_spill_count: 0
    .wavefront_size: 64
  - .args:
      - .offset:         0
        .size:           128
        .value_kind:     by_value
    .group_segment_fixed_size: 0
    .kernarg_segment_align: 8
    .kernarg_segment_size: 128
    .language:       OpenCL C
    .language_version:
      - 2
      - 0
    .max_flat_workgroup_size: 256
    .name:           _ZN7rocprim17ROCPRIM_400000_NS6detail17trampoline_kernelINS0_14default_configENS1_25partition_config_selectorILNS1_17partition_subalgoE8EtNS0_10empty_typeEbEEZZNS1_14partition_implILS5_8ELb0ES3_jN6thrust23THRUST_200600_302600_NS6detail15normal_iteratorINSA_10device_ptrItEEEEPS6_PKS6_NS0_5tupleIJSF_S6_EEENSJ_IJSG_SG_EEENS0_18inequality_wrapperI22is_equal_div_10_uniqueItEEEPmJS6_EEE10hipError_tPvRmT3_T4_T5_T6_T7_T9_mT8_P12ihipStream_tbDpT10_ENKUlT_T0_E_clISt17integral_constantIbLb0EES19_IbLb1EEEEDaS15_S16_EUlS15_E_NS1_11comp_targetILNS1_3genE10ELNS1_11target_archE1200ELNS1_3gpuE4ELNS1_3repE0EEENS1_30default_config_static_selectorELNS0_4arch9wavefront6targetE1EEEvT1_
    .private_segment_fixed_size: 0
    .sgpr_count:     4
    .sgpr_spill_count: 0
    .symbol:         _ZN7rocprim17ROCPRIM_400000_NS6detail17trampoline_kernelINS0_14default_configENS1_25partition_config_selectorILNS1_17partition_subalgoE8EtNS0_10empty_typeEbEEZZNS1_14partition_implILS5_8ELb0ES3_jN6thrust23THRUST_200600_302600_NS6detail15normal_iteratorINSA_10device_ptrItEEEEPS6_PKS6_NS0_5tupleIJSF_S6_EEENSJ_IJSG_SG_EEENS0_18inequality_wrapperI22is_equal_div_10_uniqueItEEEPmJS6_EEE10hipError_tPvRmT3_T4_T5_T6_T7_T9_mT8_P12ihipStream_tbDpT10_ENKUlT_T0_E_clISt17integral_constantIbLb0EES19_IbLb1EEEEDaS15_S16_EUlS15_E_NS1_11comp_targetILNS1_3genE10ELNS1_11target_archE1200ELNS1_3gpuE4ELNS1_3repE0EEENS1_30default_config_static_selectorELNS0_4arch9wavefront6targetE1EEEvT1_.kd
    .uniform_work_group_size: 1
    .uses_dynamic_stack: false
    .vgpr_count:     0
    .vgpr_spill_count: 0
    .wavefront_size: 64
  - .args:
      - .offset:         0
        .size:           128
        .value_kind:     by_value
    .group_segment_fixed_size: 0
    .kernarg_segment_align: 8
    .kernarg_segment_size: 128
    .language:       OpenCL C
    .language_version:
      - 2
      - 0
    .max_flat_workgroup_size: 128
    .name:           _ZN7rocprim17ROCPRIM_400000_NS6detail17trampoline_kernelINS0_14default_configENS1_25partition_config_selectorILNS1_17partition_subalgoE8EtNS0_10empty_typeEbEEZZNS1_14partition_implILS5_8ELb0ES3_jN6thrust23THRUST_200600_302600_NS6detail15normal_iteratorINSA_10device_ptrItEEEEPS6_PKS6_NS0_5tupleIJSF_S6_EEENSJ_IJSG_SG_EEENS0_18inequality_wrapperI22is_equal_div_10_uniqueItEEEPmJS6_EEE10hipError_tPvRmT3_T4_T5_T6_T7_T9_mT8_P12ihipStream_tbDpT10_ENKUlT_T0_E_clISt17integral_constantIbLb0EES19_IbLb1EEEEDaS15_S16_EUlS15_E_NS1_11comp_targetILNS1_3genE9ELNS1_11target_archE1100ELNS1_3gpuE3ELNS1_3repE0EEENS1_30default_config_static_selectorELNS0_4arch9wavefront6targetE1EEEvT1_
    .private_segment_fixed_size: 0
    .sgpr_count:     4
    .sgpr_spill_count: 0
    .symbol:         _ZN7rocprim17ROCPRIM_400000_NS6detail17trampoline_kernelINS0_14default_configENS1_25partition_config_selectorILNS1_17partition_subalgoE8EtNS0_10empty_typeEbEEZZNS1_14partition_implILS5_8ELb0ES3_jN6thrust23THRUST_200600_302600_NS6detail15normal_iteratorINSA_10device_ptrItEEEEPS6_PKS6_NS0_5tupleIJSF_S6_EEENSJ_IJSG_SG_EEENS0_18inequality_wrapperI22is_equal_div_10_uniqueItEEEPmJS6_EEE10hipError_tPvRmT3_T4_T5_T6_T7_T9_mT8_P12ihipStream_tbDpT10_ENKUlT_T0_E_clISt17integral_constantIbLb0EES19_IbLb1EEEEDaS15_S16_EUlS15_E_NS1_11comp_targetILNS1_3genE9ELNS1_11target_archE1100ELNS1_3gpuE3ELNS1_3repE0EEENS1_30default_config_static_selectorELNS0_4arch9wavefront6targetE1EEEvT1_.kd
    .uniform_work_group_size: 1
    .uses_dynamic_stack: false
    .vgpr_count:     0
    .vgpr_spill_count: 0
    .wavefront_size: 64
  - .args:
      - .offset:         0
        .size:           128
        .value_kind:     by_value
    .group_segment_fixed_size: 0
    .kernarg_segment_align: 8
    .kernarg_segment_size: 128
    .language:       OpenCL C
    .language_version:
      - 2
      - 0
    .max_flat_workgroup_size: 384
    .name:           _ZN7rocprim17ROCPRIM_400000_NS6detail17trampoline_kernelINS0_14default_configENS1_25partition_config_selectorILNS1_17partition_subalgoE8EtNS0_10empty_typeEbEEZZNS1_14partition_implILS5_8ELb0ES3_jN6thrust23THRUST_200600_302600_NS6detail15normal_iteratorINSA_10device_ptrItEEEEPS6_PKS6_NS0_5tupleIJSF_S6_EEENSJ_IJSG_SG_EEENS0_18inequality_wrapperI22is_equal_div_10_uniqueItEEEPmJS6_EEE10hipError_tPvRmT3_T4_T5_T6_T7_T9_mT8_P12ihipStream_tbDpT10_ENKUlT_T0_E_clISt17integral_constantIbLb0EES19_IbLb1EEEEDaS15_S16_EUlS15_E_NS1_11comp_targetILNS1_3genE8ELNS1_11target_archE1030ELNS1_3gpuE2ELNS1_3repE0EEENS1_30default_config_static_selectorELNS0_4arch9wavefront6targetE1EEEvT1_
    .private_segment_fixed_size: 0
    .sgpr_count:     4
    .sgpr_spill_count: 0
    .symbol:         _ZN7rocprim17ROCPRIM_400000_NS6detail17trampoline_kernelINS0_14default_configENS1_25partition_config_selectorILNS1_17partition_subalgoE8EtNS0_10empty_typeEbEEZZNS1_14partition_implILS5_8ELb0ES3_jN6thrust23THRUST_200600_302600_NS6detail15normal_iteratorINSA_10device_ptrItEEEEPS6_PKS6_NS0_5tupleIJSF_S6_EEENSJ_IJSG_SG_EEENS0_18inequality_wrapperI22is_equal_div_10_uniqueItEEEPmJS6_EEE10hipError_tPvRmT3_T4_T5_T6_T7_T9_mT8_P12ihipStream_tbDpT10_ENKUlT_T0_E_clISt17integral_constantIbLb0EES19_IbLb1EEEEDaS15_S16_EUlS15_E_NS1_11comp_targetILNS1_3genE8ELNS1_11target_archE1030ELNS1_3gpuE2ELNS1_3repE0EEENS1_30default_config_static_selectorELNS0_4arch9wavefront6targetE1EEEvT1_.kd
    .uniform_work_group_size: 1
    .uses_dynamic_stack: false
    .vgpr_count:     0
    .vgpr_spill_count: 0
    .wavefront_size: 64
  - .args:
      - .offset:         0
        .size:           16
        .value_kind:     by_value
      - .offset:         16
        .size:           8
        .value_kind:     by_value
      - .offset:         24
        .size:           8
        .value_kind:     by_value
    .group_segment_fixed_size: 0
    .kernarg_segment_align: 8
    .kernarg_segment_size: 32
    .language:       OpenCL C
    .language_version:
      - 2
      - 0
    .max_flat_workgroup_size: 256
    .name:           _ZN6thrust23THRUST_200600_302600_NS11hip_rocprim14__parallel_for6kernelILj256ENS1_20__uninitialized_fill7functorINS0_10device_ptrIxEExEEmLj1EEEvT0_T1_SA_
    .private_segment_fixed_size: 0
    .sgpr_count:     20
    .sgpr_spill_count: 0
    .symbol:         _ZN6thrust23THRUST_200600_302600_NS11hip_rocprim14__parallel_for6kernelILj256ENS1_20__uninitialized_fill7functorINS0_10device_ptrIxEExEEmLj1EEEvT0_T1_SA_.kd
    .uniform_work_group_size: 1
    .uses_dynamic_stack: false
    .vgpr_count:     5
    .vgpr_spill_count: 0
    .wavefront_size: 64
  - .args:
      - .offset:         0
        .size:           112
        .value_kind:     by_value
    .group_segment_fixed_size: 0
    .kernarg_segment_align: 8
    .kernarg_segment_size: 112
    .language:       OpenCL C
    .language_version:
      - 2
      - 0
    .max_flat_workgroup_size: 512
    .name:           _ZN7rocprim17ROCPRIM_400000_NS6detail17trampoline_kernelINS0_14default_configENS1_25partition_config_selectorILNS1_17partition_subalgoE8ExNS0_10empty_typeEbEEZZNS1_14partition_implILS5_8ELb0ES3_jN6thrust23THRUST_200600_302600_NS6detail15normal_iteratorINSA_10device_ptrIxEEEEPS6_PKS6_NS0_5tupleIJSF_S6_EEENSJ_IJSG_SG_EEENS0_18inequality_wrapperINSA_8equal_toIxEEEEPmJS6_EEE10hipError_tPvRmT3_T4_T5_T6_T7_T9_mT8_P12ihipStream_tbDpT10_ENKUlT_T0_E_clISt17integral_constantIbLb0EES1A_EEDaS15_S16_EUlS15_E_NS1_11comp_targetILNS1_3genE0ELNS1_11target_archE4294967295ELNS1_3gpuE0ELNS1_3repE0EEENS1_30default_config_static_selectorELNS0_4arch9wavefront6targetE1EEEvT1_
    .private_segment_fixed_size: 0
    .sgpr_count:     4
    .sgpr_spill_count: 0
    .symbol:         _ZN7rocprim17ROCPRIM_400000_NS6detail17trampoline_kernelINS0_14default_configENS1_25partition_config_selectorILNS1_17partition_subalgoE8ExNS0_10empty_typeEbEEZZNS1_14partition_implILS5_8ELb0ES3_jN6thrust23THRUST_200600_302600_NS6detail15normal_iteratorINSA_10device_ptrIxEEEEPS6_PKS6_NS0_5tupleIJSF_S6_EEENSJ_IJSG_SG_EEENS0_18inequality_wrapperINSA_8equal_toIxEEEEPmJS6_EEE10hipError_tPvRmT3_T4_T5_T6_T7_T9_mT8_P12ihipStream_tbDpT10_ENKUlT_T0_E_clISt17integral_constantIbLb0EES1A_EEDaS15_S16_EUlS15_E_NS1_11comp_targetILNS1_3genE0ELNS1_11target_archE4294967295ELNS1_3gpuE0ELNS1_3repE0EEENS1_30default_config_static_selectorELNS0_4arch9wavefront6targetE1EEEvT1_.kd
    .uniform_work_group_size: 1
    .uses_dynamic_stack: false
    .vgpr_count:     0
    .vgpr_spill_count: 0
    .wavefront_size: 64
  - .args:
      - .offset:         0
        .size:           112
        .value_kind:     by_value
    .group_segment_fixed_size: 0
    .kernarg_segment_align: 8
    .kernarg_segment_size: 112
    .language:       OpenCL C
    .language_version:
      - 2
      - 0
    .max_flat_workgroup_size: 512
    .name:           _ZN7rocprim17ROCPRIM_400000_NS6detail17trampoline_kernelINS0_14default_configENS1_25partition_config_selectorILNS1_17partition_subalgoE8ExNS0_10empty_typeEbEEZZNS1_14partition_implILS5_8ELb0ES3_jN6thrust23THRUST_200600_302600_NS6detail15normal_iteratorINSA_10device_ptrIxEEEEPS6_PKS6_NS0_5tupleIJSF_S6_EEENSJ_IJSG_SG_EEENS0_18inequality_wrapperINSA_8equal_toIxEEEEPmJS6_EEE10hipError_tPvRmT3_T4_T5_T6_T7_T9_mT8_P12ihipStream_tbDpT10_ENKUlT_T0_E_clISt17integral_constantIbLb0EES1A_EEDaS15_S16_EUlS15_E_NS1_11comp_targetILNS1_3genE5ELNS1_11target_archE942ELNS1_3gpuE9ELNS1_3repE0EEENS1_30default_config_static_selectorELNS0_4arch9wavefront6targetE1EEEvT1_
    .private_segment_fixed_size: 0
    .sgpr_count:     4
    .sgpr_spill_count: 0
    .symbol:         _ZN7rocprim17ROCPRIM_400000_NS6detail17trampoline_kernelINS0_14default_configENS1_25partition_config_selectorILNS1_17partition_subalgoE8ExNS0_10empty_typeEbEEZZNS1_14partition_implILS5_8ELb0ES3_jN6thrust23THRUST_200600_302600_NS6detail15normal_iteratorINSA_10device_ptrIxEEEEPS6_PKS6_NS0_5tupleIJSF_S6_EEENSJ_IJSG_SG_EEENS0_18inequality_wrapperINSA_8equal_toIxEEEEPmJS6_EEE10hipError_tPvRmT3_T4_T5_T6_T7_T9_mT8_P12ihipStream_tbDpT10_ENKUlT_T0_E_clISt17integral_constantIbLb0EES1A_EEDaS15_S16_EUlS15_E_NS1_11comp_targetILNS1_3genE5ELNS1_11target_archE942ELNS1_3gpuE9ELNS1_3repE0EEENS1_30default_config_static_selectorELNS0_4arch9wavefront6targetE1EEEvT1_.kd
    .uniform_work_group_size: 1
    .uses_dynamic_stack: false
    .vgpr_count:     0
    .vgpr_spill_count: 0
    .wavefront_size: 64
  - .args:
      - .offset:         0
        .size:           112
        .value_kind:     by_value
    .group_segment_fixed_size: 0
    .kernarg_segment_align: 8
    .kernarg_segment_size: 112
    .language:       OpenCL C
    .language_version:
      - 2
      - 0
    .max_flat_workgroup_size: 256
    .name:           _ZN7rocprim17ROCPRIM_400000_NS6detail17trampoline_kernelINS0_14default_configENS1_25partition_config_selectorILNS1_17partition_subalgoE8ExNS0_10empty_typeEbEEZZNS1_14partition_implILS5_8ELb0ES3_jN6thrust23THRUST_200600_302600_NS6detail15normal_iteratorINSA_10device_ptrIxEEEEPS6_PKS6_NS0_5tupleIJSF_S6_EEENSJ_IJSG_SG_EEENS0_18inequality_wrapperINSA_8equal_toIxEEEEPmJS6_EEE10hipError_tPvRmT3_T4_T5_T6_T7_T9_mT8_P12ihipStream_tbDpT10_ENKUlT_T0_E_clISt17integral_constantIbLb0EES1A_EEDaS15_S16_EUlS15_E_NS1_11comp_targetILNS1_3genE4ELNS1_11target_archE910ELNS1_3gpuE8ELNS1_3repE0EEENS1_30default_config_static_selectorELNS0_4arch9wavefront6targetE1EEEvT1_
    .private_segment_fixed_size: 0
    .sgpr_count:     4
    .sgpr_spill_count: 0
    .symbol:         _ZN7rocprim17ROCPRIM_400000_NS6detail17trampoline_kernelINS0_14default_configENS1_25partition_config_selectorILNS1_17partition_subalgoE8ExNS0_10empty_typeEbEEZZNS1_14partition_implILS5_8ELb0ES3_jN6thrust23THRUST_200600_302600_NS6detail15normal_iteratorINSA_10device_ptrIxEEEEPS6_PKS6_NS0_5tupleIJSF_S6_EEENSJ_IJSG_SG_EEENS0_18inequality_wrapperINSA_8equal_toIxEEEEPmJS6_EEE10hipError_tPvRmT3_T4_T5_T6_T7_T9_mT8_P12ihipStream_tbDpT10_ENKUlT_T0_E_clISt17integral_constantIbLb0EES1A_EEDaS15_S16_EUlS15_E_NS1_11comp_targetILNS1_3genE4ELNS1_11target_archE910ELNS1_3gpuE8ELNS1_3repE0EEENS1_30default_config_static_selectorELNS0_4arch9wavefront6targetE1EEEvT1_.kd
    .uniform_work_group_size: 1
    .uses_dynamic_stack: false
    .vgpr_count:     0
    .vgpr_spill_count: 0
    .wavefront_size: 64
  - .args:
      - .offset:         0
        .size:           112
        .value_kind:     by_value
    .group_segment_fixed_size: 0
    .kernarg_segment_align: 8
    .kernarg_segment_size: 112
    .language:       OpenCL C
    .language_version:
      - 2
      - 0
    .max_flat_workgroup_size: 512
    .name:           _ZN7rocprim17ROCPRIM_400000_NS6detail17trampoline_kernelINS0_14default_configENS1_25partition_config_selectorILNS1_17partition_subalgoE8ExNS0_10empty_typeEbEEZZNS1_14partition_implILS5_8ELb0ES3_jN6thrust23THRUST_200600_302600_NS6detail15normal_iteratorINSA_10device_ptrIxEEEEPS6_PKS6_NS0_5tupleIJSF_S6_EEENSJ_IJSG_SG_EEENS0_18inequality_wrapperINSA_8equal_toIxEEEEPmJS6_EEE10hipError_tPvRmT3_T4_T5_T6_T7_T9_mT8_P12ihipStream_tbDpT10_ENKUlT_T0_E_clISt17integral_constantIbLb0EES1A_EEDaS15_S16_EUlS15_E_NS1_11comp_targetILNS1_3genE3ELNS1_11target_archE908ELNS1_3gpuE7ELNS1_3repE0EEENS1_30default_config_static_selectorELNS0_4arch9wavefront6targetE1EEEvT1_
    .private_segment_fixed_size: 0
    .sgpr_count:     4
    .sgpr_spill_count: 0
    .symbol:         _ZN7rocprim17ROCPRIM_400000_NS6detail17trampoline_kernelINS0_14default_configENS1_25partition_config_selectorILNS1_17partition_subalgoE8ExNS0_10empty_typeEbEEZZNS1_14partition_implILS5_8ELb0ES3_jN6thrust23THRUST_200600_302600_NS6detail15normal_iteratorINSA_10device_ptrIxEEEEPS6_PKS6_NS0_5tupleIJSF_S6_EEENSJ_IJSG_SG_EEENS0_18inequality_wrapperINSA_8equal_toIxEEEEPmJS6_EEE10hipError_tPvRmT3_T4_T5_T6_T7_T9_mT8_P12ihipStream_tbDpT10_ENKUlT_T0_E_clISt17integral_constantIbLb0EES1A_EEDaS15_S16_EUlS15_E_NS1_11comp_targetILNS1_3genE3ELNS1_11target_archE908ELNS1_3gpuE7ELNS1_3repE0EEENS1_30default_config_static_selectorELNS0_4arch9wavefront6targetE1EEEvT1_.kd
    .uniform_work_group_size: 1
    .uses_dynamic_stack: false
    .vgpr_count:     0
    .vgpr_spill_count: 0
    .wavefront_size: 64
  - .args:
      - .offset:         0
        .size:           112
        .value_kind:     by_value
    .group_segment_fixed_size: 14344
    .kernarg_segment_align: 8
    .kernarg_segment_size: 112
    .language:       OpenCL C
    .language_version:
      - 2
      - 0
    .max_flat_workgroup_size: 256
    .name:           _ZN7rocprim17ROCPRIM_400000_NS6detail17trampoline_kernelINS0_14default_configENS1_25partition_config_selectorILNS1_17partition_subalgoE8ExNS0_10empty_typeEbEEZZNS1_14partition_implILS5_8ELb0ES3_jN6thrust23THRUST_200600_302600_NS6detail15normal_iteratorINSA_10device_ptrIxEEEEPS6_PKS6_NS0_5tupleIJSF_S6_EEENSJ_IJSG_SG_EEENS0_18inequality_wrapperINSA_8equal_toIxEEEEPmJS6_EEE10hipError_tPvRmT3_T4_T5_T6_T7_T9_mT8_P12ihipStream_tbDpT10_ENKUlT_T0_E_clISt17integral_constantIbLb0EES1A_EEDaS15_S16_EUlS15_E_NS1_11comp_targetILNS1_3genE2ELNS1_11target_archE906ELNS1_3gpuE6ELNS1_3repE0EEENS1_30default_config_static_selectorELNS0_4arch9wavefront6targetE1EEEvT1_
    .private_segment_fixed_size: 0
    .sgpr_count:     44
    .sgpr_spill_count: 0
    .symbol:         _ZN7rocprim17ROCPRIM_400000_NS6detail17trampoline_kernelINS0_14default_configENS1_25partition_config_selectorILNS1_17partition_subalgoE8ExNS0_10empty_typeEbEEZZNS1_14partition_implILS5_8ELb0ES3_jN6thrust23THRUST_200600_302600_NS6detail15normal_iteratorINSA_10device_ptrIxEEEEPS6_PKS6_NS0_5tupleIJSF_S6_EEENSJ_IJSG_SG_EEENS0_18inequality_wrapperINSA_8equal_toIxEEEEPmJS6_EEE10hipError_tPvRmT3_T4_T5_T6_T7_T9_mT8_P12ihipStream_tbDpT10_ENKUlT_T0_E_clISt17integral_constantIbLb0EES1A_EEDaS15_S16_EUlS15_E_NS1_11comp_targetILNS1_3genE2ELNS1_11target_archE906ELNS1_3gpuE6ELNS1_3repE0EEENS1_30default_config_static_selectorELNS0_4arch9wavefront6targetE1EEEvT1_.kd
    .uniform_work_group_size: 1
    .uses_dynamic_stack: false
    .vgpr_count:     58
    .vgpr_spill_count: 0
    .wavefront_size: 64
  - .args:
      - .offset:         0
        .size:           112
        .value_kind:     by_value
    .group_segment_fixed_size: 0
    .kernarg_segment_align: 8
    .kernarg_segment_size: 112
    .language:       OpenCL C
    .language_version:
      - 2
      - 0
    .max_flat_workgroup_size: 384
    .name:           _ZN7rocprim17ROCPRIM_400000_NS6detail17trampoline_kernelINS0_14default_configENS1_25partition_config_selectorILNS1_17partition_subalgoE8ExNS0_10empty_typeEbEEZZNS1_14partition_implILS5_8ELb0ES3_jN6thrust23THRUST_200600_302600_NS6detail15normal_iteratorINSA_10device_ptrIxEEEEPS6_PKS6_NS0_5tupleIJSF_S6_EEENSJ_IJSG_SG_EEENS0_18inequality_wrapperINSA_8equal_toIxEEEEPmJS6_EEE10hipError_tPvRmT3_T4_T5_T6_T7_T9_mT8_P12ihipStream_tbDpT10_ENKUlT_T0_E_clISt17integral_constantIbLb0EES1A_EEDaS15_S16_EUlS15_E_NS1_11comp_targetILNS1_3genE10ELNS1_11target_archE1200ELNS1_3gpuE4ELNS1_3repE0EEENS1_30default_config_static_selectorELNS0_4arch9wavefront6targetE1EEEvT1_
    .private_segment_fixed_size: 0
    .sgpr_count:     4
    .sgpr_spill_count: 0
    .symbol:         _ZN7rocprim17ROCPRIM_400000_NS6detail17trampoline_kernelINS0_14default_configENS1_25partition_config_selectorILNS1_17partition_subalgoE8ExNS0_10empty_typeEbEEZZNS1_14partition_implILS5_8ELb0ES3_jN6thrust23THRUST_200600_302600_NS6detail15normal_iteratorINSA_10device_ptrIxEEEEPS6_PKS6_NS0_5tupleIJSF_S6_EEENSJ_IJSG_SG_EEENS0_18inequality_wrapperINSA_8equal_toIxEEEEPmJS6_EEE10hipError_tPvRmT3_T4_T5_T6_T7_T9_mT8_P12ihipStream_tbDpT10_ENKUlT_T0_E_clISt17integral_constantIbLb0EES1A_EEDaS15_S16_EUlS15_E_NS1_11comp_targetILNS1_3genE10ELNS1_11target_archE1200ELNS1_3gpuE4ELNS1_3repE0EEENS1_30default_config_static_selectorELNS0_4arch9wavefront6targetE1EEEvT1_.kd
    .uniform_work_group_size: 1
    .uses_dynamic_stack: false
    .vgpr_count:     0
    .vgpr_spill_count: 0
    .wavefront_size: 64
  - .args:
      - .offset:         0
        .size:           112
        .value_kind:     by_value
    .group_segment_fixed_size: 0
    .kernarg_segment_align: 8
    .kernarg_segment_size: 112
    .language:       OpenCL C
    .language_version:
      - 2
      - 0
    .max_flat_workgroup_size: 512
    .name:           _ZN7rocprim17ROCPRIM_400000_NS6detail17trampoline_kernelINS0_14default_configENS1_25partition_config_selectorILNS1_17partition_subalgoE8ExNS0_10empty_typeEbEEZZNS1_14partition_implILS5_8ELb0ES3_jN6thrust23THRUST_200600_302600_NS6detail15normal_iteratorINSA_10device_ptrIxEEEEPS6_PKS6_NS0_5tupleIJSF_S6_EEENSJ_IJSG_SG_EEENS0_18inequality_wrapperINSA_8equal_toIxEEEEPmJS6_EEE10hipError_tPvRmT3_T4_T5_T6_T7_T9_mT8_P12ihipStream_tbDpT10_ENKUlT_T0_E_clISt17integral_constantIbLb0EES1A_EEDaS15_S16_EUlS15_E_NS1_11comp_targetILNS1_3genE9ELNS1_11target_archE1100ELNS1_3gpuE3ELNS1_3repE0EEENS1_30default_config_static_selectorELNS0_4arch9wavefront6targetE1EEEvT1_
    .private_segment_fixed_size: 0
    .sgpr_count:     4
    .sgpr_spill_count: 0
    .symbol:         _ZN7rocprim17ROCPRIM_400000_NS6detail17trampoline_kernelINS0_14default_configENS1_25partition_config_selectorILNS1_17partition_subalgoE8ExNS0_10empty_typeEbEEZZNS1_14partition_implILS5_8ELb0ES3_jN6thrust23THRUST_200600_302600_NS6detail15normal_iteratorINSA_10device_ptrIxEEEEPS6_PKS6_NS0_5tupleIJSF_S6_EEENSJ_IJSG_SG_EEENS0_18inequality_wrapperINSA_8equal_toIxEEEEPmJS6_EEE10hipError_tPvRmT3_T4_T5_T6_T7_T9_mT8_P12ihipStream_tbDpT10_ENKUlT_T0_E_clISt17integral_constantIbLb0EES1A_EEDaS15_S16_EUlS15_E_NS1_11comp_targetILNS1_3genE9ELNS1_11target_archE1100ELNS1_3gpuE3ELNS1_3repE0EEENS1_30default_config_static_selectorELNS0_4arch9wavefront6targetE1EEEvT1_.kd
    .uniform_work_group_size: 1
    .uses_dynamic_stack: false
    .vgpr_count:     0
    .vgpr_spill_count: 0
    .wavefront_size: 64
  - .args:
      - .offset:         0
        .size:           112
        .value_kind:     by_value
    .group_segment_fixed_size: 0
    .kernarg_segment_align: 8
    .kernarg_segment_size: 112
    .language:       OpenCL C
    .language_version:
      - 2
      - 0
    .max_flat_workgroup_size: 512
    .name:           _ZN7rocprim17ROCPRIM_400000_NS6detail17trampoline_kernelINS0_14default_configENS1_25partition_config_selectorILNS1_17partition_subalgoE8ExNS0_10empty_typeEbEEZZNS1_14partition_implILS5_8ELb0ES3_jN6thrust23THRUST_200600_302600_NS6detail15normal_iteratorINSA_10device_ptrIxEEEEPS6_PKS6_NS0_5tupleIJSF_S6_EEENSJ_IJSG_SG_EEENS0_18inequality_wrapperINSA_8equal_toIxEEEEPmJS6_EEE10hipError_tPvRmT3_T4_T5_T6_T7_T9_mT8_P12ihipStream_tbDpT10_ENKUlT_T0_E_clISt17integral_constantIbLb0EES1A_EEDaS15_S16_EUlS15_E_NS1_11comp_targetILNS1_3genE8ELNS1_11target_archE1030ELNS1_3gpuE2ELNS1_3repE0EEENS1_30default_config_static_selectorELNS0_4arch9wavefront6targetE1EEEvT1_
    .private_segment_fixed_size: 0
    .sgpr_count:     4
    .sgpr_spill_count: 0
    .symbol:         _ZN7rocprim17ROCPRIM_400000_NS6detail17trampoline_kernelINS0_14default_configENS1_25partition_config_selectorILNS1_17partition_subalgoE8ExNS0_10empty_typeEbEEZZNS1_14partition_implILS5_8ELb0ES3_jN6thrust23THRUST_200600_302600_NS6detail15normal_iteratorINSA_10device_ptrIxEEEEPS6_PKS6_NS0_5tupleIJSF_S6_EEENSJ_IJSG_SG_EEENS0_18inequality_wrapperINSA_8equal_toIxEEEEPmJS6_EEE10hipError_tPvRmT3_T4_T5_T6_T7_T9_mT8_P12ihipStream_tbDpT10_ENKUlT_T0_E_clISt17integral_constantIbLb0EES1A_EEDaS15_S16_EUlS15_E_NS1_11comp_targetILNS1_3genE8ELNS1_11target_archE1030ELNS1_3gpuE2ELNS1_3repE0EEENS1_30default_config_static_selectorELNS0_4arch9wavefront6targetE1EEEvT1_.kd
    .uniform_work_group_size: 1
    .uses_dynamic_stack: false
    .vgpr_count:     0
    .vgpr_spill_count: 0
    .wavefront_size: 64
  - .args:
      - .offset:         0
        .size:           128
        .value_kind:     by_value
    .group_segment_fixed_size: 0
    .kernarg_segment_align: 8
    .kernarg_segment_size: 128
    .language:       OpenCL C
    .language_version:
      - 2
      - 0
    .max_flat_workgroup_size: 512
    .name:           _ZN7rocprim17ROCPRIM_400000_NS6detail17trampoline_kernelINS0_14default_configENS1_25partition_config_selectorILNS1_17partition_subalgoE8ExNS0_10empty_typeEbEEZZNS1_14partition_implILS5_8ELb0ES3_jN6thrust23THRUST_200600_302600_NS6detail15normal_iteratorINSA_10device_ptrIxEEEEPS6_PKS6_NS0_5tupleIJSF_S6_EEENSJ_IJSG_SG_EEENS0_18inequality_wrapperINSA_8equal_toIxEEEEPmJS6_EEE10hipError_tPvRmT3_T4_T5_T6_T7_T9_mT8_P12ihipStream_tbDpT10_ENKUlT_T0_E_clISt17integral_constantIbLb1EES1A_EEDaS15_S16_EUlS15_E_NS1_11comp_targetILNS1_3genE0ELNS1_11target_archE4294967295ELNS1_3gpuE0ELNS1_3repE0EEENS1_30default_config_static_selectorELNS0_4arch9wavefront6targetE1EEEvT1_
    .private_segment_fixed_size: 0
    .sgpr_count:     4
    .sgpr_spill_count: 0
    .symbol:         _ZN7rocprim17ROCPRIM_400000_NS6detail17trampoline_kernelINS0_14default_configENS1_25partition_config_selectorILNS1_17partition_subalgoE8ExNS0_10empty_typeEbEEZZNS1_14partition_implILS5_8ELb0ES3_jN6thrust23THRUST_200600_302600_NS6detail15normal_iteratorINSA_10device_ptrIxEEEEPS6_PKS6_NS0_5tupleIJSF_S6_EEENSJ_IJSG_SG_EEENS0_18inequality_wrapperINSA_8equal_toIxEEEEPmJS6_EEE10hipError_tPvRmT3_T4_T5_T6_T7_T9_mT8_P12ihipStream_tbDpT10_ENKUlT_T0_E_clISt17integral_constantIbLb1EES1A_EEDaS15_S16_EUlS15_E_NS1_11comp_targetILNS1_3genE0ELNS1_11target_archE4294967295ELNS1_3gpuE0ELNS1_3repE0EEENS1_30default_config_static_selectorELNS0_4arch9wavefront6targetE1EEEvT1_.kd
    .uniform_work_group_size: 1
    .uses_dynamic_stack: false
    .vgpr_count:     0
    .vgpr_spill_count: 0
    .wavefront_size: 64
  - .args:
      - .offset:         0
        .size:           128
        .value_kind:     by_value
    .group_segment_fixed_size: 0
    .kernarg_segment_align: 8
    .kernarg_segment_size: 128
    .language:       OpenCL C
    .language_version:
      - 2
      - 0
    .max_flat_workgroup_size: 512
    .name:           _ZN7rocprim17ROCPRIM_400000_NS6detail17trampoline_kernelINS0_14default_configENS1_25partition_config_selectorILNS1_17partition_subalgoE8ExNS0_10empty_typeEbEEZZNS1_14partition_implILS5_8ELb0ES3_jN6thrust23THRUST_200600_302600_NS6detail15normal_iteratorINSA_10device_ptrIxEEEEPS6_PKS6_NS0_5tupleIJSF_S6_EEENSJ_IJSG_SG_EEENS0_18inequality_wrapperINSA_8equal_toIxEEEEPmJS6_EEE10hipError_tPvRmT3_T4_T5_T6_T7_T9_mT8_P12ihipStream_tbDpT10_ENKUlT_T0_E_clISt17integral_constantIbLb1EES1A_EEDaS15_S16_EUlS15_E_NS1_11comp_targetILNS1_3genE5ELNS1_11target_archE942ELNS1_3gpuE9ELNS1_3repE0EEENS1_30default_config_static_selectorELNS0_4arch9wavefront6targetE1EEEvT1_
    .private_segment_fixed_size: 0
    .sgpr_count:     4
    .sgpr_spill_count: 0
    .symbol:         _ZN7rocprim17ROCPRIM_400000_NS6detail17trampoline_kernelINS0_14default_configENS1_25partition_config_selectorILNS1_17partition_subalgoE8ExNS0_10empty_typeEbEEZZNS1_14partition_implILS5_8ELb0ES3_jN6thrust23THRUST_200600_302600_NS6detail15normal_iteratorINSA_10device_ptrIxEEEEPS6_PKS6_NS0_5tupleIJSF_S6_EEENSJ_IJSG_SG_EEENS0_18inequality_wrapperINSA_8equal_toIxEEEEPmJS6_EEE10hipError_tPvRmT3_T4_T5_T6_T7_T9_mT8_P12ihipStream_tbDpT10_ENKUlT_T0_E_clISt17integral_constantIbLb1EES1A_EEDaS15_S16_EUlS15_E_NS1_11comp_targetILNS1_3genE5ELNS1_11target_archE942ELNS1_3gpuE9ELNS1_3repE0EEENS1_30default_config_static_selectorELNS0_4arch9wavefront6targetE1EEEvT1_.kd
    .uniform_work_group_size: 1
    .uses_dynamic_stack: false
    .vgpr_count:     0
    .vgpr_spill_count: 0
    .wavefront_size: 64
  - .args:
      - .offset:         0
        .size:           128
        .value_kind:     by_value
    .group_segment_fixed_size: 0
    .kernarg_segment_align: 8
    .kernarg_segment_size: 128
    .language:       OpenCL C
    .language_version:
      - 2
      - 0
    .max_flat_workgroup_size: 256
    .name:           _ZN7rocprim17ROCPRIM_400000_NS6detail17trampoline_kernelINS0_14default_configENS1_25partition_config_selectorILNS1_17partition_subalgoE8ExNS0_10empty_typeEbEEZZNS1_14partition_implILS5_8ELb0ES3_jN6thrust23THRUST_200600_302600_NS6detail15normal_iteratorINSA_10device_ptrIxEEEEPS6_PKS6_NS0_5tupleIJSF_S6_EEENSJ_IJSG_SG_EEENS0_18inequality_wrapperINSA_8equal_toIxEEEEPmJS6_EEE10hipError_tPvRmT3_T4_T5_T6_T7_T9_mT8_P12ihipStream_tbDpT10_ENKUlT_T0_E_clISt17integral_constantIbLb1EES1A_EEDaS15_S16_EUlS15_E_NS1_11comp_targetILNS1_3genE4ELNS1_11target_archE910ELNS1_3gpuE8ELNS1_3repE0EEENS1_30default_config_static_selectorELNS0_4arch9wavefront6targetE1EEEvT1_
    .private_segment_fixed_size: 0
    .sgpr_count:     4
    .sgpr_spill_count: 0
    .symbol:         _ZN7rocprim17ROCPRIM_400000_NS6detail17trampoline_kernelINS0_14default_configENS1_25partition_config_selectorILNS1_17partition_subalgoE8ExNS0_10empty_typeEbEEZZNS1_14partition_implILS5_8ELb0ES3_jN6thrust23THRUST_200600_302600_NS6detail15normal_iteratorINSA_10device_ptrIxEEEEPS6_PKS6_NS0_5tupleIJSF_S6_EEENSJ_IJSG_SG_EEENS0_18inequality_wrapperINSA_8equal_toIxEEEEPmJS6_EEE10hipError_tPvRmT3_T4_T5_T6_T7_T9_mT8_P12ihipStream_tbDpT10_ENKUlT_T0_E_clISt17integral_constantIbLb1EES1A_EEDaS15_S16_EUlS15_E_NS1_11comp_targetILNS1_3genE4ELNS1_11target_archE910ELNS1_3gpuE8ELNS1_3repE0EEENS1_30default_config_static_selectorELNS0_4arch9wavefront6targetE1EEEvT1_.kd
    .uniform_work_group_size: 1
    .uses_dynamic_stack: false
    .vgpr_count:     0
    .vgpr_spill_count: 0
    .wavefront_size: 64
  - .args:
      - .offset:         0
        .size:           128
        .value_kind:     by_value
    .group_segment_fixed_size: 0
    .kernarg_segment_align: 8
    .kernarg_segment_size: 128
    .language:       OpenCL C
    .language_version:
      - 2
      - 0
    .max_flat_workgroup_size: 512
    .name:           _ZN7rocprim17ROCPRIM_400000_NS6detail17trampoline_kernelINS0_14default_configENS1_25partition_config_selectorILNS1_17partition_subalgoE8ExNS0_10empty_typeEbEEZZNS1_14partition_implILS5_8ELb0ES3_jN6thrust23THRUST_200600_302600_NS6detail15normal_iteratorINSA_10device_ptrIxEEEEPS6_PKS6_NS0_5tupleIJSF_S6_EEENSJ_IJSG_SG_EEENS0_18inequality_wrapperINSA_8equal_toIxEEEEPmJS6_EEE10hipError_tPvRmT3_T4_T5_T6_T7_T9_mT8_P12ihipStream_tbDpT10_ENKUlT_T0_E_clISt17integral_constantIbLb1EES1A_EEDaS15_S16_EUlS15_E_NS1_11comp_targetILNS1_3genE3ELNS1_11target_archE908ELNS1_3gpuE7ELNS1_3repE0EEENS1_30default_config_static_selectorELNS0_4arch9wavefront6targetE1EEEvT1_
    .private_segment_fixed_size: 0
    .sgpr_count:     4
    .sgpr_spill_count: 0
    .symbol:         _ZN7rocprim17ROCPRIM_400000_NS6detail17trampoline_kernelINS0_14default_configENS1_25partition_config_selectorILNS1_17partition_subalgoE8ExNS0_10empty_typeEbEEZZNS1_14partition_implILS5_8ELb0ES3_jN6thrust23THRUST_200600_302600_NS6detail15normal_iteratorINSA_10device_ptrIxEEEEPS6_PKS6_NS0_5tupleIJSF_S6_EEENSJ_IJSG_SG_EEENS0_18inequality_wrapperINSA_8equal_toIxEEEEPmJS6_EEE10hipError_tPvRmT3_T4_T5_T6_T7_T9_mT8_P12ihipStream_tbDpT10_ENKUlT_T0_E_clISt17integral_constantIbLb1EES1A_EEDaS15_S16_EUlS15_E_NS1_11comp_targetILNS1_3genE3ELNS1_11target_archE908ELNS1_3gpuE7ELNS1_3repE0EEENS1_30default_config_static_selectorELNS0_4arch9wavefront6targetE1EEEvT1_.kd
    .uniform_work_group_size: 1
    .uses_dynamic_stack: false
    .vgpr_count:     0
    .vgpr_spill_count: 0
    .wavefront_size: 64
  - .args:
      - .offset:         0
        .size:           128
        .value_kind:     by_value
    .group_segment_fixed_size: 0
    .kernarg_segment_align: 8
    .kernarg_segment_size: 128
    .language:       OpenCL C
    .language_version:
      - 2
      - 0
    .max_flat_workgroup_size: 256
    .name:           _ZN7rocprim17ROCPRIM_400000_NS6detail17trampoline_kernelINS0_14default_configENS1_25partition_config_selectorILNS1_17partition_subalgoE8ExNS0_10empty_typeEbEEZZNS1_14partition_implILS5_8ELb0ES3_jN6thrust23THRUST_200600_302600_NS6detail15normal_iteratorINSA_10device_ptrIxEEEEPS6_PKS6_NS0_5tupleIJSF_S6_EEENSJ_IJSG_SG_EEENS0_18inequality_wrapperINSA_8equal_toIxEEEEPmJS6_EEE10hipError_tPvRmT3_T4_T5_T6_T7_T9_mT8_P12ihipStream_tbDpT10_ENKUlT_T0_E_clISt17integral_constantIbLb1EES1A_EEDaS15_S16_EUlS15_E_NS1_11comp_targetILNS1_3genE2ELNS1_11target_archE906ELNS1_3gpuE6ELNS1_3repE0EEENS1_30default_config_static_selectorELNS0_4arch9wavefront6targetE1EEEvT1_
    .private_segment_fixed_size: 0
    .sgpr_count:     4
    .sgpr_spill_count: 0
    .symbol:         _ZN7rocprim17ROCPRIM_400000_NS6detail17trampoline_kernelINS0_14default_configENS1_25partition_config_selectorILNS1_17partition_subalgoE8ExNS0_10empty_typeEbEEZZNS1_14partition_implILS5_8ELb0ES3_jN6thrust23THRUST_200600_302600_NS6detail15normal_iteratorINSA_10device_ptrIxEEEEPS6_PKS6_NS0_5tupleIJSF_S6_EEENSJ_IJSG_SG_EEENS0_18inequality_wrapperINSA_8equal_toIxEEEEPmJS6_EEE10hipError_tPvRmT3_T4_T5_T6_T7_T9_mT8_P12ihipStream_tbDpT10_ENKUlT_T0_E_clISt17integral_constantIbLb1EES1A_EEDaS15_S16_EUlS15_E_NS1_11comp_targetILNS1_3genE2ELNS1_11target_archE906ELNS1_3gpuE6ELNS1_3repE0EEENS1_30default_config_static_selectorELNS0_4arch9wavefront6targetE1EEEvT1_.kd
    .uniform_work_group_size: 1
    .uses_dynamic_stack: false
    .vgpr_count:     0
    .vgpr_spill_count: 0
    .wavefront_size: 64
  - .args:
      - .offset:         0
        .size:           128
        .value_kind:     by_value
    .group_segment_fixed_size: 0
    .kernarg_segment_align: 8
    .kernarg_segment_size: 128
    .language:       OpenCL C
    .language_version:
      - 2
      - 0
    .max_flat_workgroup_size: 384
    .name:           _ZN7rocprim17ROCPRIM_400000_NS6detail17trampoline_kernelINS0_14default_configENS1_25partition_config_selectorILNS1_17partition_subalgoE8ExNS0_10empty_typeEbEEZZNS1_14partition_implILS5_8ELb0ES3_jN6thrust23THRUST_200600_302600_NS6detail15normal_iteratorINSA_10device_ptrIxEEEEPS6_PKS6_NS0_5tupleIJSF_S6_EEENSJ_IJSG_SG_EEENS0_18inequality_wrapperINSA_8equal_toIxEEEEPmJS6_EEE10hipError_tPvRmT3_T4_T5_T6_T7_T9_mT8_P12ihipStream_tbDpT10_ENKUlT_T0_E_clISt17integral_constantIbLb1EES1A_EEDaS15_S16_EUlS15_E_NS1_11comp_targetILNS1_3genE10ELNS1_11target_archE1200ELNS1_3gpuE4ELNS1_3repE0EEENS1_30default_config_static_selectorELNS0_4arch9wavefront6targetE1EEEvT1_
    .private_segment_fixed_size: 0
    .sgpr_count:     4
    .sgpr_spill_count: 0
    .symbol:         _ZN7rocprim17ROCPRIM_400000_NS6detail17trampoline_kernelINS0_14default_configENS1_25partition_config_selectorILNS1_17partition_subalgoE8ExNS0_10empty_typeEbEEZZNS1_14partition_implILS5_8ELb0ES3_jN6thrust23THRUST_200600_302600_NS6detail15normal_iteratorINSA_10device_ptrIxEEEEPS6_PKS6_NS0_5tupleIJSF_S6_EEENSJ_IJSG_SG_EEENS0_18inequality_wrapperINSA_8equal_toIxEEEEPmJS6_EEE10hipError_tPvRmT3_T4_T5_T6_T7_T9_mT8_P12ihipStream_tbDpT10_ENKUlT_T0_E_clISt17integral_constantIbLb1EES1A_EEDaS15_S16_EUlS15_E_NS1_11comp_targetILNS1_3genE10ELNS1_11target_archE1200ELNS1_3gpuE4ELNS1_3repE0EEENS1_30default_config_static_selectorELNS0_4arch9wavefront6targetE1EEEvT1_.kd
    .uniform_work_group_size: 1
    .uses_dynamic_stack: false
    .vgpr_count:     0
    .vgpr_spill_count: 0
    .wavefront_size: 64
  - .args:
      - .offset:         0
        .size:           128
        .value_kind:     by_value
    .group_segment_fixed_size: 0
    .kernarg_segment_align: 8
    .kernarg_segment_size: 128
    .language:       OpenCL C
    .language_version:
      - 2
      - 0
    .max_flat_workgroup_size: 512
    .name:           _ZN7rocprim17ROCPRIM_400000_NS6detail17trampoline_kernelINS0_14default_configENS1_25partition_config_selectorILNS1_17partition_subalgoE8ExNS0_10empty_typeEbEEZZNS1_14partition_implILS5_8ELb0ES3_jN6thrust23THRUST_200600_302600_NS6detail15normal_iteratorINSA_10device_ptrIxEEEEPS6_PKS6_NS0_5tupleIJSF_S6_EEENSJ_IJSG_SG_EEENS0_18inequality_wrapperINSA_8equal_toIxEEEEPmJS6_EEE10hipError_tPvRmT3_T4_T5_T6_T7_T9_mT8_P12ihipStream_tbDpT10_ENKUlT_T0_E_clISt17integral_constantIbLb1EES1A_EEDaS15_S16_EUlS15_E_NS1_11comp_targetILNS1_3genE9ELNS1_11target_archE1100ELNS1_3gpuE3ELNS1_3repE0EEENS1_30default_config_static_selectorELNS0_4arch9wavefront6targetE1EEEvT1_
    .private_segment_fixed_size: 0
    .sgpr_count:     4
    .sgpr_spill_count: 0
    .symbol:         _ZN7rocprim17ROCPRIM_400000_NS6detail17trampoline_kernelINS0_14default_configENS1_25partition_config_selectorILNS1_17partition_subalgoE8ExNS0_10empty_typeEbEEZZNS1_14partition_implILS5_8ELb0ES3_jN6thrust23THRUST_200600_302600_NS6detail15normal_iteratorINSA_10device_ptrIxEEEEPS6_PKS6_NS0_5tupleIJSF_S6_EEENSJ_IJSG_SG_EEENS0_18inequality_wrapperINSA_8equal_toIxEEEEPmJS6_EEE10hipError_tPvRmT3_T4_T5_T6_T7_T9_mT8_P12ihipStream_tbDpT10_ENKUlT_T0_E_clISt17integral_constantIbLb1EES1A_EEDaS15_S16_EUlS15_E_NS1_11comp_targetILNS1_3genE9ELNS1_11target_archE1100ELNS1_3gpuE3ELNS1_3repE0EEENS1_30default_config_static_selectorELNS0_4arch9wavefront6targetE1EEEvT1_.kd
    .uniform_work_group_size: 1
    .uses_dynamic_stack: false
    .vgpr_count:     0
    .vgpr_spill_count: 0
    .wavefront_size: 64
  - .args:
      - .offset:         0
        .size:           128
        .value_kind:     by_value
    .group_segment_fixed_size: 0
    .kernarg_segment_align: 8
    .kernarg_segment_size: 128
    .language:       OpenCL C
    .language_version:
      - 2
      - 0
    .max_flat_workgroup_size: 512
    .name:           _ZN7rocprim17ROCPRIM_400000_NS6detail17trampoline_kernelINS0_14default_configENS1_25partition_config_selectorILNS1_17partition_subalgoE8ExNS0_10empty_typeEbEEZZNS1_14partition_implILS5_8ELb0ES3_jN6thrust23THRUST_200600_302600_NS6detail15normal_iteratorINSA_10device_ptrIxEEEEPS6_PKS6_NS0_5tupleIJSF_S6_EEENSJ_IJSG_SG_EEENS0_18inequality_wrapperINSA_8equal_toIxEEEEPmJS6_EEE10hipError_tPvRmT3_T4_T5_T6_T7_T9_mT8_P12ihipStream_tbDpT10_ENKUlT_T0_E_clISt17integral_constantIbLb1EES1A_EEDaS15_S16_EUlS15_E_NS1_11comp_targetILNS1_3genE8ELNS1_11target_archE1030ELNS1_3gpuE2ELNS1_3repE0EEENS1_30default_config_static_selectorELNS0_4arch9wavefront6targetE1EEEvT1_
    .private_segment_fixed_size: 0
    .sgpr_count:     4
    .sgpr_spill_count: 0
    .symbol:         _ZN7rocprim17ROCPRIM_400000_NS6detail17trampoline_kernelINS0_14default_configENS1_25partition_config_selectorILNS1_17partition_subalgoE8ExNS0_10empty_typeEbEEZZNS1_14partition_implILS5_8ELb0ES3_jN6thrust23THRUST_200600_302600_NS6detail15normal_iteratorINSA_10device_ptrIxEEEEPS6_PKS6_NS0_5tupleIJSF_S6_EEENSJ_IJSG_SG_EEENS0_18inequality_wrapperINSA_8equal_toIxEEEEPmJS6_EEE10hipError_tPvRmT3_T4_T5_T6_T7_T9_mT8_P12ihipStream_tbDpT10_ENKUlT_T0_E_clISt17integral_constantIbLb1EES1A_EEDaS15_S16_EUlS15_E_NS1_11comp_targetILNS1_3genE8ELNS1_11target_archE1030ELNS1_3gpuE2ELNS1_3repE0EEENS1_30default_config_static_selectorELNS0_4arch9wavefront6targetE1EEEvT1_.kd
    .uniform_work_group_size: 1
    .uses_dynamic_stack: false
    .vgpr_count:     0
    .vgpr_spill_count: 0
    .wavefront_size: 64
  - .args:
      - .offset:         0
        .size:           112
        .value_kind:     by_value
    .group_segment_fixed_size: 0
    .kernarg_segment_align: 8
    .kernarg_segment_size: 112
    .language:       OpenCL C
    .language_version:
      - 2
      - 0
    .max_flat_workgroup_size: 512
    .name:           _ZN7rocprim17ROCPRIM_400000_NS6detail17trampoline_kernelINS0_14default_configENS1_25partition_config_selectorILNS1_17partition_subalgoE8ExNS0_10empty_typeEbEEZZNS1_14partition_implILS5_8ELb0ES3_jN6thrust23THRUST_200600_302600_NS6detail15normal_iteratorINSA_10device_ptrIxEEEEPS6_PKS6_NS0_5tupleIJSF_S6_EEENSJ_IJSG_SG_EEENS0_18inequality_wrapperINSA_8equal_toIxEEEEPmJS6_EEE10hipError_tPvRmT3_T4_T5_T6_T7_T9_mT8_P12ihipStream_tbDpT10_ENKUlT_T0_E_clISt17integral_constantIbLb1EES19_IbLb0EEEEDaS15_S16_EUlS15_E_NS1_11comp_targetILNS1_3genE0ELNS1_11target_archE4294967295ELNS1_3gpuE0ELNS1_3repE0EEENS1_30default_config_static_selectorELNS0_4arch9wavefront6targetE1EEEvT1_
    .private_segment_fixed_size: 0
    .sgpr_count:     4
    .sgpr_spill_count: 0
    .symbol:         _ZN7rocprim17ROCPRIM_400000_NS6detail17trampoline_kernelINS0_14default_configENS1_25partition_config_selectorILNS1_17partition_subalgoE8ExNS0_10empty_typeEbEEZZNS1_14partition_implILS5_8ELb0ES3_jN6thrust23THRUST_200600_302600_NS6detail15normal_iteratorINSA_10device_ptrIxEEEEPS6_PKS6_NS0_5tupleIJSF_S6_EEENSJ_IJSG_SG_EEENS0_18inequality_wrapperINSA_8equal_toIxEEEEPmJS6_EEE10hipError_tPvRmT3_T4_T5_T6_T7_T9_mT8_P12ihipStream_tbDpT10_ENKUlT_T0_E_clISt17integral_constantIbLb1EES19_IbLb0EEEEDaS15_S16_EUlS15_E_NS1_11comp_targetILNS1_3genE0ELNS1_11target_archE4294967295ELNS1_3gpuE0ELNS1_3repE0EEENS1_30default_config_static_selectorELNS0_4arch9wavefront6targetE1EEEvT1_.kd
    .uniform_work_group_size: 1
    .uses_dynamic_stack: false
    .vgpr_count:     0
    .vgpr_spill_count: 0
    .wavefront_size: 64
  - .args:
      - .offset:         0
        .size:           112
        .value_kind:     by_value
    .group_segment_fixed_size: 0
    .kernarg_segment_align: 8
    .kernarg_segment_size: 112
    .language:       OpenCL C
    .language_version:
      - 2
      - 0
    .max_flat_workgroup_size: 512
    .name:           _ZN7rocprim17ROCPRIM_400000_NS6detail17trampoline_kernelINS0_14default_configENS1_25partition_config_selectorILNS1_17partition_subalgoE8ExNS0_10empty_typeEbEEZZNS1_14partition_implILS5_8ELb0ES3_jN6thrust23THRUST_200600_302600_NS6detail15normal_iteratorINSA_10device_ptrIxEEEEPS6_PKS6_NS0_5tupleIJSF_S6_EEENSJ_IJSG_SG_EEENS0_18inequality_wrapperINSA_8equal_toIxEEEEPmJS6_EEE10hipError_tPvRmT3_T4_T5_T6_T7_T9_mT8_P12ihipStream_tbDpT10_ENKUlT_T0_E_clISt17integral_constantIbLb1EES19_IbLb0EEEEDaS15_S16_EUlS15_E_NS1_11comp_targetILNS1_3genE5ELNS1_11target_archE942ELNS1_3gpuE9ELNS1_3repE0EEENS1_30default_config_static_selectorELNS0_4arch9wavefront6targetE1EEEvT1_
    .private_segment_fixed_size: 0
    .sgpr_count:     4
    .sgpr_spill_count: 0
    .symbol:         _ZN7rocprim17ROCPRIM_400000_NS6detail17trampoline_kernelINS0_14default_configENS1_25partition_config_selectorILNS1_17partition_subalgoE8ExNS0_10empty_typeEbEEZZNS1_14partition_implILS5_8ELb0ES3_jN6thrust23THRUST_200600_302600_NS6detail15normal_iteratorINSA_10device_ptrIxEEEEPS6_PKS6_NS0_5tupleIJSF_S6_EEENSJ_IJSG_SG_EEENS0_18inequality_wrapperINSA_8equal_toIxEEEEPmJS6_EEE10hipError_tPvRmT3_T4_T5_T6_T7_T9_mT8_P12ihipStream_tbDpT10_ENKUlT_T0_E_clISt17integral_constantIbLb1EES19_IbLb0EEEEDaS15_S16_EUlS15_E_NS1_11comp_targetILNS1_3genE5ELNS1_11target_archE942ELNS1_3gpuE9ELNS1_3repE0EEENS1_30default_config_static_selectorELNS0_4arch9wavefront6targetE1EEEvT1_.kd
    .uniform_work_group_size: 1
    .uses_dynamic_stack: false
    .vgpr_count:     0
    .vgpr_spill_count: 0
    .wavefront_size: 64
  - .args:
      - .offset:         0
        .size:           112
        .value_kind:     by_value
    .group_segment_fixed_size: 0
    .kernarg_segment_align: 8
    .kernarg_segment_size: 112
    .language:       OpenCL C
    .language_version:
      - 2
      - 0
    .max_flat_workgroup_size: 256
    .name:           _ZN7rocprim17ROCPRIM_400000_NS6detail17trampoline_kernelINS0_14default_configENS1_25partition_config_selectorILNS1_17partition_subalgoE8ExNS0_10empty_typeEbEEZZNS1_14partition_implILS5_8ELb0ES3_jN6thrust23THRUST_200600_302600_NS6detail15normal_iteratorINSA_10device_ptrIxEEEEPS6_PKS6_NS0_5tupleIJSF_S6_EEENSJ_IJSG_SG_EEENS0_18inequality_wrapperINSA_8equal_toIxEEEEPmJS6_EEE10hipError_tPvRmT3_T4_T5_T6_T7_T9_mT8_P12ihipStream_tbDpT10_ENKUlT_T0_E_clISt17integral_constantIbLb1EES19_IbLb0EEEEDaS15_S16_EUlS15_E_NS1_11comp_targetILNS1_3genE4ELNS1_11target_archE910ELNS1_3gpuE8ELNS1_3repE0EEENS1_30default_config_static_selectorELNS0_4arch9wavefront6targetE1EEEvT1_
    .private_segment_fixed_size: 0
    .sgpr_count:     4
    .sgpr_spill_count: 0
    .symbol:         _ZN7rocprim17ROCPRIM_400000_NS6detail17trampoline_kernelINS0_14default_configENS1_25partition_config_selectorILNS1_17partition_subalgoE8ExNS0_10empty_typeEbEEZZNS1_14partition_implILS5_8ELb0ES3_jN6thrust23THRUST_200600_302600_NS6detail15normal_iteratorINSA_10device_ptrIxEEEEPS6_PKS6_NS0_5tupleIJSF_S6_EEENSJ_IJSG_SG_EEENS0_18inequality_wrapperINSA_8equal_toIxEEEEPmJS6_EEE10hipError_tPvRmT3_T4_T5_T6_T7_T9_mT8_P12ihipStream_tbDpT10_ENKUlT_T0_E_clISt17integral_constantIbLb1EES19_IbLb0EEEEDaS15_S16_EUlS15_E_NS1_11comp_targetILNS1_3genE4ELNS1_11target_archE910ELNS1_3gpuE8ELNS1_3repE0EEENS1_30default_config_static_selectorELNS0_4arch9wavefront6targetE1EEEvT1_.kd
    .uniform_work_group_size: 1
    .uses_dynamic_stack: false
    .vgpr_count:     0
    .vgpr_spill_count: 0
    .wavefront_size: 64
  - .args:
      - .offset:         0
        .size:           112
        .value_kind:     by_value
    .group_segment_fixed_size: 0
    .kernarg_segment_align: 8
    .kernarg_segment_size: 112
    .language:       OpenCL C
    .language_version:
      - 2
      - 0
    .max_flat_workgroup_size: 512
    .name:           _ZN7rocprim17ROCPRIM_400000_NS6detail17trampoline_kernelINS0_14default_configENS1_25partition_config_selectorILNS1_17partition_subalgoE8ExNS0_10empty_typeEbEEZZNS1_14partition_implILS5_8ELb0ES3_jN6thrust23THRUST_200600_302600_NS6detail15normal_iteratorINSA_10device_ptrIxEEEEPS6_PKS6_NS0_5tupleIJSF_S6_EEENSJ_IJSG_SG_EEENS0_18inequality_wrapperINSA_8equal_toIxEEEEPmJS6_EEE10hipError_tPvRmT3_T4_T5_T6_T7_T9_mT8_P12ihipStream_tbDpT10_ENKUlT_T0_E_clISt17integral_constantIbLb1EES19_IbLb0EEEEDaS15_S16_EUlS15_E_NS1_11comp_targetILNS1_3genE3ELNS1_11target_archE908ELNS1_3gpuE7ELNS1_3repE0EEENS1_30default_config_static_selectorELNS0_4arch9wavefront6targetE1EEEvT1_
    .private_segment_fixed_size: 0
    .sgpr_count:     4
    .sgpr_spill_count: 0
    .symbol:         _ZN7rocprim17ROCPRIM_400000_NS6detail17trampoline_kernelINS0_14default_configENS1_25partition_config_selectorILNS1_17partition_subalgoE8ExNS0_10empty_typeEbEEZZNS1_14partition_implILS5_8ELb0ES3_jN6thrust23THRUST_200600_302600_NS6detail15normal_iteratorINSA_10device_ptrIxEEEEPS6_PKS6_NS0_5tupleIJSF_S6_EEENSJ_IJSG_SG_EEENS0_18inequality_wrapperINSA_8equal_toIxEEEEPmJS6_EEE10hipError_tPvRmT3_T4_T5_T6_T7_T9_mT8_P12ihipStream_tbDpT10_ENKUlT_T0_E_clISt17integral_constantIbLb1EES19_IbLb0EEEEDaS15_S16_EUlS15_E_NS1_11comp_targetILNS1_3genE3ELNS1_11target_archE908ELNS1_3gpuE7ELNS1_3repE0EEENS1_30default_config_static_selectorELNS0_4arch9wavefront6targetE1EEEvT1_.kd
    .uniform_work_group_size: 1
    .uses_dynamic_stack: false
    .vgpr_count:     0
    .vgpr_spill_count: 0
    .wavefront_size: 64
  - .args:
      - .offset:         0
        .size:           112
        .value_kind:     by_value
    .group_segment_fixed_size: 0
    .kernarg_segment_align: 8
    .kernarg_segment_size: 112
    .language:       OpenCL C
    .language_version:
      - 2
      - 0
    .max_flat_workgroup_size: 256
    .name:           _ZN7rocprim17ROCPRIM_400000_NS6detail17trampoline_kernelINS0_14default_configENS1_25partition_config_selectorILNS1_17partition_subalgoE8ExNS0_10empty_typeEbEEZZNS1_14partition_implILS5_8ELb0ES3_jN6thrust23THRUST_200600_302600_NS6detail15normal_iteratorINSA_10device_ptrIxEEEEPS6_PKS6_NS0_5tupleIJSF_S6_EEENSJ_IJSG_SG_EEENS0_18inequality_wrapperINSA_8equal_toIxEEEEPmJS6_EEE10hipError_tPvRmT3_T4_T5_T6_T7_T9_mT8_P12ihipStream_tbDpT10_ENKUlT_T0_E_clISt17integral_constantIbLb1EES19_IbLb0EEEEDaS15_S16_EUlS15_E_NS1_11comp_targetILNS1_3genE2ELNS1_11target_archE906ELNS1_3gpuE6ELNS1_3repE0EEENS1_30default_config_static_selectorELNS0_4arch9wavefront6targetE1EEEvT1_
    .private_segment_fixed_size: 0
    .sgpr_count:     4
    .sgpr_spill_count: 0
    .symbol:         _ZN7rocprim17ROCPRIM_400000_NS6detail17trampoline_kernelINS0_14default_configENS1_25partition_config_selectorILNS1_17partition_subalgoE8ExNS0_10empty_typeEbEEZZNS1_14partition_implILS5_8ELb0ES3_jN6thrust23THRUST_200600_302600_NS6detail15normal_iteratorINSA_10device_ptrIxEEEEPS6_PKS6_NS0_5tupleIJSF_S6_EEENSJ_IJSG_SG_EEENS0_18inequality_wrapperINSA_8equal_toIxEEEEPmJS6_EEE10hipError_tPvRmT3_T4_T5_T6_T7_T9_mT8_P12ihipStream_tbDpT10_ENKUlT_T0_E_clISt17integral_constantIbLb1EES19_IbLb0EEEEDaS15_S16_EUlS15_E_NS1_11comp_targetILNS1_3genE2ELNS1_11target_archE906ELNS1_3gpuE6ELNS1_3repE0EEENS1_30default_config_static_selectorELNS0_4arch9wavefront6targetE1EEEvT1_.kd
    .uniform_work_group_size: 1
    .uses_dynamic_stack: false
    .vgpr_count:     0
    .vgpr_spill_count: 0
    .wavefront_size: 64
  - .args:
      - .offset:         0
        .size:           112
        .value_kind:     by_value
    .group_segment_fixed_size: 0
    .kernarg_segment_align: 8
    .kernarg_segment_size: 112
    .language:       OpenCL C
    .language_version:
      - 2
      - 0
    .max_flat_workgroup_size: 384
    .name:           _ZN7rocprim17ROCPRIM_400000_NS6detail17trampoline_kernelINS0_14default_configENS1_25partition_config_selectorILNS1_17partition_subalgoE8ExNS0_10empty_typeEbEEZZNS1_14partition_implILS5_8ELb0ES3_jN6thrust23THRUST_200600_302600_NS6detail15normal_iteratorINSA_10device_ptrIxEEEEPS6_PKS6_NS0_5tupleIJSF_S6_EEENSJ_IJSG_SG_EEENS0_18inequality_wrapperINSA_8equal_toIxEEEEPmJS6_EEE10hipError_tPvRmT3_T4_T5_T6_T7_T9_mT8_P12ihipStream_tbDpT10_ENKUlT_T0_E_clISt17integral_constantIbLb1EES19_IbLb0EEEEDaS15_S16_EUlS15_E_NS1_11comp_targetILNS1_3genE10ELNS1_11target_archE1200ELNS1_3gpuE4ELNS1_3repE0EEENS1_30default_config_static_selectorELNS0_4arch9wavefront6targetE1EEEvT1_
    .private_segment_fixed_size: 0
    .sgpr_count:     4
    .sgpr_spill_count: 0
    .symbol:         _ZN7rocprim17ROCPRIM_400000_NS6detail17trampoline_kernelINS0_14default_configENS1_25partition_config_selectorILNS1_17partition_subalgoE8ExNS0_10empty_typeEbEEZZNS1_14partition_implILS5_8ELb0ES3_jN6thrust23THRUST_200600_302600_NS6detail15normal_iteratorINSA_10device_ptrIxEEEEPS6_PKS6_NS0_5tupleIJSF_S6_EEENSJ_IJSG_SG_EEENS0_18inequality_wrapperINSA_8equal_toIxEEEEPmJS6_EEE10hipError_tPvRmT3_T4_T5_T6_T7_T9_mT8_P12ihipStream_tbDpT10_ENKUlT_T0_E_clISt17integral_constantIbLb1EES19_IbLb0EEEEDaS15_S16_EUlS15_E_NS1_11comp_targetILNS1_3genE10ELNS1_11target_archE1200ELNS1_3gpuE4ELNS1_3repE0EEENS1_30default_config_static_selectorELNS0_4arch9wavefront6targetE1EEEvT1_.kd
    .uniform_work_group_size: 1
    .uses_dynamic_stack: false
    .vgpr_count:     0
    .vgpr_spill_count: 0
    .wavefront_size: 64
  - .args:
      - .offset:         0
        .size:           112
        .value_kind:     by_value
    .group_segment_fixed_size: 0
    .kernarg_segment_align: 8
    .kernarg_segment_size: 112
    .language:       OpenCL C
    .language_version:
      - 2
      - 0
    .max_flat_workgroup_size: 512
    .name:           _ZN7rocprim17ROCPRIM_400000_NS6detail17trampoline_kernelINS0_14default_configENS1_25partition_config_selectorILNS1_17partition_subalgoE8ExNS0_10empty_typeEbEEZZNS1_14partition_implILS5_8ELb0ES3_jN6thrust23THRUST_200600_302600_NS6detail15normal_iteratorINSA_10device_ptrIxEEEEPS6_PKS6_NS0_5tupleIJSF_S6_EEENSJ_IJSG_SG_EEENS0_18inequality_wrapperINSA_8equal_toIxEEEEPmJS6_EEE10hipError_tPvRmT3_T4_T5_T6_T7_T9_mT8_P12ihipStream_tbDpT10_ENKUlT_T0_E_clISt17integral_constantIbLb1EES19_IbLb0EEEEDaS15_S16_EUlS15_E_NS1_11comp_targetILNS1_3genE9ELNS1_11target_archE1100ELNS1_3gpuE3ELNS1_3repE0EEENS1_30default_config_static_selectorELNS0_4arch9wavefront6targetE1EEEvT1_
    .private_segment_fixed_size: 0
    .sgpr_count:     4
    .sgpr_spill_count: 0
    .symbol:         _ZN7rocprim17ROCPRIM_400000_NS6detail17trampoline_kernelINS0_14default_configENS1_25partition_config_selectorILNS1_17partition_subalgoE8ExNS0_10empty_typeEbEEZZNS1_14partition_implILS5_8ELb0ES3_jN6thrust23THRUST_200600_302600_NS6detail15normal_iteratorINSA_10device_ptrIxEEEEPS6_PKS6_NS0_5tupleIJSF_S6_EEENSJ_IJSG_SG_EEENS0_18inequality_wrapperINSA_8equal_toIxEEEEPmJS6_EEE10hipError_tPvRmT3_T4_T5_T6_T7_T9_mT8_P12ihipStream_tbDpT10_ENKUlT_T0_E_clISt17integral_constantIbLb1EES19_IbLb0EEEEDaS15_S16_EUlS15_E_NS1_11comp_targetILNS1_3genE9ELNS1_11target_archE1100ELNS1_3gpuE3ELNS1_3repE0EEENS1_30default_config_static_selectorELNS0_4arch9wavefront6targetE1EEEvT1_.kd
    .uniform_work_group_size: 1
    .uses_dynamic_stack: false
    .vgpr_count:     0
    .vgpr_spill_count: 0
    .wavefront_size: 64
  - .args:
      - .offset:         0
        .size:           112
        .value_kind:     by_value
    .group_segment_fixed_size: 0
    .kernarg_segment_align: 8
    .kernarg_segment_size: 112
    .language:       OpenCL C
    .language_version:
      - 2
      - 0
    .max_flat_workgroup_size: 512
    .name:           _ZN7rocprim17ROCPRIM_400000_NS6detail17trampoline_kernelINS0_14default_configENS1_25partition_config_selectorILNS1_17partition_subalgoE8ExNS0_10empty_typeEbEEZZNS1_14partition_implILS5_8ELb0ES3_jN6thrust23THRUST_200600_302600_NS6detail15normal_iteratorINSA_10device_ptrIxEEEEPS6_PKS6_NS0_5tupleIJSF_S6_EEENSJ_IJSG_SG_EEENS0_18inequality_wrapperINSA_8equal_toIxEEEEPmJS6_EEE10hipError_tPvRmT3_T4_T5_T6_T7_T9_mT8_P12ihipStream_tbDpT10_ENKUlT_T0_E_clISt17integral_constantIbLb1EES19_IbLb0EEEEDaS15_S16_EUlS15_E_NS1_11comp_targetILNS1_3genE8ELNS1_11target_archE1030ELNS1_3gpuE2ELNS1_3repE0EEENS1_30default_config_static_selectorELNS0_4arch9wavefront6targetE1EEEvT1_
    .private_segment_fixed_size: 0
    .sgpr_count:     4
    .sgpr_spill_count: 0
    .symbol:         _ZN7rocprim17ROCPRIM_400000_NS6detail17trampoline_kernelINS0_14default_configENS1_25partition_config_selectorILNS1_17partition_subalgoE8ExNS0_10empty_typeEbEEZZNS1_14partition_implILS5_8ELb0ES3_jN6thrust23THRUST_200600_302600_NS6detail15normal_iteratorINSA_10device_ptrIxEEEEPS6_PKS6_NS0_5tupleIJSF_S6_EEENSJ_IJSG_SG_EEENS0_18inequality_wrapperINSA_8equal_toIxEEEEPmJS6_EEE10hipError_tPvRmT3_T4_T5_T6_T7_T9_mT8_P12ihipStream_tbDpT10_ENKUlT_T0_E_clISt17integral_constantIbLb1EES19_IbLb0EEEEDaS15_S16_EUlS15_E_NS1_11comp_targetILNS1_3genE8ELNS1_11target_archE1030ELNS1_3gpuE2ELNS1_3repE0EEENS1_30default_config_static_selectorELNS0_4arch9wavefront6targetE1EEEvT1_.kd
    .uniform_work_group_size: 1
    .uses_dynamic_stack: false
    .vgpr_count:     0
    .vgpr_spill_count: 0
    .wavefront_size: 64
  - .args:
      - .offset:         0
        .size:           128
        .value_kind:     by_value
    .group_segment_fixed_size: 0
    .kernarg_segment_align: 8
    .kernarg_segment_size: 128
    .language:       OpenCL C
    .language_version:
      - 2
      - 0
    .max_flat_workgroup_size: 512
    .name:           _ZN7rocprim17ROCPRIM_400000_NS6detail17trampoline_kernelINS0_14default_configENS1_25partition_config_selectorILNS1_17partition_subalgoE8ExNS0_10empty_typeEbEEZZNS1_14partition_implILS5_8ELb0ES3_jN6thrust23THRUST_200600_302600_NS6detail15normal_iteratorINSA_10device_ptrIxEEEEPS6_PKS6_NS0_5tupleIJSF_S6_EEENSJ_IJSG_SG_EEENS0_18inequality_wrapperINSA_8equal_toIxEEEEPmJS6_EEE10hipError_tPvRmT3_T4_T5_T6_T7_T9_mT8_P12ihipStream_tbDpT10_ENKUlT_T0_E_clISt17integral_constantIbLb0EES19_IbLb1EEEEDaS15_S16_EUlS15_E_NS1_11comp_targetILNS1_3genE0ELNS1_11target_archE4294967295ELNS1_3gpuE0ELNS1_3repE0EEENS1_30default_config_static_selectorELNS0_4arch9wavefront6targetE1EEEvT1_
    .private_segment_fixed_size: 0
    .sgpr_count:     4
    .sgpr_spill_count: 0
    .symbol:         _ZN7rocprim17ROCPRIM_400000_NS6detail17trampoline_kernelINS0_14default_configENS1_25partition_config_selectorILNS1_17partition_subalgoE8ExNS0_10empty_typeEbEEZZNS1_14partition_implILS5_8ELb0ES3_jN6thrust23THRUST_200600_302600_NS6detail15normal_iteratorINSA_10device_ptrIxEEEEPS6_PKS6_NS0_5tupleIJSF_S6_EEENSJ_IJSG_SG_EEENS0_18inequality_wrapperINSA_8equal_toIxEEEEPmJS6_EEE10hipError_tPvRmT3_T4_T5_T6_T7_T9_mT8_P12ihipStream_tbDpT10_ENKUlT_T0_E_clISt17integral_constantIbLb0EES19_IbLb1EEEEDaS15_S16_EUlS15_E_NS1_11comp_targetILNS1_3genE0ELNS1_11target_archE4294967295ELNS1_3gpuE0ELNS1_3repE0EEENS1_30default_config_static_selectorELNS0_4arch9wavefront6targetE1EEEvT1_.kd
    .uniform_work_group_size: 1
    .uses_dynamic_stack: false
    .vgpr_count:     0
    .vgpr_spill_count: 0
    .wavefront_size: 64
  - .args:
      - .offset:         0
        .size:           128
        .value_kind:     by_value
    .group_segment_fixed_size: 0
    .kernarg_segment_align: 8
    .kernarg_segment_size: 128
    .language:       OpenCL C
    .language_version:
      - 2
      - 0
    .max_flat_workgroup_size: 512
    .name:           _ZN7rocprim17ROCPRIM_400000_NS6detail17trampoline_kernelINS0_14default_configENS1_25partition_config_selectorILNS1_17partition_subalgoE8ExNS0_10empty_typeEbEEZZNS1_14partition_implILS5_8ELb0ES3_jN6thrust23THRUST_200600_302600_NS6detail15normal_iteratorINSA_10device_ptrIxEEEEPS6_PKS6_NS0_5tupleIJSF_S6_EEENSJ_IJSG_SG_EEENS0_18inequality_wrapperINSA_8equal_toIxEEEEPmJS6_EEE10hipError_tPvRmT3_T4_T5_T6_T7_T9_mT8_P12ihipStream_tbDpT10_ENKUlT_T0_E_clISt17integral_constantIbLb0EES19_IbLb1EEEEDaS15_S16_EUlS15_E_NS1_11comp_targetILNS1_3genE5ELNS1_11target_archE942ELNS1_3gpuE9ELNS1_3repE0EEENS1_30default_config_static_selectorELNS0_4arch9wavefront6targetE1EEEvT1_
    .private_segment_fixed_size: 0
    .sgpr_count:     4
    .sgpr_spill_count: 0
    .symbol:         _ZN7rocprim17ROCPRIM_400000_NS6detail17trampoline_kernelINS0_14default_configENS1_25partition_config_selectorILNS1_17partition_subalgoE8ExNS0_10empty_typeEbEEZZNS1_14partition_implILS5_8ELb0ES3_jN6thrust23THRUST_200600_302600_NS6detail15normal_iteratorINSA_10device_ptrIxEEEEPS6_PKS6_NS0_5tupleIJSF_S6_EEENSJ_IJSG_SG_EEENS0_18inequality_wrapperINSA_8equal_toIxEEEEPmJS6_EEE10hipError_tPvRmT3_T4_T5_T6_T7_T9_mT8_P12ihipStream_tbDpT10_ENKUlT_T0_E_clISt17integral_constantIbLb0EES19_IbLb1EEEEDaS15_S16_EUlS15_E_NS1_11comp_targetILNS1_3genE5ELNS1_11target_archE942ELNS1_3gpuE9ELNS1_3repE0EEENS1_30default_config_static_selectorELNS0_4arch9wavefront6targetE1EEEvT1_.kd
    .uniform_work_group_size: 1
    .uses_dynamic_stack: false
    .vgpr_count:     0
    .vgpr_spill_count: 0
    .wavefront_size: 64
  - .args:
      - .offset:         0
        .size:           128
        .value_kind:     by_value
    .group_segment_fixed_size: 0
    .kernarg_segment_align: 8
    .kernarg_segment_size: 128
    .language:       OpenCL C
    .language_version:
      - 2
      - 0
    .max_flat_workgroup_size: 256
    .name:           _ZN7rocprim17ROCPRIM_400000_NS6detail17trampoline_kernelINS0_14default_configENS1_25partition_config_selectorILNS1_17partition_subalgoE8ExNS0_10empty_typeEbEEZZNS1_14partition_implILS5_8ELb0ES3_jN6thrust23THRUST_200600_302600_NS6detail15normal_iteratorINSA_10device_ptrIxEEEEPS6_PKS6_NS0_5tupleIJSF_S6_EEENSJ_IJSG_SG_EEENS0_18inequality_wrapperINSA_8equal_toIxEEEEPmJS6_EEE10hipError_tPvRmT3_T4_T5_T6_T7_T9_mT8_P12ihipStream_tbDpT10_ENKUlT_T0_E_clISt17integral_constantIbLb0EES19_IbLb1EEEEDaS15_S16_EUlS15_E_NS1_11comp_targetILNS1_3genE4ELNS1_11target_archE910ELNS1_3gpuE8ELNS1_3repE0EEENS1_30default_config_static_selectorELNS0_4arch9wavefront6targetE1EEEvT1_
    .private_segment_fixed_size: 0
    .sgpr_count:     4
    .sgpr_spill_count: 0
    .symbol:         _ZN7rocprim17ROCPRIM_400000_NS6detail17trampoline_kernelINS0_14default_configENS1_25partition_config_selectorILNS1_17partition_subalgoE8ExNS0_10empty_typeEbEEZZNS1_14partition_implILS5_8ELb0ES3_jN6thrust23THRUST_200600_302600_NS6detail15normal_iteratorINSA_10device_ptrIxEEEEPS6_PKS6_NS0_5tupleIJSF_S6_EEENSJ_IJSG_SG_EEENS0_18inequality_wrapperINSA_8equal_toIxEEEEPmJS6_EEE10hipError_tPvRmT3_T4_T5_T6_T7_T9_mT8_P12ihipStream_tbDpT10_ENKUlT_T0_E_clISt17integral_constantIbLb0EES19_IbLb1EEEEDaS15_S16_EUlS15_E_NS1_11comp_targetILNS1_3genE4ELNS1_11target_archE910ELNS1_3gpuE8ELNS1_3repE0EEENS1_30default_config_static_selectorELNS0_4arch9wavefront6targetE1EEEvT1_.kd
    .uniform_work_group_size: 1
    .uses_dynamic_stack: false
    .vgpr_count:     0
    .vgpr_spill_count: 0
    .wavefront_size: 64
  - .args:
      - .offset:         0
        .size:           128
        .value_kind:     by_value
    .group_segment_fixed_size: 0
    .kernarg_segment_align: 8
    .kernarg_segment_size: 128
    .language:       OpenCL C
    .language_version:
      - 2
      - 0
    .max_flat_workgroup_size: 512
    .name:           _ZN7rocprim17ROCPRIM_400000_NS6detail17trampoline_kernelINS0_14default_configENS1_25partition_config_selectorILNS1_17partition_subalgoE8ExNS0_10empty_typeEbEEZZNS1_14partition_implILS5_8ELb0ES3_jN6thrust23THRUST_200600_302600_NS6detail15normal_iteratorINSA_10device_ptrIxEEEEPS6_PKS6_NS0_5tupleIJSF_S6_EEENSJ_IJSG_SG_EEENS0_18inequality_wrapperINSA_8equal_toIxEEEEPmJS6_EEE10hipError_tPvRmT3_T4_T5_T6_T7_T9_mT8_P12ihipStream_tbDpT10_ENKUlT_T0_E_clISt17integral_constantIbLb0EES19_IbLb1EEEEDaS15_S16_EUlS15_E_NS1_11comp_targetILNS1_3genE3ELNS1_11target_archE908ELNS1_3gpuE7ELNS1_3repE0EEENS1_30default_config_static_selectorELNS0_4arch9wavefront6targetE1EEEvT1_
    .private_segment_fixed_size: 0
    .sgpr_count:     4
    .sgpr_spill_count: 0
    .symbol:         _ZN7rocprim17ROCPRIM_400000_NS6detail17trampoline_kernelINS0_14default_configENS1_25partition_config_selectorILNS1_17partition_subalgoE8ExNS0_10empty_typeEbEEZZNS1_14partition_implILS5_8ELb0ES3_jN6thrust23THRUST_200600_302600_NS6detail15normal_iteratorINSA_10device_ptrIxEEEEPS6_PKS6_NS0_5tupleIJSF_S6_EEENSJ_IJSG_SG_EEENS0_18inequality_wrapperINSA_8equal_toIxEEEEPmJS6_EEE10hipError_tPvRmT3_T4_T5_T6_T7_T9_mT8_P12ihipStream_tbDpT10_ENKUlT_T0_E_clISt17integral_constantIbLb0EES19_IbLb1EEEEDaS15_S16_EUlS15_E_NS1_11comp_targetILNS1_3genE3ELNS1_11target_archE908ELNS1_3gpuE7ELNS1_3repE0EEENS1_30default_config_static_selectorELNS0_4arch9wavefront6targetE1EEEvT1_.kd
    .uniform_work_group_size: 1
    .uses_dynamic_stack: false
    .vgpr_count:     0
    .vgpr_spill_count: 0
    .wavefront_size: 64
  - .args:
      - .offset:         0
        .size:           128
        .value_kind:     by_value
    .group_segment_fixed_size: 14344
    .kernarg_segment_align: 8
    .kernarg_segment_size: 128
    .language:       OpenCL C
    .language_version:
      - 2
      - 0
    .max_flat_workgroup_size: 256
    .name:           _ZN7rocprim17ROCPRIM_400000_NS6detail17trampoline_kernelINS0_14default_configENS1_25partition_config_selectorILNS1_17partition_subalgoE8ExNS0_10empty_typeEbEEZZNS1_14partition_implILS5_8ELb0ES3_jN6thrust23THRUST_200600_302600_NS6detail15normal_iteratorINSA_10device_ptrIxEEEEPS6_PKS6_NS0_5tupleIJSF_S6_EEENSJ_IJSG_SG_EEENS0_18inequality_wrapperINSA_8equal_toIxEEEEPmJS6_EEE10hipError_tPvRmT3_T4_T5_T6_T7_T9_mT8_P12ihipStream_tbDpT10_ENKUlT_T0_E_clISt17integral_constantIbLb0EES19_IbLb1EEEEDaS15_S16_EUlS15_E_NS1_11comp_targetILNS1_3genE2ELNS1_11target_archE906ELNS1_3gpuE6ELNS1_3repE0EEENS1_30default_config_static_selectorELNS0_4arch9wavefront6targetE1EEEvT1_
    .private_segment_fixed_size: 0
    .sgpr_count:     43
    .sgpr_spill_count: 0
    .symbol:         _ZN7rocprim17ROCPRIM_400000_NS6detail17trampoline_kernelINS0_14default_configENS1_25partition_config_selectorILNS1_17partition_subalgoE8ExNS0_10empty_typeEbEEZZNS1_14partition_implILS5_8ELb0ES3_jN6thrust23THRUST_200600_302600_NS6detail15normal_iteratorINSA_10device_ptrIxEEEEPS6_PKS6_NS0_5tupleIJSF_S6_EEENSJ_IJSG_SG_EEENS0_18inequality_wrapperINSA_8equal_toIxEEEEPmJS6_EEE10hipError_tPvRmT3_T4_T5_T6_T7_T9_mT8_P12ihipStream_tbDpT10_ENKUlT_T0_E_clISt17integral_constantIbLb0EES19_IbLb1EEEEDaS15_S16_EUlS15_E_NS1_11comp_targetILNS1_3genE2ELNS1_11target_archE906ELNS1_3gpuE6ELNS1_3repE0EEENS1_30default_config_static_selectorELNS0_4arch9wavefront6targetE1EEEvT1_.kd
    .uniform_work_group_size: 1
    .uses_dynamic_stack: false
    .vgpr_count:     60
    .vgpr_spill_count: 0
    .wavefront_size: 64
  - .args:
      - .offset:         0
        .size:           128
        .value_kind:     by_value
    .group_segment_fixed_size: 0
    .kernarg_segment_align: 8
    .kernarg_segment_size: 128
    .language:       OpenCL C
    .language_version:
      - 2
      - 0
    .max_flat_workgroup_size: 384
    .name:           _ZN7rocprim17ROCPRIM_400000_NS6detail17trampoline_kernelINS0_14default_configENS1_25partition_config_selectorILNS1_17partition_subalgoE8ExNS0_10empty_typeEbEEZZNS1_14partition_implILS5_8ELb0ES3_jN6thrust23THRUST_200600_302600_NS6detail15normal_iteratorINSA_10device_ptrIxEEEEPS6_PKS6_NS0_5tupleIJSF_S6_EEENSJ_IJSG_SG_EEENS0_18inequality_wrapperINSA_8equal_toIxEEEEPmJS6_EEE10hipError_tPvRmT3_T4_T5_T6_T7_T9_mT8_P12ihipStream_tbDpT10_ENKUlT_T0_E_clISt17integral_constantIbLb0EES19_IbLb1EEEEDaS15_S16_EUlS15_E_NS1_11comp_targetILNS1_3genE10ELNS1_11target_archE1200ELNS1_3gpuE4ELNS1_3repE0EEENS1_30default_config_static_selectorELNS0_4arch9wavefront6targetE1EEEvT1_
    .private_segment_fixed_size: 0
    .sgpr_count:     4
    .sgpr_spill_count: 0
    .symbol:         _ZN7rocprim17ROCPRIM_400000_NS6detail17trampoline_kernelINS0_14default_configENS1_25partition_config_selectorILNS1_17partition_subalgoE8ExNS0_10empty_typeEbEEZZNS1_14partition_implILS5_8ELb0ES3_jN6thrust23THRUST_200600_302600_NS6detail15normal_iteratorINSA_10device_ptrIxEEEEPS6_PKS6_NS0_5tupleIJSF_S6_EEENSJ_IJSG_SG_EEENS0_18inequality_wrapperINSA_8equal_toIxEEEEPmJS6_EEE10hipError_tPvRmT3_T4_T5_T6_T7_T9_mT8_P12ihipStream_tbDpT10_ENKUlT_T0_E_clISt17integral_constantIbLb0EES19_IbLb1EEEEDaS15_S16_EUlS15_E_NS1_11comp_targetILNS1_3genE10ELNS1_11target_archE1200ELNS1_3gpuE4ELNS1_3repE0EEENS1_30default_config_static_selectorELNS0_4arch9wavefront6targetE1EEEvT1_.kd
    .uniform_work_group_size: 1
    .uses_dynamic_stack: false
    .vgpr_count:     0
    .vgpr_spill_count: 0
    .wavefront_size: 64
  - .args:
      - .offset:         0
        .size:           128
        .value_kind:     by_value
    .group_segment_fixed_size: 0
    .kernarg_segment_align: 8
    .kernarg_segment_size: 128
    .language:       OpenCL C
    .language_version:
      - 2
      - 0
    .max_flat_workgroup_size: 512
    .name:           _ZN7rocprim17ROCPRIM_400000_NS6detail17trampoline_kernelINS0_14default_configENS1_25partition_config_selectorILNS1_17partition_subalgoE8ExNS0_10empty_typeEbEEZZNS1_14partition_implILS5_8ELb0ES3_jN6thrust23THRUST_200600_302600_NS6detail15normal_iteratorINSA_10device_ptrIxEEEEPS6_PKS6_NS0_5tupleIJSF_S6_EEENSJ_IJSG_SG_EEENS0_18inequality_wrapperINSA_8equal_toIxEEEEPmJS6_EEE10hipError_tPvRmT3_T4_T5_T6_T7_T9_mT8_P12ihipStream_tbDpT10_ENKUlT_T0_E_clISt17integral_constantIbLb0EES19_IbLb1EEEEDaS15_S16_EUlS15_E_NS1_11comp_targetILNS1_3genE9ELNS1_11target_archE1100ELNS1_3gpuE3ELNS1_3repE0EEENS1_30default_config_static_selectorELNS0_4arch9wavefront6targetE1EEEvT1_
    .private_segment_fixed_size: 0
    .sgpr_count:     4
    .sgpr_spill_count: 0
    .symbol:         _ZN7rocprim17ROCPRIM_400000_NS6detail17trampoline_kernelINS0_14default_configENS1_25partition_config_selectorILNS1_17partition_subalgoE8ExNS0_10empty_typeEbEEZZNS1_14partition_implILS5_8ELb0ES3_jN6thrust23THRUST_200600_302600_NS6detail15normal_iteratorINSA_10device_ptrIxEEEEPS6_PKS6_NS0_5tupleIJSF_S6_EEENSJ_IJSG_SG_EEENS0_18inequality_wrapperINSA_8equal_toIxEEEEPmJS6_EEE10hipError_tPvRmT3_T4_T5_T6_T7_T9_mT8_P12ihipStream_tbDpT10_ENKUlT_T0_E_clISt17integral_constantIbLb0EES19_IbLb1EEEEDaS15_S16_EUlS15_E_NS1_11comp_targetILNS1_3genE9ELNS1_11target_archE1100ELNS1_3gpuE3ELNS1_3repE0EEENS1_30default_config_static_selectorELNS0_4arch9wavefront6targetE1EEEvT1_.kd
    .uniform_work_group_size: 1
    .uses_dynamic_stack: false
    .vgpr_count:     0
    .vgpr_spill_count: 0
    .wavefront_size: 64
  - .args:
      - .offset:         0
        .size:           128
        .value_kind:     by_value
    .group_segment_fixed_size: 0
    .kernarg_segment_align: 8
    .kernarg_segment_size: 128
    .language:       OpenCL C
    .language_version:
      - 2
      - 0
    .max_flat_workgroup_size: 512
    .name:           _ZN7rocprim17ROCPRIM_400000_NS6detail17trampoline_kernelINS0_14default_configENS1_25partition_config_selectorILNS1_17partition_subalgoE8ExNS0_10empty_typeEbEEZZNS1_14partition_implILS5_8ELb0ES3_jN6thrust23THRUST_200600_302600_NS6detail15normal_iteratorINSA_10device_ptrIxEEEEPS6_PKS6_NS0_5tupleIJSF_S6_EEENSJ_IJSG_SG_EEENS0_18inequality_wrapperINSA_8equal_toIxEEEEPmJS6_EEE10hipError_tPvRmT3_T4_T5_T6_T7_T9_mT8_P12ihipStream_tbDpT10_ENKUlT_T0_E_clISt17integral_constantIbLb0EES19_IbLb1EEEEDaS15_S16_EUlS15_E_NS1_11comp_targetILNS1_3genE8ELNS1_11target_archE1030ELNS1_3gpuE2ELNS1_3repE0EEENS1_30default_config_static_selectorELNS0_4arch9wavefront6targetE1EEEvT1_
    .private_segment_fixed_size: 0
    .sgpr_count:     4
    .sgpr_spill_count: 0
    .symbol:         _ZN7rocprim17ROCPRIM_400000_NS6detail17trampoline_kernelINS0_14default_configENS1_25partition_config_selectorILNS1_17partition_subalgoE8ExNS0_10empty_typeEbEEZZNS1_14partition_implILS5_8ELb0ES3_jN6thrust23THRUST_200600_302600_NS6detail15normal_iteratorINSA_10device_ptrIxEEEEPS6_PKS6_NS0_5tupleIJSF_S6_EEENSJ_IJSG_SG_EEENS0_18inequality_wrapperINSA_8equal_toIxEEEEPmJS6_EEE10hipError_tPvRmT3_T4_T5_T6_T7_T9_mT8_P12ihipStream_tbDpT10_ENKUlT_T0_E_clISt17integral_constantIbLb0EES19_IbLb1EEEEDaS15_S16_EUlS15_E_NS1_11comp_targetILNS1_3genE8ELNS1_11target_archE1030ELNS1_3gpuE2ELNS1_3repE0EEENS1_30default_config_static_selectorELNS0_4arch9wavefront6targetE1EEEvT1_.kd
    .uniform_work_group_size: 1
    .uses_dynamic_stack: false
    .vgpr_count:     0
    .vgpr_spill_count: 0
    .wavefront_size: 64
  - .args:
      - .offset:         0
        .size:           112
        .value_kind:     by_value
    .group_segment_fixed_size: 0
    .kernarg_segment_align: 8
    .kernarg_segment_size: 112
    .language:       OpenCL C
    .language_version:
      - 2
      - 0
    .max_flat_workgroup_size: 512
    .name:           _ZN7rocprim17ROCPRIM_400000_NS6detail17trampoline_kernelINS0_14default_configENS1_25partition_config_selectorILNS1_17partition_subalgoE8ExNS0_10empty_typeEbEEZZNS1_14partition_implILS5_8ELb0ES3_jN6thrust23THRUST_200600_302600_NS6detail15normal_iteratorINSA_10device_ptrIxEEEEPS6_PKS6_NS0_5tupleIJSF_S6_EEENSJ_IJSG_SG_EEENS0_18inequality_wrapperI22is_equal_div_10_uniqueIxEEEPmJS6_EEE10hipError_tPvRmT3_T4_T5_T6_T7_T9_mT8_P12ihipStream_tbDpT10_ENKUlT_T0_E_clISt17integral_constantIbLb0EES1A_EEDaS15_S16_EUlS15_E_NS1_11comp_targetILNS1_3genE0ELNS1_11target_archE4294967295ELNS1_3gpuE0ELNS1_3repE0EEENS1_30default_config_static_selectorELNS0_4arch9wavefront6targetE1EEEvT1_
    .private_segment_fixed_size: 0
    .sgpr_count:     4
    .sgpr_spill_count: 0
    .symbol:         _ZN7rocprim17ROCPRIM_400000_NS6detail17trampoline_kernelINS0_14default_configENS1_25partition_config_selectorILNS1_17partition_subalgoE8ExNS0_10empty_typeEbEEZZNS1_14partition_implILS5_8ELb0ES3_jN6thrust23THRUST_200600_302600_NS6detail15normal_iteratorINSA_10device_ptrIxEEEEPS6_PKS6_NS0_5tupleIJSF_S6_EEENSJ_IJSG_SG_EEENS0_18inequality_wrapperI22is_equal_div_10_uniqueIxEEEPmJS6_EEE10hipError_tPvRmT3_T4_T5_T6_T7_T9_mT8_P12ihipStream_tbDpT10_ENKUlT_T0_E_clISt17integral_constantIbLb0EES1A_EEDaS15_S16_EUlS15_E_NS1_11comp_targetILNS1_3genE0ELNS1_11target_archE4294967295ELNS1_3gpuE0ELNS1_3repE0EEENS1_30default_config_static_selectorELNS0_4arch9wavefront6targetE1EEEvT1_.kd
    .uniform_work_group_size: 1
    .uses_dynamic_stack: false
    .vgpr_count:     0
    .vgpr_spill_count: 0
    .wavefront_size: 64
  - .args:
      - .offset:         0
        .size:           112
        .value_kind:     by_value
    .group_segment_fixed_size: 0
    .kernarg_segment_align: 8
    .kernarg_segment_size: 112
    .language:       OpenCL C
    .language_version:
      - 2
      - 0
    .max_flat_workgroup_size: 512
    .name:           _ZN7rocprim17ROCPRIM_400000_NS6detail17trampoline_kernelINS0_14default_configENS1_25partition_config_selectorILNS1_17partition_subalgoE8ExNS0_10empty_typeEbEEZZNS1_14partition_implILS5_8ELb0ES3_jN6thrust23THRUST_200600_302600_NS6detail15normal_iteratorINSA_10device_ptrIxEEEEPS6_PKS6_NS0_5tupleIJSF_S6_EEENSJ_IJSG_SG_EEENS0_18inequality_wrapperI22is_equal_div_10_uniqueIxEEEPmJS6_EEE10hipError_tPvRmT3_T4_T5_T6_T7_T9_mT8_P12ihipStream_tbDpT10_ENKUlT_T0_E_clISt17integral_constantIbLb0EES1A_EEDaS15_S16_EUlS15_E_NS1_11comp_targetILNS1_3genE5ELNS1_11target_archE942ELNS1_3gpuE9ELNS1_3repE0EEENS1_30default_config_static_selectorELNS0_4arch9wavefront6targetE1EEEvT1_
    .private_segment_fixed_size: 0
    .sgpr_count:     4
    .sgpr_spill_count: 0
    .symbol:         _ZN7rocprim17ROCPRIM_400000_NS6detail17trampoline_kernelINS0_14default_configENS1_25partition_config_selectorILNS1_17partition_subalgoE8ExNS0_10empty_typeEbEEZZNS1_14partition_implILS5_8ELb0ES3_jN6thrust23THRUST_200600_302600_NS6detail15normal_iteratorINSA_10device_ptrIxEEEEPS6_PKS6_NS0_5tupleIJSF_S6_EEENSJ_IJSG_SG_EEENS0_18inequality_wrapperI22is_equal_div_10_uniqueIxEEEPmJS6_EEE10hipError_tPvRmT3_T4_T5_T6_T7_T9_mT8_P12ihipStream_tbDpT10_ENKUlT_T0_E_clISt17integral_constantIbLb0EES1A_EEDaS15_S16_EUlS15_E_NS1_11comp_targetILNS1_3genE5ELNS1_11target_archE942ELNS1_3gpuE9ELNS1_3repE0EEENS1_30default_config_static_selectorELNS0_4arch9wavefront6targetE1EEEvT1_.kd
    .uniform_work_group_size: 1
    .uses_dynamic_stack: false
    .vgpr_count:     0
    .vgpr_spill_count: 0
    .wavefront_size: 64
  - .args:
      - .offset:         0
        .size:           112
        .value_kind:     by_value
    .group_segment_fixed_size: 0
    .kernarg_segment_align: 8
    .kernarg_segment_size: 112
    .language:       OpenCL C
    .language_version:
      - 2
      - 0
    .max_flat_workgroup_size: 256
    .name:           _ZN7rocprim17ROCPRIM_400000_NS6detail17trampoline_kernelINS0_14default_configENS1_25partition_config_selectorILNS1_17partition_subalgoE8ExNS0_10empty_typeEbEEZZNS1_14partition_implILS5_8ELb0ES3_jN6thrust23THRUST_200600_302600_NS6detail15normal_iteratorINSA_10device_ptrIxEEEEPS6_PKS6_NS0_5tupleIJSF_S6_EEENSJ_IJSG_SG_EEENS0_18inequality_wrapperI22is_equal_div_10_uniqueIxEEEPmJS6_EEE10hipError_tPvRmT3_T4_T5_T6_T7_T9_mT8_P12ihipStream_tbDpT10_ENKUlT_T0_E_clISt17integral_constantIbLb0EES1A_EEDaS15_S16_EUlS15_E_NS1_11comp_targetILNS1_3genE4ELNS1_11target_archE910ELNS1_3gpuE8ELNS1_3repE0EEENS1_30default_config_static_selectorELNS0_4arch9wavefront6targetE1EEEvT1_
    .private_segment_fixed_size: 0
    .sgpr_count:     4
    .sgpr_spill_count: 0
    .symbol:         _ZN7rocprim17ROCPRIM_400000_NS6detail17trampoline_kernelINS0_14default_configENS1_25partition_config_selectorILNS1_17partition_subalgoE8ExNS0_10empty_typeEbEEZZNS1_14partition_implILS5_8ELb0ES3_jN6thrust23THRUST_200600_302600_NS6detail15normal_iteratorINSA_10device_ptrIxEEEEPS6_PKS6_NS0_5tupleIJSF_S6_EEENSJ_IJSG_SG_EEENS0_18inequality_wrapperI22is_equal_div_10_uniqueIxEEEPmJS6_EEE10hipError_tPvRmT3_T4_T5_T6_T7_T9_mT8_P12ihipStream_tbDpT10_ENKUlT_T0_E_clISt17integral_constantIbLb0EES1A_EEDaS15_S16_EUlS15_E_NS1_11comp_targetILNS1_3genE4ELNS1_11target_archE910ELNS1_3gpuE8ELNS1_3repE0EEENS1_30default_config_static_selectorELNS0_4arch9wavefront6targetE1EEEvT1_.kd
    .uniform_work_group_size: 1
    .uses_dynamic_stack: false
    .vgpr_count:     0
    .vgpr_spill_count: 0
    .wavefront_size: 64
  - .args:
      - .offset:         0
        .size:           112
        .value_kind:     by_value
    .group_segment_fixed_size: 0
    .kernarg_segment_align: 8
    .kernarg_segment_size: 112
    .language:       OpenCL C
    .language_version:
      - 2
      - 0
    .max_flat_workgroup_size: 512
    .name:           _ZN7rocprim17ROCPRIM_400000_NS6detail17trampoline_kernelINS0_14default_configENS1_25partition_config_selectorILNS1_17partition_subalgoE8ExNS0_10empty_typeEbEEZZNS1_14partition_implILS5_8ELb0ES3_jN6thrust23THRUST_200600_302600_NS6detail15normal_iteratorINSA_10device_ptrIxEEEEPS6_PKS6_NS0_5tupleIJSF_S6_EEENSJ_IJSG_SG_EEENS0_18inequality_wrapperI22is_equal_div_10_uniqueIxEEEPmJS6_EEE10hipError_tPvRmT3_T4_T5_T6_T7_T9_mT8_P12ihipStream_tbDpT10_ENKUlT_T0_E_clISt17integral_constantIbLb0EES1A_EEDaS15_S16_EUlS15_E_NS1_11comp_targetILNS1_3genE3ELNS1_11target_archE908ELNS1_3gpuE7ELNS1_3repE0EEENS1_30default_config_static_selectorELNS0_4arch9wavefront6targetE1EEEvT1_
    .private_segment_fixed_size: 0
    .sgpr_count:     4
    .sgpr_spill_count: 0
    .symbol:         _ZN7rocprim17ROCPRIM_400000_NS6detail17trampoline_kernelINS0_14default_configENS1_25partition_config_selectorILNS1_17partition_subalgoE8ExNS0_10empty_typeEbEEZZNS1_14partition_implILS5_8ELb0ES3_jN6thrust23THRUST_200600_302600_NS6detail15normal_iteratorINSA_10device_ptrIxEEEEPS6_PKS6_NS0_5tupleIJSF_S6_EEENSJ_IJSG_SG_EEENS0_18inequality_wrapperI22is_equal_div_10_uniqueIxEEEPmJS6_EEE10hipError_tPvRmT3_T4_T5_T6_T7_T9_mT8_P12ihipStream_tbDpT10_ENKUlT_T0_E_clISt17integral_constantIbLb0EES1A_EEDaS15_S16_EUlS15_E_NS1_11comp_targetILNS1_3genE3ELNS1_11target_archE908ELNS1_3gpuE7ELNS1_3repE0EEENS1_30default_config_static_selectorELNS0_4arch9wavefront6targetE1EEEvT1_.kd
    .uniform_work_group_size: 1
    .uses_dynamic_stack: false
    .vgpr_count:     0
    .vgpr_spill_count: 0
    .wavefront_size: 64
  - .args:
      - .offset:         0
        .size:           112
        .value_kind:     by_value
    .group_segment_fixed_size: 14344
    .kernarg_segment_align: 8
    .kernarg_segment_size: 112
    .language:       OpenCL C
    .language_version:
      - 2
      - 0
    .max_flat_workgroup_size: 256
    .name:           _ZN7rocprim17ROCPRIM_400000_NS6detail17trampoline_kernelINS0_14default_configENS1_25partition_config_selectorILNS1_17partition_subalgoE8ExNS0_10empty_typeEbEEZZNS1_14partition_implILS5_8ELb0ES3_jN6thrust23THRUST_200600_302600_NS6detail15normal_iteratorINSA_10device_ptrIxEEEEPS6_PKS6_NS0_5tupleIJSF_S6_EEENSJ_IJSG_SG_EEENS0_18inequality_wrapperI22is_equal_div_10_uniqueIxEEEPmJS6_EEE10hipError_tPvRmT3_T4_T5_T6_T7_T9_mT8_P12ihipStream_tbDpT10_ENKUlT_T0_E_clISt17integral_constantIbLb0EES1A_EEDaS15_S16_EUlS15_E_NS1_11comp_targetILNS1_3genE2ELNS1_11target_archE906ELNS1_3gpuE6ELNS1_3repE0EEENS1_30default_config_static_selectorELNS0_4arch9wavefront6targetE1EEEvT1_
    .private_segment_fixed_size: 0
    .sgpr_count:     44
    .sgpr_spill_count: 0
    .symbol:         _ZN7rocprim17ROCPRIM_400000_NS6detail17trampoline_kernelINS0_14default_configENS1_25partition_config_selectorILNS1_17partition_subalgoE8ExNS0_10empty_typeEbEEZZNS1_14partition_implILS5_8ELb0ES3_jN6thrust23THRUST_200600_302600_NS6detail15normal_iteratorINSA_10device_ptrIxEEEEPS6_PKS6_NS0_5tupleIJSF_S6_EEENSJ_IJSG_SG_EEENS0_18inequality_wrapperI22is_equal_div_10_uniqueIxEEEPmJS6_EEE10hipError_tPvRmT3_T4_T5_T6_T7_T9_mT8_P12ihipStream_tbDpT10_ENKUlT_T0_E_clISt17integral_constantIbLb0EES1A_EEDaS15_S16_EUlS15_E_NS1_11comp_targetILNS1_3genE2ELNS1_11target_archE906ELNS1_3gpuE6ELNS1_3repE0EEENS1_30default_config_static_selectorELNS0_4arch9wavefront6targetE1EEEvT1_.kd
    .uniform_work_group_size: 1
    .uses_dynamic_stack: false
    .vgpr_count:     58
    .vgpr_spill_count: 0
    .wavefront_size: 64
  - .args:
      - .offset:         0
        .size:           112
        .value_kind:     by_value
    .group_segment_fixed_size: 0
    .kernarg_segment_align: 8
    .kernarg_segment_size: 112
    .language:       OpenCL C
    .language_version:
      - 2
      - 0
    .max_flat_workgroup_size: 384
    .name:           _ZN7rocprim17ROCPRIM_400000_NS6detail17trampoline_kernelINS0_14default_configENS1_25partition_config_selectorILNS1_17partition_subalgoE8ExNS0_10empty_typeEbEEZZNS1_14partition_implILS5_8ELb0ES3_jN6thrust23THRUST_200600_302600_NS6detail15normal_iteratorINSA_10device_ptrIxEEEEPS6_PKS6_NS0_5tupleIJSF_S6_EEENSJ_IJSG_SG_EEENS0_18inequality_wrapperI22is_equal_div_10_uniqueIxEEEPmJS6_EEE10hipError_tPvRmT3_T4_T5_T6_T7_T9_mT8_P12ihipStream_tbDpT10_ENKUlT_T0_E_clISt17integral_constantIbLb0EES1A_EEDaS15_S16_EUlS15_E_NS1_11comp_targetILNS1_3genE10ELNS1_11target_archE1200ELNS1_3gpuE4ELNS1_3repE0EEENS1_30default_config_static_selectorELNS0_4arch9wavefront6targetE1EEEvT1_
    .private_segment_fixed_size: 0
    .sgpr_count:     4
    .sgpr_spill_count: 0
    .symbol:         _ZN7rocprim17ROCPRIM_400000_NS6detail17trampoline_kernelINS0_14default_configENS1_25partition_config_selectorILNS1_17partition_subalgoE8ExNS0_10empty_typeEbEEZZNS1_14partition_implILS5_8ELb0ES3_jN6thrust23THRUST_200600_302600_NS6detail15normal_iteratorINSA_10device_ptrIxEEEEPS6_PKS6_NS0_5tupleIJSF_S6_EEENSJ_IJSG_SG_EEENS0_18inequality_wrapperI22is_equal_div_10_uniqueIxEEEPmJS6_EEE10hipError_tPvRmT3_T4_T5_T6_T7_T9_mT8_P12ihipStream_tbDpT10_ENKUlT_T0_E_clISt17integral_constantIbLb0EES1A_EEDaS15_S16_EUlS15_E_NS1_11comp_targetILNS1_3genE10ELNS1_11target_archE1200ELNS1_3gpuE4ELNS1_3repE0EEENS1_30default_config_static_selectorELNS0_4arch9wavefront6targetE1EEEvT1_.kd
    .uniform_work_group_size: 1
    .uses_dynamic_stack: false
    .vgpr_count:     0
    .vgpr_spill_count: 0
    .wavefront_size: 64
  - .args:
      - .offset:         0
        .size:           112
        .value_kind:     by_value
    .group_segment_fixed_size: 0
    .kernarg_segment_align: 8
    .kernarg_segment_size: 112
    .language:       OpenCL C
    .language_version:
      - 2
      - 0
    .max_flat_workgroup_size: 512
    .name:           _ZN7rocprim17ROCPRIM_400000_NS6detail17trampoline_kernelINS0_14default_configENS1_25partition_config_selectorILNS1_17partition_subalgoE8ExNS0_10empty_typeEbEEZZNS1_14partition_implILS5_8ELb0ES3_jN6thrust23THRUST_200600_302600_NS6detail15normal_iteratorINSA_10device_ptrIxEEEEPS6_PKS6_NS0_5tupleIJSF_S6_EEENSJ_IJSG_SG_EEENS0_18inequality_wrapperI22is_equal_div_10_uniqueIxEEEPmJS6_EEE10hipError_tPvRmT3_T4_T5_T6_T7_T9_mT8_P12ihipStream_tbDpT10_ENKUlT_T0_E_clISt17integral_constantIbLb0EES1A_EEDaS15_S16_EUlS15_E_NS1_11comp_targetILNS1_3genE9ELNS1_11target_archE1100ELNS1_3gpuE3ELNS1_3repE0EEENS1_30default_config_static_selectorELNS0_4arch9wavefront6targetE1EEEvT1_
    .private_segment_fixed_size: 0
    .sgpr_count:     4
    .sgpr_spill_count: 0
    .symbol:         _ZN7rocprim17ROCPRIM_400000_NS6detail17trampoline_kernelINS0_14default_configENS1_25partition_config_selectorILNS1_17partition_subalgoE8ExNS0_10empty_typeEbEEZZNS1_14partition_implILS5_8ELb0ES3_jN6thrust23THRUST_200600_302600_NS6detail15normal_iteratorINSA_10device_ptrIxEEEEPS6_PKS6_NS0_5tupleIJSF_S6_EEENSJ_IJSG_SG_EEENS0_18inequality_wrapperI22is_equal_div_10_uniqueIxEEEPmJS6_EEE10hipError_tPvRmT3_T4_T5_T6_T7_T9_mT8_P12ihipStream_tbDpT10_ENKUlT_T0_E_clISt17integral_constantIbLb0EES1A_EEDaS15_S16_EUlS15_E_NS1_11comp_targetILNS1_3genE9ELNS1_11target_archE1100ELNS1_3gpuE3ELNS1_3repE0EEENS1_30default_config_static_selectorELNS0_4arch9wavefront6targetE1EEEvT1_.kd
    .uniform_work_group_size: 1
    .uses_dynamic_stack: false
    .vgpr_count:     0
    .vgpr_spill_count: 0
    .wavefront_size: 64
  - .args:
      - .offset:         0
        .size:           112
        .value_kind:     by_value
    .group_segment_fixed_size: 0
    .kernarg_segment_align: 8
    .kernarg_segment_size: 112
    .language:       OpenCL C
    .language_version:
      - 2
      - 0
    .max_flat_workgroup_size: 512
    .name:           _ZN7rocprim17ROCPRIM_400000_NS6detail17trampoline_kernelINS0_14default_configENS1_25partition_config_selectorILNS1_17partition_subalgoE8ExNS0_10empty_typeEbEEZZNS1_14partition_implILS5_8ELb0ES3_jN6thrust23THRUST_200600_302600_NS6detail15normal_iteratorINSA_10device_ptrIxEEEEPS6_PKS6_NS0_5tupleIJSF_S6_EEENSJ_IJSG_SG_EEENS0_18inequality_wrapperI22is_equal_div_10_uniqueIxEEEPmJS6_EEE10hipError_tPvRmT3_T4_T5_T6_T7_T9_mT8_P12ihipStream_tbDpT10_ENKUlT_T0_E_clISt17integral_constantIbLb0EES1A_EEDaS15_S16_EUlS15_E_NS1_11comp_targetILNS1_3genE8ELNS1_11target_archE1030ELNS1_3gpuE2ELNS1_3repE0EEENS1_30default_config_static_selectorELNS0_4arch9wavefront6targetE1EEEvT1_
    .private_segment_fixed_size: 0
    .sgpr_count:     4
    .sgpr_spill_count: 0
    .symbol:         _ZN7rocprim17ROCPRIM_400000_NS6detail17trampoline_kernelINS0_14default_configENS1_25partition_config_selectorILNS1_17partition_subalgoE8ExNS0_10empty_typeEbEEZZNS1_14partition_implILS5_8ELb0ES3_jN6thrust23THRUST_200600_302600_NS6detail15normal_iteratorINSA_10device_ptrIxEEEEPS6_PKS6_NS0_5tupleIJSF_S6_EEENSJ_IJSG_SG_EEENS0_18inequality_wrapperI22is_equal_div_10_uniqueIxEEEPmJS6_EEE10hipError_tPvRmT3_T4_T5_T6_T7_T9_mT8_P12ihipStream_tbDpT10_ENKUlT_T0_E_clISt17integral_constantIbLb0EES1A_EEDaS15_S16_EUlS15_E_NS1_11comp_targetILNS1_3genE8ELNS1_11target_archE1030ELNS1_3gpuE2ELNS1_3repE0EEENS1_30default_config_static_selectorELNS0_4arch9wavefront6targetE1EEEvT1_.kd
    .uniform_work_group_size: 1
    .uses_dynamic_stack: false
    .vgpr_count:     0
    .vgpr_spill_count: 0
    .wavefront_size: 64
  - .args:
      - .offset:         0
        .size:           128
        .value_kind:     by_value
    .group_segment_fixed_size: 0
    .kernarg_segment_align: 8
    .kernarg_segment_size: 128
    .language:       OpenCL C
    .language_version:
      - 2
      - 0
    .max_flat_workgroup_size: 512
    .name:           _ZN7rocprim17ROCPRIM_400000_NS6detail17trampoline_kernelINS0_14default_configENS1_25partition_config_selectorILNS1_17partition_subalgoE8ExNS0_10empty_typeEbEEZZNS1_14partition_implILS5_8ELb0ES3_jN6thrust23THRUST_200600_302600_NS6detail15normal_iteratorINSA_10device_ptrIxEEEEPS6_PKS6_NS0_5tupleIJSF_S6_EEENSJ_IJSG_SG_EEENS0_18inequality_wrapperI22is_equal_div_10_uniqueIxEEEPmJS6_EEE10hipError_tPvRmT3_T4_T5_T6_T7_T9_mT8_P12ihipStream_tbDpT10_ENKUlT_T0_E_clISt17integral_constantIbLb1EES1A_EEDaS15_S16_EUlS15_E_NS1_11comp_targetILNS1_3genE0ELNS1_11target_archE4294967295ELNS1_3gpuE0ELNS1_3repE0EEENS1_30default_config_static_selectorELNS0_4arch9wavefront6targetE1EEEvT1_
    .private_segment_fixed_size: 0
    .sgpr_count:     4
    .sgpr_spill_count: 0
    .symbol:         _ZN7rocprim17ROCPRIM_400000_NS6detail17trampoline_kernelINS0_14default_configENS1_25partition_config_selectorILNS1_17partition_subalgoE8ExNS0_10empty_typeEbEEZZNS1_14partition_implILS5_8ELb0ES3_jN6thrust23THRUST_200600_302600_NS6detail15normal_iteratorINSA_10device_ptrIxEEEEPS6_PKS6_NS0_5tupleIJSF_S6_EEENSJ_IJSG_SG_EEENS0_18inequality_wrapperI22is_equal_div_10_uniqueIxEEEPmJS6_EEE10hipError_tPvRmT3_T4_T5_T6_T7_T9_mT8_P12ihipStream_tbDpT10_ENKUlT_T0_E_clISt17integral_constantIbLb1EES1A_EEDaS15_S16_EUlS15_E_NS1_11comp_targetILNS1_3genE0ELNS1_11target_archE4294967295ELNS1_3gpuE0ELNS1_3repE0EEENS1_30default_config_static_selectorELNS0_4arch9wavefront6targetE1EEEvT1_.kd
    .uniform_work_group_size: 1
    .uses_dynamic_stack: false
    .vgpr_count:     0
    .vgpr_spill_count: 0
    .wavefront_size: 64
  - .args:
      - .offset:         0
        .size:           128
        .value_kind:     by_value
    .group_segment_fixed_size: 0
    .kernarg_segment_align: 8
    .kernarg_segment_size: 128
    .language:       OpenCL C
    .language_version:
      - 2
      - 0
    .max_flat_workgroup_size: 512
    .name:           _ZN7rocprim17ROCPRIM_400000_NS6detail17trampoline_kernelINS0_14default_configENS1_25partition_config_selectorILNS1_17partition_subalgoE8ExNS0_10empty_typeEbEEZZNS1_14partition_implILS5_8ELb0ES3_jN6thrust23THRUST_200600_302600_NS6detail15normal_iteratorINSA_10device_ptrIxEEEEPS6_PKS6_NS0_5tupleIJSF_S6_EEENSJ_IJSG_SG_EEENS0_18inequality_wrapperI22is_equal_div_10_uniqueIxEEEPmJS6_EEE10hipError_tPvRmT3_T4_T5_T6_T7_T9_mT8_P12ihipStream_tbDpT10_ENKUlT_T0_E_clISt17integral_constantIbLb1EES1A_EEDaS15_S16_EUlS15_E_NS1_11comp_targetILNS1_3genE5ELNS1_11target_archE942ELNS1_3gpuE9ELNS1_3repE0EEENS1_30default_config_static_selectorELNS0_4arch9wavefront6targetE1EEEvT1_
    .private_segment_fixed_size: 0
    .sgpr_count:     4
    .sgpr_spill_count: 0
    .symbol:         _ZN7rocprim17ROCPRIM_400000_NS6detail17trampoline_kernelINS0_14default_configENS1_25partition_config_selectorILNS1_17partition_subalgoE8ExNS0_10empty_typeEbEEZZNS1_14partition_implILS5_8ELb0ES3_jN6thrust23THRUST_200600_302600_NS6detail15normal_iteratorINSA_10device_ptrIxEEEEPS6_PKS6_NS0_5tupleIJSF_S6_EEENSJ_IJSG_SG_EEENS0_18inequality_wrapperI22is_equal_div_10_uniqueIxEEEPmJS6_EEE10hipError_tPvRmT3_T4_T5_T6_T7_T9_mT8_P12ihipStream_tbDpT10_ENKUlT_T0_E_clISt17integral_constantIbLb1EES1A_EEDaS15_S16_EUlS15_E_NS1_11comp_targetILNS1_3genE5ELNS1_11target_archE942ELNS1_3gpuE9ELNS1_3repE0EEENS1_30default_config_static_selectorELNS0_4arch9wavefront6targetE1EEEvT1_.kd
    .uniform_work_group_size: 1
    .uses_dynamic_stack: false
    .vgpr_count:     0
    .vgpr_spill_count: 0
    .wavefront_size: 64
  - .args:
      - .offset:         0
        .size:           128
        .value_kind:     by_value
    .group_segment_fixed_size: 0
    .kernarg_segment_align: 8
    .kernarg_segment_size: 128
    .language:       OpenCL C
    .language_version:
      - 2
      - 0
    .max_flat_workgroup_size: 256
    .name:           _ZN7rocprim17ROCPRIM_400000_NS6detail17trampoline_kernelINS0_14default_configENS1_25partition_config_selectorILNS1_17partition_subalgoE8ExNS0_10empty_typeEbEEZZNS1_14partition_implILS5_8ELb0ES3_jN6thrust23THRUST_200600_302600_NS6detail15normal_iteratorINSA_10device_ptrIxEEEEPS6_PKS6_NS0_5tupleIJSF_S6_EEENSJ_IJSG_SG_EEENS0_18inequality_wrapperI22is_equal_div_10_uniqueIxEEEPmJS6_EEE10hipError_tPvRmT3_T4_T5_T6_T7_T9_mT8_P12ihipStream_tbDpT10_ENKUlT_T0_E_clISt17integral_constantIbLb1EES1A_EEDaS15_S16_EUlS15_E_NS1_11comp_targetILNS1_3genE4ELNS1_11target_archE910ELNS1_3gpuE8ELNS1_3repE0EEENS1_30default_config_static_selectorELNS0_4arch9wavefront6targetE1EEEvT1_
    .private_segment_fixed_size: 0
    .sgpr_count:     4
    .sgpr_spill_count: 0
    .symbol:         _ZN7rocprim17ROCPRIM_400000_NS6detail17trampoline_kernelINS0_14default_configENS1_25partition_config_selectorILNS1_17partition_subalgoE8ExNS0_10empty_typeEbEEZZNS1_14partition_implILS5_8ELb0ES3_jN6thrust23THRUST_200600_302600_NS6detail15normal_iteratorINSA_10device_ptrIxEEEEPS6_PKS6_NS0_5tupleIJSF_S6_EEENSJ_IJSG_SG_EEENS0_18inequality_wrapperI22is_equal_div_10_uniqueIxEEEPmJS6_EEE10hipError_tPvRmT3_T4_T5_T6_T7_T9_mT8_P12ihipStream_tbDpT10_ENKUlT_T0_E_clISt17integral_constantIbLb1EES1A_EEDaS15_S16_EUlS15_E_NS1_11comp_targetILNS1_3genE4ELNS1_11target_archE910ELNS1_3gpuE8ELNS1_3repE0EEENS1_30default_config_static_selectorELNS0_4arch9wavefront6targetE1EEEvT1_.kd
    .uniform_work_group_size: 1
    .uses_dynamic_stack: false
    .vgpr_count:     0
    .vgpr_spill_count: 0
    .wavefront_size: 64
  - .args:
      - .offset:         0
        .size:           128
        .value_kind:     by_value
    .group_segment_fixed_size: 0
    .kernarg_segment_align: 8
    .kernarg_segment_size: 128
    .language:       OpenCL C
    .language_version:
      - 2
      - 0
    .max_flat_workgroup_size: 512
    .name:           _ZN7rocprim17ROCPRIM_400000_NS6detail17trampoline_kernelINS0_14default_configENS1_25partition_config_selectorILNS1_17partition_subalgoE8ExNS0_10empty_typeEbEEZZNS1_14partition_implILS5_8ELb0ES3_jN6thrust23THRUST_200600_302600_NS6detail15normal_iteratorINSA_10device_ptrIxEEEEPS6_PKS6_NS0_5tupleIJSF_S6_EEENSJ_IJSG_SG_EEENS0_18inequality_wrapperI22is_equal_div_10_uniqueIxEEEPmJS6_EEE10hipError_tPvRmT3_T4_T5_T6_T7_T9_mT8_P12ihipStream_tbDpT10_ENKUlT_T0_E_clISt17integral_constantIbLb1EES1A_EEDaS15_S16_EUlS15_E_NS1_11comp_targetILNS1_3genE3ELNS1_11target_archE908ELNS1_3gpuE7ELNS1_3repE0EEENS1_30default_config_static_selectorELNS0_4arch9wavefront6targetE1EEEvT1_
    .private_segment_fixed_size: 0
    .sgpr_count:     4
    .sgpr_spill_count: 0
    .symbol:         _ZN7rocprim17ROCPRIM_400000_NS6detail17trampoline_kernelINS0_14default_configENS1_25partition_config_selectorILNS1_17partition_subalgoE8ExNS0_10empty_typeEbEEZZNS1_14partition_implILS5_8ELb0ES3_jN6thrust23THRUST_200600_302600_NS6detail15normal_iteratorINSA_10device_ptrIxEEEEPS6_PKS6_NS0_5tupleIJSF_S6_EEENSJ_IJSG_SG_EEENS0_18inequality_wrapperI22is_equal_div_10_uniqueIxEEEPmJS6_EEE10hipError_tPvRmT3_T4_T5_T6_T7_T9_mT8_P12ihipStream_tbDpT10_ENKUlT_T0_E_clISt17integral_constantIbLb1EES1A_EEDaS15_S16_EUlS15_E_NS1_11comp_targetILNS1_3genE3ELNS1_11target_archE908ELNS1_3gpuE7ELNS1_3repE0EEENS1_30default_config_static_selectorELNS0_4arch9wavefront6targetE1EEEvT1_.kd
    .uniform_work_group_size: 1
    .uses_dynamic_stack: false
    .vgpr_count:     0
    .vgpr_spill_count: 0
    .wavefront_size: 64
  - .args:
      - .offset:         0
        .size:           128
        .value_kind:     by_value
    .group_segment_fixed_size: 0
    .kernarg_segment_align: 8
    .kernarg_segment_size: 128
    .language:       OpenCL C
    .language_version:
      - 2
      - 0
    .max_flat_workgroup_size: 256
    .name:           _ZN7rocprim17ROCPRIM_400000_NS6detail17trampoline_kernelINS0_14default_configENS1_25partition_config_selectorILNS1_17partition_subalgoE8ExNS0_10empty_typeEbEEZZNS1_14partition_implILS5_8ELb0ES3_jN6thrust23THRUST_200600_302600_NS6detail15normal_iteratorINSA_10device_ptrIxEEEEPS6_PKS6_NS0_5tupleIJSF_S6_EEENSJ_IJSG_SG_EEENS0_18inequality_wrapperI22is_equal_div_10_uniqueIxEEEPmJS6_EEE10hipError_tPvRmT3_T4_T5_T6_T7_T9_mT8_P12ihipStream_tbDpT10_ENKUlT_T0_E_clISt17integral_constantIbLb1EES1A_EEDaS15_S16_EUlS15_E_NS1_11comp_targetILNS1_3genE2ELNS1_11target_archE906ELNS1_3gpuE6ELNS1_3repE0EEENS1_30default_config_static_selectorELNS0_4arch9wavefront6targetE1EEEvT1_
    .private_segment_fixed_size: 0
    .sgpr_count:     4
    .sgpr_spill_count: 0
    .symbol:         _ZN7rocprim17ROCPRIM_400000_NS6detail17trampoline_kernelINS0_14default_configENS1_25partition_config_selectorILNS1_17partition_subalgoE8ExNS0_10empty_typeEbEEZZNS1_14partition_implILS5_8ELb0ES3_jN6thrust23THRUST_200600_302600_NS6detail15normal_iteratorINSA_10device_ptrIxEEEEPS6_PKS6_NS0_5tupleIJSF_S6_EEENSJ_IJSG_SG_EEENS0_18inequality_wrapperI22is_equal_div_10_uniqueIxEEEPmJS6_EEE10hipError_tPvRmT3_T4_T5_T6_T7_T9_mT8_P12ihipStream_tbDpT10_ENKUlT_T0_E_clISt17integral_constantIbLb1EES1A_EEDaS15_S16_EUlS15_E_NS1_11comp_targetILNS1_3genE2ELNS1_11target_archE906ELNS1_3gpuE6ELNS1_3repE0EEENS1_30default_config_static_selectorELNS0_4arch9wavefront6targetE1EEEvT1_.kd
    .uniform_work_group_size: 1
    .uses_dynamic_stack: false
    .vgpr_count:     0
    .vgpr_spill_count: 0
    .wavefront_size: 64
  - .args:
      - .offset:         0
        .size:           128
        .value_kind:     by_value
    .group_segment_fixed_size: 0
    .kernarg_segment_align: 8
    .kernarg_segment_size: 128
    .language:       OpenCL C
    .language_version:
      - 2
      - 0
    .max_flat_workgroup_size: 384
    .name:           _ZN7rocprim17ROCPRIM_400000_NS6detail17trampoline_kernelINS0_14default_configENS1_25partition_config_selectorILNS1_17partition_subalgoE8ExNS0_10empty_typeEbEEZZNS1_14partition_implILS5_8ELb0ES3_jN6thrust23THRUST_200600_302600_NS6detail15normal_iteratorINSA_10device_ptrIxEEEEPS6_PKS6_NS0_5tupleIJSF_S6_EEENSJ_IJSG_SG_EEENS0_18inequality_wrapperI22is_equal_div_10_uniqueIxEEEPmJS6_EEE10hipError_tPvRmT3_T4_T5_T6_T7_T9_mT8_P12ihipStream_tbDpT10_ENKUlT_T0_E_clISt17integral_constantIbLb1EES1A_EEDaS15_S16_EUlS15_E_NS1_11comp_targetILNS1_3genE10ELNS1_11target_archE1200ELNS1_3gpuE4ELNS1_3repE0EEENS1_30default_config_static_selectorELNS0_4arch9wavefront6targetE1EEEvT1_
    .private_segment_fixed_size: 0
    .sgpr_count:     4
    .sgpr_spill_count: 0
    .symbol:         _ZN7rocprim17ROCPRIM_400000_NS6detail17trampoline_kernelINS0_14default_configENS1_25partition_config_selectorILNS1_17partition_subalgoE8ExNS0_10empty_typeEbEEZZNS1_14partition_implILS5_8ELb0ES3_jN6thrust23THRUST_200600_302600_NS6detail15normal_iteratorINSA_10device_ptrIxEEEEPS6_PKS6_NS0_5tupleIJSF_S6_EEENSJ_IJSG_SG_EEENS0_18inequality_wrapperI22is_equal_div_10_uniqueIxEEEPmJS6_EEE10hipError_tPvRmT3_T4_T5_T6_T7_T9_mT8_P12ihipStream_tbDpT10_ENKUlT_T0_E_clISt17integral_constantIbLb1EES1A_EEDaS15_S16_EUlS15_E_NS1_11comp_targetILNS1_3genE10ELNS1_11target_archE1200ELNS1_3gpuE4ELNS1_3repE0EEENS1_30default_config_static_selectorELNS0_4arch9wavefront6targetE1EEEvT1_.kd
    .uniform_work_group_size: 1
    .uses_dynamic_stack: false
    .vgpr_count:     0
    .vgpr_spill_count: 0
    .wavefront_size: 64
  - .args:
      - .offset:         0
        .size:           128
        .value_kind:     by_value
    .group_segment_fixed_size: 0
    .kernarg_segment_align: 8
    .kernarg_segment_size: 128
    .language:       OpenCL C
    .language_version:
      - 2
      - 0
    .max_flat_workgroup_size: 512
    .name:           _ZN7rocprim17ROCPRIM_400000_NS6detail17trampoline_kernelINS0_14default_configENS1_25partition_config_selectorILNS1_17partition_subalgoE8ExNS0_10empty_typeEbEEZZNS1_14partition_implILS5_8ELb0ES3_jN6thrust23THRUST_200600_302600_NS6detail15normal_iteratorINSA_10device_ptrIxEEEEPS6_PKS6_NS0_5tupleIJSF_S6_EEENSJ_IJSG_SG_EEENS0_18inequality_wrapperI22is_equal_div_10_uniqueIxEEEPmJS6_EEE10hipError_tPvRmT3_T4_T5_T6_T7_T9_mT8_P12ihipStream_tbDpT10_ENKUlT_T0_E_clISt17integral_constantIbLb1EES1A_EEDaS15_S16_EUlS15_E_NS1_11comp_targetILNS1_3genE9ELNS1_11target_archE1100ELNS1_3gpuE3ELNS1_3repE0EEENS1_30default_config_static_selectorELNS0_4arch9wavefront6targetE1EEEvT1_
    .private_segment_fixed_size: 0
    .sgpr_count:     4
    .sgpr_spill_count: 0
    .symbol:         _ZN7rocprim17ROCPRIM_400000_NS6detail17trampoline_kernelINS0_14default_configENS1_25partition_config_selectorILNS1_17partition_subalgoE8ExNS0_10empty_typeEbEEZZNS1_14partition_implILS5_8ELb0ES3_jN6thrust23THRUST_200600_302600_NS6detail15normal_iteratorINSA_10device_ptrIxEEEEPS6_PKS6_NS0_5tupleIJSF_S6_EEENSJ_IJSG_SG_EEENS0_18inequality_wrapperI22is_equal_div_10_uniqueIxEEEPmJS6_EEE10hipError_tPvRmT3_T4_T5_T6_T7_T9_mT8_P12ihipStream_tbDpT10_ENKUlT_T0_E_clISt17integral_constantIbLb1EES1A_EEDaS15_S16_EUlS15_E_NS1_11comp_targetILNS1_3genE9ELNS1_11target_archE1100ELNS1_3gpuE3ELNS1_3repE0EEENS1_30default_config_static_selectorELNS0_4arch9wavefront6targetE1EEEvT1_.kd
    .uniform_work_group_size: 1
    .uses_dynamic_stack: false
    .vgpr_count:     0
    .vgpr_spill_count: 0
    .wavefront_size: 64
  - .args:
      - .offset:         0
        .size:           128
        .value_kind:     by_value
    .group_segment_fixed_size: 0
    .kernarg_segment_align: 8
    .kernarg_segment_size: 128
    .language:       OpenCL C
    .language_version:
      - 2
      - 0
    .max_flat_workgroup_size: 512
    .name:           _ZN7rocprim17ROCPRIM_400000_NS6detail17trampoline_kernelINS0_14default_configENS1_25partition_config_selectorILNS1_17partition_subalgoE8ExNS0_10empty_typeEbEEZZNS1_14partition_implILS5_8ELb0ES3_jN6thrust23THRUST_200600_302600_NS6detail15normal_iteratorINSA_10device_ptrIxEEEEPS6_PKS6_NS0_5tupleIJSF_S6_EEENSJ_IJSG_SG_EEENS0_18inequality_wrapperI22is_equal_div_10_uniqueIxEEEPmJS6_EEE10hipError_tPvRmT3_T4_T5_T6_T7_T9_mT8_P12ihipStream_tbDpT10_ENKUlT_T0_E_clISt17integral_constantIbLb1EES1A_EEDaS15_S16_EUlS15_E_NS1_11comp_targetILNS1_3genE8ELNS1_11target_archE1030ELNS1_3gpuE2ELNS1_3repE0EEENS1_30default_config_static_selectorELNS0_4arch9wavefront6targetE1EEEvT1_
    .private_segment_fixed_size: 0
    .sgpr_count:     4
    .sgpr_spill_count: 0
    .symbol:         _ZN7rocprim17ROCPRIM_400000_NS6detail17trampoline_kernelINS0_14default_configENS1_25partition_config_selectorILNS1_17partition_subalgoE8ExNS0_10empty_typeEbEEZZNS1_14partition_implILS5_8ELb0ES3_jN6thrust23THRUST_200600_302600_NS6detail15normal_iteratorINSA_10device_ptrIxEEEEPS6_PKS6_NS0_5tupleIJSF_S6_EEENSJ_IJSG_SG_EEENS0_18inequality_wrapperI22is_equal_div_10_uniqueIxEEEPmJS6_EEE10hipError_tPvRmT3_T4_T5_T6_T7_T9_mT8_P12ihipStream_tbDpT10_ENKUlT_T0_E_clISt17integral_constantIbLb1EES1A_EEDaS15_S16_EUlS15_E_NS1_11comp_targetILNS1_3genE8ELNS1_11target_archE1030ELNS1_3gpuE2ELNS1_3repE0EEENS1_30default_config_static_selectorELNS0_4arch9wavefront6targetE1EEEvT1_.kd
    .uniform_work_group_size: 1
    .uses_dynamic_stack: false
    .vgpr_count:     0
    .vgpr_spill_count: 0
    .wavefront_size: 64
  - .args:
      - .offset:         0
        .size:           112
        .value_kind:     by_value
    .group_segment_fixed_size: 0
    .kernarg_segment_align: 8
    .kernarg_segment_size: 112
    .language:       OpenCL C
    .language_version:
      - 2
      - 0
    .max_flat_workgroup_size: 512
    .name:           _ZN7rocprim17ROCPRIM_400000_NS6detail17trampoline_kernelINS0_14default_configENS1_25partition_config_selectorILNS1_17partition_subalgoE8ExNS0_10empty_typeEbEEZZNS1_14partition_implILS5_8ELb0ES3_jN6thrust23THRUST_200600_302600_NS6detail15normal_iteratorINSA_10device_ptrIxEEEEPS6_PKS6_NS0_5tupleIJSF_S6_EEENSJ_IJSG_SG_EEENS0_18inequality_wrapperI22is_equal_div_10_uniqueIxEEEPmJS6_EEE10hipError_tPvRmT3_T4_T5_T6_T7_T9_mT8_P12ihipStream_tbDpT10_ENKUlT_T0_E_clISt17integral_constantIbLb1EES19_IbLb0EEEEDaS15_S16_EUlS15_E_NS1_11comp_targetILNS1_3genE0ELNS1_11target_archE4294967295ELNS1_3gpuE0ELNS1_3repE0EEENS1_30default_config_static_selectorELNS0_4arch9wavefront6targetE1EEEvT1_
    .private_segment_fixed_size: 0
    .sgpr_count:     4
    .sgpr_spill_count: 0
    .symbol:         _ZN7rocprim17ROCPRIM_400000_NS6detail17trampoline_kernelINS0_14default_configENS1_25partition_config_selectorILNS1_17partition_subalgoE8ExNS0_10empty_typeEbEEZZNS1_14partition_implILS5_8ELb0ES3_jN6thrust23THRUST_200600_302600_NS6detail15normal_iteratorINSA_10device_ptrIxEEEEPS6_PKS6_NS0_5tupleIJSF_S6_EEENSJ_IJSG_SG_EEENS0_18inequality_wrapperI22is_equal_div_10_uniqueIxEEEPmJS6_EEE10hipError_tPvRmT3_T4_T5_T6_T7_T9_mT8_P12ihipStream_tbDpT10_ENKUlT_T0_E_clISt17integral_constantIbLb1EES19_IbLb0EEEEDaS15_S16_EUlS15_E_NS1_11comp_targetILNS1_3genE0ELNS1_11target_archE4294967295ELNS1_3gpuE0ELNS1_3repE0EEENS1_30default_config_static_selectorELNS0_4arch9wavefront6targetE1EEEvT1_.kd
    .uniform_work_group_size: 1
    .uses_dynamic_stack: false
    .vgpr_count:     0
    .vgpr_spill_count: 0
    .wavefront_size: 64
  - .args:
      - .offset:         0
        .size:           112
        .value_kind:     by_value
    .group_segment_fixed_size: 0
    .kernarg_segment_align: 8
    .kernarg_segment_size: 112
    .language:       OpenCL C
    .language_version:
      - 2
      - 0
    .max_flat_workgroup_size: 512
    .name:           _ZN7rocprim17ROCPRIM_400000_NS6detail17trampoline_kernelINS0_14default_configENS1_25partition_config_selectorILNS1_17partition_subalgoE8ExNS0_10empty_typeEbEEZZNS1_14partition_implILS5_8ELb0ES3_jN6thrust23THRUST_200600_302600_NS6detail15normal_iteratorINSA_10device_ptrIxEEEEPS6_PKS6_NS0_5tupleIJSF_S6_EEENSJ_IJSG_SG_EEENS0_18inequality_wrapperI22is_equal_div_10_uniqueIxEEEPmJS6_EEE10hipError_tPvRmT3_T4_T5_T6_T7_T9_mT8_P12ihipStream_tbDpT10_ENKUlT_T0_E_clISt17integral_constantIbLb1EES19_IbLb0EEEEDaS15_S16_EUlS15_E_NS1_11comp_targetILNS1_3genE5ELNS1_11target_archE942ELNS1_3gpuE9ELNS1_3repE0EEENS1_30default_config_static_selectorELNS0_4arch9wavefront6targetE1EEEvT1_
    .private_segment_fixed_size: 0
    .sgpr_count:     4
    .sgpr_spill_count: 0
    .symbol:         _ZN7rocprim17ROCPRIM_400000_NS6detail17trampoline_kernelINS0_14default_configENS1_25partition_config_selectorILNS1_17partition_subalgoE8ExNS0_10empty_typeEbEEZZNS1_14partition_implILS5_8ELb0ES3_jN6thrust23THRUST_200600_302600_NS6detail15normal_iteratorINSA_10device_ptrIxEEEEPS6_PKS6_NS0_5tupleIJSF_S6_EEENSJ_IJSG_SG_EEENS0_18inequality_wrapperI22is_equal_div_10_uniqueIxEEEPmJS6_EEE10hipError_tPvRmT3_T4_T5_T6_T7_T9_mT8_P12ihipStream_tbDpT10_ENKUlT_T0_E_clISt17integral_constantIbLb1EES19_IbLb0EEEEDaS15_S16_EUlS15_E_NS1_11comp_targetILNS1_3genE5ELNS1_11target_archE942ELNS1_3gpuE9ELNS1_3repE0EEENS1_30default_config_static_selectorELNS0_4arch9wavefront6targetE1EEEvT1_.kd
    .uniform_work_group_size: 1
    .uses_dynamic_stack: false
    .vgpr_count:     0
    .vgpr_spill_count: 0
    .wavefront_size: 64
  - .args:
      - .offset:         0
        .size:           112
        .value_kind:     by_value
    .group_segment_fixed_size: 0
    .kernarg_segment_align: 8
    .kernarg_segment_size: 112
    .language:       OpenCL C
    .language_version:
      - 2
      - 0
    .max_flat_workgroup_size: 256
    .name:           _ZN7rocprim17ROCPRIM_400000_NS6detail17trampoline_kernelINS0_14default_configENS1_25partition_config_selectorILNS1_17partition_subalgoE8ExNS0_10empty_typeEbEEZZNS1_14partition_implILS5_8ELb0ES3_jN6thrust23THRUST_200600_302600_NS6detail15normal_iteratorINSA_10device_ptrIxEEEEPS6_PKS6_NS0_5tupleIJSF_S6_EEENSJ_IJSG_SG_EEENS0_18inequality_wrapperI22is_equal_div_10_uniqueIxEEEPmJS6_EEE10hipError_tPvRmT3_T4_T5_T6_T7_T9_mT8_P12ihipStream_tbDpT10_ENKUlT_T0_E_clISt17integral_constantIbLb1EES19_IbLb0EEEEDaS15_S16_EUlS15_E_NS1_11comp_targetILNS1_3genE4ELNS1_11target_archE910ELNS1_3gpuE8ELNS1_3repE0EEENS1_30default_config_static_selectorELNS0_4arch9wavefront6targetE1EEEvT1_
    .private_segment_fixed_size: 0
    .sgpr_count:     4
    .sgpr_spill_count: 0
    .symbol:         _ZN7rocprim17ROCPRIM_400000_NS6detail17trampoline_kernelINS0_14default_configENS1_25partition_config_selectorILNS1_17partition_subalgoE8ExNS0_10empty_typeEbEEZZNS1_14partition_implILS5_8ELb0ES3_jN6thrust23THRUST_200600_302600_NS6detail15normal_iteratorINSA_10device_ptrIxEEEEPS6_PKS6_NS0_5tupleIJSF_S6_EEENSJ_IJSG_SG_EEENS0_18inequality_wrapperI22is_equal_div_10_uniqueIxEEEPmJS6_EEE10hipError_tPvRmT3_T4_T5_T6_T7_T9_mT8_P12ihipStream_tbDpT10_ENKUlT_T0_E_clISt17integral_constantIbLb1EES19_IbLb0EEEEDaS15_S16_EUlS15_E_NS1_11comp_targetILNS1_3genE4ELNS1_11target_archE910ELNS1_3gpuE8ELNS1_3repE0EEENS1_30default_config_static_selectorELNS0_4arch9wavefront6targetE1EEEvT1_.kd
    .uniform_work_group_size: 1
    .uses_dynamic_stack: false
    .vgpr_count:     0
    .vgpr_spill_count: 0
    .wavefront_size: 64
  - .args:
      - .offset:         0
        .size:           112
        .value_kind:     by_value
    .group_segment_fixed_size: 0
    .kernarg_segment_align: 8
    .kernarg_segment_size: 112
    .language:       OpenCL C
    .language_version:
      - 2
      - 0
    .max_flat_workgroup_size: 512
    .name:           _ZN7rocprim17ROCPRIM_400000_NS6detail17trampoline_kernelINS0_14default_configENS1_25partition_config_selectorILNS1_17partition_subalgoE8ExNS0_10empty_typeEbEEZZNS1_14partition_implILS5_8ELb0ES3_jN6thrust23THRUST_200600_302600_NS6detail15normal_iteratorINSA_10device_ptrIxEEEEPS6_PKS6_NS0_5tupleIJSF_S6_EEENSJ_IJSG_SG_EEENS0_18inequality_wrapperI22is_equal_div_10_uniqueIxEEEPmJS6_EEE10hipError_tPvRmT3_T4_T5_T6_T7_T9_mT8_P12ihipStream_tbDpT10_ENKUlT_T0_E_clISt17integral_constantIbLb1EES19_IbLb0EEEEDaS15_S16_EUlS15_E_NS1_11comp_targetILNS1_3genE3ELNS1_11target_archE908ELNS1_3gpuE7ELNS1_3repE0EEENS1_30default_config_static_selectorELNS0_4arch9wavefront6targetE1EEEvT1_
    .private_segment_fixed_size: 0
    .sgpr_count:     4
    .sgpr_spill_count: 0
    .symbol:         _ZN7rocprim17ROCPRIM_400000_NS6detail17trampoline_kernelINS0_14default_configENS1_25partition_config_selectorILNS1_17partition_subalgoE8ExNS0_10empty_typeEbEEZZNS1_14partition_implILS5_8ELb0ES3_jN6thrust23THRUST_200600_302600_NS6detail15normal_iteratorINSA_10device_ptrIxEEEEPS6_PKS6_NS0_5tupleIJSF_S6_EEENSJ_IJSG_SG_EEENS0_18inequality_wrapperI22is_equal_div_10_uniqueIxEEEPmJS6_EEE10hipError_tPvRmT3_T4_T5_T6_T7_T9_mT8_P12ihipStream_tbDpT10_ENKUlT_T0_E_clISt17integral_constantIbLb1EES19_IbLb0EEEEDaS15_S16_EUlS15_E_NS1_11comp_targetILNS1_3genE3ELNS1_11target_archE908ELNS1_3gpuE7ELNS1_3repE0EEENS1_30default_config_static_selectorELNS0_4arch9wavefront6targetE1EEEvT1_.kd
    .uniform_work_group_size: 1
    .uses_dynamic_stack: false
    .vgpr_count:     0
    .vgpr_spill_count: 0
    .wavefront_size: 64
  - .args:
      - .offset:         0
        .size:           112
        .value_kind:     by_value
    .group_segment_fixed_size: 0
    .kernarg_segment_align: 8
    .kernarg_segment_size: 112
    .language:       OpenCL C
    .language_version:
      - 2
      - 0
    .max_flat_workgroup_size: 256
    .name:           _ZN7rocprim17ROCPRIM_400000_NS6detail17trampoline_kernelINS0_14default_configENS1_25partition_config_selectorILNS1_17partition_subalgoE8ExNS0_10empty_typeEbEEZZNS1_14partition_implILS5_8ELb0ES3_jN6thrust23THRUST_200600_302600_NS6detail15normal_iteratorINSA_10device_ptrIxEEEEPS6_PKS6_NS0_5tupleIJSF_S6_EEENSJ_IJSG_SG_EEENS0_18inequality_wrapperI22is_equal_div_10_uniqueIxEEEPmJS6_EEE10hipError_tPvRmT3_T4_T5_T6_T7_T9_mT8_P12ihipStream_tbDpT10_ENKUlT_T0_E_clISt17integral_constantIbLb1EES19_IbLb0EEEEDaS15_S16_EUlS15_E_NS1_11comp_targetILNS1_3genE2ELNS1_11target_archE906ELNS1_3gpuE6ELNS1_3repE0EEENS1_30default_config_static_selectorELNS0_4arch9wavefront6targetE1EEEvT1_
    .private_segment_fixed_size: 0
    .sgpr_count:     4
    .sgpr_spill_count: 0
    .symbol:         _ZN7rocprim17ROCPRIM_400000_NS6detail17trampoline_kernelINS0_14default_configENS1_25partition_config_selectorILNS1_17partition_subalgoE8ExNS0_10empty_typeEbEEZZNS1_14partition_implILS5_8ELb0ES3_jN6thrust23THRUST_200600_302600_NS6detail15normal_iteratorINSA_10device_ptrIxEEEEPS6_PKS6_NS0_5tupleIJSF_S6_EEENSJ_IJSG_SG_EEENS0_18inequality_wrapperI22is_equal_div_10_uniqueIxEEEPmJS6_EEE10hipError_tPvRmT3_T4_T5_T6_T7_T9_mT8_P12ihipStream_tbDpT10_ENKUlT_T0_E_clISt17integral_constantIbLb1EES19_IbLb0EEEEDaS15_S16_EUlS15_E_NS1_11comp_targetILNS1_3genE2ELNS1_11target_archE906ELNS1_3gpuE6ELNS1_3repE0EEENS1_30default_config_static_selectorELNS0_4arch9wavefront6targetE1EEEvT1_.kd
    .uniform_work_group_size: 1
    .uses_dynamic_stack: false
    .vgpr_count:     0
    .vgpr_spill_count: 0
    .wavefront_size: 64
  - .args:
      - .offset:         0
        .size:           112
        .value_kind:     by_value
    .group_segment_fixed_size: 0
    .kernarg_segment_align: 8
    .kernarg_segment_size: 112
    .language:       OpenCL C
    .language_version:
      - 2
      - 0
    .max_flat_workgroup_size: 384
    .name:           _ZN7rocprim17ROCPRIM_400000_NS6detail17trampoline_kernelINS0_14default_configENS1_25partition_config_selectorILNS1_17partition_subalgoE8ExNS0_10empty_typeEbEEZZNS1_14partition_implILS5_8ELb0ES3_jN6thrust23THRUST_200600_302600_NS6detail15normal_iteratorINSA_10device_ptrIxEEEEPS6_PKS6_NS0_5tupleIJSF_S6_EEENSJ_IJSG_SG_EEENS0_18inequality_wrapperI22is_equal_div_10_uniqueIxEEEPmJS6_EEE10hipError_tPvRmT3_T4_T5_T6_T7_T9_mT8_P12ihipStream_tbDpT10_ENKUlT_T0_E_clISt17integral_constantIbLb1EES19_IbLb0EEEEDaS15_S16_EUlS15_E_NS1_11comp_targetILNS1_3genE10ELNS1_11target_archE1200ELNS1_3gpuE4ELNS1_3repE0EEENS1_30default_config_static_selectorELNS0_4arch9wavefront6targetE1EEEvT1_
    .private_segment_fixed_size: 0
    .sgpr_count:     4
    .sgpr_spill_count: 0
    .symbol:         _ZN7rocprim17ROCPRIM_400000_NS6detail17trampoline_kernelINS0_14default_configENS1_25partition_config_selectorILNS1_17partition_subalgoE8ExNS0_10empty_typeEbEEZZNS1_14partition_implILS5_8ELb0ES3_jN6thrust23THRUST_200600_302600_NS6detail15normal_iteratorINSA_10device_ptrIxEEEEPS6_PKS6_NS0_5tupleIJSF_S6_EEENSJ_IJSG_SG_EEENS0_18inequality_wrapperI22is_equal_div_10_uniqueIxEEEPmJS6_EEE10hipError_tPvRmT3_T4_T5_T6_T7_T9_mT8_P12ihipStream_tbDpT10_ENKUlT_T0_E_clISt17integral_constantIbLb1EES19_IbLb0EEEEDaS15_S16_EUlS15_E_NS1_11comp_targetILNS1_3genE10ELNS1_11target_archE1200ELNS1_3gpuE4ELNS1_3repE0EEENS1_30default_config_static_selectorELNS0_4arch9wavefront6targetE1EEEvT1_.kd
    .uniform_work_group_size: 1
    .uses_dynamic_stack: false
    .vgpr_count:     0
    .vgpr_spill_count: 0
    .wavefront_size: 64
  - .args:
      - .offset:         0
        .size:           112
        .value_kind:     by_value
    .group_segment_fixed_size: 0
    .kernarg_segment_align: 8
    .kernarg_segment_size: 112
    .language:       OpenCL C
    .language_version:
      - 2
      - 0
    .max_flat_workgroup_size: 512
    .name:           _ZN7rocprim17ROCPRIM_400000_NS6detail17trampoline_kernelINS0_14default_configENS1_25partition_config_selectorILNS1_17partition_subalgoE8ExNS0_10empty_typeEbEEZZNS1_14partition_implILS5_8ELb0ES3_jN6thrust23THRUST_200600_302600_NS6detail15normal_iteratorINSA_10device_ptrIxEEEEPS6_PKS6_NS0_5tupleIJSF_S6_EEENSJ_IJSG_SG_EEENS0_18inequality_wrapperI22is_equal_div_10_uniqueIxEEEPmJS6_EEE10hipError_tPvRmT3_T4_T5_T6_T7_T9_mT8_P12ihipStream_tbDpT10_ENKUlT_T0_E_clISt17integral_constantIbLb1EES19_IbLb0EEEEDaS15_S16_EUlS15_E_NS1_11comp_targetILNS1_3genE9ELNS1_11target_archE1100ELNS1_3gpuE3ELNS1_3repE0EEENS1_30default_config_static_selectorELNS0_4arch9wavefront6targetE1EEEvT1_
    .private_segment_fixed_size: 0
    .sgpr_count:     4
    .sgpr_spill_count: 0
    .symbol:         _ZN7rocprim17ROCPRIM_400000_NS6detail17trampoline_kernelINS0_14default_configENS1_25partition_config_selectorILNS1_17partition_subalgoE8ExNS0_10empty_typeEbEEZZNS1_14partition_implILS5_8ELb0ES3_jN6thrust23THRUST_200600_302600_NS6detail15normal_iteratorINSA_10device_ptrIxEEEEPS6_PKS6_NS0_5tupleIJSF_S6_EEENSJ_IJSG_SG_EEENS0_18inequality_wrapperI22is_equal_div_10_uniqueIxEEEPmJS6_EEE10hipError_tPvRmT3_T4_T5_T6_T7_T9_mT8_P12ihipStream_tbDpT10_ENKUlT_T0_E_clISt17integral_constantIbLb1EES19_IbLb0EEEEDaS15_S16_EUlS15_E_NS1_11comp_targetILNS1_3genE9ELNS1_11target_archE1100ELNS1_3gpuE3ELNS1_3repE0EEENS1_30default_config_static_selectorELNS0_4arch9wavefront6targetE1EEEvT1_.kd
    .uniform_work_group_size: 1
    .uses_dynamic_stack: false
    .vgpr_count:     0
    .vgpr_spill_count: 0
    .wavefront_size: 64
  - .args:
      - .offset:         0
        .size:           112
        .value_kind:     by_value
    .group_segment_fixed_size: 0
    .kernarg_segment_align: 8
    .kernarg_segment_size: 112
    .language:       OpenCL C
    .language_version:
      - 2
      - 0
    .max_flat_workgroup_size: 512
    .name:           _ZN7rocprim17ROCPRIM_400000_NS6detail17trampoline_kernelINS0_14default_configENS1_25partition_config_selectorILNS1_17partition_subalgoE8ExNS0_10empty_typeEbEEZZNS1_14partition_implILS5_8ELb0ES3_jN6thrust23THRUST_200600_302600_NS6detail15normal_iteratorINSA_10device_ptrIxEEEEPS6_PKS6_NS0_5tupleIJSF_S6_EEENSJ_IJSG_SG_EEENS0_18inequality_wrapperI22is_equal_div_10_uniqueIxEEEPmJS6_EEE10hipError_tPvRmT3_T4_T5_T6_T7_T9_mT8_P12ihipStream_tbDpT10_ENKUlT_T0_E_clISt17integral_constantIbLb1EES19_IbLb0EEEEDaS15_S16_EUlS15_E_NS1_11comp_targetILNS1_3genE8ELNS1_11target_archE1030ELNS1_3gpuE2ELNS1_3repE0EEENS1_30default_config_static_selectorELNS0_4arch9wavefront6targetE1EEEvT1_
    .private_segment_fixed_size: 0
    .sgpr_count:     4
    .sgpr_spill_count: 0
    .symbol:         _ZN7rocprim17ROCPRIM_400000_NS6detail17trampoline_kernelINS0_14default_configENS1_25partition_config_selectorILNS1_17partition_subalgoE8ExNS0_10empty_typeEbEEZZNS1_14partition_implILS5_8ELb0ES3_jN6thrust23THRUST_200600_302600_NS6detail15normal_iteratorINSA_10device_ptrIxEEEEPS6_PKS6_NS0_5tupleIJSF_S6_EEENSJ_IJSG_SG_EEENS0_18inequality_wrapperI22is_equal_div_10_uniqueIxEEEPmJS6_EEE10hipError_tPvRmT3_T4_T5_T6_T7_T9_mT8_P12ihipStream_tbDpT10_ENKUlT_T0_E_clISt17integral_constantIbLb1EES19_IbLb0EEEEDaS15_S16_EUlS15_E_NS1_11comp_targetILNS1_3genE8ELNS1_11target_archE1030ELNS1_3gpuE2ELNS1_3repE0EEENS1_30default_config_static_selectorELNS0_4arch9wavefront6targetE1EEEvT1_.kd
    .uniform_work_group_size: 1
    .uses_dynamic_stack: false
    .vgpr_count:     0
    .vgpr_spill_count: 0
    .wavefront_size: 64
  - .args:
      - .offset:         0
        .size:           128
        .value_kind:     by_value
    .group_segment_fixed_size: 0
    .kernarg_segment_align: 8
    .kernarg_segment_size: 128
    .language:       OpenCL C
    .language_version:
      - 2
      - 0
    .max_flat_workgroup_size: 512
    .name:           _ZN7rocprim17ROCPRIM_400000_NS6detail17trampoline_kernelINS0_14default_configENS1_25partition_config_selectorILNS1_17partition_subalgoE8ExNS0_10empty_typeEbEEZZNS1_14partition_implILS5_8ELb0ES3_jN6thrust23THRUST_200600_302600_NS6detail15normal_iteratorINSA_10device_ptrIxEEEEPS6_PKS6_NS0_5tupleIJSF_S6_EEENSJ_IJSG_SG_EEENS0_18inequality_wrapperI22is_equal_div_10_uniqueIxEEEPmJS6_EEE10hipError_tPvRmT3_T4_T5_T6_T7_T9_mT8_P12ihipStream_tbDpT10_ENKUlT_T0_E_clISt17integral_constantIbLb0EES19_IbLb1EEEEDaS15_S16_EUlS15_E_NS1_11comp_targetILNS1_3genE0ELNS1_11target_archE4294967295ELNS1_3gpuE0ELNS1_3repE0EEENS1_30default_config_static_selectorELNS0_4arch9wavefront6targetE1EEEvT1_
    .private_segment_fixed_size: 0
    .sgpr_count:     4
    .sgpr_spill_count: 0
    .symbol:         _ZN7rocprim17ROCPRIM_400000_NS6detail17trampoline_kernelINS0_14default_configENS1_25partition_config_selectorILNS1_17partition_subalgoE8ExNS0_10empty_typeEbEEZZNS1_14partition_implILS5_8ELb0ES3_jN6thrust23THRUST_200600_302600_NS6detail15normal_iteratorINSA_10device_ptrIxEEEEPS6_PKS6_NS0_5tupleIJSF_S6_EEENSJ_IJSG_SG_EEENS0_18inequality_wrapperI22is_equal_div_10_uniqueIxEEEPmJS6_EEE10hipError_tPvRmT3_T4_T5_T6_T7_T9_mT8_P12ihipStream_tbDpT10_ENKUlT_T0_E_clISt17integral_constantIbLb0EES19_IbLb1EEEEDaS15_S16_EUlS15_E_NS1_11comp_targetILNS1_3genE0ELNS1_11target_archE4294967295ELNS1_3gpuE0ELNS1_3repE0EEENS1_30default_config_static_selectorELNS0_4arch9wavefront6targetE1EEEvT1_.kd
    .uniform_work_group_size: 1
    .uses_dynamic_stack: false
    .vgpr_count:     0
    .vgpr_spill_count: 0
    .wavefront_size: 64
  - .args:
      - .offset:         0
        .size:           128
        .value_kind:     by_value
    .group_segment_fixed_size: 0
    .kernarg_segment_align: 8
    .kernarg_segment_size: 128
    .language:       OpenCL C
    .language_version:
      - 2
      - 0
    .max_flat_workgroup_size: 512
    .name:           _ZN7rocprim17ROCPRIM_400000_NS6detail17trampoline_kernelINS0_14default_configENS1_25partition_config_selectorILNS1_17partition_subalgoE8ExNS0_10empty_typeEbEEZZNS1_14partition_implILS5_8ELb0ES3_jN6thrust23THRUST_200600_302600_NS6detail15normal_iteratorINSA_10device_ptrIxEEEEPS6_PKS6_NS0_5tupleIJSF_S6_EEENSJ_IJSG_SG_EEENS0_18inequality_wrapperI22is_equal_div_10_uniqueIxEEEPmJS6_EEE10hipError_tPvRmT3_T4_T5_T6_T7_T9_mT8_P12ihipStream_tbDpT10_ENKUlT_T0_E_clISt17integral_constantIbLb0EES19_IbLb1EEEEDaS15_S16_EUlS15_E_NS1_11comp_targetILNS1_3genE5ELNS1_11target_archE942ELNS1_3gpuE9ELNS1_3repE0EEENS1_30default_config_static_selectorELNS0_4arch9wavefront6targetE1EEEvT1_
    .private_segment_fixed_size: 0
    .sgpr_count:     4
    .sgpr_spill_count: 0
    .symbol:         _ZN7rocprim17ROCPRIM_400000_NS6detail17trampoline_kernelINS0_14default_configENS1_25partition_config_selectorILNS1_17partition_subalgoE8ExNS0_10empty_typeEbEEZZNS1_14partition_implILS5_8ELb0ES3_jN6thrust23THRUST_200600_302600_NS6detail15normal_iteratorINSA_10device_ptrIxEEEEPS6_PKS6_NS0_5tupleIJSF_S6_EEENSJ_IJSG_SG_EEENS0_18inequality_wrapperI22is_equal_div_10_uniqueIxEEEPmJS6_EEE10hipError_tPvRmT3_T4_T5_T6_T7_T9_mT8_P12ihipStream_tbDpT10_ENKUlT_T0_E_clISt17integral_constantIbLb0EES19_IbLb1EEEEDaS15_S16_EUlS15_E_NS1_11comp_targetILNS1_3genE5ELNS1_11target_archE942ELNS1_3gpuE9ELNS1_3repE0EEENS1_30default_config_static_selectorELNS0_4arch9wavefront6targetE1EEEvT1_.kd
    .uniform_work_group_size: 1
    .uses_dynamic_stack: false
    .vgpr_count:     0
    .vgpr_spill_count: 0
    .wavefront_size: 64
  - .args:
      - .offset:         0
        .size:           128
        .value_kind:     by_value
    .group_segment_fixed_size: 0
    .kernarg_segment_align: 8
    .kernarg_segment_size: 128
    .language:       OpenCL C
    .language_version:
      - 2
      - 0
    .max_flat_workgroup_size: 256
    .name:           _ZN7rocprim17ROCPRIM_400000_NS6detail17trampoline_kernelINS0_14default_configENS1_25partition_config_selectorILNS1_17partition_subalgoE8ExNS0_10empty_typeEbEEZZNS1_14partition_implILS5_8ELb0ES3_jN6thrust23THRUST_200600_302600_NS6detail15normal_iteratorINSA_10device_ptrIxEEEEPS6_PKS6_NS0_5tupleIJSF_S6_EEENSJ_IJSG_SG_EEENS0_18inequality_wrapperI22is_equal_div_10_uniqueIxEEEPmJS6_EEE10hipError_tPvRmT3_T4_T5_T6_T7_T9_mT8_P12ihipStream_tbDpT10_ENKUlT_T0_E_clISt17integral_constantIbLb0EES19_IbLb1EEEEDaS15_S16_EUlS15_E_NS1_11comp_targetILNS1_3genE4ELNS1_11target_archE910ELNS1_3gpuE8ELNS1_3repE0EEENS1_30default_config_static_selectorELNS0_4arch9wavefront6targetE1EEEvT1_
    .private_segment_fixed_size: 0
    .sgpr_count:     4
    .sgpr_spill_count: 0
    .symbol:         _ZN7rocprim17ROCPRIM_400000_NS6detail17trampoline_kernelINS0_14default_configENS1_25partition_config_selectorILNS1_17partition_subalgoE8ExNS0_10empty_typeEbEEZZNS1_14partition_implILS5_8ELb0ES3_jN6thrust23THRUST_200600_302600_NS6detail15normal_iteratorINSA_10device_ptrIxEEEEPS6_PKS6_NS0_5tupleIJSF_S6_EEENSJ_IJSG_SG_EEENS0_18inequality_wrapperI22is_equal_div_10_uniqueIxEEEPmJS6_EEE10hipError_tPvRmT3_T4_T5_T6_T7_T9_mT8_P12ihipStream_tbDpT10_ENKUlT_T0_E_clISt17integral_constantIbLb0EES19_IbLb1EEEEDaS15_S16_EUlS15_E_NS1_11comp_targetILNS1_3genE4ELNS1_11target_archE910ELNS1_3gpuE8ELNS1_3repE0EEENS1_30default_config_static_selectorELNS0_4arch9wavefront6targetE1EEEvT1_.kd
    .uniform_work_group_size: 1
    .uses_dynamic_stack: false
    .vgpr_count:     0
    .vgpr_spill_count: 0
    .wavefront_size: 64
  - .args:
      - .offset:         0
        .size:           128
        .value_kind:     by_value
    .group_segment_fixed_size: 0
    .kernarg_segment_align: 8
    .kernarg_segment_size: 128
    .language:       OpenCL C
    .language_version:
      - 2
      - 0
    .max_flat_workgroup_size: 512
    .name:           _ZN7rocprim17ROCPRIM_400000_NS6detail17trampoline_kernelINS0_14default_configENS1_25partition_config_selectorILNS1_17partition_subalgoE8ExNS0_10empty_typeEbEEZZNS1_14partition_implILS5_8ELb0ES3_jN6thrust23THRUST_200600_302600_NS6detail15normal_iteratorINSA_10device_ptrIxEEEEPS6_PKS6_NS0_5tupleIJSF_S6_EEENSJ_IJSG_SG_EEENS0_18inequality_wrapperI22is_equal_div_10_uniqueIxEEEPmJS6_EEE10hipError_tPvRmT3_T4_T5_T6_T7_T9_mT8_P12ihipStream_tbDpT10_ENKUlT_T0_E_clISt17integral_constantIbLb0EES19_IbLb1EEEEDaS15_S16_EUlS15_E_NS1_11comp_targetILNS1_3genE3ELNS1_11target_archE908ELNS1_3gpuE7ELNS1_3repE0EEENS1_30default_config_static_selectorELNS0_4arch9wavefront6targetE1EEEvT1_
    .private_segment_fixed_size: 0
    .sgpr_count:     4
    .sgpr_spill_count: 0
    .symbol:         _ZN7rocprim17ROCPRIM_400000_NS6detail17trampoline_kernelINS0_14default_configENS1_25partition_config_selectorILNS1_17partition_subalgoE8ExNS0_10empty_typeEbEEZZNS1_14partition_implILS5_8ELb0ES3_jN6thrust23THRUST_200600_302600_NS6detail15normal_iteratorINSA_10device_ptrIxEEEEPS6_PKS6_NS0_5tupleIJSF_S6_EEENSJ_IJSG_SG_EEENS0_18inequality_wrapperI22is_equal_div_10_uniqueIxEEEPmJS6_EEE10hipError_tPvRmT3_T4_T5_T6_T7_T9_mT8_P12ihipStream_tbDpT10_ENKUlT_T0_E_clISt17integral_constantIbLb0EES19_IbLb1EEEEDaS15_S16_EUlS15_E_NS1_11comp_targetILNS1_3genE3ELNS1_11target_archE908ELNS1_3gpuE7ELNS1_3repE0EEENS1_30default_config_static_selectorELNS0_4arch9wavefront6targetE1EEEvT1_.kd
    .uniform_work_group_size: 1
    .uses_dynamic_stack: false
    .vgpr_count:     0
    .vgpr_spill_count: 0
    .wavefront_size: 64
  - .args:
      - .offset:         0
        .size:           128
        .value_kind:     by_value
    .group_segment_fixed_size: 14344
    .kernarg_segment_align: 8
    .kernarg_segment_size: 128
    .language:       OpenCL C
    .language_version:
      - 2
      - 0
    .max_flat_workgroup_size: 256
    .name:           _ZN7rocprim17ROCPRIM_400000_NS6detail17trampoline_kernelINS0_14default_configENS1_25partition_config_selectorILNS1_17partition_subalgoE8ExNS0_10empty_typeEbEEZZNS1_14partition_implILS5_8ELb0ES3_jN6thrust23THRUST_200600_302600_NS6detail15normal_iteratorINSA_10device_ptrIxEEEEPS6_PKS6_NS0_5tupleIJSF_S6_EEENSJ_IJSG_SG_EEENS0_18inequality_wrapperI22is_equal_div_10_uniqueIxEEEPmJS6_EEE10hipError_tPvRmT3_T4_T5_T6_T7_T9_mT8_P12ihipStream_tbDpT10_ENKUlT_T0_E_clISt17integral_constantIbLb0EES19_IbLb1EEEEDaS15_S16_EUlS15_E_NS1_11comp_targetILNS1_3genE2ELNS1_11target_archE906ELNS1_3gpuE6ELNS1_3repE0EEENS1_30default_config_static_selectorELNS0_4arch9wavefront6targetE1EEEvT1_
    .private_segment_fixed_size: 0
    .sgpr_count:     43
    .sgpr_spill_count: 0
    .symbol:         _ZN7rocprim17ROCPRIM_400000_NS6detail17trampoline_kernelINS0_14default_configENS1_25partition_config_selectorILNS1_17partition_subalgoE8ExNS0_10empty_typeEbEEZZNS1_14partition_implILS5_8ELb0ES3_jN6thrust23THRUST_200600_302600_NS6detail15normal_iteratorINSA_10device_ptrIxEEEEPS6_PKS6_NS0_5tupleIJSF_S6_EEENSJ_IJSG_SG_EEENS0_18inequality_wrapperI22is_equal_div_10_uniqueIxEEEPmJS6_EEE10hipError_tPvRmT3_T4_T5_T6_T7_T9_mT8_P12ihipStream_tbDpT10_ENKUlT_T0_E_clISt17integral_constantIbLb0EES19_IbLb1EEEEDaS15_S16_EUlS15_E_NS1_11comp_targetILNS1_3genE2ELNS1_11target_archE906ELNS1_3gpuE6ELNS1_3repE0EEENS1_30default_config_static_selectorELNS0_4arch9wavefront6targetE1EEEvT1_.kd
    .uniform_work_group_size: 1
    .uses_dynamic_stack: false
    .vgpr_count:     60
    .vgpr_spill_count: 0
    .wavefront_size: 64
  - .args:
      - .offset:         0
        .size:           128
        .value_kind:     by_value
    .group_segment_fixed_size: 0
    .kernarg_segment_align: 8
    .kernarg_segment_size: 128
    .language:       OpenCL C
    .language_version:
      - 2
      - 0
    .max_flat_workgroup_size: 384
    .name:           _ZN7rocprim17ROCPRIM_400000_NS6detail17trampoline_kernelINS0_14default_configENS1_25partition_config_selectorILNS1_17partition_subalgoE8ExNS0_10empty_typeEbEEZZNS1_14partition_implILS5_8ELb0ES3_jN6thrust23THRUST_200600_302600_NS6detail15normal_iteratorINSA_10device_ptrIxEEEEPS6_PKS6_NS0_5tupleIJSF_S6_EEENSJ_IJSG_SG_EEENS0_18inequality_wrapperI22is_equal_div_10_uniqueIxEEEPmJS6_EEE10hipError_tPvRmT3_T4_T5_T6_T7_T9_mT8_P12ihipStream_tbDpT10_ENKUlT_T0_E_clISt17integral_constantIbLb0EES19_IbLb1EEEEDaS15_S16_EUlS15_E_NS1_11comp_targetILNS1_3genE10ELNS1_11target_archE1200ELNS1_3gpuE4ELNS1_3repE0EEENS1_30default_config_static_selectorELNS0_4arch9wavefront6targetE1EEEvT1_
    .private_segment_fixed_size: 0
    .sgpr_count:     4
    .sgpr_spill_count: 0
    .symbol:         _ZN7rocprim17ROCPRIM_400000_NS6detail17trampoline_kernelINS0_14default_configENS1_25partition_config_selectorILNS1_17partition_subalgoE8ExNS0_10empty_typeEbEEZZNS1_14partition_implILS5_8ELb0ES3_jN6thrust23THRUST_200600_302600_NS6detail15normal_iteratorINSA_10device_ptrIxEEEEPS6_PKS6_NS0_5tupleIJSF_S6_EEENSJ_IJSG_SG_EEENS0_18inequality_wrapperI22is_equal_div_10_uniqueIxEEEPmJS6_EEE10hipError_tPvRmT3_T4_T5_T6_T7_T9_mT8_P12ihipStream_tbDpT10_ENKUlT_T0_E_clISt17integral_constantIbLb0EES19_IbLb1EEEEDaS15_S16_EUlS15_E_NS1_11comp_targetILNS1_3genE10ELNS1_11target_archE1200ELNS1_3gpuE4ELNS1_3repE0EEENS1_30default_config_static_selectorELNS0_4arch9wavefront6targetE1EEEvT1_.kd
    .uniform_work_group_size: 1
    .uses_dynamic_stack: false
    .vgpr_count:     0
    .vgpr_spill_count: 0
    .wavefront_size: 64
  - .args:
      - .offset:         0
        .size:           128
        .value_kind:     by_value
    .group_segment_fixed_size: 0
    .kernarg_segment_align: 8
    .kernarg_segment_size: 128
    .language:       OpenCL C
    .language_version:
      - 2
      - 0
    .max_flat_workgroup_size: 512
    .name:           _ZN7rocprim17ROCPRIM_400000_NS6detail17trampoline_kernelINS0_14default_configENS1_25partition_config_selectorILNS1_17partition_subalgoE8ExNS0_10empty_typeEbEEZZNS1_14partition_implILS5_8ELb0ES3_jN6thrust23THRUST_200600_302600_NS6detail15normal_iteratorINSA_10device_ptrIxEEEEPS6_PKS6_NS0_5tupleIJSF_S6_EEENSJ_IJSG_SG_EEENS0_18inequality_wrapperI22is_equal_div_10_uniqueIxEEEPmJS6_EEE10hipError_tPvRmT3_T4_T5_T6_T7_T9_mT8_P12ihipStream_tbDpT10_ENKUlT_T0_E_clISt17integral_constantIbLb0EES19_IbLb1EEEEDaS15_S16_EUlS15_E_NS1_11comp_targetILNS1_3genE9ELNS1_11target_archE1100ELNS1_3gpuE3ELNS1_3repE0EEENS1_30default_config_static_selectorELNS0_4arch9wavefront6targetE1EEEvT1_
    .private_segment_fixed_size: 0
    .sgpr_count:     4
    .sgpr_spill_count: 0
    .symbol:         _ZN7rocprim17ROCPRIM_400000_NS6detail17trampoline_kernelINS0_14default_configENS1_25partition_config_selectorILNS1_17partition_subalgoE8ExNS0_10empty_typeEbEEZZNS1_14partition_implILS5_8ELb0ES3_jN6thrust23THRUST_200600_302600_NS6detail15normal_iteratorINSA_10device_ptrIxEEEEPS6_PKS6_NS0_5tupleIJSF_S6_EEENSJ_IJSG_SG_EEENS0_18inequality_wrapperI22is_equal_div_10_uniqueIxEEEPmJS6_EEE10hipError_tPvRmT3_T4_T5_T6_T7_T9_mT8_P12ihipStream_tbDpT10_ENKUlT_T0_E_clISt17integral_constantIbLb0EES19_IbLb1EEEEDaS15_S16_EUlS15_E_NS1_11comp_targetILNS1_3genE9ELNS1_11target_archE1100ELNS1_3gpuE3ELNS1_3repE0EEENS1_30default_config_static_selectorELNS0_4arch9wavefront6targetE1EEEvT1_.kd
    .uniform_work_group_size: 1
    .uses_dynamic_stack: false
    .vgpr_count:     0
    .vgpr_spill_count: 0
    .wavefront_size: 64
  - .args:
      - .offset:         0
        .size:           128
        .value_kind:     by_value
    .group_segment_fixed_size: 0
    .kernarg_segment_align: 8
    .kernarg_segment_size: 128
    .language:       OpenCL C
    .language_version:
      - 2
      - 0
    .max_flat_workgroup_size: 512
    .name:           _ZN7rocprim17ROCPRIM_400000_NS6detail17trampoline_kernelINS0_14default_configENS1_25partition_config_selectorILNS1_17partition_subalgoE8ExNS0_10empty_typeEbEEZZNS1_14partition_implILS5_8ELb0ES3_jN6thrust23THRUST_200600_302600_NS6detail15normal_iteratorINSA_10device_ptrIxEEEEPS6_PKS6_NS0_5tupleIJSF_S6_EEENSJ_IJSG_SG_EEENS0_18inequality_wrapperI22is_equal_div_10_uniqueIxEEEPmJS6_EEE10hipError_tPvRmT3_T4_T5_T6_T7_T9_mT8_P12ihipStream_tbDpT10_ENKUlT_T0_E_clISt17integral_constantIbLb0EES19_IbLb1EEEEDaS15_S16_EUlS15_E_NS1_11comp_targetILNS1_3genE8ELNS1_11target_archE1030ELNS1_3gpuE2ELNS1_3repE0EEENS1_30default_config_static_selectorELNS0_4arch9wavefront6targetE1EEEvT1_
    .private_segment_fixed_size: 0
    .sgpr_count:     4
    .sgpr_spill_count: 0
    .symbol:         _ZN7rocprim17ROCPRIM_400000_NS6detail17trampoline_kernelINS0_14default_configENS1_25partition_config_selectorILNS1_17partition_subalgoE8ExNS0_10empty_typeEbEEZZNS1_14partition_implILS5_8ELb0ES3_jN6thrust23THRUST_200600_302600_NS6detail15normal_iteratorINSA_10device_ptrIxEEEEPS6_PKS6_NS0_5tupleIJSF_S6_EEENSJ_IJSG_SG_EEENS0_18inequality_wrapperI22is_equal_div_10_uniqueIxEEEPmJS6_EEE10hipError_tPvRmT3_T4_T5_T6_T7_T9_mT8_P12ihipStream_tbDpT10_ENKUlT_T0_E_clISt17integral_constantIbLb0EES19_IbLb1EEEEDaS15_S16_EUlS15_E_NS1_11comp_targetILNS1_3genE8ELNS1_11target_archE1030ELNS1_3gpuE2ELNS1_3repE0EEENS1_30default_config_static_selectorELNS0_4arch9wavefront6targetE1EEEvT1_.kd
    .uniform_work_group_size: 1
    .uses_dynamic_stack: false
    .vgpr_count:     0
    .vgpr_spill_count: 0
    .wavefront_size: 64
  - .args:
      - .offset:         0
        .size:           112
        .value_kind:     by_value
    .group_segment_fixed_size: 0
    .kernarg_segment_align: 8
    .kernarg_segment_size: 112
    .language:       OpenCL C
    .language_version:
      - 2
      - 0
    .max_flat_workgroup_size: 512
    .name:           _ZN7rocprim17ROCPRIM_400000_NS6detail17trampoline_kernelINS0_14default_configENS1_25partition_config_selectorILNS1_17partition_subalgoE8EiNS0_10empty_typeEbEEZZNS1_14partition_implILS5_8ELb0ES3_jN6thrust23THRUST_200600_302600_NS6detail15normal_iteratorINSA_10device_ptrIiEEEEPS6_PKS6_NS0_5tupleIJSF_S6_EEENSJ_IJSG_SG_EEENS0_18inequality_wrapperINSA_8equal_toIiEEEEPmJS6_EEE10hipError_tPvRmT3_T4_T5_T6_T7_T9_mT8_P12ihipStream_tbDpT10_ENKUlT_T0_E_clISt17integral_constantIbLb0EES1A_EEDaS15_S16_EUlS15_E_NS1_11comp_targetILNS1_3genE0ELNS1_11target_archE4294967295ELNS1_3gpuE0ELNS1_3repE0EEENS1_30default_config_static_selectorELNS0_4arch9wavefront6targetE1EEEvT1_
    .private_segment_fixed_size: 0
    .sgpr_count:     4
    .sgpr_spill_count: 0
    .symbol:         _ZN7rocprim17ROCPRIM_400000_NS6detail17trampoline_kernelINS0_14default_configENS1_25partition_config_selectorILNS1_17partition_subalgoE8EiNS0_10empty_typeEbEEZZNS1_14partition_implILS5_8ELb0ES3_jN6thrust23THRUST_200600_302600_NS6detail15normal_iteratorINSA_10device_ptrIiEEEEPS6_PKS6_NS0_5tupleIJSF_S6_EEENSJ_IJSG_SG_EEENS0_18inequality_wrapperINSA_8equal_toIiEEEEPmJS6_EEE10hipError_tPvRmT3_T4_T5_T6_T7_T9_mT8_P12ihipStream_tbDpT10_ENKUlT_T0_E_clISt17integral_constantIbLb0EES1A_EEDaS15_S16_EUlS15_E_NS1_11comp_targetILNS1_3genE0ELNS1_11target_archE4294967295ELNS1_3gpuE0ELNS1_3repE0EEENS1_30default_config_static_selectorELNS0_4arch9wavefront6targetE1EEEvT1_.kd
    .uniform_work_group_size: 1
    .uses_dynamic_stack: false
    .vgpr_count:     0
    .vgpr_spill_count: 0
    .wavefront_size: 64
  - .args:
      - .offset:         0
        .size:           112
        .value_kind:     by_value
    .group_segment_fixed_size: 0
    .kernarg_segment_align: 8
    .kernarg_segment_size: 112
    .language:       OpenCL C
    .language_version:
      - 2
      - 0
    .max_flat_workgroup_size: 512
    .name:           _ZN7rocprim17ROCPRIM_400000_NS6detail17trampoline_kernelINS0_14default_configENS1_25partition_config_selectorILNS1_17partition_subalgoE8EiNS0_10empty_typeEbEEZZNS1_14partition_implILS5_8ELb0ES3_jN6thrust23THRUST_200600_302600_NS6detail15normal_iteratorINSA_10device_ptrIiEEEEPS6_PKS6_NS0_5tupleIJSF_S6_EEENSJ_IJSG_SG_EEENS0_18inequality_wrapperINSA_8equal_toIiEEEEPmJS6_EEE10hipError_tPvRmT3_T4_T5_T6_T7_T9_mT8_P12ihipStream_tbDpT10_ENKUlT_T0_E_clISt17integral_constantIbLb0EES1A_EEDaS15_S16_EUlS15_E_NS1_11comp_targetILNS1_3genE5ELNS1_11target_archE942ELNS1_3gpuE9ELNS1_3repE0EEENS1_30default_config_static_selectorELNS0_4arch9wavefront6targetE1EEEvT1_
    .private_segment_fixed_size: 0
    .sgpr_count:     4
    .sgpr_spill_count: 0
    .symbol:         _ZN7rocprim17ROCPRIM_400000_NS6detail17trampoline_kernelINS0_14default_configENS1_25partition_config_selectorILNS1_17partition_subalgoE8EiNS0_10empty_typeEbEEZZNS1_14partition_implILS5_8ELb0ES3_jN6thrust23THRUST_200600_302600_NS6detail15normal_iteratorINSA_10device_ptrIiEEEEPS6_PKS6_NS0_5tupleIJSF_S6_EEENSJ_IJSG_SG_EEENS0_18inequality_wrapperINSA_8equal_toIiEEEEPmJS6_EEE10hipError_tPvRmT3_T4_T5_T6_T7_T9_mT8_P12ihipStream_tbDpT10_ENKUlT_T0_E_clISt17integral_constantIbLb0EES1A_EEDaS15_S16_EUlS15_E_NS1_11comp_targetILNS1_3genE5ELNS1_11target_archE942ELNS1_3gpuE9ELNS1_3repE0EEENS1_30default_config_static_selectorELNS0_4arch9wavefront6targetE1EEEvT1_.kd
    .uniform_work_group_size: 1
    .uses_dynamic_stack: false
    .vgpr_count:     0
    .vgpr_spill_count: 0
    .wavefront_size: 64
  - .args:
      - .offset:         0
        .size:           112
        .value_kind:     by_value
    .group_segment_fixed_size: 0
    .kernarg_segment_align: 8
    .kernarg_segment_size: 112
    .language:       OpenCL C
    .language_version:
      - 2
      - 0
    .max_flat_workgroup_size: 256
    .name:           _ZN7rocprim17ROCPRIM_400000_NS6detail17trampoline_kernelINS0_14default_configENS1_25partition_config_selectorILNS1_17partition_subalgoE8EiNS0_10empty_typeEbEEZZNS1_14partition_implILS5_8ELb0ES3_jN6thrust23THRUST_200600_302600_NS6detail15normal_iteratorINSA_10device_ptrIiEEEEPS6_PKS6_NS0_5tupleIJSF_S6_EEENSJ_IJSG_SG_EEENS0_18inequality_wrapperINSA_8equal_toIiEEEEPmJS6_EEE10hipError_tPvRmT3_T4_T5_T6_T7_T9_mT8_P12ihipStream_tbDpT10_ENKUlT_T0_E_clISt17integral_constantIbLb0EES1A_EEDaS15_S16_EUlS15_E_NS1_11comp_targetILNS1_3genE4ELNS1_11target_archE910ELNS1_3gpuE8ELNS1_3repE0EEENS1_30default_config_static_selectorELNS0_4arch9wavefront6targetE1EEEvT1_
    .private_segment_fixed_size: 0
    .sgpr_count:     4
    .sgpr_spill_count: 0
    .symbol:         _ZN7rocprim17ROCPRIM_400000_NS6detail17trampoline_kernelINS0_14default_configENS1_25partition_config_selectorILNS1_17partition_subalgoE8EiNS0_10empty_typeEbEEZZNS1_14partition_implILS5_8ELb0ES3_jN6thrust23THRUST_200600_302600_NS6detail15normal_iteratorINSA_10device_ptrIiEEEEPS6_PKS6_NS0_5tupleIJSF_S6_EEENSJ_IJSG_SG_EEENS0_18inequality_wrapperINSA_8equal_toIiEEEEPmJS6_EEE10hipError_tPvRmT3_T4_T5_T6_T7_T9_mT8_P12ihipStream_tbDpT10_ENKUlT_T0_E_clISt17integral_constantIbLb0EES1A_EEDaS15_S16_EUlS15_E_NS1_11comp_targetILNS1_3genE4ELNS1_11target_archE910ELNS1_3gpuE8ELNS1_3repE0EEENS1_30default_config_static_selectorELNS0_4arch9wavefront6targetE1EEEvT1_.kd
    .uniform_work_group_size: 1
    .uses_dynamic_stack: false
    .vgpr_count:     0
    .vgpr_spill_count: 0
    .wavefront_size: 64
  - .args:
      - .offset:         0
        .size:           112
        .value_kind:     by_value
    .group_segment_fixed_size: 0
    .kernarg_segment_align: 8
    .kernarg_segment_size: 112
    .language:       OpenCL C
    .language_version:
      - 2
      - 0
    .max_flat_workgroup_size: 512
    .name:           _ZN7rocprim17ROCPRIM_400000_NS6detail17trampoline_kernelINS0_14default_configENS1_25partition_config_selectorILNS1_17partition_subalgoE8EiNS0_10empty_typeEbEEZZNS1_14partition_implILS5_8ELb0ES3_jN6thrust23THRUST_200600_302600_NS6detail15normal_iteratorINSA_10device_ptrIiEEEEPS6_PKS6_NS0_5tupleIJSF_S6_EEENSJ_IJSG_SG_EEENS0_18inequality_wrapperINSA_8equal_toIiEEEEPmJS6_EEE10hipError_tPvRmT3_T4_T5_T6_T7_T9_mT8_P12ihipStream_tbDpT10_ENKUlT_T0_E_clISt17integral_constantIbLb0EES1A_EEDaS15_S16_EUlS15_E_NS1_11comp_targetILNS1_3genE3ELNS1_11target_archE908ELNS1_3gpuE7ELNS1_3repE0EEENS1_30default_config_static_selectorELNS0_4arch9wavefront6targetE1EEEvT1_
    .private_segment_fixed_size: 0
    .sgpr_count:     4
    .sgpr_spill_count: 0
    .symbol:         _ZN7rocprim17ROCPRIM_400000_NS6detail17trampoline_kernelINS0_14default_configENS1_25partition_config_selectorILNS1_17partition_subalgoE8EiNS0_10empty_typeEbEEZZNS1_14partition_implILS5_8ELb0ES3_jN6thrust23THRUST_200600_302600_NS6detail15normal_iteratorINSA_10device_ptrIiEEEEPS6_PKS6_NS0_5tupleIJSF_S6_EEENSJ_IJSG_SG_EEENS0_18inequality_wrapperINSA_8equal_toIiEEEEPmJS6_EEE10hipError_tPvRmT3_T4_T5_T6_T7_T9_mT8_P12ihipStream_tbDpT10_ENKUlT_T0_E_clISt17integral_constantIbLb0EES1A_EEDaS15_S16_EUlS15_E_NS1_11comp_targetILNS1_3genE3ELNS1_11target_archE908ELNS1_3gpuE7ELNS1_3repE0EEENS1_30default_config_static_selectorELNS0_4arch9wavefront6targetE1EEEvT1_.kd
    .uniform_work_group_size: 1
    .uses_dynamic_stack: false
    .vgpr_count:     0
    .vgpr_spill_count: 0
    .wavefront_size: 64
  - .args:
      - .offset:         0
        .size:           112
        .value_kind:     by_value
    .group_segment_fixed_size: 16904
    .kernarg_segment_align: 8
    .kernarg_segment_size: 112
    .language:       OpenCL C
    .language_version:
      - 2
      - 0
    .max_flat_workgroup_size: 256
    .name:           _ZN7rocprim17ROCPRIM_400000_NS6detail17trampoline_kernelINS0_14default_configENS1_25partition_config_selectorILNS1_17partition_subalgoE8EiNS0_10empty_typeEbEEZZNS1_14partition_implILS5_8ELb0ES3_jN6thrust23THRUST_200600_302600_NS6detail15normal_iteratorINSA_10device_ptrIiEEEEPS6_PKS6_NS0_5tupleIJSF_S6_EEENSJ_IJSG_SG_EEENS0_18inequality_wrapperINSA_8equal_toIiEEEEPmJS6_EEE10hipError_tPvRmT3_T4_T5_T6_T7_T9_mT8_P12ihipStream_tbDpT10_ENKUlT_T0_E_clISt17integral_constantIbLb0EES1A_EEDaS15_S16_EUlS15_E_NS1_11comp_targetILNS1_3genE2ELNS1_11target_archE906ELNS1_3gpuE6ELNS1_3repE0EEENS1_30default_config_static_selectorELNS0_4arch9wavefront6targetE1EEEvT1_
    .private_segment_fixed_size: 0
    .sgpr_count:     60
    .sgpr_spill_count: 0
    .symbol:         _ZN7rocprim17ROCPRIM_400000_NS6detail17trampoline_kernelINS0_14default_configENS1_25partition_config_selectorILNS1_17partition_subalgoE8EiNS0_10empty_typeEbEEZZNS1_14partition_implILS5_8ELb0ES3_jN6thrust23THRUST_200600_302600_NS6detail15normal_iteratorINSA_10device_ptrIiEEEEPS6_PKS6_NS0_5tupleIJSF_S6_EEENSJ_IJSG_SG_EEENS0_18inequality_wrapperINSA_8equal_toIiEEEEPmJS6_EEE10hipError_tPvRmT3_T4_T5_T6_T7_T9_mT8_P12ihipStream_tbDpT10_ENKUlT_T0_E_clISt17integral_constantIbLb0EES1A_EEDaS15_S16_EUlS15_E_NS1_11comp_targetILNS1_3genE2ELNS1_11target_archE906ELNS1_3gpuE6ELNS1_3repE0EEENS1_30default_config_static_selectorELNS0_4arch9wavefront6targetE1EEEvT1_.kd
    .uniform_work_group_size: 1
    .uses_dynamic_stack: false
    .vgpr_count:     75
    .vgpr_spill_count: 0
    .wavefront_size: 64
  - .args:
      - .offset:         0
        .size:           112
        .value_kind:     by_value
    .group_segment_fixed_size: 0
    .kernarg_segment_align: 8
    .kernarg_segment_size: 112
    .language:       OpenCL C
    .language_version:
      - 2
      - 0
    .max_flat_workgroup_size: 384
    .name:           _ZN7rocprim17ROCPRIM_400000_NS6detail17trampoline_kernelINS0_14default_configENS1_25partition_config_selectorILNS1_17partition_subalgoE8EiNS0_10empty_typeEbEEZZNS1_14partition_implILS5_8ELb0ES3_jN6thrust23THRUST_200600_302600_NS6detail15normal_iteratorINSA_10device_ptrIiEEEEPS6_PKS6_NS0_5tupleIJSF_S6_EEENSJ_IJSG_SG_EEENS0_18inequality_wrapperINSA_8equal_toIiEEEEPmJS6_EEE10hipError_tPvRmT3_T4_T5_T6_T7_T9_mT8_P12ihipStream_tbDpT10_ENKUlT_T0_E_clISt17integral_constantIbLb0EES1A_EEDaS15_S16_EUlS15_E_NS1_11comp_targetILNS1_3genE10ELNS1_11target_archE1200ELNS1_3gpuE4ELNS1_3repE0EEENS1_30default_config_static_selectorELNS0_4arch9wavefront6targetE1EEEvT1_
    .private_segment_fixed_size: 0
    .sgpr_count:     4
    .sgpr_spill_count: 0
    .symbol:         _ZN7rocprim17ROCPRIM_400000_NS6detail17trampoline_kernelINS0_14default_configENS1_25partition_config_selectorILNS1_17partition_subalgoE8EiNS0_10empty_typeEbEEZZNS1_14partition_implILS5_8ELb0ES3_jN6thrust23THRUST_200600_302600_NS6detail15normal_iteratorINSA_10device_ptrIiEEEEPS6_PKS6_NS0_5tupleIJSF_S6_EEENSJ_IJSG_SG_EEENS0_18inequality_wrapperINSA_8equal_toIiEEEEPmJS6_EEE10hipError_tPvRmT3_T4_T5_T6_T7_T9_mT8_P12ihipStream_tbDpT10_ENKUlT_T0_E_clISt17integral_constantIbLb0EES1A_EEDaS15_S16_EUlS15_E_NS1_11comp_targetILNS1_3genE10ELNS1_11target_archE1200ELNS1_3gpuE4ELNS1_3repE0EEENS1_30default_config_static_selectorELNS0_4arch9wavefront6targetE1EEEvT1_.kd
    .uniform_work_group_size: 1
    .uses_dynamic_stack: false
    .vgpr_count:     0
    .vgpr_spill_count: 0
    .wavefront_size: 64
  - .args:
      - .offset:         0
        .size:           112
        .value_kind:     by_value
    .group_segment_fixed_size: 0
    .kernarg_segment_align: 8
    .kernarg_segment_size: 112
    .language:       OpenCL C
    .language_version:
      - 2
      - 0
    .max_flat_workgroup_size: 384
    .name:           _ZN7rocprim17ROCPRIM_400000_NS6detail17trampoline_kernelINS0_14default_configENS1_25partition_config_selectorILNS1_17partition_subalgoE8EiNS0_10empty_typeEbEEZZNS1_14partition_implILS5_8ELb0ES3_jN6thrust23THRUST_200600_302600_NS6detail15normal_iteratorINSA_10device_ptrIiEEEEPS6_PKS6_NS0_5tupleIJSF_S6_EEENSJ_IJSG_SG_EEENS0_18inequality_wrapperINSA_8equal_toIiEEEEPmJS6_EEE10hipError_tPvRmT3_T4_T5_T6_T7_T9_mT8_P12ihipStream_tbDpT10_ENKUlT_T0_E_clISt17integral_constantIbLb0EES1A_EEDaS15_S16_EUlS15_E_NS1_11comp_targetILNS1_3genE9ELNS1_11target_archE1100ELNS1_3gpuE3ELNS1_3repE0EEENS1_30default_config_static_selectorELNS0_4arch9wavefront6targetE1EEEvT1_
    .private_segment_fixed_size: 0
    .sgpr_count:     4
    .sgpr_spill_count: 0
    .symbol:         _ZN7rocprim17ROCPRIM_400000_NS6detail17trampoline_kernelINS0_14default_configENS1_25partition_config_selectorILNS1_17partition_subalgoE8EiNS0_10empty_typeEbEEZZNS1_14partition_implILS5_8ELb0ES3_jN6thrust23THRUST_200600_302600_NS6detail15normal_iteratorINSA_10device_ptrIiEEEEPS6_PKS6_NS0_5tupleIJSF_S6_EEENSJ_IJSG_SG_EEENS0_18inequality_wrapperINSA_8equal_toIiEEEEPmJS6_EEE10hipError_tPvRmT3_T4_T5_T6_T7_T9_mT8_P12ihipStream_tbDpT10_ENKUlT_T0_E_clISt17integral_constantIbLb0EES1A_EEDaS15_S16_EUlS15_E_NS1_11comp_targetILNS1_3genE9ELNS1_11target_archE1100ELNS1_3gpuE3ELNS1_3repE0EEENS1_30default_config_static_selectorELNS0_4arch9wavefront6targetE1EEEvT1_.kd
    .uniform_work_group_size: 1
    .uses_dynamic_stack: false
    .vgpr_count:     0
    .vgpr_spill_count: 0
    .wavefront_size: 64
  - .args:
      - .offset:         0
        .size:           112
        .value_kind:     by_value
    .group_segment_fixed_size: 0
    .kernarg_segment_align: 8
    .kernarg_segment_size: 112
    .language:       OpenCL C
    .language_version:
      - 2
      - 0
    .max_flat_workgroup_size: 512
    .name:           _ZN7rocprim17ROCPRIM_400000_NS6detail17trampoline_kernelINS0_14default_configENS1_25partition_config_selectorILNS1_17partition_subalgoE8EiNS0_10empty_typeEbEEZZNS1_14partition_implILS5_8ELb0ES3_jN6thrust23THRUST_200600_302600_NS6detail15normal_iteratorINSA_10device_ptrIiEEEEPS6_PKS6_NS0_5tupleIJSF_S6_EEENSJ_IJSG_SG_EEENS0_18inequality_wrapperINSA_8equal_toIiEEEEPmJS6_EEE10hipError_tPvRmT3_T4_T5_T6_T7_T9_mT8_P12ihipStream_tbDpT10_ENKUlT_T0_E_clISt17integral_constantIbLb0EES1A_EEDaS15_S16_EUlS15_E_NS1_11comp_targetILNS1_3genE8ELNS1_11target_archE1030ELNS1_3gpuE2ELNS1_3repE0EEENS1_30default_config_static_selectorELNS0_4arch9wavefront6targetE1EEEvT1_
    .private_segment_fixed_size: 0
    .sgpr_count:     4
    .sgpr_spill_count: 0
    .symbol:         _ZN7rocprim17ROCPRIM_400000_NS6detail17trampoline_kernelINS0_14default_configENS1_25partition_config_selectorILNS1_17partition_subalgoE8EiNS0_10empty_typeEbEEZZNS1_14partition_implILS5_8ELb0ES3_jN6thrust23THRUST_200600_302600_NS6detail15normal_iteratorINSA_10device_ptrIiEEEEPS6_PKS6_NS0_5tupleIJSF_S6_EEENSJ_IJSG_SG_EEENS0_18inequality_wrapperINSA_8equal_toIiEEEEPmJS6_EEE10hipError_tPvRmT3_T4_T5_T6_T7_T9_mT8_P12ihipStream_tbDpT10_ENKUlT_T0_E_clISt17integral_constantIbLb0EES1A_EEDaS15_S16_EUlS15_E_NS1_11comp_targetILNS1_3genE8ELNS1_11target_archE1030ELNS1_3gpuE2ELNS1_3repE0EEENS1_30default_config_static_selectorELNS0_4arch9wavefront6targetE1EEEvT1_.kd
    .uniform_work_group_size: 1
    .uses_dynamic_stack: false
    .vgpr_count:     0
    .vgpr_spill_count: 0
    .wavefront_size: 64
  - .args:
      - .offset:         0
        .size:           128
        .value_kind:     by_value
    .group_segment_fixed_size: 0
    .kernarg_segment_align: 8
    .kernarg_segment_size: 128
    .language:       OpenCL C
    .language_version:
      - 2
      - 0
    .max_flat_workgroup_size: 512
    .name:           _ZN7rocprim17ROCPRIM_400000_NS6detail17trampoline_kernelINS0_14default_configENS1_25partition_config_selectorILNS1_17partition_subalgoE8EiNS0_10empty_typeEbEEZZNS1_14partition_implILS5_8ELb0ES3_jN6thrust23THRUST_200600_302600_NS6detail15normal_iteratorINSA_10device_ptrIiEEEEPS6_PKS6_NS0_5tupleIJSF_S6_EEENSJ_IJSG_SG_EEENS0_18inequality_wrapperINSA_8equal_toIiEEEEPmJS6_EEE10hipError_tPvRmT3_T4_T5_T6_T7_T9_mT8_P12ihipStream_tbDpT10_ENKUlT_T0_E_clISt17integral_constantIbLb1EES1A_EEDaS15_S16_EUlS15_E_NS1_11comp_targetILNS1_3genE0ELNS1_11target_archE4294967295ELNS1_3gpuE0ELNS1_3repE0EEENS1_30default_config_static_selectorELNS0_4arch9wavefront6targetE1EEEvT1_
    .private_segment_fixed_size: 0
    .sgpr_count:     4
    .sgpr_spill_count: 0
    .symbol:         _ZN7rocprim17ROCPRIM_400000_NS6detail17trampoline_kernelINS0_14default_configENS1_25partition_config_selectorILNS1_17partition_subalgoE8EiNS0_10empty_typeEbEEZZNS1_14partition_implILS5_8ELb0ES3_jN6thrust23THRUST_200600_302600_NS6detail15normal_iteratorINSA_10device_ptrIiEEEEPS6_PKS6_NS0_5tupleIJSF_S6_EEENSJ_IJSG_SG_EEENS0_18inequality_wrapperINSA_8equal_toIiEEEEPmJS6_EEE10hipError_tPvRmT3_T4_T5_T6_T7_T9_mT8_P12ihipStream_tbDpT10_ENKUlT_T0_E_clISt17integral_constantIbLb1EES1A_EEDaS15_S16_EUlS15_E_NS1_11comp_targetILNS1_3genE0ELNS1_11target_archE4294967295ELNS1_3gpuE0ELNS1_3repE0EEENS1_30default_config_static_selectorELNS0_4arch9wavefront6targetE1EEEvT1_.kd
    .uniform_work_group_size: 1
    .uses_dynamic_stack: false
    .vgpr_count:     0
    .vgpr_spill_count: 0
    .wavefront_size: 64
  - .args:
      - .offset:         0
        .size:           128
        .value_kind:     by_value
    .group_segment_fixed_size: 0
    .kernarg_segment_align: 8
    .kernarg_segment_size: 128
    .language:       OpenCL C
    .language_version:
      - 2
      - 0
    .max_flat_workgroup_size: 512
    .name:           _ZN7rocprim17ROCPRIM_400000_NS6detail17trampoline_kernelINS0_14default_configENS1_25partition_config_selectorILNS1_17partition_subalgoE8EiNS0_10empty_typeEbEEZZNS1_14partition_implILS5_8ELb0ES3_jN6thrust23THRUST_200600_302600_NS6detail15normal_iteratorINSA_10device_ptrIiEEEEPS6_PKS6_NS0_5tupleIJSF_S6_EEENSJ_IJSG_SG_EEENS0_18inequality_wrapperINSA_8equal_toIiEEEEPmJS6_EEE10hipError_tPvRmT3_T4_T5_T6_T7_T9_mT8_P12ihipStream_tbDpT10_ENKUlT_T0_E_clISt17integral_constantIbLb1EES1A_EEDaS15_S16_EUlS15_E_NS1_11comp_targetILNS1_3genE5ELNS1_11target_archE942ELNS1_3gpuE9ELNS1_3repE0EEENS1_30default_config_static_selectorELNS0_4arch9wavefront6targetE1EEEvT1_
    .private_segment_fixed_size: 0
    .sgpr_count:     4
    .sgpr_spill_count: 0
    .symbol:         _ZN7rocprim17ROCPRIM_400000_NS6detail17trampoline_kernelINS0_14default_configENS1_25partition_config_selectorILNS1_17partition_subalgoE8EiNS0_10empty_typeEbEEZZNS1_14partition_implILS5_8ELb0ES3_jN6thrust23THRUST_200600_302600_NS6detail15normal_iteratorINSA_10device_ptrIiEEEEPS6_PKS6_NS0_5tupleIJSF_S6_EEENSJ_IJSG_SG_EEENS0_18inequality_wrapperINSA_8equal_toIiEEEEPmJS6_EEE10hipError_tPvRmT3_T4_T5_T6_T7_T9_mT8_P12ihipStream_tbDpT10_ENKUlT_T0_E_clISt17integral_constantIbLb1EES1A_EEDaS15_S16_EUlS15_E_NS1_11comp_targetILNS1_3genE5ELNS1_11target_archE942ELNS1_3gpuE9ELNS1_3repE0EEENS1_30default_config_static_selectorELNS0_4arch9wavefront6targetE1EEEvT1_.kd
    .uniform_work_group_size: 1
    .uses_dynamic_stack: false
    .vgpr_count:     0
    .vgpr_spill_count: 0
    .wavefront_size: 64
  - .args:
      - .offset:         0
        .size:           128
        .value_kind:     by_value
    .group_segment_fixed_size: 0
    .kernarg_segment_align: 8
    .kernarg_segment_size: 128
    .language:       OpenCL C
    .language_version:
      - 2
      - 0
    .max_flat_workgroup_size: 256
    .name:           _ZN7rocprim17ROCPRIM_400000_NS6detail17trampoline_kernelINS0_14default_configENS1_25partition_config_selectorILNS1_17partition_subalgoE8EiNS0_10empty_typeEbEEZZNS1_14partition_implILS5_8ELb0ES3_jN6thrust23THRUST_200600_302600_NS6detail15normal_iteratorINSA_10device_ptrIiEEEEPS6_PKS6_NS0_5tupleIJSF_S6_EEENSJ_IJSG_SG_EEENS0_18inequality_wrapperINSA_8equal_toIiEEEEPmJS6_EEE10hipError_tPvRmT3_T4_T5_T6_T7_T9_mT8_P12ihipStream_tbDpT10_ENKUlT_T0_E_clISt17integral_constantIbLb1EES1A_EEDaS15_S16_EUlS15_E_NS1_11comp_targetILNS1_3genE4ELNS1_11target_archE910ELNS1_3gpuE8ELNS1_3repE0EEENS1_30default_config_static_selectorELNS0_4arch9wavefront6targetE1EEEvT1_
    .private_segment_fixed_size: 0
    .sgpr_count:     4
    .sgpr_spill_count: 0
    .symbol:         _ZN7rocprim17ROCPRIM_400000_NS6detail17trampoline_kernelINS0_14default_configENS1_25partition_config_selectorILNS1_17partition_subalgoE8EiNS0_10empty_typeEbEEZZNS1_14partition_implILS5_8ELb0ES3_jN6thrust23THRUST_200600_302600_NS6detail15normal_iteratorINSA_10device_ptrIiEEEEPS6_PKS6_NS0_5tupleIJSF_S6_EEENSJ_IJSG_SG_EEENS0_18inequality_wrapperINSA_8equal_toIiEEEEPmJS6_EEE10hipError_tPvRmT3_T4_T5_T6_T7_T9_mT8_P12ihipStream_tbDpT10_ENKUlT_T0_E_clISt17integral_constantIbLb1EES1A_EEDaS15_S16_EUlS15_E_NS1_11comp_targetILNS1_3genE4ELNS1_11target_archE910ELNS1_3gpuE8ELNS1_3repE0EEENS1_30default_config_static_selectorELNS0_4arch9wavefront6targetE1EEEvT1_.kd
    .uniform_work_group_size: 1
    .uses_dynamic_stack: false
    .vgpr_count:     0
    .vgpr_spill_count: 0
    .wavefront_size: 64
  - .args:
      - .offset:         0
        .size:           128
        .value_kind:     by_value
    .group_segment_fixed_size: 0
    .kernarg_segment_align: 8
    .kernarg_segment_size: 128
    .language:       OpenCL C
    .language_version:
      - 2
      - 0
    .max_flat_workgroup_size: 512
    .name:           _ZN7rocprim17ROCPRIM_400000_NS6detail17trampoline_kernelINS0_14default_configENS1_25partition_config_selectorILNS1_17partition_subalgoE8EiNS0_10empty_typeEbEEZZNS1_14partition_implILS5_8ELb0ES3_jN6thrust23THRUST_200600_302600_NS6detail15normal_iteratorINSA_10device_ptrIiEEEEPS6_PKS6_NS0_5tupleIJSF_S6_EEENSJ_IJSG_SG_EEENS0_18inequality_wrapperINSA_8equal_toIiEEEEPmJS6_EEE10hipError_tPvRmT3_T4_T5_T6_T7_T9_mT8_P12ihipStream_tbDpT10_ENKUlT_T0_E_clISt17integral_constantIbLb1EES1A_EEDaS15_S16_EUlS15_E_NS1_11comp_targetILNS1_3genE3ELNS1_11target_archE908ELNS1_3gpuE7ELNS1_3repE0EEENS1_30default_config_static_selectorELNS0_4arch9wavefront6targetE1EEEvT1_
    .private_segment_fixed_size: 0
    .sgpr_count:     4
    .sgpr_spill_count: 0
    .symbol:         _ZN7rocprim17ROCPRIM_400000_NS6detail17trampoline_kernelINS0_14default_configENS1_25partition_config_selectorILNS1_17partition_subalgoE8EiNS0_10empty_typeEbEEZZNS1_14partition_implILS5_8ELb0ES3_jN6thrust23THRUST_200600_302600_NS6detail15normal_iteratorINSA_10device_ptrIiEEEEPS6_PKS6_NS0_5tupleIJSF_S6_EEENSJ_IJSG_SG_EEENS0_18inequality_wrapperINSA_8equal_toIiEEEEPmJS6_EEE10hipError_tPvRmT3_T4_T5_T6_T7_T9_mT8_P12ihipStream_tbDpT10_ENKUlT_T0_E_clISt17integral_constantIbLb1EES1A_EEDaS15_S16_EUlS15_E_NS1_11comp_targetILNS1_3genE3ELNS1_11target_archE908ELNS1_3gpuE7ELNS1_3repE0EEENS1_30default_config_static_selectorELNS0_4arch9wavefront6targetE1EEEvT1_.kd
    .uniform_work_group_size: 1
    .uses_dynamic_stack: false
    .vgpr_count:     0
    .vgpr_spill_count: 0
    .wavefront_size: 64
  - .args:
      - .offset:         0
        .size:           128
        .value_kind:     by_value
    .group_segment_fixed_size: 0
    .kernarg_segment_align: 8
    .kernarg_segment_size: 128
    .language:       OpenCL C
    .language_version:
      - 2
      - 0
    .max_flat_workgroup_size: 256
    .name:           _ZN7rocprim17ROCPRIM_400000_NS6detail17trampoline_kernelINS0_14default_configENS1_25partition_config_selectorILNS1_17partition_subalgoE8EiNS0_10empty_typeEbEEZZNS1_14partition_implILS5_8ELb0ES3_jN6thrust23THRUST_200600_302600_NS6detail15normal_iteratorINSA_10device_ptrIiEEEEPS6_PKS6_NS0_5tupleIJSF_S6_EEENSJ_IJSG_SG_EEENS0_18inequality_wrapperINSA_8equal_toIiEEEEPmJS6_EEE10hipError_tPvRmT3_T4_T5_T6_T7_T9_mT8_P12ihipStream_tbDpT10_ENKUlT_T0_E_clISt17integral_constantIbLb1EES1A_EEDaS15_S16_EUlS15_E_NS1_11comp_targetILNS1_3genE2ELNS1_11target_archE906ELNS1_3gpuE6ELNS1_3repE0EEENS1_30default_config_static_selectorELNS0_4arch9wavefront6targetE1EEEvT1_
    .private_segment_fixed_size: 0
    .sgpr_count:     4
    .sgpr_spill_count: 0
    .symbol:         _ZN7rocprim17ROCPRIM_400000_NS6detail17trampoline_kernelINS0_14default_configENS1_25partition_config_selectorILNS1_17partition_subalgoE8EiNS0_10empty_typeEbEEZZNS1_14partition_implILS5_8ELb0ES3_jN6thrust23THRUST_200600_302600_NS6detail15normal_iteratorINSA_10device_ptrIiEEEEPS6_PKS6_NS0_5tupleIJSF_S6_EEENSJ_IJSG_SG_EEENS0_18inequality_wrapperINSA_8equal_toIiEEEEPmJS6_EEE10hipError_tPvRmT3_T4_T5_T6_T7_T9_mT8_P12ihipStream_tbDpT10_ENKUlT_T0_E_clISt17integral_constantIbLb1EES1A_EEDaS15_S16_EUlS15_E_NS1_11comp_targetILNS1_3genE2ELNS1_11target_archE906ELNS1_3gpuE6ELNS1_3repE0EEENS1_30default_config_static_selectorELNS0_4arch9wavefront6targetE1EEEvT1_.kd
    .uniform_work_group_size: 1
    .uses_dynamic_stack: false
    .vgpr_count:     0
    .vgpr_spill_count: 0
    .wavefront_size: 64
  - .args:
      - .offset:         0
        .size:           128
        .value_kind:     by_value
    .group_segment_fixed_size: 0
    .kernarg_segment_align: 8
    .kernarg_segment_size: 128
    .language:       OpenCL C
    .language_version:
      - 2
      - 0
    .max_flat_workgroup_size: 384
    .name:           _ZN7rocprim17ROCPRIM_400000_NS6detail17trampoline_kernelINS0_14default_configENS1_25partition_config_selectorILNS1_17partition_subalgoE8EiNS0_10empty_typeEbEEZZNS1_14partition_implILS5_8ELb0ES3_jN6thrust23THRUST_200600_302600_NS6detail15normal_iteratorINSA_10device_ptrIiEEEEPS6_PKS6_NS0_5tupleIJSF_S6_EEENSJ_IJSG_SG_EEENS0_18inequality_wrapperINSA_8equal_toIiEEEEPmJS6_EEE10hipError_tPvRmT3_T4_T5_T6_T7_T9_mT8_P12ihipStream_tbDpT10_ENKUlT_T0_E_clISt17integral_constantIbLb1EES1A_EEDaS15_S16_EUlS15_E_NS1_11comp_targetILNS1_3genE10ELNS1_11target_archE1200ELNS1_3gpuE4ELNS1_3repE0EEENS1_30default_config_static_selectorELNS0_4arch9wavefront6targetE1EEEvT1_
    .private_segment_fixed_size: 0
    .sgpr_count:     4
    .sgpr_spill_count: 0
    .symbol:         _ZN7rocprim17ROCPRIM_400000_NS6detail17trampoline_kernelINS0_14default_configENS1_25partition_config_selectorILNS1_17partition_subalgoE8EiNS0_10empty_typeEbEEZZNS1_14partition_implILS5_8ELb0ES3_jN6thrust23THRUST_200600_302600_NS6detail15normal_iteratorINSA_10device_ptrIiEEEEPS6_PKS6_NS0_5tupleIJSF_S6_EEENSJ_IJSG_SG_EEENS0_18inequality_wrapperINSA_8equal_toIiEEEEPmJS6_EEE10hipError_tPvRmT3_T4_T5_T6_T7_T9_mT8_P12ihipStream_tbDpT10_ENKUlT_T0_E_clISt17integral_constantIbLb1EES1A_EEDaS15_S16_EUlS15_E_NS1_11comp_targetILNS1_3genE10ELNS1_11target_archE1200ELNS1_3gpuE4ELNS1_3repE0EEENS1_30default_config_static_selectorELNS0_4arch9wavefront6targetE1EEEvT1_.kd
    .uniform_work_group_size: 1
    .uses_dynamic_stack: false
    .vgpr_count:     0
    .vgpr_spill_count: 0
    .wavefront_size: 64
  - .args:
      - .offset:         0
        .size:           128
        .value_kind:     by_value
    .group_segment_fixed_size: 0
    .kernarg_segment_align: 8
    .kernarg_segment_size: 128
    .language:       OpenCL C
    .language_version:
      - 2
      - 0
    .max_flat_workgroup_size: 384
    .name:           _ZN7rocprim17ROCPRIM_400000_NS6detail17trampoline_kernelINS0_14default_configENS1_25partition_config_selectorILNS1_17partition_subalgoE8EiNS0_10empty_typeEbEEZZNS1_14partition_implILS5_8ELb0ES3_jN6thrust23THRUST_200600_302600_NS6detail15normal_iteratorINSA_10device_ptrIiEEEEPS6_PKS6_NS0_5tupleIJSF_S6_EEENSJ_IJSG_SG_EEENS0_18inequality_wrapperINSA_8equal_toIiEEEEPmJS6_EEE10hipError_tPvRmT3_T4_T5_T6_T7_T9_mT8_P12ihipStream_tbDpT10_ENKUlT_T0_E_clISt17integral_constantIbLb1EES1A_EEDaS15_S16_EUlS15_E_NS1_11comp_targetILNS1_3genE9ELNS1_11target_archE1100ELNS1_3gpuE3ELNS1_3repE0EEENS1_30default_config_static_selectorELNS0_4arch9wavefront6targetE1EEEvT1_
    .private_segment_fixed_size: 0
    .sgpr_count:     4
    .sgpr_spill_count: 0
    .symbol:         _ZN7rocprim17ROCPRIM_400000_NS6detail17trampoline_kernelINS0_14default_configENS1_25partition_config_selectorILNS1_17partition_subalgoE8EiNS0_10empty_typeEbEEZZNS1_14partition_implILS5_8ELb0ES3_jN6thrust23THRUST_200600_302600_NS6detail15normal_iteratorINSA_10device_ptrIiEEEEPS6_PKS6_NS0_5tupleIJSF_S6_EEENSJ_IJSG_SG_EEENS0_18inequality_wrapperINSA_8equal_toIiEEEEPmJS6_EEE10hipError_tPvRmT3_T4_T5_T6_T7_T9_mT8_P12ihipStream_tbDpT10_ENKUlT_T0_E_clISt17integral_constantIbLb1EES1A_EEDaS15_S16_EUlS15_E_NS1_11comp_targetILNS1_3genE9ELNS1_11target_archE1100ELNS1_3gpuE3ELNS1_3repE0EEENS1_30default_config_static_selectorELNS0_4arch9wavefront6targetE1EEEvT1_.kd
    .uniform_work_group_size: 1
    .uses_dynamic_stack: false
    .vgpr_count:     0
    .vgpr_spill_count: 0
    .wavefront_size: 64
  - .args:
      - .offset:         0
        .size:           128
        .value_kind:     by_value
    .group_segment_fixed_size: 0
    .kernarg_segment_align: 8
    .kernarg_segment_size: 128
    .language:       OpenCL C
    .language_version:
      - 2
      - 0
    .max_flat_workgroup_size: 512
    .name:           _ZN7rocprim17ROCPRIM_400000_NS6detail17trampoline_kernelINS0_14default_configENS1_25partition_config_selectorILNS1_17partition_subalgoE8EiNS0_10empty_typeEbEEZZNS1_14partition_implILS5_8ELb0ES3_jN6thrust23THRUST_200600_302600_NS6detail15normal_iteratorINSA_10device_ptrIiEEEEPS6_PKS6_NS0_5tupleIJSF_S6_EEENSJ_IJSG_SG_EEENS0_18inequality_wrapperINSA_8equal_toIiEEEEPmJS6_EEE10hipError_tPvRmT3_T4_T5_T6_T7_T9_mT8_P12ihipStream_tbDpT10_ENKUlT_T0_E_clISt17integral_constantIbLb1EES1A_EEDaS15_S16_EUlS15_E_NS1_11comp_targetILNS1_3genE8ELNS1_11target_archE1030ELNS1_3gpuE2ELNS1_3repE0EEENS1_30default_config_static_selectorELNS0_4arch9wavefront6targetE1EEEvT1_
    .private_segment_fixed_size: 0
    .sgpr_count:     4
    .sgpr_spill_count: 0
    .symbol:         _ZN7rocprim17ROCPRIM_400000_NS6detail17trampoline_kernelINS0_14default_configENS1_25partition_config_selectorILNS1_17partition_subalgoE8EiNS0_10empty_typeEbEEZZNS1_14partition_implILS5_8ELb0ES3_jN6thrust23THRUST_200600_302600_NS6detail15normal_iteratorINSA_10device_ptrIiEEEEPS6_PKS6_NS0_5tupleIJSF_S6_EEENSJ_IJSG_SG_EEENS0_18inequality_wrapperINSA_8equal_toIiEEEEPmJS6_EEE10hipError_tPvRmT3_T4_T5_T6_T7_T9_mT8_P12ihipStream_tbDpT10_ENKUlT_T0_E_clISt17integral_constantIbLb1EES1A_EEDaS15_S16_EUlS15_E_NS1_11comp_targetILNS1_3genE8ELNS1_11target_archE1030ELNS1_3gpuE2ELNS1_3repE0EEENS1_30default_config_static_selectorELNS0_4arch9wavefront6targetE1EEEvT1_.kd
    .uniform_work_group_size: 1
    .uses_dynamic_stack: false
    .vgpr_count:     0
    .vgpr_spill_count: 0
    .wavefront_size: 64
  - .args:
      - .offset:         0
        .size:           112
        .value_kind:     by_value
    .group_segment_fixed_size: 0
    .kernarg_segment_align: 8
    .kernarg_segment_size: 112
    .language:       OpenCL C
    .language_version:
      - 2
      - 0
    .max_flat_workgroup_size: 512
    .name:           _ZN7rocprim17ROCPRIM_400000_NS6detail17trampoline_kernelINS0_14default_configENS1_25partition_config_selectorILNS1_17partition_subalgoE8EiNS0_10empty_typeEbEEZZNS1_14partition_implILS5_8ELb0ES3_jN6thrust23THRUST_200600_302600_NS6detail15normal_iteratorINSA_10device_ptrIiEEEEPS6_PKS6_NS0_5tupleIJSF_S6_EEENSJ_IJSG_SG_EEENS0_18inequality_wrapperINSA_8equal_toIiEEEEPmJS6_EEE10hipError_tPvRmT3_T4_T5_T6_T7_T9_mT8_P12ihipStream_tbDpT10_ENKUlT_T0_E_clISt17integral_constantIbLb1EES19_IbLb0EEEEDaS15_S16_EUlS15_E_NS1_11comp_targetILNS1_3genE0ELNS1_11target_archE4294967295ELNS1_3gpuE0ELNS1_3repE0EEENS1_30default_config_static_selectorELNS0_4arch9wavefront6targetE1EEEvT1_
    .private_segment_fixed_size: 0
    .sgpr_count:     4
    .sgpr_spill_count: 0
    .symbol:         _ZN7rocprim17ROCPRIM_400000_NS6detail17trampoline_kernelINS0_14default_configENS1_25partition_config_selectorILNS1_17partition_subalgoE8EiNS0_10empty_typeEbEEZZNS1_14partition_implILS5_8ELb0ES3_jN6thrust23THRUST_200600_302600_NS6detail15normal_iteratorINSA_10device_ptrIiEEEEPS6_PKS6_NS0_5tupleIJSF_S6_EEENSJ_IJSG_SG_EEENS0_18inequality_wrapperINSA_8equal_toIiEEEEPmJS6_EEE10hipError_tPvRmT3_T4_T5_T6_T7_T9_mT8_P12ihipStream_tbDpT10_ENKUlT_T0_E_clISt17integral_constantIbLb1EES19_IbLb0EEEEDaS15_S16_EUlS15_E_NS1_11comp_targetILNS1_3genE0ELNS1_11target_archE4294967295ELNS1_3gpuE0ELNS1_3repE0EEENS1_30default_config_static_selectorELNS0_4arch9wavefront6targetE1EEEvT1_.kd
    .uniform_work_group_size: 1
    .uses_dynamic_stack: false
    .vgpr_count:     0
    .vgpr_spill_count: 0
    .wavefront_size: 64
  - .args:
      - .offset:         0
        .size:           112
        .value_kind:     by_value
    .group_segment_fixed_size: 0
    .kernarg_segment_align: 8
    .kernarg_segment_size: 112
    .language:       OpenCL C
    .language_version:
      - 2
      - 0
    .max_flat_workgroup_size: 512
    .name:           _ZN7rocprim17ROCPRIM_400000_NS6detail17trampoline_kernelINS0_14default_configENS1_25partition_config_selectorILNS1_17partition_subalgoE8EiNS0_10empty_typeEbEEZZNS1_14partition_implILS5_8ELb0ES3_jN6thrust23THRUST_200600_302600_NS6detail15normal_iteratorINSA_10device_ptrIiEEEEPS6_PKS6_NS0_5tupleIJSF_S6_EEENSJ_IJSG_SG_EEENS0_18inequality_wrapperINSA_8equal_toIiEEEEPmJS6_EEE10hipError_tPvRmT3_T4_T5_T6_T7_T9_mT8_P12ihipStream_tbDpT10_ENKUlT_T0_E_clISt17integral_constantIbLb1EES19_IbLb0EEEEDaS15_S16_EUlS15_E_NS1_11comp_targetILNS1_3genE5ELNS1_11target_archE942ELNS1_3gpuE9ELNS1_3repE0EEENS1_30default_config_static_selectorELNS0_4arch9wavefront6targetE1EEEvT1_
    .private_segment_fixed_size: 0
    .sgpr_count:     4
    .sgpr_spill_count: 0
    .symbol:         _ZN7rocprim17ROCPRIM_400000_NS6detail17trampoline_kernelINS0_14default_configENS1_25partition_config_selectorILNS1_17partition_subalgoE8EiNS0_10empty_typeEbEEZZNS1_14partition_implILS5_8ELb0ES3_jN6thrust23THRUST_200600_302600_NS6detail15normal_iteratorINSA_10device_ptrIiEEEEPS6_PKS6_NS0_5tupleIJSF_S6_EEENSJ_IJSG_SG_EEENS0_18inequality_wrapperINSA_8equal_toIiEEEEPmJS6_EEE10hipError_tPvRmT3_T4_T5_T6_T7_T9_mT8_P12ihipStream_tbDpT10_ENKUlT_T0_E_clISt17integral_constantIbLb1EES19_IbLb0EEEEDaS15_S16_EUlS15_E_NS1_11comp_targetILNS1_3genE5ELNS1_11target_archE942ELNS1_3gpuE9ELNS1_3repE0EEENS1_30default_config_static_selectorELNS0_4arch9wavefront6targetE1EEEvT1_.kd
    .uniform_work_group_size: 1
    .uses_dynamic_stack: false
    .vgpr_count:     0
    .vgpr_spill_count: 0
    .wavefront_size: 64
  - .args:
      - .offset:         0
        .size:           112
        .value_kind:     by_value
    .group_segment_fixed_size: 0
    .kernarg_segment_align: 8
    .kernarg_segment_size: 112
    .language:       OpenCL C
    .language_version:
      - 2
      - 0
    .max_flat_workgroup_size: 256
    .name:           _ZN7rocprim17ROCPRIM_400000_NS6detail17trampoline_kernelINS0_14default_configENS1_25partition_config_selectorILNS1_17partition_subalgoE8EiNS0_10empty_typeEbEEZZNS1_14partition_implILS5_8ELb0ES3_jN6thrust23THRUST_200600_302600_NS6detail15normal_iteratorINSA_10device_ptrIiEEEEPS6_PKS6_NS0_5tupleIJSF_S6_EEENSJ_IJSG_SG_EEENS0_18inequality_wrapperINSA_8equal_toIiEEEEPmJS6_EEE10hipError_tPvRmT3_T4_T5_T6_T7_T9_mT8_P12ihipStream_tbDpT10_ENKUlT_T0_E_clISt17integral_constantIbLb1EES19_IbLb0EEEEDaS15_S16_EUlS15_E_NS1_11comp_targetILNS1_3genE4ELNS1_11target_archE910ELNS1_3gpuE8ELNS1_3repE0EEENS1_30default_config_static_selectorELNS0_4arch9wavefront6targetE1EEEvT1_
    .private_segment_fixed_size: 0
    .sgpr_count:     4
    .sgpr_spill_count: 0
    .symbol:         _ZN7rocprim17ROCPRIM_400000_NS6detail17trampoline_kernelINS0_14default_configENS1_25partition_config_selectorILNS1_17partition_subalgoE8EiNS0_10empty_typeEbEEZZNS1_14partition_implILS5_8ELb0ES3_jN6thrust23THRUST_200600_302600_NS6detail15normal_iteratorINSA_10device_ptrIiEEEEPS6_PKS6_NS0_5tupleIJSF_S6_EEENSJ_IJSG_SG_EEENS0_18inequality_wrapperINSA_8equal_toIiEEEEPmJS6_EEE10hipError_tPvRmT3_T4_T5_T6_T7_T9_mT8_P12ihipStream_tbDpT10_ENKUlT_T0_E_clISt17integral_constantIbLb1EES19_IbLb0EEEEDaS15_S16_EUlS15_E_NS1_11comp_targetILNS1_3genE4ELNS1_11target_archE910ELNS1_3gpuE8ELNS1_3repE0EEENS1_30default_config_static_selectorELNS0_4arch9wavefront6targetE1EEEvT1_.kd
    .uniform_work_group_size: 1
    .uses_dynamic_stack: false
    .vgpr_count:     0
    .vgpr_spill_count: 0
    .wavefront_size: 64
  - .args:
      - .offset:         0
        .size:           112
        .value_kind:     by_value
    .group_segment_fixed_size: 0
    .kernarg_segment_align: 8
    .kernarg_segment_size: 112
    .language:       OpenCL C
    .language_version:
      - 2
      - 0
    .max_flat_workgroup_size: 512
    .name:           _ZN7rocprim17ROCPRIM_400000_NS6detail17trampoline_kernelINS0_14default_configENS1_25partition_config_selectorILNS1_17partition_subalgoE8EiNS0_10empty_typeEbEEZZNS1_14partition_implILS5_8ELb0ES3_jN6thrust23THRUST_200600_302600_NS6detail15normal_iteratorINSA_10device_ptrIiEEEEPS6_PKS6_NS0_5tupleIJSF_S6_EEENSJ_IJSG_SG_EEENS0_18inequality_wrapperINSA_8equal_toIiEEEEPmJS6_EEE10hipError_tPvRmT3_T4_T5_T6_T7_T9_mT8_P12ihipStream_tbDpT10_ENKUlT_T0_E_clISt17integral_constantIbLb1EES19_IbLb0EEEEDaS15_S16_EUlS15_E_NS1_11comp_targetILNS1_3genE3ELNS1_11target_archE908ELNS1_3gpuE7ELNS1_3repE0EEENS1_30default_config_static_selectorELNS0_4arch9wavefront6targetE1EEEvT1_
    .private_segment_fixed_size: 0
    .sgpr_count:     4
    .sgpr_spill_count: 0
    .symbol:         _ZN7rocprim17ROCPRIM_400000_NS6detail17trampoline_kernelINS0_14default_configENS1_25partition_config_selectorILNS1_17partition_subalgoE8EiNS0_10empty_typeEbEEZZNS1_14partition_implILS5_8ELb0ES3_jN6thrust23THRUST_200600_302600_NS6detail15normal_iteratorINSA_10device_ptrIiEEEEPS6_PKS6_NS0_5tupleIJSF_S6_EEENSJ_IJSG_SG_EEENS0_18inequality_wrapperINSA_8equal_toIiEEEEPmJS6_EEE10hipError_tPvRmT3_T4_T5_T6_T7_T9_mT8_P12ihipStream_tbDpT10_ENKUlT_T0_E_clISt17integral_constantIbLb1EES19_IbLb0EEEEDaS15_S16_EUlS15_E_NS1_11comp_targetILNS1_3genE3ELNS1_11target_archE908ELNS1_3gpuE7ELNS1_3repE0EEENS1_30default_config_static_selectorELNS0_4arch9wavefront6targetE1EEEvT1_.kd
    .uniform_work_group_size: 1
    .uses_dynamic_stack: false
    .vgpr_count:     0
    .vgpr_spill_count: 0
    .wavefront_size: 64
  - .args:
      - .offset:         0
        .size:           112
        .value_kind:     by_value
    .group_segment_fixed_size: 0
    .kernarg_segment_align: 8
    .kernarg_segment_size: 112
    .language:       OpenCL C
    .language_version:
      - 2
      - 0
    .max_flat_workgroup_size: 256
    .name:           _ZN7rocprim17ROCPRIM_400000_NS6detail17trampoline_kernelINS0_14default_configENS1_25partition_config_selectorILNS1_17partition_subalgoE8EiNS0_10empty_typeEbEEZZNS1_14partition_implILS5_8ELb0ES3_jN6thrust23THRUST_200600_302600_NS6detail15normal_iteratorINSA_10device_ptrIiEEEEPS6_PKS6_NS0_5tupleIJSF_S6_EEENSJ_IJSG_SG_EEENS0_18inequality_wrapperINSA_8equal_toIiEEEEPmJS6_EEE10hipError_tPvRmT3_T4_T5_T6_T7_T9_mT8_P12ihipStream_tbDpT10_ENKUlT_T0_E_clISt17integral_constantIbLb1EES19_IbLb0EEEEDaS15_S16_EUlS15_E_NS1_11comp_targetILNS1_3genE2ELNS1_11target_archE906ELNS1_3gpuE6ELNS1_3repE0EEENS1_30default_config_static_selectorELNS0_4arch9wavefront6targetE1EEEvT1_
    .private_segment_fixed_size: 0
    .sgpr_count:     4
    .sgpr_spill_count: 0
    .symbol:         _ZN7rocprim17ROCPRIM_400000_NS6detail17trampoline_kernelINS0_14default_configENS1_25partition_config_selectorILNS1_17partition_subalgoE8EiNS0_10empty_typeEbEEZZNS1_14partition_implILS5_8ELb0ES3_jN6thrust23THRUST_200600_302600_NS6detail15normal_iteratorINSA_10device_ptrIiEEEEPS6_PKS6_NS0_5tupleIJSF_S6_EEENSJ_IJSG_SG_EEENS0_18inequality_wrapperINSA_8equal_toIiEEEEPmJS6_EEE10hipError_tPvRmT3_T4_T5_T6_T7_T9_mT8_P12ihipStream_tbDpT10_ENKUlT_T0_E_clISt17integral_constantIbLb1EES19_IbLb0EEEEDaS15_S16_EUlS15_E_NS1_11comp_targetILNS1_3genE2ELNS1_11target_archE906ELNS1_3gpuE6ELNS1_3repE0EEENS1_30default_config_static_selectorELNS0_4arch9wavefront6targetE1EEEvT1_.kd
    .uniform_work_group_size: 1
    .uses_dynamic_stack: false
    .vgpr_count:     0
    .vgpr_spill_count: 0
    .wavefront_size: 64
  - .args:
      - .offset:         0
        .size:           112
        .value_kind:     by_value
    .group_segment_fixed_size: 0
    .kernarg_segment_align: 8
    .kernarg_segment_size: 112
    .language:       OpenCL C
    .language_version:
      - 2
      - 0
    .max_flat_workgroup_size: 384
    .name:           _ZN7rocprim17ROCPRIM_400000_NS6detail17trampoline_kernelINS0_14default_configENS1_25partition_config_selectorILNS1_17partition_subalgoE8EiNS0_10empty_typeEbEEZZNS1_14partition_implILS5_8ELb0ES3_jN6thrust23THRUST_200600_302600_NS6detail15normal_iteratorINSA_10device_ptrIiEEEEPS6_PKS6_NS0_5tupleIJSF_S6_EEENSJ_IJSG_SG_EEENS0_18inequality_wrapperINSA_8equal_toIiEEEEPmJS6_EEE10hipError_tPvRmT3_T4_T5_T6_T7_T9_mT8_P12ihipStream_tbDpT10_ENKUlT_T0_E_clISt17integral_constantIbLb1EES19_IbLb0EEEEDaS15_S16_EUlS15_E_NS1_11comp_targetILNS1_3genE10ELNS1_11target_archE1200ELNS1_3gpuE4ELNS1_3repE0EEENS1_30default_config_static_selectorELNS0_4arch9wavefront6targetE1EEEvT1_
    .private_segment_fixed_size: 0
    .sgpr_count:     4
    .sgpr_spill_count: 0
    .symbol:         _ZN7rocprim17ROCPRIM_400000_NS6detail17trampoline_kernelINS0_14default_configENS1_25partition_config_selectorILNS1_17partition_subalgoE8EiNS0_10empty_typeEbEEZZNS1_14partition_implILS5_8ELb0ES3_jN6thrust23THRUST_200600_302600_NS6detail15normal_iteratorINSA_10device_ptrIiEEEEPS6_PKS6_NS0_5tupleIJSF_S6_EEENSJ_IJSG_SG_EEENS0_18inequality_wrapperINSA_8equal_toIiEEEEPmJS6_EEE10hipError_tPvRmT3_T4_T5_T6_T7_T9_mT8_P12ihipStream_tbDpT10_ENKUlT_T0_E_clISt17integral_constantIbLb1EES19_IbLb0EEEEDaS15_S16_EUlS15_E_NS1_11comp_targetILNS1_3genE10ELNS1_11target_archE1200ELNS1_3gpuE4ELNS1_3repE0EEENS1_30default_config_static_selectorELNS0_4arch9wavefront6targetE1EEEvT1_.kd
    .uniform_work_group_size: 1
    .uses_dynamic_stack: false
    .vgpr_count:     0
    .vgpr_spill_count: 0
    .wavefront_size: 64
  - .args:
      - .offset:         0
        .size:           112
        .value_kind:     by_value
    .group_segment_fixed_size: 0
    .kernarg_segment_align: 8
    .kernarg_segment_size: 112
    .language:       OpenCL C
    .language_version:
      - 2
      - 0
    .max_flat_workgroup_size: 384
    .name:           _ZN7rocprim17ROCPRIM_400000_NS6detail17trampoline_kernelINS0_14default_configENS1_25partition_config_selectorILNS1_17partition_subalgoE8EiNS0_10empty_typeEbEEZZNS1_14partition_implILS5_8ELb0ES3_jN6thrust23THRUST_200600_302600_NS6detail15normal_iteratorINSA_10device_ptrIiEEEEPS6_PKS6_NS0_5tupleIJSF_S6_EEENSJ_IJSG_SG_EEENS0_18inequality_wrapperINSA_8equal_toIiEEEEPmJS6_EEE10hipError_tPvRmT3_T4_T5_T6_T7_T9_mT8_P12ihipStream_tbDpT10_ENKUlT_T0_E_clISt17integral_constantIbLb1EES19_IbLb0EEEEDaS15_S16_EUlS15_E_NS1_11comp_targetILNS1_3genE9ELNS1_11target_archE1100ELNS1_3gpuE3ELNS1_3repE0EEENS1_30default_config_static_selectorELNS0_4arch9wavefront6targetE1EEEvT1_
    .private_segment_fixed_size: 0
    .sgpr_count:     4
    .sgpr_spill_count: 0
    .symbol:         _ZN7rocprim17ROCPRIM_400000_NS6detail17trampoline_kernelINS0_14default_configENS1_25partition_config_selectorILNS1_17partition_subalgoE8EiNS0_10empty_typeEbEEZZNS1_14partition_implILS5_8ELb0ES3_jN6thrust23THRUST_200600_302600_NS6detail15normal_iteratorINSA_10device_ptrIiEEEEPS6_PKS6_NS0_5tupleIJSF_S6_EEENSJ_IJSG_SG_EEENS0_18inequality_wrapperINSA_8equal_toIiEEEEPmJS6_EEE10hipError_tPvRmT3_T4_T5_T6_T7_T9_mT8_P12ihipStream_tbDpT10_ENKUlT_T0_E_clISt17integral_constantIbLb1EES19_IbLb0EEEEDaS15_S16_EUlS15_E_NS1_11comp_targetILNS1_3genE9ELNS1_11target_archE1100ELNS1_3gpuE3ELNS1_3repE0EEENS1_30default_config_static_selectorELNS0_4arch9wavefront6targetE1EEEvT1_.kd
    .uniform_work_group_size: 1
    .uses_dynamic_stack: false
    .vgpr_count:     0
    .vgpr_spill_count: 0
    .wavefront_size: 64
  - .args:
      - .offset:         0
        .size:           112
        .value_kind:     by_value
    .group_segment_fixed_size: 0
    .kernarg_segment_align: 8
    .kernarg_segment_size: 112
    .language:       OpenCL C
    .language_version:
      - 2
      - 0
    .max_flat_workgroup_size: 512
    .name:           _ZN7rocprim17ROCPRIM_400000_NS6detail17trampoline_kernelINS0_14default_configENS1_25partition_config_selectorILNS1_17partition_subalgoE8EiNS0_10empty_typeEbEEZZNS1_14partition_implILS5_8ELb0ES3_jN6thrust23THRUST_200600_302600_NS6detail15normal_iteratorINSA_10device_ptrIiEEEEPS6_PKS6_NS0_5tupleIJSF_S6_EEENSJ_IJSG_SG_EEENS0_18inequality_wrapperINSA_8equal_toIiEEEEPmJS6_EEE10hipError_tPvRmT3_T4_T5_T6_T7_T9_mT8_P12ihipStream_tbDpT10_ENKUlT_T0_E_clISt17integral_constantIbLb1EES19_IbLb0EEEEDaS15_S16_EUlS15_E_NS1_11comp_targetILNS1_3genE8ELNS1_11target_archE1030ELNS1_3gpuE2ELNS1_3repE0EEENS1_30default_config_static_selectorELNS0_4arch9wavefront6targetE1EEEvT1_
    .private_segment_fixed_size: 0
    .sgpr_count:     4
    .sgpr_spill_count: 0
    .symbol:         _ZN7rocprim17ROCPRIM_400000_NS6detail17trampoline_kernelINS0_14default_configENS1_25partition_config_selectorILNS1_17partition_subalgoE8EiNS0_10empty_typeEbEEZZNS1_14partition_implILS5_8ELb0ES3_jN6thrust23THRUST_200600_302600_NS6detail15normal_iteratorINSA_10device_ptrIiEEEEPS6_PKS6_NS0_5tupleIJSF_S6_EEENSJ_IJSG_SG_EEENS0_18inequality_wrapperINSA_8equal_toIiEEEEPmJS6_EEE10hipError_tPvRmT3_T4_T5_T6_T7_T9_mT8_P12ihipStream_tbDpT10_ENKUlT_T0_E_clISt17integral_constantIbLb1EES19_IbLb0EEEEDaS15_S16_EUlS15_E_NS1_11comp_targetILNS1_3genE8ELNS1_11target_archE1030ELNS1_3gpuE2ELNS1_3repE0EEENS1_30default_config_static_selectorELNS0_4arch9wavefront6targetE1EEEvT1_.kd
    .uniform_work_group_size: 1
    .uses_dynamic_stack: false
    .vgpr_count:     0
    .vgpr_spill_count: 0
    .wavefront_size: 64
  - .args:
      - .offset:         0
        .size:           128
        .value_kind:     by_value
    .group_segment_fixed_size: 0
    .kernarg_segment_align: 8
    .kernarg_segment_size: 128
    .language:       OpenCL C
    .language_version:
      - 2
      - 0
    .max_flat_workgroup_size: 512
    .name:           _ZN7rocprim17ROCPRIM_400000_NS6detail17trampoline_kernelINS0_14default_configENS1_25partition_config_selectorILNS1_17partition_subalgoE8EiNS0_10empty_typeEbEEZZNS1_14partition_implILS5_8ELb0ES3_jN6thrust23THRUST_200600_302600_NS6detail15normal_iteratorINSA_10device_ptrIiEEEEPS6_PKS6_NS0_5tupleIJSF_S6_EEENSJ_IJSG_SG_EEENS0_18inequality_wrapperINSA_8equal_toIiEEEEPmJS6_EEE10hipError_tPvRmT3_T4_T5_T6_T7_T9_mT8_P12ihipStream_tbDpT10_ENKUlT_T0_E_clISt17integral_constantIbLb0EES19_IbLb1EEEEDaS15_S16_EUlS15_E_NS1_11comp_targetILNS1_3genE0ELNS1_11target_archE4294967295ELNS1_3gpuE0ELNS1_3repE0EEENS1_30default_config_static_selectorELNS0_4arch9wavefront6targetE1EEEvT1_
    .private_segment_fixed_size: 0
    .sgpr_count:     4
    .sgpr_spill_count: 0
    .symbol:         _ZN7rocprim17ROCPRIM_400000_NS6detail17trampoline_kernelINS0_14default_configENS1_25partition_config_selectorILNS1_17partition_subalgoE8EiNS0_10empty_typeEbEEZZNS1_14partition_implILS5_8ELb0ES3_jN6thrust23THRUST_200600_302600_NS6detail15normal_iteratorINSA_10device_ptrIiEEEEPS6_PKS6_NS0_5tupleIJSF_S6_EEENSJ_IJSG_SG_EEENS0_18inequality_wrapperINSA_8equal_toIiEEEEPmJS6_EEE10hipError_tPvRmT3_T4_T5_T6_T7_T9_mT8_P12ihipStream_tbDpT10_ENKUlT_T0_E_clISt17integral_constantIbLb0EES19_IbLb1EEEEDaS15_S16_EUlS15_E_NS1_11comp_targetILNS1_3genE0ELNS1_11target_archE4294967295ELNS1_3gpuE0ELNS1_3repE0EEENS1_30default_config_static_selectorELNS0_4arch9wavefront6targetE1EEEvT1_.kd
    .uniform_work_group_size: 1
    .uses_dynamic_stack: false
    .vgpr_count:     0
    .vgpr_spill_count: 0
    .wavefront_size: 64
  - .args:
      - .offset:         0
        .size:           128
        .value_kind:     by_value
    .group_segment_fixed_size: 0
    .kernarg_segment_align: 8
    .kernarg_segment_size: 128
    .language:       OpenCL C
    .language_version:
      - 2
      - 0
    .max_flat_workgroup_size: 512
    .name:           _ZN7rocprim17ROCPRIM_400000_NS6detail17trampoline_kernelINS0_14default_configENS1_25partition_config_selectorILNS1_17partition_subalgoE8EiNS0_10empty_typeEbEEZZNS1_14partition_implILS5_8ELb0ES3_jN6thrust23THRUST_200600_302600_NS6detail15normal_iteratorINSA_10device_ptrIiEEEEPS6_PKS6_NS0_5tupleIJSF_S6_EEENSJ_IJSG_SG_EEENS0_18inequality_wrapperINSA_8equal_toIiEEEEPmJS6_EEE10hipError_tPvRmT3_T4_T5_T6_T7_T9_mT8_P12ihipStream_tbDpT10_ENKUlT_T0_E_clISt17integral_constantIbLb0EES19_IbLb1EEEEDaS15_S16_EUlS15_E_NS1_11comp_targetILNS1_3genE5ELNS1_11target_archE942ELNS1_3gpuE9ELNS1_3repE0EEENS1_30default_config_static_selectorELNS0_4arch9wavefront6targetE1EEEvT1_
    .private_segment_fixed_size: 0
    .sgpr_count:     4
    .sgpr_spill_count: 0
    .symbol:         _ZN7rocprim17ROCPRIM_400000_NS6detail17trampoline_kernelINS0_14default_configENS1_25partition_config_selectorILNS1_17partition_subalgoE8EiNS0_10empty_typeEbEEZZNS1_14partition_implILS5_8ELb0ES3_jN6thrust23THRUST_200600_302600_NS6detail15normal_iteratorINSA_10device_ptrIiEEEEPS6_PKS6_NS0_5tupleIJSF_S6_EEENSJ_IJSG_SG_EEENS0_18inequality_wrapperINSA_8equal_toIiEEEEPmJS6_EEE10hipError_tPvRmT3_T4_T5_T6_T7_T9_mT8_P12ihipStream_tbDpT10_ENKUlT_T0_E_clISt17integral_constantIbLb0EES19_IbLb1EEEEDaS15_S16_EUlS15_E_NS1_11comp_targetILNS1_3genE5ELNS1_11target_archE942ELNS1_3gpuE9ELNS1_3repE0EEENS1_30default_config_static_selectorELNS0_4arch9wavefront6targetE1EEEvT1_.kd
    .uniform_work_group_size: 1
    .uses_dynamic_stack: false
    .vgpr_count:     0
    .vgpr_spill_count: 0
    .wavefront_size: 64
  - .args:
      - .offset:         0
        .size:           128
        .value_kind:     by_value
    .group_segment_fixed_size: 0
    .kernarg_segment_align: 8
    .kernarg_segment_size: 128
    .language:       OpenCL C
    .language_version:
      - 2
      - 0
    .max_flat_workgroup_size: 256
    .name:           _ZN7rocprim17ROCPRIM_400000_NS6detail17trampoline_kernelINS0_14default_configENS1_25partition_config_selectorILNS1_17partition_subalgoE8EiNS0_10empty_typeEbEEZZNS1_14partition_implILS5_8ELb0ES3_jN6thrust23THRUST_200600_302600_NS6detail15normal_iteratorINSA_10device_ptrIiEEEEPS6_PKS6_NS0_5tupleIJSF_S6_EEENSJ_IJSG_SG_EEENS0_18inequality_wrapperINSA_8equal_toIiEEEEPmJS6_EEE10hipError_tPvRmT3_T4_T5_T6_T7_T9_mT8_P12ihipStream_tbDpT10_ENKUlT_T0_E_clISt17integral_constantIbLb0EES19_IbLb1EEEEDaS15_S16_EUlS15_E_NS1_11comp_targetILNS1_3genE4ELNS1_11target_archE910ELNS1_3gpuE8ELNS1_3repE0EEENS1_30default_config_static_selectorELNS0_4arch9wavefront6targetE1EEEvT1_
    .private_segment_fixed_size: 0
    .sgpr_count:     4
    .sgpr_spill_count: 0
    .symbol:         _ZN7rocprim17ROCPRIM_400000_NS6detail17trampoline_kernelINS0_14default_configENS1_25partition_config_selectorILNS1_17partition_subalgoE8EiNS0_10empty_typeEbEEZZNS1_14partition_implILS5_8ELb0ES3_jN6thrust23THRUST_200600_302600_NS6detail15normal_iteratorINSA_10device_ptrIiEEEEPS6_PKS6_NS0_5tupleIJSF_S6_EEENSJ_IJSG_SG_EEENS0_18inequality_wrapperINSA_8equal_toIiEEEEPmJS6_EEE10hipError_tPvRmT3_T4_T5_T6_T7_T9_mT8_P12ihipStream_tbDpT10_ENKUlT_T0_E_clISt17integral_constantIbLb0EES19_IbLb1EEEEDaS15_S16_EUlS15_E_NS1_11comp_targetILNS1_3genE4ELNS1_11target_archE910ELNS1_3gpuE8ELNS1_3repE0EEENS1_30default_config_static_selectorELNS0_4arch9wavefront6targetE1EEEvT1_.kd
    .uniform_work_group_size: 1
    .uses_dynamic_stack: false
    .vgpr_count:     0
    .vgpr_spill_count: 0
    .wavefront_size: 64
  - .args:
      - .offset:         0
        .size:           128
        .value_kind:     by_value
    .group_segment_fixed_size: 0
    .kernarg_segment_align: 8
    .kernarg_segment_size: 128
    .language:       OpenCL C
    .language_version:
      - 2
      - 0
    .max_flat_workgroup_size: 512
    .name:           _ZN7rocprim17ROCPRIM_400000_NS6detail17trampoline_kernelINS0_14default_configENS1_25partition_config_selectorILNS1_17partition_subalgoE8EiNS0_10empty_typeEbEEZZNS1_14partition_implILS5_8ELb0ES3_jN6thrust23THRUST_200600_302600_NS6detail15normal_iteratorINSA_10device_ptrIiEEEEPS6_PKS6_NS0_5tupleIJSF_S6_EEENSJ_IJSG_SG_EEENS0_18inequality_wrapperINSA_8equal_toIiEEEEPmJS6_EEE10hipError_tPvRmT3_T4_T5_T6_T7_T9_mT8_P12ihipStream_tbDpT10_ENKUlT_T0_E_clISt17integral_constantIbLb0EES19_IbLb1EEEEDaS15_S16_EUlS15_E_NS1_11comp_targetILNS1_3genE3ELNS1_11target_archE908ELNS1_3gpuE7ELNS1_3repE0EEENS1_30default_config_static_selectorELNS0_4arch9wavefront6targetE1EEEvT1_
    .private_segment_fixed_size: 0
    .sgpr_count:     4
    .sgpr_spill_count: 0
    .symbol:         _ZN7rocprim17ROCPRIM_400000_NS6detail17trampoline_kernelINS0_14default_configENS1_25partition_config_selectorILNS1_17partition_subalgoE8EiNS0_10empty_typeEbEEZZNS1_14partition_implILS5_8ELb0ES3_jN6thrust23THRUST_200600_302600_NS6detail15normal_iteratorINSA_10device_ptrIiEEEEPS6_PKS6_NS0_5tupleIJSF_S6_EEENSJ_IJSG_SG_EEENS0_18inequality_wrapperINSA_8equal_toIiEEEEPmJS6_EEE10hipError_tPvRmT3_T4_T5_T6_T7_T9_mT8_P12ihipStream_tbDpT10_ENKUlT_T0_E_clISt17integral_constantIbLb0EES19_IbLb1EEEEDaS15_S16_EUlS15_E_NS1_11comp_targetILNS1_3genE3ELNS1_11target_archE908ELNS1_3gpuE7ELNS1_3repE0EEENS1_30default_config_static_selectorELNS0_4arch9wavefront6targetE1EEEvT1_.kd
    .uniform_work_group_size: 1
    .uses_dynamic_stack: false
    .vgpr_count:     0
    .vgpr_spill_count: 0
    .wavefront_size: 64
  - .args:
      - .offset:         0
        .size:           128
        .value_kind:     by_value
    .group_segment_fixed_size: 16904
    .kernarg_segment_align: 8
    .kernarg_segment_size: 128
    .language:       OpenCL C
    .language_version:
      - 2
      - 0
    .max_flat_workgroup_size: 256
    .name:           _ZN7rocprim17ROCPRIM_400000_NS6detail17trampoline_kernelINS0_14default_configENS1_25partition_config_selectorILNS1_17partition_subalgoE8EiNS0_10empty_typeEbEEZZNS1_14partition_implILS5_8ELb0ES3_jN6thrust23THRUST_200600_302600_NS6detail15normal_iteratorINSA_10device_ptrIiEEEEPS6_PKS6_NS0_5tupleIJSF_S6_EEENSJ_IJSG_SG_EEENS0_18inequality_wrapperINSA_8equal_toIiEEEEPmJS6_EEE10hipError_tPvRmT3_T4_T5_T6_T7_T9_mT8_P12ihipStream_tbDpT10_ENKUlT_T0_E_clISt17integral_constantIbLb0EES19_IbLb1EEEEDaS15_S16_EUlS15_E_NS1_11comp_targetILNS1_3genE2ELNS1_11target_archE906ELNS1_3gpuE6ELNS1_3repE0EEENS1_30default_config_static_selectorELNS0_4arch9wavefront6targetE1EEEvT1_
    .private_segment_fixed_size: 0
    .sgpr_count:     61
    .sgpr_spill_count: 0
    .symbol:         _ZN7rocprim17ROCPRIM_400000_NS6detail17trampoline_kernelINS0_14default_configENS1_25partition_config_selectorILNS1_17partition_subalgoE8EiNS0_10empty_typeEbEEZZNS1_14partition_implILS5_8ELb0ES3_jN6thrust23THRUST_200600_302600_NS6detail15normal_iteratorINSA_10device_ptrIiEEEEPS6_PKS6_NS0_5tupleIJSF_S6_EEENSJ_IJSG_SG_EEENS0_18inequality_wrapperINSA_8equal_toIiEEEEPmJS6_EEE10hipError_tPvRmT3_T4_T5_T6_T7_T9_mT8_P12ihipStream_tbDpT10_ENKUlT_T0_E_clISt17integral_constantIbLb0EES19_IbLb1EEEEDaS15_S16_EUlS15_E_NS1_11comp_targetILNS1_3genE2ELNS1_11target_archE906ELNS1_3gpuE6ELNS1_3repE0EEENS1_30default_config_static_selectorELNS0_4arch9wavefront6targetE1EEEvT1_.kd
    .uniform_work_group_size: 1
    .uses_dynamic_stack: false
    .vgpr_count:     77
    .vgpr_spill_count: 0
    .wavefront_size: 64
  - .args:
      - .offset:         0
        .size:           128
        .value_kind:     by_value
    .group_segment_fixed_size: 0
    .kernarg_segment_align: 8
    .kernarg_segment_size: 128
    .language:       OpenCL C
    .language_version:
      - 2
      - 0
    .max_flat_workgroup_size: 384
    .name:           _ZN7rocprim17ROCPRIM_400000_NS6detail17trampoline_kernelINS0_14default_configENS1_25partition_config_selectorILNS1_17partition_subalgoE8EiNS0_10empty_typeEbEEZZNS1_14partition_implILS5_8ELb0ES3_jN6thrust23THRUST_200600_302600_NS6detail15normal_iteratorINSA_10device_ptrIiEEEEPS6_PKS6_NS0_5tupleIJSF_S6_EEENSJ_IJSG_SG_EEENS0_18inequality_wrapperINSA_8equal_toIiEEEEPmJS6_EEE10hipError_tPvRmT3_T4_T5_T6_T7_T9_mT8_P12ihipStream_tbDpT10_ENKUlT_T0_E_clISt17integral_constantIbLb0EES19_IbLb1EEEEDaS15_S16_EUlS15_E_NS1_11comp_targetILNS1_3genE10ELNS1_11target_archE1200ELNS1_3gpuE4ELNS1_3repE0EEENS1_30default_config_static_selectorELNS0_4arch9wavefront6targetE1EEEvT1_
    .private_segment_fixed_size: 0
    .sgpr_count:     4
    .sgpr_spill_count: 0
    .symbol:         _ZN7rocprim17ROCPRIM_400000_NS6detail17trampoline_kernelINS0_14default_configENS1_25partition_config_selectorILNS1_17partition_subalgoE8EiNS0_10empty_typeEbEEZZNS1_14partition_implILS5_8ELb0ES3_jN6thrust23THRUST_200600_302600_NS6detail15normal_iteratorINSA_10device_ptrIiEEEEPS6_PKS6_NS0_5tupleIJSF_S6_EEENSJ_IJSG_SG_EEENS0_18inequality_wrapperINSA_8equal_toIiEEEEPmJS6_EEE10hipError_tPvRmT3_T4_T5_T6_T7_T9_mT8_P12ihipStream_tbDpT10_ENKUlT_T0_E_clISt17integral_constantIbLb0EES19_IbLb1EEEEDaS15_S16_EUlS15_E_NS1_11comp_targetILNS1_3genE10ELNS1_11target_archE1200ELNS1_3gpuE4ELNS1_3repE0EEENS1_30default_config_static_selectorELNS0_4arch9wavefront6targetE1EEEvT1_.kd
    .uniform_work_group_size: 1
    .uses_dynamic_stack: false
    .vgpr_count:     0
    .vgpr_spill_count: 0
    .wavefront_size: 64
  - .args:
      - .offset:         0
        .size:           128
        .value_kind:     by_value
    .group_segment_fixed_size: 0
    .kernarg_segment_align: 8
    .kernarg_segment_size: 128
    .language:       OpenCL C
    .language_version:
      - 2
      - 0
    .max_flat_workgroup_size: 384
    .name:           _ZN7rocprim17ROCPRIM_400000_NS6detail17trampoline_kernelINS0_14default_configENS1_25partition_config_selectorILNS1_17partition_subalgoE8EiNS0_10empty_typeEbEEZZNS1_14partition_implILS5_8ELb0ES3_jN6thrust23THRUST_200600_302600_NS6detail15normal_iteratorINSA_10device_ptrIiEEEEPS6_PKS6_NS0_5tupleIJSF_S6_EEENSJ_IJSG_SG_EEENS0_18inequality_wrapperINSA_8equal_toIiEEEEPmJS6_EEE10hipError_tPvRmT3_T4_T5_T6_T7_T9_mT8_P12ihipStream_tbDpT10_ENKUlT_T0_E_clISt17integral_constantIbLb0EES19_IbLb1EEEEDaS15_S16_EUlS15_E_NS1_11comp_targetILNS1_3genE9ELNS1_11target_archE1100ELNS1_3gpuE3ELNS1_3repE0EEENS1_30default_config_static_selectorELNS0_4arch9wavefront6targetE1EEEvT1_
    .private_segment_fixed_size: 0
    .sgpr_count:     4
    .sgpr_spill_count: 0
    .symbol:         _ZN7rocprim17ROCPRIM_400000_NS6detail17trampoline_kernelINS0_14default_configENS1_25partition_config_selectorILNS1_17partition_subalgoE8EiNS0_10empty_typeEbEEZZNS1_14partition_implILS5_8ELb0ES3_jN6thrust23THRUST_200600_302600_NS6detail15normal_iteratorINSA_10device_ptrIiEEEEPS6_PKS6_NS0_5tupleIJSF_S6_EEENSJ_IJSG_SG_EEENS0_18inequality_wrapperINSA_8equal_toIiEEEEPmJS6_EEE10hipError_tPvRmT3_T4_T5_T6_T7_T9_mT8_P12ihipStream_tbDpT10_ENKUlT_T0_E_clISt17integral_constantIbLb0EES19_IbLb1EEEEDaS15_S16_EUlS15_E_NS1_11comp_targetILNS1_3genE9ELNS1_11target_archE1100ELNS1_3gpuE3ELNS1_3repE0EEENS1_30default_config_static_selectorELNS0_4arch9wavefront6targetE1EEEvT1_.kd
    .uniform_work_group_size: 1
    .uses_dynamic_stack: false
    .vgpr_count:     0
    .vgpr_spill_count: 0
    .wavefront_size: 64
  - .args:
      - .offset:         0
        .size:           128
        .value_kind:     by_value
    .group_segment_fixed_size: 0
    .kernarg_segment_align: 8
    .kernarg_segment_size: 128
    .language:       OpenCL C
    .language_version:
      - 2
      - 0
    .max_flat_workgroup_size: 512
    .name:           _ZN7rocprim17ROCPRIM_400000_NS6detail17trampoline_kernelINS0_14default_configENS1_25partition_config_selectorILNS1_17partition_subalgoE8EiNS0_10empty_typeEbEEZZNS1_14partition_implILS5_8ELb0ES3_jN6thrust23THRUST_200600_302600_NS6detail15normal_iteratorINSA_10device_ptrIiEEEEPS6_PKS6_NS0_5tupleIJSF_S6_EEENSJ_IJSG_SG_EEENS0_18inequality_wrapperINSA_8equal_toIiEEEEPmJS6_EEE10hipError_tPvRmT3_T4_T5_T6_T7_T9_mT8_P12ihipStream_tbDpT10_ENKUlT_T0_E_clISt17integral_constantIbLb0EES19_IbLb1EEEEDaS15_S16_EUlS15_E_NS1_11comp_targetILNS1_3genE8ELNS1_11target_archE1030ELNS1_3gpuE2ELNS1_3repE0EEENS1_30default_config_static_selectorELNS0_4arch9wavefront6targetE1EEEvT1_
    .private_segment_fixed_size: 0
    .sgpr_count:     4
    .sgpr_spill_count: 0
    .symbol:         _ZN7rocprim17ROCPRIM_400000_NS6detail17trampoline_kernelINS0_14default_configENS1_25partition_config_selectorILNS1_17partition_subalgoE8EiNS0_10empty_typeEbEEZZNS1_14partition_implILS5_8ELb0ES3_jN6thrust23THRUST_200600_302600_NS6detail15normal_iteratorINSA_10device_ptrIiEEEEPS6_PKS6_NS0_5tupleIJSF_S6_EEENSJ_IJSG_SG_EEENS0_18inequality_wrapperINSA_8equal_toIiEEEEPmJS6_EEE10hipError_tPvRmT3_T4_T5_T6_T7_T9_mT8_P12ihipStream_tbDpT10_ENKUlT_T0_E_clISt17integral_constantIbLb0EES19_IbLb1EEEEDaS15_S16_EUlS15_E_NS1_11comp_targetILNS1_3genE8ELNS1_11target_archE1030ELNS1_3gpuE2ELNS1_3repE0EEENS1_30default_config_static_selectorELNS0_4arch9wavefront6targetE1EEEvT1_.kd
    .uniform_work_group_size: 1
    .uses_dynamic_stack: false
    .vgpr_count:     0
    .vgpr_spill_count: 0
    .wavefront_size: 64
  - .args:
      - .offset:         0
        .size:           112
        .value_kind:     by_value
    .group_segment_fixed_size: 0
    .kernarg_segment_align: 8
    .kernarg_segment_size: 112
    .language:       OpenCL C
    .language_version:
      - 2
      - 0
    .max_flat_workgroup_size: 512
    .name:           _ZN7rocprim17ROCPRIM_400000_NS6detail17trampoline_kernelINS0_14default_configENS1_25partition_config_selectorILNS1_17partition_subalgoE8EiNS0_10empty_typeEbEEZZNS1_14partition_implILS5_8ELb0ES3_jN6thrust23THRUST_200600_302600_NS6detail15normal_iteratorINSA_10device_ptrIiEEEEPS6_PKS6_NS0_5tupleIJSF_S6_EEENSJ_IJSG_SG_EEENS0_18inequality_wrapperI22is_equal_div_10_uniqueIiEEEPmJS6_EEE10hipError_tPvRmT3_T4_T5_T6_T7_T9_mT8_P12ihipStream_tbDpT10_ENKUlT_T0_E_clISt17integral_constantIbLb0EES1A_EEDaS15_S16_EUlS15_E_NS1_11comp_targetILNS1_3genE0ELNS1_11target_archE4294967295ELNS1_3gpuE0ELNS1_3repE0EEENS1_30default_config_static_selectorELNS0_4arch9wavefront6targetE1EEEvT1_
    .private_segment_fixed_size: 0
    .sgpr_count:     4
    .sgpr_spill_count: 0
    .symbol:         _ZN7rocprim17ROCPRIM_400000_NS6detail17trampoline_kernelINS0_14default_configENS1_25partition_config_selectorILNS1_17partition_subalgoE8EiNS0_10empty_typeEbEEZZNS1_14partition_implILS5_8ELb0ES3_jN6thrust23THRUST_200600_302600_NS6detail15normal_iteratorINSA_10device_ptrIiEEEEPS6_PKS6_NS0_5tupleIJSF_S6_EEENSJ_IJSG_SG_EEENS0_18inequality_wrapperI22is_equal_div_10_uniqueIiEEEPmJS6_EEE10hipError_tPvRmT3_T4_T5_T6_T7_T9_mT8_P12ihipStream_tbDpT10_ENKUlT_T0_E_clISt17integral_constantIbLb0EES1A_EEDaS15_S16_EUlS15_E_NS1_11comp_targetILNS1_3genE0ELNS1_11target_archE4294967295ELNS1_3gpuE0ELNS1_3repE0EEENS1_30default_config_static_selectorELNS0_4arch9wavefront6targetE1EEEvT1_.kd
    .uniform_work_group_size: 1
    .uses_dynamic_stack: false
    .vgpr_count:     0
    .vgpr_spill_count: 0
    .wavefront_size: 64
  - .args:
      - .offset:         0
        .size:           112
        .value_kind:     by_value
    .group_segment_fixed_size: 0
    .kernarg_segment_align: 8
    .kernarg_segment_size: 112
    .language:       OpenCL C
    .language_version:
      - 2
      - 0
    .max_flat_workgroup_size: 512
    .name:           _ZN7rocprim17ROCPRIM_400000_NS6detail17trampoline_kernelINS0_14default_configENS1_25partition_config_selectorILNS1_17partition_subalgoE8EiNS0_10empty_typeEbEEZZNS1_14partition_implILS5_8ELb0ES3_jN6thrust23THRUST_200600_302600_NS6detail15normal_iteratorINSA_10device_ptrIiEEEEPS6_PKS6_NS0_5tupleIJSF_S6_EEENSJ_IJSG_SG_EEENS0_18inequality_wrapperI22is_equal_div_10_uniqueIiEEEPmJS6_EEE10hipError_tPvRmT3_T4_T5_T6_T7_T9_mT8_P12ihipStream_tbDpT10_ENKUlT_T0_E_clISt17integral_constantIbLb0EES1A_EEDaS15_S16_EUlS15_E_NS1_11comp_targetILNS1_3genE5ELNS1_11target_archE942ELNS1_3gpuE9ELNS1_3repE0EEENS1_30default_config_static_selectorELNS0_4arch9wavefront6targetE1EEEvT1_
    .private_segment_fixed_size: 0
    .sgpr_count:     4
    .sgpr_spill_count: 0
    .symbol:         _ZN7rocprim17ROCPRIM_400000_NS6detail17trampoline_kernelINS0_14default_configENS1_25partition_config_selectorILNS1_17partition_subalgoE8EiNS0_10empty_typeEbEEZZNS1_14partition_implILS5_8ELb0ES3_jN6thrust23THRUST_200600_302600_NS6detail15normal_iteratorINSA_10device_ptrIiEEEEPS6_PKS6_NS0_5tupleIJSF_S6_EEENSJ_IJSG_SG_EEENS0_18inequality_wrapperI22is_equal_div_10_uniqueIiEEEPmJS6_EEE10hipError_tPvRmT3_T4_T5_T6_T7_T9_mT8_P12ihipStream_tbDpT10_ENKUlT_T0_E_clISt17integral_constantIbLb0EES1A_EEDaS15_S16_EUlS15_E_NS1_11comp_targetILNS1_3genE5ELNS1_11target_archE942ELNS1_3gpuE9ELNS1_3repE0EEENS1_30default_config_static_selectorELNS0_4arch9wavefront6targetE1EEEvT1_.kd
    .uniform_work_group_size: 1
    .uses_dynamic_stack: false
    .vgpr_count:     0
    .vgpr_spill_count: 0
    .wavefront_size: 64
  - .args:
      - .offset:         0
        .size:           112
        .value_kind:     by_value
    .group_segment_fixed_size: 0
    .kernarg_segment_align: 8
    .kernarg_segment_size: 112
    .language:       OpenCL C
    .language_version:
      - 2
      - 0
    .max_flat_workgroup_size: 256
    .name:           _ZN7rocprim17ROCPRIM_400000_NS6detail17trampoline_kernelINS0_14default_configENS1_25partition_config_selectorILNS1_17partition_subalgoE8EiNS0_10empty_typeEbEEZZNS1_14partition_implILS5_8ELb0ES3_jN6thrust23THRUST_200600_302600_NS6detail15normal_iteratorINSA_10device_ptrIiEEEEPS6_PKS6_NS0_5tupleIJSF_S6_EEENSJ_IJSG_SG_EEENS0_18inequality_wrapperI22is_equal_div_10_uniqueIiEEEPmJS6_EEE10hipError_tPvRmT3_T4_T5_T6_T7_T9_mT8_P12ihipStream_tbDpT10_ENKUlT_T0_E_clISt17integral_constantIbLb0EES1A_EEDaS15_S16_EUlS15_E_NS1_11comp_targetILNS1_3genE4ELNS1_11target_archE910ELNS1_3gpuE8ELNS1_3repE0EEENS1_30default_config_static_selectorELNS0_4arch9wavefront6targetE1EEEvT1_
    .private_segment_fixed_size: 0
    .sgpr_count:     4
    .sgpr_spill_count: 0
    .symbol:         _ZN7rocprim17ROCPRIM_400000_NS6detail17trampoline_kernelINS0_14default_configENS1_25partition_config_selectorILNS1_17partition_subalgoE8EiNS0_10empty_typeEbEEZZNS1_14partition_implILS5_8ELb0ES3_jN6thrust23THRUST_200600_302600_NS6detail15normal_iteratorINSA_10device_ptrIiEEEEPS6_PKS6_NS0_5tupleIJSF_S6_EEENSJ_IJSG_SG_EEENS0_18inequality_wrapperI22is_equal_div_10_uniqueIiEEEPmJS6_EEE10hipError_tPvRmT3_T4_T5_T6_T7_T9_mT8_P12ihipStream_tbDpT10_ENKUlT_T0_E_clISt17integral_constantIbLb0EES1A_EEDaS15_S16_EUlS15_E_NS1_11comp_targetILNS1_3genE4ELNS1_11target_archE910ELNS1_3gpuE8ELNS1_3repE0EEENS1_30default_config_static_selectorELNS0_4arch9wavefront6targetE1EEEvT1_.kd
    .uniform_work_group_size: 1
    .uses_dynamic_stack: false
    .vgpr_count:     0
    .vgpr_spill_count: 0
    .wavefront_size: 64
  - .args:
      - .offset:         0
        .size:           112
        .value_kind:     by_value
    .group_segment_fixed_size: 0
    .kernarg_segment_align: 8
    .kernarg_segment_size: 112
    .language:       OpenCL C
    .language_version:
      - 2
      - 0
    .max_flat_workgroup_size: 512
    .name:           _ZN7rocprim17ROCPRIM_400000_NS6detail17trampoline_kernelINS0_14default_configENS1_25partition_config_selectorILNS1_17partition_subalgoE8EiNS0_10empty_typeEbEEZZNS1_14partition_implILS5_8ELb0ES3_jN6thrust23THRUST_200600_302600_NS6detail15normal_iteratorINSA_10device_ptrIiEEEEPS6_PKS6_NS0_5tupleIJSF_S6_EEENSJ_IJSG_SG_EEENS0_18inequality_wrapperI22is_equal_div_10_uniqueIiEEEPmJS6_EEE10hipError_tPvRmT3_T4_T5_T6_T7_T9_mT8_P12ihipStream_tbDpT10_ENKUlT_T0_E_clISt17integral_constantIbLb0EES1A_EEDaS15_S16_EUlS15_E_NS1_11comp_targetILNS1_3genE3ELNS1_11target_archE908ELNS1_3gpuE7ELNS1_3repE0EEENS1_30default_config_static_selectorELNS0_4arch9wavefront6targetE1EEEvT1_
    .private_segment_fixed_size: 0
    .sgpr_count:     4
    .sgpr_spill_count: 0
    .symbol:         _ZN7rocprim17ROCPRIM_400000_NS6detail17trampoline_kernelINS0_14default_configENS1_25partition_config_selectorILNS1_17partition_subalgoE8EiNS0_10empty_typeEbEEZZNS1_14partition_implILS5_8ELb0ES3_jN6thrust23THRUST_200600_302600_NS6detail15normal_iteratorINSA_10device_ptrIiEEEEPS6_PKS6_NS0_5tupleIJSF_S6_EEENSJ_IJSG_SG_EEENS0_18inequality_wrapperI22is_equal_div_10_uniqueIiEEEPmJS6_EEE10hipError_tPvRmT3_T4_T5_T6_T7_T9_mT8_P12ihipStream_tbDpT10_ENKUlT_T0_E_clISt17integral_constantIbLb0EES1A_EEDaS15_S16_EUlS15_E_NS1_11comp_targetILNS1_3genE3ELNS1_11target_archE908ELNS1_3gpuE7ELNS1_3repE0EEENS1_30default_config_static_selectorELNS0_4arch9wavefront6targetE1EEEvT1_.kd
    .uniform_work_group_size: 1
    .uses_dynamic_stack: false
    .vgpr_count:     0
    .vgpr_spill_count: 0
    .wavefront_size: 64
  - .args:
      - .offset:         0
        .size:           112
        .value_kind:     by_value
    .group_segment_fixed_size: 16904
    .kernarg_segment_align: 8
    .kernarg_segment_size: 112
    .language:       OpenCL C
    .language_version:
      - 2
      - 0
    .max_flat_workgroup_size: 256
    .name:           _ZN7rocprim17ROCPRIM_400000_NS6detail17trampoline_kernelINS0_14default_configENS1_25partition_config_selectorILNS1_17partition_subalgoE8EiNS0_10empty_typeEbEEZZNS1_14partition_implILS5_8ELb0ES3_jN6thrust23THRUST_200600_302600_NS6detail15normal_iteratorINSA_10device_ptrIiEEEEPS6_PKS6_NS0_5tupleIJSF_S6_EEENSJ_IJSG_SG_EEENS0_18inequality_wrapperI22is_equal_div_10_uniqueIiEEEPmJS6_EEE10hipError_tPvRmT3_T4_T5_T6_T7_T9_mT8_P12ihipStream_tbDpT10_ENKUlT_T0_E_clISt17integral_constantIbLb0EES1A_EEDaS15_S16_EUlS15_E_NS1_11comp_targetILNS1_3genE2ELNS1_11target_archE906ELNS1_3gpuE6ELNS1_3repE0EEENS1_30default_config_static_selectorELNS0_4arch9wavefront6targetE1EEEvT1_
    .private_segment_fixed_size: 0
    .sgpr_count:     60
    .sgpr_spill_count: 0
    .symbol:         _ZN7rocprim17ROCPRIM_400000_NS6detail17trampoline_kernelINS0_14default_configENS1_25partition_config_selectorILNS1_17partition_subalgoE8EiNS0_10empty_typeEbEEZZNS1_14partition_implILS5_8ELb0ES3_jN6thrust23THRUST_200600_302600_NS6detail15normal_iteratorINSA_10device_ptrIiEEEEPS6_PKS6_NS0_5tupleIJSF_S6_EEENSJ_IJSG_SG_EEENS0_18inequality_wrapperI22is_equal_div_10_uniqueIiEEEPmJS6_EEE10hipError_tPvRmT3_T4_T5_T6_T7_T9_mT8_P12ihipStream_tbDpT10_ENKUlT_T0_E_clISt17integral_constantIbLb0EES1A_EEDaS15_S16_EUlS15_E_NS1_11comp_targetILNS1_3genE2ELNS1_11target_archE906ELNS1_3gpuE6ELNS1_3repE0EEENS1_30default_config_static_selectorELNS0_4arch9wavefront6targetE1EEEvT1_.kd
    .uniform_work_group_size: 1
    .uses_dynamic_stack: false
    .vgpr_count:     75
    .vgpr_spill_count: 0
    .wavefront_size: 64
  - .args:
      - .offset:         0
        .size:           112
        .value_kind:     by_value
    .group_segment_fixed_size: 0
    .kernarg_segment_align: 8
    .kernarg_segment_size: 112
    .language:       OpenCL C
    .language_version:
      - 2
      - 0
    .max_flat_workgroup_size: 384
    .name:           _ZN7rocprim17ROCPRIM_400000_NS6detail17trampoline_kernelINS0_14default_configENS1_25partition_config_selectorILNS1_17partition_subalgoE8EiNS0_10empty_typeEbEEZZNS1_14partition_implILS5_8ELb0ES3_jN6thrust23THRUST_200600_302600_NS6detail15normal_iteratorINSA_10device_ptrIiEEEEPS6_PKS6_NS0_5tupleIJSF_S6_EEENSJ_IJSG_SG_EEENS0_18inequality_wrapperI22is_equal_div_10_uniqueIiEEEPmJS6_EEE10hipError_tPvRmT3_T4_T5_T6_T7_T9_mT8_P12ihipStream_tbDpT10_ENKUlT_T0_E_clISt17integral_constantIbLb0EES1A_EEDaS15_S16_EUlS15_E_NS1_11comp_targetILNS1_3genE10ELNS1_11target_archE1200ELNS1_3gpuE4ELNS1_3repE0EEENS1_30default_config_static_selectorELNS0_4arch9wavefront6targetE1EEEvT1_
    .private_segment_fixed_size: 0
    .sgpr_count:     4
    .sgpr_spill_count: 0
    .symbol:         _ZN7rocprim17ROCPRIM_400000_NS6detail17trampoline_kernelINS0_14default_configENS1_25partition_config_selectorILNS1_17partition_subalgoE8EiNS0_10empty_typeEbEEZZNS1_14partition_implILS5_8ELb0ES3_jN6thrust23THRUST_200600_302600_NS6detail15normal_iteratorINSA_10device_ptrIiEEEEPS6_PKS6_NS0_5tupleIJSF_S6_EEENSJ_IJSG_SG_EEENS0_18inequality_wrapperI22is_equal_div_10_uniqueIiEEEPmJS6_EEE10hipError_tPvRmT3_T4_T5_T6_T7_T9_mT8_P12ihipStream_tbDpT10_ENKUlT_T0_E_clISt17integral_constantIbLb0EES1A_EEDaS15_S16_EUlS15_E_NS1_11comp_targetILNS1_3genE10ELNS1_11target_archE1200ELNS1_3gpuE4ELNS1_3repE0EEENS1_30default_config_static_selectorELNS0_4arch9wavefront6targetE1EEEvT1_.kd
    .uniform_work_group_size: 1
    .uses_dynamic_stack: false
    .vgpr_count:     0
    .vgpr_spill_count: 0
    .wavefront_size: 64
  - .args:
      - .offset:         0
        .size:           112
        .value_kind:     by_value
    .group_segment_fixed_size: 0
    .kernarg_segment_align: 8
    .kernarg_segment_size: 112
    .language:       OpenCL C
    .language_version:
      - 2
      - 0
    .max_flat_workgroup_size: 384
    .name:           _ZN7rocprim17ROCPRIM_400000_NS6detail17trampoline_kernelINS0_14default_configENS1_25partition_config_selectorILNS1_17partition_subalgoE8EiNS0_10empty_typeEbEEZZNS1_14partition_implILS5_8ELb0ES3_jN6thrust23THRUST_200600_302600_NS6detail15normal_iteratorINSA_10device_ptrIiEEEEPS6_PKS6_NS0_5tupleIJSF_S6_EEENSJ_IJSG_SG_EEENS0_18inequality_wrapperI22is_equal_div_10_uniqueIiEEEPmJS6_EEE10hipError_tPvRmT3_T4_T5_T6_T7_T9_mT8_P12ihipStream_tbDpT10_ENKUlT_T0_E_clISt17integral_constantIbLb0EES1A_EEDaS15_S16_EUlS15_E_NS1_11comp_targetILNS1_3genE9ELNS1_11target_archE1100ELNS1_3gpuE3ELNS1_3repE0EEENS1_30default_config_static_selectorELNS0_4arch9wavefront6targetE1EEEvT1_
    .private_segment_fixed_size: 0
    .sgpr_count:     4
    .sgpr_spill_count: 0
    .symbol:         _ZN7rocprim17ROCPRIM_400000_NS6detail17trampoline_kernelINS0_14default_configENS1_25partition_config_selectorILNS1_17partition_subalgoE8EiNS0_10empty_typeEbEEZZNS1_14partition_implILS5_8ELb0ES3_jN6thrust23THRUST_200600_302600_NS6detail15normal_iteratorINSA_10device_ptrIiEEEEPS6_PKS6_NS0_5tupleIJSF_S6_EEENSJ_IJSG_SG_EEENS0_18inequality_wrapperI22is_equal_div_10_uniqueIiEEEPmJS6_EEE10hipError_tPvRmT3_T4_T5_T6_T7_T9_mT8_P12ihipStream_tbDpT10_ENKUlT_T0_E_clISt17integral_constantIbLb0EES1A_EEDaS15_S16_EUlS15_E_NS1_11comp_targetILNS1_3genE9ELNS1_11target_archE1100ELNS1_3gpuE3ELNS1_3repE0EEENS1_30default_config_static_selectorELNS0_4arch9wavefront6targetE1EEEvT1_.kd
    .uniform_work_group_size: 1
    .uses_dynamic_stack: false
    .vgpr_count:     0
    .vgpr_spill_count: 0
    .wavefront_size: 64
  - .args:
      - .offset:         0
        .size:           112
        .value_kind:     by_value
    .group_segment_fixed_size: 0
    .kernarg_segment_align: 8
    .kernarg_segment_size: 112
    .language:       OpenCL C
    .language_version:
      - 2
      - 0
    .max_flat_workgroup_size: 512
    .name:           _ZN7rocprim17ROCPRIM_400000_NS6detail17trampoline_kernelINS0_14default_configENS1_25partition_config_selectorILNS1_17partition_subalgoE8EiNS0_10empty_typeEbEEZZNS1_14partition_implILS5_8ELb0ES3_jN6thrust23THRUST_200600_302600_NS6detail15normal_iteratorINSA_10device_ptrIiEEEEPS6_PKS6_NS0_5tupleIJSF_S6_EEENSJ_IJSG_SG_EEENS0_18inequality_wrapperI22is_equal_div_10_uniqueIiEEEPmJS6_EEE10hipError_tPvRmT3_T4_T5_T6_T7_T9_mT8_P12ihipStream_tbDpT10_ENKUlT_T0_E_clISt17integral_constantIbLb0EES1A_EEDaS15_S16_EUlS15_E_NS1_11comp_targetILNS1_3genE8ELNS1_11target_archE1030ELNS1_3gpuE2ELNS1_3repE0EEENS1_30default_config_static_selectorELNS0_4arch9wavefront6targetE1EEEvT1_
    .private_segment_fixed_size: 0
    .sgpr_count:     4
    .sgpr_spill_count: 0
    .symbol:         _ZN7rocprim17ROCPRIM_400000_NS6detail17trampoline_kernelINS0_14default_configENS1_25partition_config_selectorILNS1_17partition_subalgoE8EiNS0_10empty_typeEbEEZZNS1_14partition_implILS5_8ELb0ES3_jN6thrust23THRUST_200600_302600_NS6detail15normal_iteratorINSA_10device_ptrIiEEEEPS6_PKS6_NS0_5tupleIJSF_S6_EEENSJ_IJSG_SG_EEENS0_18inequality_wrapperI22is_equal_div_10_uniqueIiEEEPmJS6_EEE10hipError_tPvRmT3_T4_T5_T6_T7_T9_mT8_P12ihipStream_tbDpT10_ENKUlT_T0_E_clISt17integral_constantIbLb0EES1A_EEDaS15_S16_EUlS15_E_NS1_11comp_targetILNS1_3genE8ELNS1_11target_archE1030ELNS1_3gpuE2ELNS1_3repE0EEENS1_30default_config_static_selectorELNS0_4arch9wavefront6targetE1EEEvT1_.kd
    .uniform_work_group_size: 1
    .uses_dynamic_stack: false
    .vgpr_count:     0
    .vgpr_spill_count: 0
    .wavefront_size: 64
  - .args:
      - .offset:         0
        .size:           128
        .value_kind:     by_value
    .group_segment_fixed_size: 0
    .kernarg_segment_align: 8
    .kernarg_segment_size: 128
    .language:       OpenCL C
    .language_version:
      - 2
      - 0
    .max_flat_workgroup_size: 512
    .name:           _ZN7rocprim17ROCPRIM_400000_NS6detail17trampoline_kernelINS0_14default_configENS1_25partition_config_selectorILNS1_17partition_subalgoE8EiNS0_10empty_typeEbEEZZNS1_14partition_implILS5_8ELb0ES3_jN6thrust23THRUST_200600_302600_NS6detail15normal_iteratorINSA_10device_ptrIiEEEEPS6_PKS6_NS0_5tupleIJSF_S6_EEENSJ_IJSG_SG_EEENS0_18inequality_wrapperI22is_equal_div_10_uniqueIiEEEPmJS6_EEE10hipError_tPvRmT3_T4_T5_T6_T7_T9_mT8_P12ihipStream_tbDpT10_ENKUlT_T0_E_clISt17integral_constantIbLb1EES1A_EEDaS15_S16_EUlS15_E_NS1_11comp_targetILNS1_3genE0ELNS1_11target_archE4294967295ELNS1_3gpuE0ELNS1_3repE0EEENS1_30default_config_static_selectorELNS0_4arch9wavefront6targetE1EEEvT1_
    .private_segment_fixed_size: 0
    .sgpr_count:     4
    .sgpr_spill_count: 0
    .symbol:         _ZN7rocprim17ROCPRIM_400000_NS6detail17trampoline_kernelINS0_14default_configENS1_25partition_config_selectorILNS1_17partition_subalgoE8EiNS0_10empty_typeEbEEZZNS1_14partition_implILS5_8ELb0ES3_jN6thrust23THRUST_200600_302600_NS6detail15normal_iteratorINSA_10device_ptrIiEEEEPS6_PKS6_NS0_5tupleIJSF_S6_EEENSJ_IJSG_SG_EEENS0_18inequality_wrapperI22is_equal_div_10_uniqueIiEEEPmJS6_EEE10hipError_tPvRmT3_T4_T5_T6_T7_T9_mT8_P12ihipStream_tbDpT10_ENKUlT_T0_E_clISt17integral_constantIbLb1EES1A_EEDaS15_S16_EUlS15_E_NS1_11comp_targetILNS1_3genE0ELNS1_11target_archE4294967295ELNS1_3gpuE0ELNS1_3repE0EEENS1_30default_config_static_selectorELNS0_4arch9wavefront6targetE1EEEvT1_.kd
    .uniform_work_group_size: 1
    .uses_dynamic_stack: false
    .vgpr_count:     0
    .vgpr_spill_count: 0
    .wavefront_size: 64
  - .args:
      - .offset:         0
        .size:           128
        .value_kind:     by_value
    .group_segment_fixed_size: 0
    .kernarg_segment_align: 8
    .kernarg_segment_size: 128
    .language:       OpenCL C
    .language_version:
      - 2
      - 0
    .max_flat_workgroup_size: 512
    .name:           _ZN7rocprim17ROCPRIM_400000_NS6detail17trampoline_kernelINS0_14default_configENS1_25partition_config_selectorILNS1_17partition_subalgoE8EiNS0_10empty_typeEbEEZZNS1_14partition_implILS5_8ELb0ES3_jN6thrust23THRUST_200600_302600_NS6detail15normal_iteratorINSA_10device_ptrIiEEEEPS6_PKS6_NS0_5tupleIJSF_S6_EEENSJ_IJSG_SG_EEENS0_18inequality_wrapperI22is_equal_div_10_uniqueIiEEEPmJS6_EEE10hipError_tPvRmT3_T4_T5_T6_T7_T9_mT8_P12ihipStream_tbDpT10_ENKUlT_T0_E_clISt17integral_constantIbLb1EES1A_EEDaS15_S16_EUlS15_E_NS1_11comp_targetILNS1_3genE5ELNS1_11target_archE942ELNS1_3gpuE9ELNS1_3repE0EEENS1_30default_config_static_selectorELNS0_4arch9wavefront6targetE1EEEvT1_
    .private_segment_fixed_size: 0
    .sgpr_count:     4
    .sgpr_spill_count: 0
    .symbol:         _ZN7rocprim17ROCPRIM_400000_NS6detail17trampoline_kernelINS0_14default_configENS1_25partition_config_selectorILNS1_17partition_subalgoE8EiNS0_10empty_typeEbEEZZNS1_14partition_implILS5_8ELb0ES3_jN6thrust23THRUST_200600_302600_NS6detail15normal_iteratorINSA_10device_ptrIiEEEEPS6_PKS6_NS0_5tupleIJSF_S6_EEENSJ_IJSG_SG_EEENS0_18inequality_wrapperI22is_equal_div_10_uniqueIiEEEPmJS6_EEE10hipError_tPvRmT3_T4_T5_T6_T7_T9_mT8_P12ihipStream_tbDpT10_ENKUlT_T0_E_clISt17integral_constantIbLb1EES1A_EEDaS15_S16_EUlS15_E_NS1_11comp_targetILNS1_3genE5ELNS1_11target_archE942ELNS1_3gpuE9ELNS1_3repE0EEENS1_30default_config_static_selectorELNS0_4arch9wavefront6targetE1EEEvT1_.kd
    .uniform_work_group_size: 1
    .uses_dynamic_stack: false
    .vgpr_count:     0
    .vgpr_spill_count: 0
    .wavefront_size: 64
  - .args:
      - .offset:         0
        .size:           128
        .value_kind:     by_value
    .group_segment_fixed_size: 0
    .kernarg_segment_align: 8
    .kernarg_segment_size: 128
    .language:       OpenCL C
    .language_version:
      - 2
      - 0
    .max_flat_workgroup_size: 256
    .name:           _ZN7rocprim17ROCPRIM_400000_NS6detail17trampoline_kernelINS0_14default_configENS1_25partition_config_selectorILNS1_17partition_subalgoE8EiNS0_10empty_typeEbEEZZNS1_14partition_implILS5_8ELb0ES3_jN6thrust23THRUST_200600_302600_NS6detail15normal_iteratorINSA_10device_ptrIiEEEEPS6_PKS6_NS0_5tupleIJSF_S6_EEENSJ_IJSG_SG_EEENS0_18inequality_wrapperI22is_equal_div_10_uniqueIiEEEPmJS6_EEE10hipError_tPvRmT3_T4_T5_T6_T7_T9_mT8_P12ihipStream_tbDpT10_ENKUlT_T0_E_clISt17integral_constantIbLb1EES1A_EEDaS15_S16_EUlS15_E_NS1_11comp_targetILNS1_3genE4ELNS1_11target_archE910ELNS1_3gpuE8ELNS1_3repE0EEENS1_30default_config_static_selectorELNS0_4arch9wavefront6targetE1EEEvT1_
    .private_segment_fixed_size: 0
    .sgpr_count:     4
    .sgpr_spill_count: 0
    .symbol:         _ZN7rocprim17ROCPRIM_400000_NS6detail17trampoline_kernelINS0_14default_configENS1_25partition_config_selectorILNS1_17partition_subalgoE8EiNS0_10empty_typeEbEEZZNS1_14partition_implILS5_8ELb0ES3_jN6thrust23THRUST_200600_302600_NS6detail15normal_iteratorINSA_10device_ptrIiEEEEPS6_PKS6_NS0_5tupleIJSF_S6_EEENSJ_IJSG_SG_EEENS0_18inequality_wrapperI22is_equal_div_10_uniqueIiEEEPmJS6_EEE10hipError_tPvRmT3_T4_T5_T6_T7_T9_mT8_P12ihipStream_tbDpT10_ENKUlT_T0_E_clISt17integral_constantIbLb1EES1A_EEDaS15_S16_EUlS15_E_NS1_11comp_targetILNS1_3genE4ELNS1_11target_archE910ELNS1_3gpuE8ELNS1_3repE0EEENS1_30default_config_static_selectorELNS0_4arch9wavefront6targetE1EEEvT1_.kd
    .uniform_work_group_size: 1
    .uses_dynamic_stack: false
    .vgpr_count:     0
    .vgpr_spill_count: 0
    .wavefront_size: 64
  - .args:
      - .offset:         0
        .size:           128
        .value_kind:     by_value
    .group_segment_fixed_size: 0
    .kernarg_segment_align: 8
    .kernarg_segment_size: 128
    .language:       OpenCL C
    .language_version:
      - 2
      - 0
    .max_flat_workgroup_size: 512
    .name:           _ZN7rocprim17ROCPRIM_400000_NS6detail17trampoline_kernelINS0_14default_configENS1_25partition_config_selectorILNS1_17partition_subalgoE8EiNS0_10empty_typeEbEEZZNS1_14partition_implILS5_8ELb0ES3_jN6thrust23THRUST_200600_302600_NS6detail15normal_iteratorINSA_10device_ptrIiEEEEPS6_PKS6_NS0_5tupleIJSF_S6_EEENSJ_IJSG_SG_EEENS0_18inequality_wrapperI22is_equal_div_10_uniqueIiEEEPmJS6_EEE10hipError_tPvRmT3_T4_T5_T6_T7_T9_mT8_P12ihipStream_tbDpT10_ENKUlT_T0_E_clISt17integral_constantIbLb1EES1A_EEDaS15_S16_EUlS15_E_NS1_11comp_targetILNS1_3genE3ELNS1_11target_archE908ELNS1_3gpuE7ELNS1_3repE0EEENS1_30default_config_static_selectorELNS0_4arch9wavefront6targetE1EEEvT1_
    .private_segment_fixed_size: 0
    .sgpr_count:     4
    .sgpr_spill_count: 0
    .symbol:         _ZN7rocprim17ROCPRIM_400000_NS6detail17trampoline_kernelINS0_14default_configENS1_25partition_config_selectorILNS1_17partition_subalgoE8EiNS0_10empty_typeEbEEZZNS1_14partition_implILS5_8ELb0ES3_jN6thrust23THRUST_200600_302600_NS6detail15normal_iteratorINSA_10device_ptrIiEEEEPS6_PKS6_NS0_5tupleIJSF_S6_EEENSJ_IJSG_SG_EEENS0_18inequality_wrapperI22is_equal_div_10_uniqueIiEEEPmJS6_EEE10hipError_tPvRmT3_T4_T5_T6_T7_T9_mT8_P12ihipStream_tbDpT10_ENKUlT_T0_E_clISt17integral_constantIbLb1EES1A_EEDaS15_S16_EUlS15_E_NS1_11comp_targetILNS1_3genE3ELNS1_11target_archE908ELNS1_3gpuE7ELNS1_3repE0EEENS1_30default_config_static_selectorELNS0_4arch9wavefront6targetE1EEEvT1_.kd
    .uniform_work_group_size: 1
    .uses_dynamic_stack: false
    .vgpr_count:     0
    .vgpr_spill_count: 0
    .wavefront_size: 64
  - .args:
      - .offset:         0
        .size:           128
        .value_kind:     by_value
    .group_segment_fixed_size: 0
    .kernarg_segment_align: 8
    .kernarg_segment_size: 128
    .language:       OpenCL C
    .language_version:
      - 2
      - 0
    .max_flat_workgroup_size: 256
    .name:           _ZN7rocprim17ROCPRIM_400000_NS6detail17trampoline_kernelINS0_14default_configENS1_25partition_config_selectorILNS1_17partition_subalgoE8EiNS0_10empty_typeEbEEZZNS1_14partition_implILS5_8ELb0ES3_jN6thrust23THRUST_200600_302600_NS6detail15normal_iteratorINSA_10device_ptrIiEEEEPS6_PKS6_NS0_5tupleIJSF_S6_EEENSJ_IJSG_SG_EEENS0_18inequality_wrapperI22is_equal_div_10_uniqueIiEEEPmJS6_EEE10hipError_tPvRmT3_T4_T5_T6_T7_T9_mT8_P12ihipStream_tbDpT10_ENKUlT_T0_E_clISt17integral_constantIbLb1EES1A_EEDaS15_S16_EUlS15_E_NS1_11comp_targetILNS1_3genE2ELNS1_11target_archE906ELNS1_3gpuE6ELNS1_3repE0EEENS1_30default_config_static_selectorELNS0_4arch9wavefront6targetE1EEEvT1_
    .private_segment_fixed_size: 0
    .sgpr_count:     4
    .sgpr_spill_count: 0
    .symbol:         _ZN7rocprim17ROCPRIM_400000_NS6detail17trampoline_kernelINS0_14default_configENS1_25partition_config_selectorILNS1_17partition_subalgoE8EiNS0_10empty_typeEbEEZZNS1_14partition_implILS5_8ELb0ES3_jN6thrust23THRUST_200600_302600_NS6detail15normal_iteratorINSA_10device_ptrIiEEEEPS6_PKS6_NS0_5tupleIJSF_S6_EEENSJ_IJSG_SG_EEENS0_18inequality_wrapperI22is_equal_div_10_uniqueIiEEEPmJS6_EEE10hipError_tPvRmT3_T4_T5_T6_T7_T9_mT8_P12ihipStream_tbDpT10_ENKUlT_T0_E_clISt17integral_constantIbLb1EES1A_EEDaS15_S16_EUlS15_E_NS1_11comp_targetILNS1_3genE2ELNS1_11target_archE906ELNS1_3gpuE6ELNS1_3repE0EEENS1_30default_config_static_selectorELNS0_4arch9wavefront6targetE1EEEvT1_.kd
    .uniform_work_group_size: 1
    .uses_dynamic_stack: false
    .vgpr_count:     0
    .vgpr_spill_count: 0
    .wavefront_size: 64
  - .args:
      - .offset:         0
        .size:           128
        .value_kind:     by_value
    .group_segment_fixed_size: 0
    .kernarg_segment_align: 8
    .kernarg_segment_size: 128
    .language:       OpenCL C
    .language_version:
      - 2
      - 0
    .max_flat_workgroup_size: 384
    .name:           _ZN7rocprim17ROCPRIM_400000_NS6detail17trampoline_kernelINS0_14default_configENS1_25partition_config_selectorILNS1_17partition_subalgoE8EiNS0_10empty_typeEbEEZZNS1_14partition_implILS5_8ELb0ES3_jN6thrust23THRUST_200600_302600_NS6detail15normal_iteratorINSA_10device_ptrIiEEEEPS6_PKS6_NS0_5tupleIJSF_S6_EEENSJ_IJSG_SG_EEENS0_18inequality_wrapperI22is_equal_div_10_uniqueIiEEEPmJS6_EEE10hipError_tPvRmT3_T4_T5_T6_T7_T9_mT8_P12ihipStream_tbDpT10_ENKUlT_T0_E_clISt17integral_constantIbLb1EES1A_EEDaS15_S16_EUlS15_E_NS1_11comp_targetILNS1_3genE10ELNS1_11target_archE1200ELNS1_3gpuE4ELNS1_3repE0EEENS1_30default_config_static_selectorELNS0_4arch9wavefront6targetE1EEEvT1_
    .private_segment_fixed_size: 0
    .sgpr_count:     4
    .sgpr_spill_count: 0
    .symbol:         _ZN7rocprim17ROCPRIM_400000_NS6detail17trampoline_kernelINS0_14default_configENS1_25partition_config_selectorILNS1_17partition_subalgoE8EiNS0_10empty_typeEbEEZZNS1_14partition_implILS5_8ELb0ES3_jN6thrust23THRUST_200600_302600_NS6detail15normal_iteratorINSA_10device_ptrIiEEEEPS6_PKS6_NS0_5tupleIJSF_S6_EEENSJ_IJSG_SG_EEENS0_18inequality_wrapperI22is_equal_div_10_uniqueIiEEEPmJS6_EEE10hipError_tPvRmT3_T4_T5_T6_T7_T9_mT8_P12ihipStream_tbDpT10_ENKUlT_T0_E_clISt17integral_constantIbLb1EES1A_EEDaS15_S16_EUlS15_E_NS1_11comp_targetILNS1_3genE10ELNS1_11target_archE1200ELNS1_3gpuE4ELNS1_3repE0EEENS1_30default_config_static_selectorELNS0_4arch9wavefront6targetE1EEEvT1_.kd
    .uniform_work_group_size: 1
    .uses_dynamic_stack: false
    .vgpr_count:     0
    .vgpr_spill_count: 0
    .wavefront_size: 64
  - .args:
      - .offset:         0
        .size:           128
        .value_kind:     by_value
    .group_segment_fixed_size: 0
    .kernarg_segment_align: 8
    .kernarg_segment_size: 128
    .language:       OpenCL C
    .language_version:
      - 2
      - 0
    .max_flat_workgroup_size: 384
    .name:           _ZN7rocprim17ROCPRIM_400000_NS6detail17trampoline_kernelINS0_14default_configENS1_25partition_config_selectorILNS1_17partition_subalgoE8EiNS0_10empty_typeEbEEZZNS1_14partition_implILS5_8ELb0ES3_jN6thrust23THRUST_200600_302600_NS6detail15normal_iteratorINSA_10device_ptrIiEEEEPS6_PKS6_NS0_5tupleIJSF_S6_EEENSJ_IJSG_SG_EEENS0_18inequality_wrapperI22is_equal_div_10_uniqueIiEEEPmJS6_EEE10hipError_tPvRmT3_T4_T5_T6_T7_T9_mT8_P12ihipStream_tbDpT10_ENKUlT_T0_E_clISt17integral_constantIbLb1EES1A_EEDaS15_S16_EUlS15_E_NS1_11comp_targetILNS1_3genE9ELNS1_11target_archE1100ELNS1_3gpuE3ELNS1_3repE0EEENS1_30default_config_static_selectorELNS0_4arch9wavefront6targetE1EEEvT1_
    .private_segment_fixed_size: 0
    .sgpr_count:     4
    .sgpr_spill_count: 0
    .symbol:         _ZN7rocprim17ROCPRIM_400000_NS6detail17trampoline_kernelINS0_14default_configENS1_25partition_config_selectorILNS1_17partition_subalgoE8EiNS0_10empty_typeEbEEZZNS1_14partition_implILS5_8ELb0ES3_jN6thrust23THRUST_200600_302600_NS6detail15normal_iteratorINSA_10device_ptrIiEEEEPS6_PKS6_NS0_5tupleIJSF_S6_EEENSJ_IJSG_SG_EEENS0_18inequality_wrapperI22is_equal_div_10_uniqueIiEEEPmJS6_EEE10hipError_tPvRmT3_T4_T5_T6_T7_T9_mT8_P12ihipStream_tbDpT10_ENKUlT_T0_E_clISt17integral_constantIbLb1EES1A_EEDaS15_S16_EUlS15_E_NS1_11comp_targetILNS1_3genE9ELNS1_11target_archE1100ELNS1_3gpuE3ELNS1_3repE0EEENS1_30default_config_static_selectorELNS0_4arch9wavefront6targetE1EEEvT1_.kd
    .uniform_work_group_size: 1
    .uses_dynamic_stack: false
    .vgpr_count:     0
    .vgpr_spill_count: 0
    .wavefront_size: 64
  - .args:
      - .offset:         0
        .size:           128
        .value_kind:     by_value
    .group_segment_fixed_size: 0
    .kernarg_segment_align: 8
    .kernarg_segment_size: 128
    .language:       OpenCL C
    .language_version:
      - 2
      - 0
    .max_flat_workgroup_size: 512
    .name:           _ZN7rocprim17ROCPRIM_400000_NS6detail17trampoline_kernelINS0_14default_configENS1_25partition_config_selectorILNS1_17partition_subalgoE8EiNS0_10empty_typeEbEEZZNS1_14partition_implILS5_8ELb0ES3_jN6thrust23THRUST_200600_302600_NS6detail15normal_iteratorINSA_10device_ptrIiEEEEPS6_PKS6_NS0_5tupleIJSF_S6_EEENSJ_IJSG_SG_EEENS0_18inequality_wrapperI22is_equal_div_10_uniqueIiEEEPmJS6_EEE10hipError_tPvRmT3_T4_T5_T6_T7_T9_mT8_P12ihipStream_tbDpT10_ENKUlT_T0_E_clISt17integral_constantIbLb1EES1A_EEDaS15_S16_EUlS15_E_NS1_11comp_targetILNS1_3genE8ELNS1_11target_archE1030ELNS1_3gpuE2ELNS1_3repE0EEENS1_30default_config_static_selectorELNS0_4arch9wavefront6targetE1EEEvT1_
    .private_segment_fixed_size: 0
    .sgpr_count:     4
    .sgpr_spill_count: 0
    .symbol:         _ZN7rocprim17ROCPRIM_400000_NS6detail17trampoline_kernelINS0_14default_configENS1_25partition_config_selectorILNS1_17partition_subalgoE8EiNS0_10empty_typeEbEEZZNS1_14partition_implILS5_8ELb0ES3_jN6thrust23THRUST_200600_302600_NS6detail15normal_iteratorINSA_10device_ptrIiEEEEPS6_PKS6_NS0_5tupleIJSF_S6_EEENSJ_IJSG_SG_EEENS0_18inequality_wrapperI22is_equal_div_10_uniqueIiEEEPmJS6_EEE10hipError_tPvRmT3_T4_T5_T6_T7_T9_mT8_P12ihipStream_tbDpT10_ENKUlT_T0_E_clISt17integral_constantIbLb1EES1A_EEDaS15_S16_EUlS15_E_NS1_11comp_targetILNS1_3genE8ELNS1_11target_archE1030ELNS1_3gpuE2ELNS1_3repE0EEENS1_30default_config_static_selectorELNS0_4arch9wavefront6targetE1EEEvT1_.kd
    .uniform_work_group_size: 1
    .uses_dynamic_stack: false
    .vgpr_count:     0
    .vgpr_spill_count: 0
    .wavefront_size: 64
  - .args:
      - .offset:         0
        .size:           112
        .value_kind:     by_value
    .group_segment_fixed_size: 0
    .kernarg_segment_align: 8
    .kernarg_segment_size: 112
    .language:       OpenCL C
    .language_version:
      - 2
      - 0
    .max_flat_workgroup_size: 512
    .name:           _ZN7rocprim17ROCPRIM_400000_NS6detail17trampoline_kernelINS0_14default_configENS1_25partition_config_selectorILNS1_17partition_subalgoE8EiNS0_10empty_typeEbEEZZNS1_14partition_implILS5_8ELb0ES3_jN6thrust23THRUST_200600_302600_NS6detail15normal_iteratorINSA_10device_ptrIiEEEEPS6_PKS6_NS0_5tupleIJSF_S6_EEENSJ_IJSG_SG_EEENS0_18inequality_wrapperI22is_equal_div_10_uniqueIiEEEPmJS6_EEE10hipError_tPvRmT3_T4_T5_T6_T7_T9_mT8_P12ihipStream_tbDpT10_ENKUlT_T0_E_clISt17integral_constantIbLb1EES19_IbLb0EEEEDaS15_S16_EUlS15_E_NS1_11comp_targetILNS1_3genE0ELNS1_11target_archE4294967295ELNS1_3gpuE0ELNS1_3repE0EEENS1_30default_config_static_selectorELNS0_4arch9wavefront6targetE1EEEvT1_
    .private_segment_fixed_size: 0
    .sgpr_count:     4
    .sgpr_spill_count: 0
    .symbol:         _ZN7rocprim17ROCPRIM_400000_NS6detail17trampoline_kernelINS0_14default_configENS1_25partition_config_selectorILNS1_17partition_subalgoE8EiNS0_10empty_typeEbEEZZNS1_14partition_implILS5_8ELb0ES3_jN6thrust23THRUST_200600_302600_NS6detail15normal_iteratorINSA_10device_ptrIiEEEEPS6_PKS6_NS0_5tupleIJSF_S6_EEENSJ_IJSG_SG_EEENS0_18inequality_wrapperI22is_equal_div_10_uniqueIiEEEPmJS6_EEE10hipError_tPvRmT3_T4_T5_T6_T7_T9_mT8_P12ihipStream_tbDpT10_ENKUlT_T0_E_clISt17integral_constantIbLb1EES19_IbLb0EEEEDaS15_S16_EUlS15_E_NS1_11comp_targetILNS1_3genE0ELNS1_11target_archE4294967295ELNS1_3gpuE0ELNS1_3repE0EEENS1_30default_config_static_selectorELNS0_4arch9wavefront6targetE1EEEvT1_.kd
    .uniform_work_group_size: 1
    .uses_dynamic_stack: false
    .vgpr_count:     0
    .vgpr_spill_count: 0
    .wavefront_size: 64
  - .args:
      - .offset:         0
        .size:           112
        .value_kind:     by_value
    .group_segment_fixed_size: 0
    .kernarg_segment_align: 8
    .kernarg_segment_size: 112
    .language:       OpenCL C
    .language_version:
      - 2
      - 0
    .max_flat_workgroup_size: 512
    .name:           _ZN7rocprim17ROCPRIM_400000_NS6detail17trampoline_kernelINS0_14default_configENS1_25partition_config_selectorILNS1_17partition_subalgoE8EiNS0_10empty_typeEbEEZZNS1_14partition_implILS5_8ELb0ES3_jN6thrust23THRUST_200600_302600_NS6detail15normal_iteratorINSA_10device_ptrIiEEEEPS6_PKS6_NS0_5tupleIJSF_S6_EEENSJ_IJSG_SG_EEENS0_18inequality_wrapperI22is_equal_div_10_uniqueIiEEEPmJS6_EEE10hipError_tPvRmT3_T4_T5_T6_T7_T9_mT8_P12ihipStream_tbDpT10_ENKUlT_T0_E_clISt17integral_constantIbLb1EES19_IbLb0EEEEDaS15_S16_EUlS15_E_NS1_11comp_targetILNS1_3genE5ELNS1_11target_archE942ELNS1_3gpuE9ELNS1_3repE0EEENS1_30default_config_static_selectorELNS0_4arch9wavefront6targetE1EEEvT1_
    .private_segment_fixed_size: 0
    .sgpr_count:     4
    .sgpr_spill_count: 0
    .symbol:         _ZN7rocprim17ROCPRIM_400000_NS6detail17trampoline_kernelINS0_14default_configENS1_25partition_config_selectorILNS1_17partition_subalgoE8EiNS0_10empty_typeEbEEZZNS1_14partition_implILS5_8ELb0ES3_jN6thrust23THRUST_200600_302600_NS6detail15normal_iteratorINSA_10device_ptrIiEEEEPS6_PKS6_NS0_5tupleIJSF_S6_EEENSJ_IJSG_SG_EEENS0_18inequality_wrapperI22is_equal_div_10_uniqueIiEEEPmJS6_EEE10hipError_tPvRmT3_T4_T5_T6_T7_T9_mT8_P12ihipStream_tbDpT10_ENKUlT_T0_E_clISt17integral_constantIbLb1EES19_IbLb0EEEEDaS15_S16_EUlS15_E_NS1_11comp_targetILNS1_3genE5ELNS1_11target_archE942ELNS1_3gpuE9ELNS1_3repE0EEENS1_30default_config_static_selectorELNS0_4arch9wavefront6targetE1EEEvT1_.kd
    .uniform_work_group_size: 1
    .uses_dynamic_stack: false
    .vgpr_count:     0
    .vgpr_spill_count: 0
    .wavefront_size: 64
  - .args:
      - .offset:         0
        .size:           112
        .value_kind:     by_value
    .group_segment_fixed_size: 0
    .kernarg_segment_align: 8
    .kernarg_segment_size: 112
    .language:       OpenCL C
    .language_version:
      - 2
      - 0
    .max_flat_workgroup_size: 256
    .name:           _ZN7rocprim17ROCPRIM_400000_NS6detail17trampoline_kernelINS0_14default_configENS1_25partition_config_selectorILNS1_17partition_subalgoE8EiNS0_10empty_typeEbEEZZNS1_14partition_implILS5_8ELb0ES3_jN6thrust23THRUST_200600_302600_NS6detail15normal_iteratorINSA_10device_ptrIiEEEEPS6_PKS6_NS0_5tupleIJSF_S6_EEENSJ_IJSG_SG_EEENS0_18inequality_wrapperI22is_equal_div_10_uniqueIiEEEPmJS6_EEE10hipError_tPvRmT3_T4_T5_T6_T7_T9_mT8_P12ihipStream_tbDpT10_ENKUlT_T0_E_clISt17integral_constantIbLb1EES19_IbLb0EEEEDaS15_S16_EUlS15_E_NS1_11comp_targetILNS1_3genE4ELNS1_11target_archE910ELNS1_3gpuE8ELNS1_3repE0EEENS1_30default_config_static_selectorELNS0_4arch9wavefront6targetE1EEEvT1_
    .private_segment_fixed_size: 0
    .sgpr_count:     4
    .sgpr_spill_count: 0
    .symbol:         _ZN7rocprim17ROCPRIM_400000_NS6detail17trampoline_kernelINS0_14default_configENS1_25partition_config_selectorILNS1_17partition_subalgoE8EiNS0_10empty_typeEbEEZZNS1_14partition_implILS5_8ELb0ES3_jN6thrust23THRUST_200600_302600_NS6detail15normal_iteratorINSA_10device_ptrIiEEEEPS6_PKS6_NS0_5tupleIJSF_S6_EEENSJ_IJSG_SG_EEENS0_18inequality_wrapperI22is_equal_div_10_uniqueIiEEEPmJS6_EEE10hipError_tPvRmT3_T4_T5_T6_T7_T9_mT8_P12ihipStream_tbDpT10_ENKUlT_T0_E_clISt17integral_constantIbLb1EES19_IbLb0EEEEDaS15_S16_EUlS15_E_NS1_11comp_targetILNS1_3genE4ELNS1_11target_archE910ELNS1_3gpuE8ELNS1_3repE0EEENS1_30default_config_static_selectorELNS0_4arch9wavefront6targetE1EEEvT1_.kd
    .uniform_work_group_size: 1
    .uses_dynamic_stack: false
    .vgpr_count:     0
    .vgpr_spill_count: 0
    .wavefront_size: 64
  - .args:
      - .offset:         0
        .size:           112
        .value_kind:     by_value
    .group_segment_fixed_size: 0
    .kernarg_segment_align: 8
    .kernarg_segment_size: 112
    .language:       OpenCL C
    .language_version:
      - 2
      - 0
    .max_flat_workgroup_size: 512
    .name:           _ZN7rocprim17ROCPRIM_400000_NS6detail17trampoline_kernelINS0_14default_configENS1_25partition_config_selectorILNS1_17partition_subalgoE8EiNS0_10empty_typeEbEEZZNS1_14partition_implILS5_8ELb0ES3_jN6thrust23THRUST_200600_302600_NS6detail15normal_iteratorINSA_10device_ptrIiEEEEPS6_PKS6_NS0_5tupleIJSF_S6_EEENSJ_IJSG_SG_EEENS0_18inequality_wrapperI22is_equal_div_10_uniqueIiEEEPmJS6_EEE10hipError_tPvRmT3_T4_T5_T6_T7_T9_mT8_P12ihipStream_tbDpT10_ENKUlT_T0_E_clISt17integral_constantIbLb1EES19_IbLb0EEEEDaS15_S16_EUlS15_E_NS1_11comp_targetILNS1_3genE3ELNS1_11target_archE908ELNS1_3gpuE7ELNS1_3repE0EEENS1_30default_config_static_selectorELNS0_4arch9wavefront6targetE1EEEvT1_
    .private_segment_fixed_size: 0
    .sgpr_count:     4
    .sgpr_spill_count: 0
    .symbol:         _ZN7rocprim17ROCPRIM_400000_NS6detail17trampoline_kernelINS0_14default_configENS1_25partition_config_selectorILNS1_17partition_subalgoE8EiNS0_10empty_typeEbEEZZNS1_14partition_implILS5_8ELb0ES3_jN6thrust23THRUST_200600_302600_NS6detail15normal_iteratorINSA_10device_ptrIiEEEEPS6_PKS6_NS0_5tupleIJSF_S6_EEENSJ_IJSG_SG_EEENS0_18inequality_wrapperI22is_equal_div_10_uniqueIiEEEPmJS6_EEE10hipError_tPvRmT3_T4_T5_T6_T7_T9_mT8_P12ihipStream_tbDpT10_ENKUlT_T0_E_clISt17integral_constantIbLb1EES19_IbLb0EEEEDaS15_S16_EUlS15_E_NS1_11comp_targetILNS1_3genE3ELNS1_11target_archE908ELNS1_3gpuE7ELNS1_3repE0EEENS1_30default_config_static_selectorELNS0_4arch9wavefront6targetE1EEEvT1_.kd
    .uniform_work_group_size: 1
    .uses_dynamic_stack: false
    .vgpr_count:     0
    .vgpr_spill_count: 0
    .wavefront_size: 64
  - .args:
      - .offset:         0
        .size:           112
        .value_kind:     by_value
    .group_segment_fixed_size: 0
    .kernarg_segment_align: 8
    .kernarg_segment_size: 112
    .language:       OpenCL C
    .language_version:
      - 2
      - 0
    .max_flat_workgroup_size: 256
    .name:           _ZN7rocprim17ROCPRIM_400000_NS6detail17trampoline_kernelINS0_14default_configENS1_25partition_config_selectorILNS1_17partition_subalgoE8EiNS0_10empty_typeEbEEZZNS1_14partition_implILS5_8ELb0ES3_jN6thrust23THRUST_200600_302600_NS6detail15normal_iteratorINSA_10device_ptrIiEEEEPS6_PKS6_NS0_5tupleIJSF_S6_EEENSJ_IJSG_SG_EEENS0_18inequality_wrapperI22is_equal_div_10_uniqueIiEEEPmJS6_EEE10hipError_tPvRmT3_T4_T5_T6_T7_T9_mT8_P12ihipStream_tbDpT10_ENKUlT_T0_E_clISt17integral_constantIbLb1EES19_IbLb0EEEEDaS15_S16_EUlS15_E_NS1_11comp_targetILNS1_3genE2ELNS1_11target_archE906ELNS1_3gpuE6ELNS1_3repE0EEENS1_30default_config_static_selectorELNS0_4arch9wavefront6targetE1EEEvT1_
    .private_segment_fixed_size: 0
    .sgpr_count:     4
    .sgpr_spill_count: 0
    .symbol:         _ZN7rocprim17ROCPRIM_400000_NS6detail17trampoline_kernelINS0_14default_configENS1_25partition_config_selectorILNS1_17partition_subalgoE8EiNS0_10empty_typeEbEEZZNS1_14partition_implILS5_8ELb0ES3_jN6thrust23THRUST_200600_302600_NS6detail15normal_iteratorINSA_10device_ptrIiEEEEPS6_PKS6_NS0_5tupleIJSF_S6_EEENSJ_IJSG_SG_EEENS0_18inequality_wrapperI22is_equal_div_10_uniqueIiEEEPmJS6_EEE10hipError_tPvRmT3_T4_T5_T6_T7_T9_mT8_P12ihipStream_tbDpT10_ENKUlT_T0_E_clISt17integral_constantIbLb1EES19_IbLb0EEEEDaS15_S16_EUlS15_E_NS1_11comp_targetILNS1_3genE2ELNS1_11target_archE906ELNS1_3gpuE6ELNS1_3repE0EEENS1_30default_config_static_selectorELNS0_4arch9wavefront6targetE1EEEvT1_.kd
    .uniform_work_group_size: 1
    .uses_dynamic_stack: false
    .vgpr_count:     0
    .vgpr_spill_count: 0
    .wavefront_size: 64
  - .args:
      - .offset:         0
        .size:           112
        .value_kind:     by_value
    .group_segment_fixed_size: 0
    .kernarg_segment_align: 8
    .kernarg_segment_size: 112
    .language:       OpenCL C
    .language_version:
      - 2
      - 0
    .max_flat_workgroup_size: 384
    .name:           _ZN7rocprim17ROCPRIM_400000_NS6detail17trampoline_kernelINS0_14default_configENS1_25partition_config_selectorILNS1_17partition_subalgoE8EiNS0_10empty_typeEbEEZZNS1_14partition_implILS5_8ELb0ES3_jN6thrust23THRUST_200600_302600_NS6detail15normal_iteratorINSA_10device_ptrIiEEEEPS6_PKS6_NS0_5tupleIJSF_S6_EEENSJ_IJSG_SG_EEENS0_18inequality_wrapperI22is_equal_div_10_uniqueIiEEEPmJS6_EEE10hipError_tPvRmT3_T4_T5_T6_T7_T9_mT8_P12ihipStream_tbDpT10_ENKUlT_T0_E_clISt17integral_constantIbLb1EES19_IbLb0EEEEDaS15_S16_EUlS15_E_NS1_11comp_targetILNS1_3genE10ELNS1_11target_archE1200ELNS1_3gpuE4ELNS1_3repE0EEENS1_30default_config_static_selectorELNS0_4arch9wavefront6targetE1EEEvT1_
    .private_segment_fixed_size: 0
    .sgpr_count:     4
    .sgpr_spill_count: 0
    .symbol:         _ZN7rocprim17ROCPRIM_400000_NS6detail17trampoline_kernelINS0_14default_configENS1_25partition_config_selectorILNS1_17partition_subalgoE8EiNS0_10empty_typeEbEEZZNS1_14partition_implILS5_8ELb0ES3_jN6thrust23THRUST_200600_302600_NS6detail15normal_iteratorINSA_10device_ptrIiEEEEPS6_PKS6_NS0_5tupleIJSF_S6_EEENSJ_IJSG_SG_EEENS0_18inequality_wrapperI22is_equal_div_10_uniqueIiEEEPmJS6_EEE10hipError_tPvRmT3_T4_T5_T6_T7_T9_mT8_P12ihipStream_tbDpT10_ENKUlT_T0_E_clISt17integral_constantIbLb1EES19_IbLb0EEEEDaS15_S16_EUlS15_E_NS1_11comp_targetILNS1_3genE10ELNS1_11target_archE1200ELNS1_3gpuE4ELNS1_3repE0EEENS1_30default_config_static_selectorELNS0_4arch9wavefront6targetE1EEEvT1_.kd
    .uniform_work_group_size: 1
    .uses_dynamic_stack: false
    .vgpr_count:     0
    .vgpr_spill_count: 0
    .wavefront_size: 64
  - .args:
      - .offset:         0
        .size:           112
        .value_kind:     by_value
    .group_segment_fixed_size: 0
    .kernarg_segment_align: 8
    .kernarg_segment_size: 112
    .language:       OpenCL C
    .language_version:
      - 2
      - 0
    .max_flat_workgroup_size: 384
    .name:           _ZN7rocprim17ROCPRIM_400000_NS6detail17trampoline_kernelINS0_14default_configENS1_25partition_config_selectorILNS1_17partition_subalgoE8EiNS0_10empty_typeEbEEZZNS1_14partition_implILS5_8ELb0ES3_jN6thrust23THRUST_200600_302600_NS6detail15normal_iteratorINSA_10device_ptrIiEEEEPS6_PKS6_NS0_5tupleIJSF_S6_EEENSJ_IJSG_SG_EEENS0_18inequality_wrapperI22is_equal_div_10_uniqueIiEEEPmJS6_EEE10hipError_tPvRmT3_T4_T5_T6_T7_T9_mT8_P12ihipStream_tbDpT10_ENKUlT_T0_E_clISt17integral_constantIbLb1EES19_IbLb0EEEEDaS15_S16_EUlS15_E_NS1_11comp_targetILNS1_3genE9ELNS1_11target_archE1100ELNS1_3gpuE3ELNS1_3repE0EEENS1_30default_config_static_selectorELNS0_4arch9wavefront6targetE1EEEvT1_
    .private_segment_fixed_size: 0
    .sgpr_count:     4
    .sgpr_spill_count: 0
    .symbol:         _ZN7rocprim17ROCPRIM_400000_NS6detail17trampoline_kernelINS0_14default_configENS1_25partition_config_selectorILNS1_17partition_subalgoE8EiNS0_10empty_typeEbEEZZNS1_14partition_implILS5_8ELb0ES3_jN6thrust23THRUST_200600_302600_NS6detail15normal_iteratorINSA_10device_ptrIiEEEEPS6_PKS6_NS0_5tupleIJSF_S6_EEENSJ_IJSG_SG_EEENS0_18inequality_wrapperI22is_equal_div_10_uniqueIiEEEPmJS6_EEE10hipError_tPvRmT3_T4_T5_T6_T7_T9_mT8_P12ihipStream_tbDpT10_ENKUlT_T0_E_clISt17integral_constantIbLb1EES19_IbLb0EEEEDaS15_S16_EUlS15_E_NS1_11comp_targetILNS1_3genE9ELNS1_11target_archE1100ELNS1_3gpuE3ELNS1_3repE0EEENS1_30default_config_static_selectorELNS0_4arch9wavefront6targetE1EEEvT1_.kd
    .uniform_work_group_size: 1
    .uses_dynamic_stack: false
    .vgpr_count:     0
    .vgpr_spill_count: 0
    .wavefront_size: 64
  - .args:
      - .offset:         0
        .size:           112
        .value_kind:     by_value
    .group_segment_fixed_size: 0
    .kernarg_segment_align: 8
    .kernarg_segment_size: 112
    .language:       OpenCL C
    .language_version:
      - 2
      - 0
    .max_flat_workgroup_size: 512
    .name:           _ZN7rocprim17ROCPRIM_400000_NS6detail17trampoline_kernelINS0_14default_configENS1_25partition_config_selectorILNS1_17partition_subalgoE8EiNS0_10empty_typeEbEEZZNS1_14partition_implILS5_8ELb0ES3_jN6thrust23THRUST_200600_302600_NS6detail15normal_iteratorINSA_10device_ptrIiEEEEPS6_PKS6_NS0_5tupleIJSF_S6_EEENSJ_IJSG_SG_EEENS0_18inequality_wrapperI22is_equal_div_10_uniqueIiEEEPmJS6_EEE10hipError_tPvRmT3_T4_T5_T6_T7_T9_mT8_P12ihipStream_tbDpT10_ENKUlT_T0_E_clISt17integral_constantIbLb1EES19_IbLb0EEEEDaS15_S16_EUlS15_E_NS1_11comp_targetILNS1_3genE8ELNS1_11target_archE1030ELNS1_3gpuE2ELNS1_3repE0EEENS1_30default_config_static_selectorELNS0_4arch9wavefront6targetE1EEEvT1_
    .private_segment_fixed_size: 0
    .sgpr_count:     4
    .sgpr_spill_count: 0
    .symbol:         _ZN7rocprim17ROCPRIM_400000_NS6detail17trampoline_kernelINS0_14default_configENS1_25partition_config_selectorILNS1_17partition_subalgoE8EiNS0_10empty_typeEbEEZZNS1_14partition_implILS5_8ELb0ES3_jN6thrust23THRUST_200600_302600_NS6detail15normal_iteratorINSA_10device_ptrIiEEEEPS6_PKS6_NS0_5tupleIJSF_S6_EEENSJ_IJSG_SG_EEENS0_18inequality_wrapperI22is_equal_div_10_uniqueIiEEEPmJS6_EEE10hipError_tPvRmT3_T4_T5_T6_T7_T9_mT8_P12ihipStream_tbDpT10_ENKUlT_T0_E_clISt17integral_constantIbLb1EES19_IbLb0EEEEDaS15_S16_EUlS15_E_NS1_11comp_targetILNS1_3genE8ELNS1_11target_archE1030ELNS1_3gpuE2ELNS1_3repE0EEENS1_30default_config_static_selectorELNS0_4arch9wavefront6targetE1EEEvT1_.kd
    .uniform_work_group_size: 1
    .uses_dynamic_stack: false
    .vgpr_count:     0
    .vgpr_spill_count: 0
    .wavefront_size: 64
  - .args:
      - .offset:         0
        .size:           128
        .value_kind:     by_value
    .group_segment_fixed_size: 0
    .kernarg_segment_align: 8
    .kernarg_segment_size: 128
    .language:       OpenCL C
    .language_version:
      - 2
      - 0
    .max_flat_workgroup_size: 512
    .name:           _ZN7rocprim17ROCPRIM_400000_NS6detail17trampoline_kernelINS0_14default_configENS1_25partition_config_selectorILNS1_17partition_subalgoE8EiNS0_10empty_typeEbEEZZNS1_14partition_implILS5_8ELb0ES3_jN6thrust23THRUST_200600_302600_NS6detail15normal_iteratorINSA_10device_ptrIiEEEEPS6_PKS6_NS0_5tupleIJSF_S6_EEENSJ_IJSG_SG_EEENS0_18inequality_wrapperI22is_equal_div_10_uniqueIiEEEPmJS6_EEE10hipError_tPvRmT3_T4_T5_T6_T7_T9_mT8_P12ihipStream_tbDpT10_ENKUlT_T0_E_clISt17integral_constantIbLb0EES19_IbLb1EEEEDaS15_S16_EUlS15_E_NS1_11comp_targetILNS1_3genE0ELNS1_11target_archE4294967295ELNS1_3gpuE0ELNS1_3repE0EEENS1_30default_config_static_selectorELNS0_4arch9wavefront6targetE1EEEvT1_
    .private_segment_fixed_size: 0
    .sgpr_count:     4
    .sgpr_spill_count: 0
    .symbol:         _ZN7rocprim17ROCPRIM_400000_NS6detail17trampoline_kernelINS0_14default_configENS1_25partition_config_selectorILNS1_17partition_subalgoE8EiNS0_10empty_typeEbEEZZNS1_14partition_implILS5_8ELb0ES3_jN6thrust23THRUST_200600_302600_NS6detail15normal_iteratorINSA_10device_ptrIiEEEEPS6_PKS6_NS0_5tupleIJSF_S6_EEENSJ_IJSG_SG_EEENS0_18inequality_wrapperI22is_equal_div_10_uniqueIiEEEPmJS6_EEE10hipError_tPvRmT3_T4_T5_T6_T7_T9_mT8_P12ihipStream_tbDpT10_ENKUlT_T0_E_clISt17integral_constantIbLb0EES19_IbLb1EEEEDaS15_S16_EUlS15_E_NS1_11comp_targetILNS1_3genE0ELNS1_11target_archE4294967295ELNS1_3gpuE0ELNS1_3repE0EEENS1_30default_config_static_selectorELNS0_4arch9wavefront6targetE1EEEvT1_.kd
    .uniform_work_group_size: 1
    .uses_dynamic_stack: false
    .vgpr_count:     0
    .vgpr_spill_count: 0
    .wavefront_size: 64
  - .args:
      - .offset:         0
        .size:           128
        .value_kind:     by_value
    .group_segment_fixed_size: 0
    .kernarg_segment_align: 8
    .kernarg_segment_size: 128
    .language:       OpenCL C
    .language_version:
      - 2
      - 0
    .max_flat_workgroup_size: 512
    .name:           _ZN7rocprim17ROCPRIM_400000_NS6detail17trampoline_kernelINS0_14default_configENS1_25partition_config_selectorILNS1_17partition_subalgoE8EiNS0_10empty_typeEbEEZZNS1_14partition_implILS5_8ELb0ES3_jN6thrust23THRUST_200600_302600_NS6detail15normal_iteratorINSA_10device_ptrIiEEEEPS6_PKS6_NS0_5tupleIJSF_S6_EEENSJ_IJSG_SG_EEENS0_18inequality_wrapperI22is_equal_div_10_uniqueIiEEEPmJS6_EEE10hipError_tPvRmT3_T4_T5_T6_T7_T9_mT8_P12ihipStream_tbDpT10_ENKUlT_T0_E_clISt17integral_constantIbLb0EES19_IbLb1EEEEDaS15_S16_EUlS15_E_NS1_11comp_targetILNS1_3genE5ELNS1_11target_archE942ELNS1_3gpuE9ELNS1_3repE0EEENS1_30default_config_static_selectorELNS0_4arch9wavefront6targetE1EEEvT1_
    .private_segment_fixed_size: 0
    .sgpr_count:     4
    .sgpr_spill_count: 0
    .symbol:         _ZN7rocprim17ROCPRIM_400000_NS6detail17trampoline_kernelINS0_14default_configENS1_25partition_config_selectorILNS1_17partition_subalgoE8EiNS0_10empty_typeEbEEZZNS1_14partition_implILS5_8ELb0ES3_jN6thrust23THRUST_200600_302600_NS6detail15normal_iteratorINSA_10device_ptrIiEEEEPS6_PKS6_NS0_5tupleIJSF_S6_EEENSJ_IJSG_SG_EEENS0_18inequality_wrapperI22is_equal_div_10_uniqueIiEEEPmJS6_EEE10hipError_tPvRmT3_T4_T5_T6_T7_T9_mT8_P12ihipStream_tbDpT10_ENKUlT_T0_E_clISt17integral_constantIbLb0EES19_IbLb1EEEEDaS15_S16_EUlS15_E_NS1_11comp_targetILNS1_3genE5ELNS1_11target_archE942ELNS1_3gpuE9ELNS1_3repE0EEENS1_30default_config_static_selectorELNS0_4arch9wavefront6targetE1EEEvT1_.kd
    .uniform_work_group_size: 1
    .uses_dynamic_stack: false
    .vgpr_count:     0
    .vgpr_spill_count: 0
    .wavefront_size: 64
  - .args:
      - .offset:         0
        .size:           128
        .value_kind:     by_value
    .group_segment_fixed_size: 0
    .kernarg_segment_align: 8
    .kernarg_segment_size: 128
    .language:       OpenCL C
    .language_version:
      - 2
      - 0
    .max_flat_workgroup_size: 256
    .name:           _ZN7rocprim17ROCPRIM_400000_NS6detail17trampoline_kernelINS0_14default_configENS1_25partition_config_selectorILNS1_17partition_subalgoE8EiNS0_10empty_typeEbEEZZNS1_14partition_implILS5_8ELb0ES3_jN6thrust23THRUST_200600_302600_NS6detail15normal_iteratorINSA_10device_ptrIiEEEEPS6_PKS6_NS0_5tupleIJSF_S6_EEENSJ_IJSG_SG_EEENS0_18inequality_wrapperI22is_equal_div_10_uniqueIiEEEPmJS6_EEE10hipError_tPvRmT3_T4_T5_T6_T7_T9_mT8_P12ihipStream_tbDpT10_ENKUlT_T0_E_clISt17integral_constantIbLb0EES19_IbLb1EEEEDaS15_S16_EUlS15_E_NS1_11comp_targetILNS1_3genE4ELNS1_11target_archE910ELNS1_3gpuE8ELNS1_3repE0EEENS1_30default_config_static_selectorELNS0_4arch9wavefront6targetE1EEEvT1_
    .private_segment_fixed_size: 0
    .sgpr_count:     4
    .sgpr_spill_count: 0
    .symbol:         _ZN7rocprim17ROCPRIM_400000_NS6detail17trampoline_kernelINS0_14default_configENS1_25partition_config_selectorILNS1_17partition_subalgoE8EiNS0_10empty_typeEbEEZZNS1_14partition_implILS5_8ELb0ES3_jN6thrust23THRUST_200600_302600_NS6detail15normal_iteratorINSA_10device_ptrIiEEEEPS6_PKS6_NS0_5tupleIJSF_S6_EEENSJ_IJSG_SG_EEENS0_18inequality_wrapperI22is_equal_div_10_uniqueIiEEEPmJS6_EEE10hipError_tPvRmT3_T4_T5_T6_T7_T9_mT8_P12ihipStream_tbDpT10_ENKUlT_T0_E_clISt17integral_constantIbLb0EES19_IbLb1EEEEDaS15_S16_EUlS15_E_NS1_11comp_targetILNS1_3genE4ELNS1_11target_archE910ELNS1_3gpuE8ELNS1_3repE0EEENS1_30default_config_static_selectorELNS0_4arch9wavefront6targetE1EEEvT1_.kd
    .uniform_work_group_size: 1
    .uses_dynamic_stack: false
    .vgpr_count:     0
    .vgpr_spill_count: 0
    .wavefront_size: 64
  - .args:
      - .offset:         0
        .size:           128
        .value_kind:     by_value
    .group_segment_fixed_size: 0
    .kernarg_segment_align: 8
    .kernarg_segment_size: 128
    .language:       OpenCL C
    .language_version:
      - 2
      - 0
    .max_flat_workgroup_size: 512
    .name:           _ZN7rocprim17ROCPRIM_400000_NS6detail17trampoline_kernelINS0_14default_configENS1_25partition_config_selectorILNS1_17partition_subalgoE8EiNS0_10empty_typeEbEEZZNS1_14partition_implILS5_8ELb0ES3_jN6thrust23THRUST_200600_302600_NS6detail15normal_iteratorINSA_10device_ptrIiEEEEPS6_PKS6_NS0_5tupleIJSF_S6_EEENSJ_IJSG_SG_EEENS0_18inequality_wrapperI22is_equal_div_10_uniqueIiEEEPmJS6_EEE10hipError_tPvRmT3_T4_T5_T6_T7_T9_mT8_P12ihipStream_tbDpT10_ENKUlT_T0_E_clISt17integral_constantIbLb0EES19_IbLb1EEEEDaS15_S16_EUlS15_E_NS1_11comp_targetILNS1_3genE3ELNS1_11target_archE908ELNS1_3gpuE7ELNS1_3repE0EEENS1_30default_config_static_selectorELNS0_4arch9wavefront6targetE1EEEvT1_
    .private_segment_fixed_size: 0
    .sgpr_count:     4
    .sgpr_spill_count: 0
    .symbol:         _ZN7rocprim17ROCPRIM_400000_NS6detail17trampoline_kernelINS0_14default_configENS1_25partition_config_selectorILNS1_17partition_subalgoE8EiNS0_10empty_typeEbEEZZNS1_14partition_implILS5_8ELb0ES3_jN6thrust23THRUST_200600_302600_NS6detail15normal_iteratorINSA_10device_ptrIiEEEEPS6_PKS6_NS0_5tupleIJSF_S6_EEENSJ_IJSG_SG_EEENS0_18inequality_wrapperI22is_equal_div_10_uniqueIiEEEPmJS6_EEE10hipError_tPvRmT3_T4_T5_T6_T7_T9_mT8_P12ihipStream_tbDpT10_ENKUlT_T0_E_clISt17integral_constantIbLb0EES19_IbLb1EEEEDaS15_S16_EUlS15_E_NS1_11comp_targetILNS1_3genE3ELNS1_11target_archE908ELNS1_3gpuE7ELNS1_3repE0EEENS1_30default_config_static_selectorELNS0_4arch9wavefront6targetE1EEEvT1_.kd
    .uniform_work_group_size: 1
    .uses_dynamic_stack: false
    .vgpr_count:     0
    .vgpr_spill_count: 0
    .wavefront_size: 64
  - .args:
      - .offset:         0
        .size:           128
        .value_kind:     by_value
    .group_segment_fixed_size: 16904
    .kernarg_segment_align: 8
    .kernarg_segment_size: 128
    .language:       OpenCL C
    .language_version:
      - 2
      - 0
    .max_flat_workgroup_size: 256
    .name:           _ZN7rocprim17ROCPRIM_400000_NS6detail17trampoline_kernelINS0_14default_configENS1_25partition_config_selectorILNS1_17partition_subalgoE8EiNS0_10empty_typeEbEEZZNS1_14partition_implILS5_8ELb0ES3_jN6thrust23THRUST_200600_302600_NS6detail15normal_iteratorINSA_10device_ptrIiEEEEPS6_PKS6_NS0_5tupleIJSF_S6_EEENSJ_IJSG_SG_EEENS0_18inequality_wrapperI22is_equal_div_10_uniqueIiEEEPmJS6_EEE10hipError_tPvRmT3_T4_T5_T6_T7_T9_mT8_P12ihipStream_tbDpT10_ENKUlT_T0_E_clISt17integral_constantIbLb0EES19_IbLb1EEEEDaS15_S16_EUlS15_E_NS1_11comp_targetILNS1_3genE2ELNS1_11target_archE906ELNS1_3gpuE6ELNS1_3repE0EEENS1_30default_config_static_selectorELNS0_4arch9wavefront6targetE1EEEvT1_
    .private_segment_fixed_size: 0
    .sgpr_count:     61
    .sgpr_spill_count: 0
    .symbol:         _ZN7rocprim17ROCPRIM_400000_NS6detail17trampoline_kernelINS0_14default_configENS1_25partition_config_selectorILNS1_17partition_subalgoE8EiNS0_10empty_typeEbEEZZNS1_14partition_implILS5_8ELb0ES3_jN6thrust23THRUST_200600_302600_NS6detail15normal_iteratorINSA_10device_ptrIiEEEEPS6_PKS6_NS0_5tupleIJSF_S6_EEENSJ_IJSG_SG_EEENS0_18inequality_wrapperI22is_equal_div_10_uniqueIiEEEPmJS6_EEE10hipError_tPvRmT3_T4_T5_T6_T7_T9_mT8_P12ihipStream_tbDpT10_ENKUlT_T0_E_clISt17integral_constantIbLb0EES19_IbLb1EEEEDaS15_S16_EUlS15_E_NS1_11comp_targetILNS1_3genE2ELNS1_11target_archE906ELNS1_3gpuE6ELNS1_3repE0EEENS1_30default_config_static_selectorELNS0_4arch9wavefront6targetE1EEEvT1_.kd
    .uniform_work_group_size: 1
    .uses_dynamic_stack: false
    .vgpr_count:     77
    .vgpr_spill_count: 0
    .wavefront_size: 64
  - .args:
      - .offset:         0
        .size:           128
        .value_kind:     by_value
    .group_segment_fixed_size: 0
    .kernarg_segment_align: 8
    .kernarg_segment_size: 128
    .language:       OpenCL C
    .language_version:
      - 2
      - 0
    .max_flat_workgroup_size: 384
    .name:           _ZN7rocprim17ROCPRIM_400000_NS6detail17trampoline_kernelINS0_14default_configENS1_25partition_config_selectorILNS1_17partition_subalgoE8EiNS0_10empty_typeEbEEZZNS1_14partition_implILS5_8ELb0ES3_jN6thrust23THRUST_200600_302600_NS6detail15normal_iteratorINSA_10device_ptrIiEEEEPS6_PKS6_NS0_5tupleIJSF_S6_EEENSJ_IJSG_SG_EEENS0_18inequality_wrapperI22is_equal_div_10_uniqueIiEEEPmJS6_EEE10hipError_tPvRmT3_T4_T5_T6_T7_T9_mT8_P12ihipStream_tbDpT10_ENKUlT_T0_E_clISt17integral_constantIbLb0EES19_IbLb1EEEEDaS15_S16_EUlS15_E_NS1_11comp_targetILNS1_3genE10ELNS1_11target_archE1200ELNS1_3gpuE4ELNS1_3repE0EEENS1_30default_config_static_selectorELNS0_4arch9wavefront6targetE1EEEvT1_
    .private_segment_fixed_size: 0
    .sgpr_count:     4
    .sgpr_spill_count: 0
    .symbol:         _ZN7rocprim17ROCPRIM_400000_NS6detail17trampoline_kernelINS0_14default_configENS1_25partition_config_selectorILNS1_17partition_subalgoE8EiNS0_10empty_typeEbEEZZNS1_14partition_implILS5_8ELb0ES3_jN6thrust23THRUST_200600_302600_NS6detail15normal_iteratorINSA_10device_ptrIiEEEEPS6_PKS6_NS0_5tupleIJSF_S6_EEENSJ_IJSG_SG_EEENS0_18inequality_wrapperI22is_equal_div_10_uniqueIiEEEPmJS6_EEE10hipError_tPvRmT3_T4_T5_T6_T7_T9_mT8_P12ihipStream_tbDpT10_ENKUlT_T0_E_clISt17integral_constantIbLb0EES19_IbLb1EEEEDaS15_S16_EUlS15_E_NS1_11comp_targetILNS1_3genE10ELNS1_11target_archE1200ELNS1_3gpuE4ELNS1_3repE0EEENS1_30default_config_static_selectorELNS0_4arch9wavefront6targetE1EEEvT1_.kd
    .uniform_work_group_size: 1
    .uses_dynamic_stack: false
    .vgpr_count:     0
    .vgpr_spill_count: 0
    .wavefront_size: 64
  - .args:
      - .offset:         0
        .size:           128
        .value_kind:     by_value
    .group_segment_fixed_size: 0
    .kernarg_segment_align: 8
    .kernarg_segment_size: 128
    .language:       OpenCL C
    .language_version:
      - 2
      - 0
    .max_flat_workgroup_size: 384
    .name:           _ZN7rocprim17ROCPRIM_400000_NS6detail17trampoline_kernelINS0_14default_configENS1_25partition_config_selectorILNS1_17partition_subalgoE8EiNS0_10empty_typeEbEEZZNS1_14partition_implILS5_8ELb0ES3_jN6thrust23THRUST_200600_302600_NS6detail15normal_iteratorINSA_10device_ptrIiEEEEPS6_PKS6_NS0_5tupleIJSF_S6_EEENSJ_IJSG_SG_EEENS0_18inequality_wrapperI22is_equal_div_10_uniqueIiEEEPmJS6_EEE10hipError_tPvRmT3_T4_T5_T6_T7_T9_mT8_P12ihipStream_tbDpT10_ENKUlT_T0_E_clISt17integral_constantIbLb0EES19_IbLb1EEEEDaS15_S16_EUlS15_E_NS1_11comp_targetILNS1_3genE9ELNS1_11target_archE1100ELNS1_3gpuE3ELNS1_3repE0EEENS1_30default_config_static_selectorELNS0_4arch9wavefront6targetE1EEEvT1_
    .private_segment_fixed_size: 0
    .sgpr_count:     4
    .sgpr_spill_count: 0
    .symbol:         _ZN7rocprim17ROCPRIM_400000_NS6detail17trampoline_kernelINS0_14default_configENS1_25partition_config_selectorILNS1_17partition_subalgoE8EiNS0_10empty_typeEbEEZZNS1_14partition_implILS5_8ELb0ES3_jN6thrust23THRUST_200600_302600_NS6detail15normal_iteratorINSA_10device_ptrIiEEEEPS6_PKS6_NS0_5tupleIJSF_S6_EEENSJ_IJSG_SG_EEENS0_18inequality_wrapperI22is_equal_div_10_uniqueIiEEEPmJS6_EEE10hipError_tPvRmT3_T4_T5_T6_T7_T9_mT8_P12ihipStream_tbDpT10_ENKUlT_T0_E_clISt17integral_constantIbLb0EES19_IbLb1EEEEDaS15_S16_EUlS15_E_NS1_11comp_targetILNS1_3genE9ELNS1_11target_archE1100ELNS1_3gpuE3ELNS1_3repE0EEENS1_30default_config_static_selectorELNS0_4arch9wavefront6targetE1EEEvT1_.kd
    .uniform_work_group_size: 1
    .uses_dynamic_stack: false
    .vgpr_count:     0
    .vgpr_spill_count: 0
    .wavefront_size: 64
  - .args:
      - .offset:         0
        .size:           128
        .value_kind:     by_value
    .group_segment_fixed_size: 0
    .kernarg_segment_align: 8
    .kernarg_segment_size: 128
    .language:       OpenCL C
    .language_version:
      - 2
      - 0
    .max_flat_workgroup_size: 512
    .name:           _ZN7rocprim17ROCPRIM_400000_NS6detail17trampoline_kernelINS0_14default_configENS1_25partition_config_selectorILNS1_17partition_subalgoE8EiNS0_10empty_typeEbEEZZNS1_14partition_implILS5_8ELb0ES3_jN6thrust23THRUST_200600_302600_NS6detail15normal_iteratorINSA_10device_ptrIiEEEEPS6_PKS6_NS0_5tupleIJSF_S6_EEENSJ_IJSG_SG_EEENS0_18inequality_wrapperI22is_equal_div_10_uniqueIiEEEPmJS6_EEE10hipError_tPvRmT3_T4_T5_T6_T7_T9_mT8_P12ihipStream_tbDpT10_ENKUlT_T0_E_clISt17integral_constantIbLb0EES19_IbLb1EEEEDaS15_S16_EUlS15_E_NS1_11comp_targetILNS1_3genE8ELNS1_11target_archE1030ELNS1_3gpuE2ELNS1_3repE0EEENS1_30default_config_static_selectorELNS0_4arch9wavefront6targetE1EEEvT1_
    .private_segment_fixed_size: 0
    .sgpr_count:     4
    .sgpr_spill_count: 0
    .symbol:         _ZN7rocprim17ROCPRIM_400000_NS6detail17trampoline_kernelINS0_14default_configENS1_25partition_config_selectorILNS1_17partition_subalgoE8EiNS0_10empty_typeEbEEZZNS1_14partition_implILS5_8ELb0ES3_jN6thrust23THRUST_200600_302600_NS6detail15normal_iteratorINSA_10device_ptrIiEEEEPS6_PKS6_NS0_5tupleIJSF_S6_EEENSJ_IJSG_SG_EEENS0_18inequality_wrapperI22is_equal_div_10_uniqueIiEEEPmJS6_EEE10hipError_tPvRmT3_T4_T5_T6_T7_T9_mT8_P12ihipStream_tbDpT10_ENKUlT_T0_E_clISt17integral_constantIbLb0EES19_IbLb1EEEEDaS15_S16_EUlS15_E_NS1_11comp_targetILNS1_3genE8ELNS1_11target_archE1030ELNS1_3gpuE2ELNS1_3repE0EEENS1_30default_config_static_selectorELNS0_4arch9wavefront6targetE1EEEvT1_.kd
    .uniform_work_group_size: 1
    .uses_dynamic_stack: false
    .vgpr_count:     0
    .vgpr_spill_count: 0
    .wavefront_size: 64
  - .args:
      - .offset:         0
        .size:           16
        .value_kind:     by_value
      - .offset:         16
        .size:           8
        .value_kind:     by_value
      - .offset:         24
        .size:           8
        .value_kind:     by_value
    .group_segment_fixed_size: 0
    .kernarg_segment_align: 8
    .kernarg_segment_size: 32
    .language:       OpenCL C
    .language_version:
      - 2
      - 0
    .max_flat_workgroup_size: 256
    .name:           _ZN6thrust23THRUST_200600_302600_NS11hip_rocprim14__parallel_for6kernelILj256ENS1_20__uninitialized_fill7functorINS0_10device_ptrIsEEsEEmLj1EEEvT0_T1_SA_
    .private_segment_fixed_size: 0
    .sgpr_count:     20
    .sgpr_spill_count: 0
    .symbol:         _ZN6thrust23THRUST_200600_302600_NS11hip_rocprim14__parallel_for6kernelILj256ENS1_20__uninitialized_fill7functorINS0_10device_ptrIsEEsEEmLj1EEEvT0_T1_SA_.kd
    .uniform_work_group_size: 1
    .uses_dynamic_stack: false
    .vgpr_count:     4
    .vgpr_spill_count: 0
    .wavefront_size: 64
  - .args:
      - .offset:         0
        .size:           112
        .value_kind:     by_value
    .group_segment_fixed_size: 0
    .kernarg_segment_align: 8
    .kernarg_segment_size: 112
    .language:       OpenCL C
    .language_version:
      - 2
      - 0
    .max_flat_workgroup_size: 256
    .name:           _ZN7rocprim17ROCPRIM_400000_NS6detail17trampoline_kernelINS0_14default_configENS1_25partition_config_selectorILNS1_17partition_subalgoE8EsNS0_10empty_typeEbEEZZNS1_14partition_implILS5_8ELb0ES3_jN6thrust23THRUST_200600_302600_NS6detail15normal_iteratorINSA_10device_ptrIsEEEEPS6_PKS6_NS0_5tupleIJSF_S6_EEENSJ_IJSG_SG_EEENS0_18inequality_wrapperINSA_8equal_toIsEEEEPmJS6_EEE10hipError_tPvRmT3_T4_T5_T6_T7_T9_mT8_P12ihipStream_tbDpT10_ENKUlT_T0_E_clISt17integral_constantIbLb0EES1A_EEDaS15_S16_EUlS15_E_NS1_11comp_targetILNS1_3genE0ELNS1_11target_archE4294967295ELNS1_3gpuE0ELNS1_3repE0EEENS1_30default_config_static_selectorELNS0_4arch9wavefront6targetE1EEEvT1_
    .private_segment_fixed_size: 0
    .sgpr_count:     4
    .sgpr_spill_count: 0
    .symbol:         _ZN7rocprim17ROCPRIM_400000_NS6detail17trampoline_kernelINS0_14default_configENS1_25partition_config_selectorILNS1_17partition_subalgoE8EsNS0_10empty_typeEbEEZZNS1_14partition_implILS5_8ELb0ES3_jN6thrust23THRUST_200600_302600_NS6detail15normal_iteratorINSA_10device_ptrIsEEEEPS6_PKS6_NS0_5tupleIJSF_S6_EEENSJ_IJSG_SG_EEENS0_18inequality_wrapperINSA_8equal_toIsEEEEPmJS6_EEE10hipError_tPvRmT3_T4_T5_T6_T7_T9_mT8_P12ihipStream_tbDpT10_ENKUlT_T0_E_clISt17integral_constantIbLb0EES1A_EEDaS15_S16_EUlS15_E_NS1_11comp_targetILNS1_3genE0ELNS1_11target_archE4294967295ELNS1_3gpuE0ELNS1_3repE0EEENS1_30default_config_static_selectorELNS0_4arch9wavefront6targetE1EEEvT1_.kd
    .uniform_work_group_size: 1
    .uses_dynamic_stack: false
    .vgpr_count:     0
    .vgpr_spill_count: 0
    .wavefront_size: 64
  - .args:
      - .offset:         0
        .size:           112
        .value_kind:     by_value
    .group_segment_fixed_size: 0
    .kernarg_segment_align: 8
    .kernarg_segment_size: 112
    .language:       OpenCL C
    .language_version:
      - 2
      - 0
    .max_flat_workgroup_size: 512
    .name:           _ZN7rocprim17ROCPRIM_400000_NS6detail17trampoline_kernelINS0_14default_configENS1_25partition_config_selectorILNS1_17partition_subalgoE8EsNS0_10empty_typeEbEEZZNS1_14partition_implILS5_8ELb0ES3_jN6thrust23THRUST_200600_302600_NS6detail15normal_iteratorINSA_10device_ptrIsEEEEPS6_PKS6_NS0_5tupleIJSF_S6_EEENSJ_IJSG_SG_EEENS0_18inequality_wrapperINSA_8equal_toIsEEEEPmJS6_EEE10hipError_tPvRmT3_T4_T5_T6_T7_T9_mT8_P12ihipStream_tbDpT10_ENKUlT_T0_E_clISt17integral_constantIbLb0EES1A_EEDaS15_S16_EUlS15_E_NS1_11comp_targetILNS1_3genE5ELNS1_11target_archE942ELNS1_3gpuE9ELNS1_3repE0EEENS1_30default_config_static_selectorELNS0_4arch9wavefront6targetE1EEEvT1_
    .private_segment_fixed_size: 0
    .sgpr_count:     4
    .sgpr_spill_count: 0
    .symbol:         _ZN7rocprim17ROCPRIM_400000_NS6detail17trampoline_kernelINS0_14default_configENS1_25partition_config_selectorILNS1_17partition_subalgoE8EsNS0_10empty_typeEbEEZZNS1_14partition_implILS5_8ELb0ES3_jN6thrust23THRUST_200600_302600_NS6detail15normal_iteratorINSA_10device_ptrIsEEEEPS6_PKS6_NS0_5tupleIJSF_S6_EEENSJ_IJSG_SG_EEENS0_18inequality_wrapperINSA_8equal_toIsEEEEPmJS6_EEE10hipError_tPvRmT3_T4_T5_T6_T7_T9_mT8_P12ihipStream_tbDpT10_ENKUlT_T0_E_clISt17integral_constantIbLb0EES1A_EEDaS15_S16_EUlS15_E_NS1_11comp_targetILNS1_3genE5ELNS1_11target_archE942ELNS1_3gpuE9ELNS1_3repE0EEENS1_30default_config_static_selectorELNS0_4arch9wavefront6targetE1EEEvT1_.kd
    .uniform_work_group_size: 1
    .uses_dynamic_stack: false
    .vgpr_count:     0
    .vgpr_spill_count: 0
    .wavefront_size: 64
  - .args:
      - .offset:         0
        .size:           112
        .value_kind:     by_value
    .group_segment_fixed_size: 0
    .kernarg_segment_align: 8
    .kernarg_segment_size: 112
    .language:       OpenCL C
    .language_version:
      - 2
      - 0
    .max_flat_workgroup_size: 256
    .name:           _ZN7rocprim17ROCPRIM_400000_NS6detail17trampoline_kernelINS0_14default_configENS1_25partition_config_selectorILNS1_17partition_subalgoE8EsNS0_10empty_typeEbEEZZNS1_14partition_implILS5_8ELb0ES3_jN6thrust23THRUST_200600_302600_NS6detail15normal_iteratorINSA_10device_ptrIsEEEEPS6_PKS6_NS0_5tupleIJSF_S6_EEENSJ_IJSG_SG_EEENS0_18inequality_wrapperINSA_8equal_toIsEEEEPmJS6_EEE10hipError_tPvRmT3_T4_T5_T6_T7_T9_mT8_P12ihipStream_tbDpT10_ENKUlT_T0_E_clISt17integral_constantIbLb0EES1A_EEDaS15_S16_EUlS15_E_NS1_11comp_targetILNS1_3genE4ELNS1_11target_archE910ELNS1_3gpuE8ELNS1_3repE0EEENS1_30default_config_static_selectorELNS0_4arch9wavefront6targetE1EEEvT1_
    .private_segment_fixed_size: 0
    .sgpr_count:     4
    .sgpr_spill_count: 0
    .symbol:         _ZN7rocprim17ROCPRIM_400000_NS6detail17trampoline_kernelINS0_14default_configENS1_25partition_config_selectorILNS1_17partition_subalgoE8EsNS0_10empty_typeEbEEZZNS1_14partition_implILS5_8ELb0ES3_jN6thrust23THRUST_200600_302600_NS6detail15normal_iteratorINSA_10device_ptrIsEEEEPS6_PKS6_NS0_5tupleIJSF_S6_EEENSJ_IJSG_SG_EEENS0_18inequality_wrapperINSA_8equal_toIsEEEEPmJS6_EEE10hipError_tPvRmT3_T4_T5_T6_T7_T9_mT8_P12ihipStream_tbDpT10_ENKUlT_T0_E_clISt17integral_constantIbLb0EES1A_EEDaS15_S16_EUlS15_E_NS1_11comp_targetILNS1_3genE4ELNS1_11target_archE910ELNS1_3gpuE8ELNS1_3repE0EEENS1_30default_config_static_selectorELNS0_4arch9wavefront6targetE1EEEvT1_.kd
    .uniform_work_group_size: 1
    .uses_dynamic_stack: false
    .vgpr_count:     0
    .vgpr_spill_count: 0
    .wavefront_size: 64
  - .args:
      - .offset:         0
        .size:           112
        .value_kind:     by_value
    .group_segment_fixed_size: 0
    .kernarg_segment_align: 8
    .kernarg_segment_size: 112
    .language:       OpenCL C
    .language_version:
      - 2
      - 0
    .max_flat_workgroup_size: 256
    .name:           _ZN7rocprim17ROCPRIM_400000_NS6detail17trampoline_kernelINS0_14default_configENS1_25partition_config_selectorILNS1_17partition_subalgoE8EsNS0_10empty_typeEbEEZZNS1_14partition_implILS5_8ELb0ES3_jN6thrust23THRUST_200600_302600_NS6detail15normal_iteratorINSA_10device_ptrIsEEEEPS6_PKS6_NS0_5tupleIJSF_S6_EEENSJ_IJSG_SG_EEENS0_18inequality_wrapperINSA_8equal_toIsEEEEPmJS6_EEE10hipError_tPvRmT3_T4_T5_T6_T7_T9_mT8_P12ihipStream_tbDpT10_ENKUlT_T0_E_clISt17integral_constantIbLb0EES1A_EEDaS15_S16_EUlS15_E_NS1_11comp_targetILNS1_3genE3ELNS1_11target_archE908ELNS1_3gpuE7ELNS1_3repE0EEENS1_30default_config_static_selectorELNS0_4arch9wavefront6targetE1EEEvT1_
    .private_segment_fixed_size: 0
    .sgpr_count:     4
    .sgpr_spill_count: 0
    .symbol:         _ZN7rocprim17ROCPRIM_400000_NS6detail17trampoline_kernelINS0_14default_configENS1_25partition_config_selectorILNS1_17partition_subalgoE8EsNS0_10empty_typeEbEEZZNS1_14partition_implILS5_8ELb0ES3_jN6thrust23THRUST_200600_302600_NS6detail15normal_iteratorINSA_10device_ptrIsEEEEPS6_PKS6_NS0_5tupleIJSF_S6_EEENSJ_IJSG_SG_EEENS0_18inequality_wrapperINSA_8equal_toIsEEEEPmJS6_EEE10hipError_tPvRmT3_T4_T5_T6_T7_T9_mT8_P12ihipStream_tbDpT10_ENKUlT_T0_E_clISt17integral_constantIbLb0EES1A_EEDaS15_S16_EUlS15_E_NS1_11comp_targetILNS1_3genE3ELNS1_11target_archE908ELNS1_3gpuE7ELNS1_3repE0EEENS1_30default_config_static_selectorELNS0_4arch9wavefront6targetE1EEEvT1_.kd
    .uniform_work_group_size: 1
    .uses_dynamic_stack: false
    .vgpr_count:     0
    .vgpr_spill_count: 0
    .wavefront_size: 64
  - .args:
      - .offset:         0
        .size:           112
        .value_kind:     by_value
    .group_segment_fixed_size: 6920
    .kernarg_segment_align: 8
    .kernarg_segment_size: 112
    .language:       OpenCL C
    .language_version:
      - 2
      - 0
    .max_flat_workgroup_size: 192
    .name:           _ZN7rocprim17ROCPRIM_400000_NS6detail17trampoline_kernelINS0_14default_configENS1_25partition_config_selectorILNS1_17partition_subalgoE8EsNS0_10empty_typeEbEEZZNS1_14partition_implILS5_8ELb0ES3_jN6thrust23THRUST_200600_302600_NS6detail15normal_iteratorINSA_10device_ptrIsEEEEPS6_PKS6_NS0_5tupleIJSF_S6_EEENSJ_IJSG_SG_EEENS0_18inequality_wrapperINSA_8equal_toIsEEEEPmJS6_EEE10hipError_tPvRmT3_T4_T5_T6_T7_T9_mT8_P12ihipStream_tbDpT10_ENKUlT_T0_E_clISt17integral_constantIbLb0EES1A_EEDaS15_S16_EUlS15_E_NS1_11comp_targetILNS1_3genE2ELNS1_11target_archE906ELNS1_3gpuE6ELNS1_3repE0EEENS1_30default_config_static_selectorELNS0_4arch9wavefront6targetE1EEEvT1_
    .private_segment_fixed_size: 0
    .sgpr_count:     64
    .sgpr_spill_count: 0
    .symbol:         _ZN7rocprim17ROCPRIM_400000_NS6detail17trampoline_kernelINS0_14default_configENS1_25partition_config_selectorILNS1_17partition_subalgoE8EsNS0_10empty_typeEbEEZZNS1_14partition_implILS5_8ELb0ES3_jN6thrust23THRUST_200600_302600_NS6detail15normal_iteratorINSA_10device_ptrIsEEEEPS6_PKS6_NS0_5tupleIJSF_S6_EEENSJ_IJSG_SG_EEENS0_18inequality_wrapperINSA_8equal_toIsEEEEPmJS6_EEE10hipError_tPvRmT3_T4_T5_T6_T7_T9_mT8_P12ihipStream_tbDpT10_ENKUlT_T0_E_clISt17integral_constantIbLb0EES1A_EEDaS15_S16_EUlS15_E_NS1_11comp_targetILNS1_3genE2ELNS1_11target_archE906ELNS1_3gpuE6ELNS1_3repE0EEENS1_30default_config_static_selectorELNS0_4arch9wavefront6targetE1EEEvT1_.kd
    .uniform_work_group_size: 1
    .uses_dynamic_stack: false
    .vgpr_count:     82
    .vgpr_spill_count: 0
    .wavefront_size: 64
  - .args:
      - .offset:         0
        .size:           112
        .value_kind:     by_value
    .group_segment_fixed_size: 0
    .kernarg_segment_align: 8
    .kernarg_segment_size: 112
    .language:       OpenCL C
    .language_version:
      - 2
      - 0
    .max_flat_workgroup_size: 256
    .name:           _ZN7rocprim17ROCPRIM_400000_NS6detail17trampoline_kernelINS0_14default_configENS1_25partition_config_selectorILNS1_17partition_subalgoE8EsNS0_10empty_typeEbEEZZNS1_14partition_implILS5_8ELb0ES3_jN6thrust23THRUST_200600_302600_NS6detail15normal_iteratorINSA_10device_ptrIsEEEEPS6_PKS6_NS0_5tupleIJSF_S6_EEENSJ_IJSG_SG_EEENS0_18inequality_wrapperINSA_8equal_toIsEEEEPmJS6_EEE10hipError_tPvRmT3_T4_T5_T6_T7_T9_mT8_P12ihipStream_tbDpT10_ENKUlT_T0_E_clISt17integral_constantIbLb0EES1A_EEDaS15_S16_EUlS15_E_NS1_11comp_targetILNS1_3genE10ELNS1_11target_archE1200ELNS1_3gpuE4ELNS1_3repE0EEENS1_30default_config_static_selectorELNS0_4arch9wavefront6targetE1EEEvT1_
    .private_segment_fixed_size: 0
    .sgpr_count:     4
    .sgpr_spill_count: 0
    .symbol:         _ZN7rocprim17ROCPRIM_400000_NS6detail17trampoline_kernelINS0_14default_configENS1_25partition_config_selectorILNS1_17partition_subalgoE8EsNS0_10empty_typeEbEEZZNS1_14partition_implILS5_8ELb0ES3_jN6thrust23THRUST_200600_302600_NS6detail15normal_iteratorINSA_10device_ptrIsEEEEPS6_PKS6_NS0_5tupleIJSF_S6_EEENSJ_IJSG_SG_EEENS0_18inequality_wrapperINSA_8equal_toIsEEEEPmJS6_EEE10hipError_tPvRmT3_T4_T5_T6_T7_T9_mT8_P12ihipStream_tbDpT10_ENKUlT_T0_E_clISt17integral_constantIbLb0EES1A_EEDaS15_S16_EUlS15_E_NS1_11comp_targetILNS1_3genE10ELNS1_11target_archE1200ELNS1_3gpuE4ELNS1_3repE0EEENS1_30default_config_static_selectorELNS0_4arch9wavefront6targetE1EEEvT1_.kd
    .uniform_work_group_size: 1
    .uses_dynamic_stack: false
    .vgpr_count:     0
    .vgpr_spill_count: 0
    .wavefront_size: 64
  - .args:
      - .offset:         0
        .size:           112
        .value_kind:     by_value
    .group_segment_fixed_size: 0
    .kernarg_segment_align: 8
    .kernarg_segment_size: 112
    .language:       OpenCL C
    .language_version:
      - 2
      - 0
    .max_flat_workgroup_size: 128
    .name:           _ZN7rocprim17ROCPRIM_400000_NS6detail17trampoline_kernelINS0_14default_configENS1_25partition_config_selectorILNS1_17partition_subalgoE8EsNS0_10empty_typeEbEEZZNS1_14partition_implILS5_8ELb0ES3_jN6thrust23THRUST_200600_302600_NS6detail15normal_iteratorINSA_10device_ptrIsEEEEPS6_PKS6_NS0_5tupleIJSF_S6_EEENSJ_IJSG_SG_EEENS0_18inequality_wrapperINSA_8equal_toIsEEEEPmJS6_EEE10hipError_tPvRmT3_T4_T5_T6_T7_T9_mT8_P12ihipStream_tbDpT10_ENKUlT_T0_E_clISt17integral_constantIbLb0EES1A_EEDaS15_S16_EUlS15_E_NS1_11comp_targetILNS1_3genE9ELNS1_11target_archE1100ELNS1_3gpuE3ELNS1_3repE0EEENS1_30default_config_static_selectorELNS0_4arch9wavefront6targetE1EEEvT1_
    .private_segment_fixed_size: 0
    .sgpr_count:     4
    .sgpr_spill_count: 0
    .symbol:         _ZN7rocprim17ROCPRIM_400000_NS6detail17trampoline_kernelINS0_14default_configENS1_25partition_config_selectorILNS1_17partition_subalgoE8EsNS0_10empty_typeEbEEZZNS1_14partition_implILS5_8ELb0ES3_jN6thrust23THRUST_200600_302600_NS6detail15normal_iteratorINSA_10device_ptrIsEEEEPS6_PKS6_NS0_5tupleIJSF_S6_EEENSJ_IJSG_SG_EEENS0_18inequality_wrapperINSA_8equal_toIsEEEEPmJS6_EEE10hipError_tPvRmT3_T4_T5_T6_T7_T9_mT8_P12ihipStream_tbDpT10_ENKUlT_T0_E_clISt17integral_constantIbLb0EES1A_EEDaS15_S16_EUlS15_E_NS1_11comp_targetILNS1_3genE9ELNS1_11target_archE1100ELNS1_3gpuE3ELNS1_3repE0EEENS1_30default_config_static_selectorELNS0_4arch9wavefront6targetE1EEEvT1_.kd
    .uniform_work_group_size: 1
    .uses_dynamic_stack: false
    .vgpr_count:     0
    .vgpr_spill_count: 0
    .wavefront_size: 64
  - .args:
      - .offset:         0
        .size:           112
        .value_kind:     by_value
    .group_segment_fixed_size: 0
    .kernarg_segment_align: 8
    .kernarg_segment_size: 112
    .language:       OpenCL C
    .language_version:
      - 2
      - 0
    .max_flat_workgroup_size: 384
    .name:           _ZN7rocprim17ROCPRIM_400000_NS6detail17trampoline_kernelINS0_14default_configENS1_25partition_config_selectorILNS1_17partition_subalgoE8EsNS0_10empty_typeEbEEZZNS1_14partition_implILS5_8ELb0ES3_jN6thrust23THRUST_200600_302600_NS6detail15normal_iteratorINSA_10device_ptrIsEEEEPS6_PKS6_NS0_5tupleIJSF_S6_EEENSJ_IJSG_SG_EEENS0_18inequality_wrapperINSA_8equal_toIsEEEEPmJS6_EEE10hipError_tPvRmT3_T4_T5_T6_T7_T9_mT8_P12ihipStream_tbDpT10_ENKUlT_T0_E_clISt17integral_constantIbLb0EES1A_EEDaS15_S16_EUlS15_E_NS1_11comp_targetILNS1_3genE8ELNS1_11target_archE1030ELNS1_3gpuE2ELNS1_3repE0EEENS1_30default_config_static_selectorELNS0_4arch9wavefront6targetE1EEEvT1_
    .private_segment_fixed_size: 0
    .sgpr_count:     4
    .sgpr_spill_count: 0
    .symbol:         _ZN7rocprim17ROCPRIM_400000_NS6detail17trampoline_kernelINS0_14default_configENS1_25partition_config_selectorILNS1_17partition_subalgoE8EsNS0_10empty_typeEbEEZZNS1_14partition_implILS5_8ELb0ES3_jN6thrust23THRUST_200600_302600_NS6detail15normal_iteratorINSA_10device_ptrIsEEEEPS6_PKS6_NS0_5tupleIJSF_S6_EEENSJ_IJSG_SG_EEENS0_18inequality_wrapperINSA_8equal_toIsEEEEPmJS6_EEE10hipError_tPvRmT3_T4_T5_T6_T7_T9_mT8_P12ihipStream_tbDpT10_ENKUlT_T0_E_clISt17integral_constantIbLb0EES1A_EEDaS15_S16_EUlS15_E_NS1_11comp_targetILNS1_3genE8ELNS1_11target_archE1030ELNS1_3gpuE2ELNS1_3repE0EEENS1_30default_config_static_selectorELNS0_4arch9wavefront6targetE1EEEvT1_.kd
    .uniform_work_group_size: 1
    .uses_dynamic_stack: false
    .vgpr_count:     0
    .vgpr_spill_count: 0
    .wavefront_size: 64
  - .args:
      - .offset:         0
        .size:           128
        .value_kind:     by_value
    .group_segment_fixed_size: 0
    .kernarg_segment_align: 8
    .kernarg_segment_size: 128
    .language:       OpenCL C
    .language_version:
      - 2
      - 0
    .max_flat_workgroup_size: 256
    .name:           _ZN7rocprim17ROCPRIM_400000_NS6detail17trampoline_kernelINS0_14default_configENS1_25partition_config_selectorILNS1_17partition_subalgoE8EsNS0_10empty_typeEbEEZZNS1_14partition_implILS5_8ELb0ES3_jN6thrust23THRUST_200600_302600_NS6detail15normal_iteratorINSA_10device_ptrIsEEEEPS6_PKS6_NS0_5tupleIJSF_S6_EEENSJ_IJSG_SG_EEENS0_18inequality_wrapperINSA_8equal_toIsEEEEPmJS6_EEE10hipError_tPvRmT3_T4_T5_T6_T7_T9_mT8_P12ihipStream_tbDpT10_ENKUlT_T0_E_clISt17integral_constantIbLb1EES1A_EEDaS15_S16_EUlS15_E_NS1_11comp_targetILNS1_3genE0ELNS1_11target_archE4294967295ELNS1_3gpuE0ELNS1_3repE0EEENS1_30default_config_static_selectorELNS0_4arch9wavefront6targetE1EEEvT1_
    .private_segment_fixed_size: 0
    .sgpr_count:     4
    .sgpr_spill_count: 0
    .symbol:         _ZN7rocprim17ROCPRIM_400000_NS6detail17trampoline_kernelINS0_14default_configENS1_25partition_config_selectorILNS1_17partition_subalgoE8EsNS0_10empty_typeEbEEZZNS1_14partition_implILS5_8ELb0ES3_jN6thrust23THRUST_200600_302600_NS6detail15normal_iteratorINSA_10device_ptrIsEEEEPS6_PKS6_NS0_5tupleIJSF_S6_EEENSJ_IJSG_SG_EEENS0_18inequality_wrapperINSA_8equal_toIsEEEEPmJS6_EEE10hipError_tPvRmT3_T4_T5_T6_T7_T9_mT8_P12ihipStream_tbDpT10_ENKUlT_T0_E_clISt17integral_constantIbLb1EES1A_EEDaS15_S16_EUlS15_E_NS1_11comp_targetILNS1_3genE0ELNS1_11target_archE4294967295ELNS1_3gpuE0ELNS1_3repE0EEENS1_30default_config_static_selectorELNS0_4arch9wavefront6targetE1EEEvT1_.kd
    .uniform_work_group_size: 1
    .uses_dynamic_stack: false
    .vgpr_count:     0
    .vgpr_spill_count: 0
    .wavefront_size: 64
  - .args:
      - .offset:         0
        .size:           128
        .value_kind:     by_value
    .group_segment_fixed_size: 0
    .kernarg_segment_align: 8
    .kernarg_segment_size: 128
    .language:       OpenCL C
    .language_version:
      - 2
      - 0
    .max_flat_workgroup_size: 512
    .name:           _ZN7rocprim17ROCPRIM_400000_NS6detail17trampoline_kernelINS0_14default_configENS1_25partition_config_selectorILNS1_17partition_subalgoE8EsNS0_10empty_typeEbEEZZNS1_14partition_implILS5_8ELb0ES3_jN6thrust23THRUST_200600_302600_NS6detail15normal_iteratorINSA_10device_ptrIsEEEEPS6_PKS6_NS0_5tupleIJSF_S6_EEENSJ_IJSG_SG_EEENS0_18inequality_wrapperINSA_8equal_toIsEEEEPmJS6_EEE10hipError_tPvRmT3_T4_T5_T6_T7_T9_mT8_P12ihipStream_tbDpT10_ENKUlT_T0_E_clISt17integral_constantIbLb1EES1A_EEDaS15_S16_EUlS15_E_NS1_11comp_targetILNS1_3genE5ELNS1_11target_archE942ELNS1_3gpuE9ELNS1_3repE0EEENS1_30default_config_static_selectorELNS0_4arch9wavefront6targetE1EEEvT1_
    .private_segment_fixed_size: 0
    .sgpr_count:     4
    .sgpr_spill_count: 0
    .symbol:         _ZN7rocprim17ROCPRIM_400000_NS6detail17trampoline_kernelINS0_14default_configENS1_25partition_config_selectorILNS1_17partition_subalgoE8EsNS0_10empty_typeEbEEZZNS1_14partition_implILS5_8ELb0ES3_jN6thrust23THRUST_200600_302600_NS6detail15normal_iteratorINSA_10device_ptrIsEEEEPS6_PKS6_NS0_5tupleIJSF_S6_EEENSJ_IJSG_SG_EEENS0_18inequality_wrapperINSA_8equal_toIsEEEEPmJS6_EEE10hipError_tPvRmT3_T4_T5_T6_T7_T9_mT8_P12ihipStream_tbDpT10_ENKUlT_T0_E_clISt17integral_constantIbLb1EES1A_EEDaS15_S16_EUlS15_E_NS1_11comp_targetILNS1_3genE5ELNS1_11target_archE942ELNS1_3gpuE9ELNS1_3repE0EEENS1_30default_config_static_selectorELNS0_4arch9wavefront6targetE1EEEvT1_.kd
    .uniform_work_group_size: 1
    .uses_dynamic_stack: false
    .vgpr_count:     0
    .vgpr_spill_count: 0
    .wavefront_size: 64
  - .args:
      - .offset:         0
        .size:           128
        .value_kind:     by_value
    .group_segment_fixed_size: 0
    .kernarg_segment_align: 8
    .kernarg_segment_size: 128
    .language:       OpenCL C
    .language_version:
      - 2
      - 0
    .max_flat_workgroup_size: 256
    .name:           _ZN7rocprim17ROCPRIM_400000_NS6detail17trampoline_kernelINS0_14default_configENS1_25partition_config_selectorILNS1_17partition_subalgoE8EsNS0_10empty_typeEbEEZZNS1_14partition_implILS5_8ELb0ES3_jN6thrust23THRUST_200600_302600_NS6detail15normal_iteratorINSA_10device_ptrIsEEEEPS6_PKS6_NS0_5tupleIJSF_S6_EEENSJ_IJSG_SG_EEENS0_18inequality_wrapperINSA_8equal_toIsEEEEPmJS6_EEE10hipError_tPvRmT3_T4_T5_T6_T7_T9_mT8_P12ihipStream_tbDpT10_ENKUlT_T0_E_clISt17integral_constantIbLb1EES1A_EEDaS15_S16_EUlS15_E_NS1_11comp_targetILNS1_3genE4ELNS1_11target_archE910ELNS1_3gpuE8ELNS1_3repE0EEENS1_30default_config_static_selectorELNS0_4arch9wavefront6targetE1EEEvT1_
    .private_segment_fixed_size: 0
    .sgpr_count:     4
    .sgpr_spill_count: 0
    .symbol:         _ZN7rocprim17ROCPRIM_400000_NS6detail17trampoline_kernelINS0_14default_configENS1_25partition_config_selectorILNS1_17partition_subalgoE8EsNS0_10empty_typeEbEEZZNS1_14partition_implILS5_8ELb0ES3_jN6thrust23THRUST_200600_302600_NS6detail15normal_iteratorINSA_10device_ptrIsEEEEPS6_PKS6_NS0_5tupleIJSF_S6_EEENSJ_IJSG_SG_EEENS0_18inequality_wrapperINSA_8equal_toIsEEEEPmJS6_EEE10hipError_tPvRmT3_T4_T5_T6_T7_T9_mT8_P12ihipStream_tbDpT10_ENKUlT_T0_E_clISt17integral_constantIbLb1EES1A_EEDaS15_S16_EUlS15_E_NS1_11comp_targetILNS1_3genE4ELNS1_11target_archE910ELNS1_3gpuE8ELNS1_3repE0EEENS1_30default_config_static_selectorELNS0_4arch9wavefront6targetE1EEEvT1_.kd
    .uniform_work_group_size: 1
    .uses_dynamic_stack: false
    .vgpr_count:     0
    .vgpr_spill_count: 0
    .wavefront_size: 64
  - .args:
      - .offset:         0
        .size:           128
        .value_kind:     by_value
    .group_segment_fixed_size: 0
    .kernarg_segment_align: 8
    .kernarg_segment_size: 128
    .language:       OpenCL C
    .language_version:
      - 2
      - 0
    .max_flat_workgroup_size: 256
    .name:           _ZN7rocprim17ROCPRIM_400000_NS6detail17trampoline_kernelINS0_14default_configENS1_25partition_config_selectorILNS1_17partition_subalgoE8EsNS0_10empty_typeEbEEZZNS1_14partition_implILS5_8ELb0ES3_jN6thrust23THRUST_200600_302600_NS6detail15normal_iteratorINSA_10device_ptrIsEEEEPS6_PKS6_NS0_5tupleIJSF_S6_EEENSJ_IJSG_SG_EEENS0_18inequality_wrapperINSA_8equal_toIsEEEEPmJS6_EEE10hipError_tPvRmT3_T4_T5_T6_T7_T9_mT8_P12ihipStream_tbDpT10_ENKUlT_T0_E_clISt17integral_constantIbLb1EES1A_EEDaS15_S16_EUlS15_E_NS1_11comp_targetILNS1_3genE3ELNS1_11target_archE908ELNS1_3gpuE7ELNS1_3repE0EEENS1_30default_config_static_selectorELNS0_4arch9wavefront6targetE1EEEvT1_
    .private_segment_fixed_size: 0
    .sgpr_count:     4
    .sgpr_spill_count: 0
    .symbol:         _ZN7rocprim17ROCPRIM_400000_NS6detail17trampoline_kernelINS0_14default_configENS1_25partition_config_selectorILNS1_17partition_subalgoE8EsNS0_10empty_typeEbEEZZNS1_14partition_implILS5_8ELb0ES3_jN6thrust23THRUST_200600_302600_NS6detail15normal_iteratorINSA_10device_ptrIsEEEEPS6_PKS6_NS0_5tupleIJSF_S6_EEENSJ_IJSG_SG_EEENS0_18inequality_wrapperINSA_8equal_toIsEEEEPmJS6_EEE10hipError_tPvRmT3_T4_T5_T6_T7_T9_mT8_P12ihipStream_tbDpT10_ENKUlT_T0_E_clISt17integral_constantIbLb1EES1A_EEDaS15_S16_EUlS15_E_NS1_11comp_targetILNS1_3genE3ELNS1_11target_archE908ELNS1_3gpuE7ELNS1_3repE0EEENS1_30default_config_static_selectorELNS0_4arch9wavefront6targetE1EEEvT1_.kd
    .uniform_work_group_size: 1
    .uses_dynamic_stack: false
    .vgpr_count:     0
    .vgpr_spill_count: 0
    .wavefront_size: 64
  - .args:
      - .offset:         0
        .size:           128
        .value_kind:     by_value
    .group_segment_fixed_size: 0
    .kernarg_segment_align: 8
    .kernarg_segment_size: 128
    .language:       OpenCL C
    .language_version:
      - 2
      - 0
    .max_flat_workgroup_size: 192
    .name:           _ZN7rocprim17ROCPRIM_400000_NS6detail17trampoline_kernelINS0_14default_configENS1_25partition_config_selectorILNS1_17partition_subalgoE8EsNS0_10empty_typeEbEEZZNS1_14partition_implILS5_8ELb0ES3_jN6thrust23THRUST_200600_302600_NS6detail15normal_iteratorINSA_10device_ptrIsEEEEPS6_PKS6_NS0_5tupleIJSF_S6_EEENSJ_IJSG_SG_EEENS0_18inequality_wrapperINSA_8equal_toIsEEEEPmJS6_EEE10hipError_tPvRmT3_T4_T5_T6_T7_T9_mT8_P12ihipStream_tbDpT10_ENKUlT_T0_E_clISt17integral_constantIbLb1EES1A_EEDaS15_S16_EUlS15_E_NS1_11comp_targetILNS1_3genE2ELNS1_11target_archE906ELNS1_3gpuE6ELNS1_3repE0EEENS1_30default_config_static_selectorELNS0_4arch9wavefront6targetE1EEEvT1_
    .private_segment_fixed_size: 0
    .sgpr_count:     4
    .sgpr_spill_count: 0
    .symbol:         _ZN7rocprim17ROCPRIM_400000_NS6detail17trampoline_kernelINS0_14default_configENS1_25partition_config_selectorILNS1_17partition_subalgoE8EsNS0_10empty_typeEbEEZZNS1_14partition_implILS5_8ELb0ES3_jN6thrust23THRUST_200600_302600_NS6detail15normal_iteratorINSA_10device_ptrIsEEEEPS6_PKS6_NS0_5tupleIJSF_S6_EEENSJ_IJSG_SG_EEENS0_18inequality_wrapperINSA_8equal_toIsEEEEPmJS6_EEE10hipError_tPvRmT3_T4_T5_T6_T7_T9_mT8_P12ihipStream_tbDpT10_ENKUlT_T0_E_clISt17integral_constantIbLb1EES1A_EEDaS15_S16_EUlS15_E_NS1_11comp_targetILNS1_3genE2ELNS1_11target_archE906ELNS1_3gpuE6ELNS1_3repE0EEENS1_30default_config_static_selectorELNS0_4arch9wavefront6targetE1EEEvT1_.kd
    .uniform_work_group_size: 1
    .uses_dynamic_stack: false
    .vgpr_count:     0
    .vgpr_spill_count: 0
    .wavefront_size: 64
  - .args:
      - .offset:         0
        .size:           128
        .value_kind:     by_value
    .group_segment_fixed_size: 0
    .kernarg_segment_align: 8
    .kernarg_segment_size: 128
    .language:       OpenCL C
    .language_version:
      - 2
      - 0
    .max_flat_workgroup_size: 256
    .name:           _ZN7rocprim17ROCPRIM_400000_NS6detail17trampoline_kernelINS0_14default_configENS1_25partition_config_selectorILNS1_17partition_subalgoE8EsNS0_10empty_typeEbEEZZNS1_14partition_implILS5_8ELb0ES3_jN6thrust23THRUST_200600_302600_NS6detail15normal_iteratorINSA_10device_ptrIsEEEEPS6_PKS6_NS0_5tupleIJSF_S6_EEENSJ_IJSG_SG_EEENS0_18inequality_wrapperINSA_8equal_toIsEEEEPmJS6_EEE10hipError_tPvRmT3_T4_T5_T6_T7_T9_mT8_P12ihipStream_tbDpT10_ENKUlT_T0_E_clISt17integral_constantIbLb1EES1A_EEDaS15_S16_EUlS15_E_NS1_11comp_targetILNS1_3genE10ELNS1_11target_archE1200ELNS1_3gpuE4ELNS1_3repE0EEENS1_30default_config_static_selectorELNS0_4arch9wavefront6targetE1EEEvT1_
    .private_segment_fixed_size: 0
    .sgpr_count:     4
    .sgpr_spill_count: 0
    .symbol:         _ZN7rocprim17ROCPRIM_400000_NS6detail17trampoline_kernelINS0_14default_configENS1_25partition_config_selectorILNS1_17partition_subalgoE8EsNS0_10empty_typeEbEEZZNS1_14partition_implILS5_8ELb0ES3_jN6thrust23THRUST_200600_302600_NS6detail15normal_iteratorINSA_10device_ptrIsEEEEPS6_PKS6_NS0_5tupleIJSF_S6_EEENSJ_IJSG_SG_EEENS0_18inequality_wrapperINSA_8equal_toIsEEEEPmJS6_EEE10hipError_tPvRmT3_T4_T5_T6_T7_T9_mT8_P12ihipStream_tbDpT10_ENKUlT_T0_E_clISt17integral_constantIbLb1EES1A_EEDaS15_S16_EUlS15_E_NS1_11comp_targetILNS1_3genE10ELNS1_11target_archE1200ELNS1_3gpuE4ELNS1_3repE0EEENS1_30default_config_static_selectorELNS0_4arch9wavefront6targetE1EEEvT1_.kd
    .uniform_work_group_size: 1
    .uses_dynamic_stack: false
    .vgpr_count:     0
    .vgpr_spill_count: 0
    .wavefront_size: 64
  - .args:
      - .offset:         0
        .size:           128
        .value_kind:     by_value
    .group_segment_fixed_size: 0
    .kernarg_segment_align: 8
    .kernarg_segment_size: 128
    .language:       OpenCL C
    .language_version:
      - 2
      - 0
    .max_flat_workgroup_size: 128
    .name:           _ZN7rocprim17ROCPRIM_400000_NS6detail17trampoline_kernelINS0_14default_configENS1_25partition_config_selectorILNS1_17partition_subalgoE8EsNS0_10empty_typeEbEEZZNS1_14partition_implILS5_8ELb0ES3_jN6thrust23THRUST_200600_302600_NS6detail15normal_iteratorINSA_10device_ptrIsEEEEPS6_PKS6_NS0_5tupleIJSF_S6_EEENSJ_IJSG_SG_EEENS0_18inequality_wrapperINSA_8equal_toIsEEEEPmJS6_EEE10hipError_tPvRmT3_T4_T5_T6_T7_T9_mT8_P12ihipStream_tbDpT10_ENKUlT_T0_E_clISt17integral_constantIbLb1EES1A_EEDaS15_S16_EUlS15_E_NS1_11comp_targetILNS1_3genE9ELNS1_11target_archE1100ELNS1_3gpuE3ELNS1_3repE0EEENS1_30default_config_static_selectorELNS0_4arch9wavefront6targetE1EEEvT1_
    .private_segment_fixed_size: 0
    .sgpr_count:     4
    .sgpr_spill_count: 0
    .symbol:         _ZN7rocprim17ROCPRIM_400000_NS6detail17trampoline_kernelINS0_14default_configENS1_25partition_config_selectorILNS1_17partition_subalgoE8EsNS0_10empty_typeEbEEZZNS1_14partition_implILS5_8ELb0ES3_jN6thrust23THRUST_200600_302600_NS6detail15normal_iteratorINSA_10device_ptrIsEEEEPS6_PKS6_NS0_5tupleIJSF_S6_EEENSJ_IJSG_SG_EEENS0_18inequality_wrapperINSA_8equal_toIsEEEEPmJS6_EEE10hipError_tPvRmT3_T4_T5_T6_T7_T9_mT8_P12ihipStream_tbDpT10_ENKUlT_T0_E_clISt17integral_constantIbLb1EES1A_EEDaS15_S16_EUlS15_E_NS1_11comp_targetILNS1_3genE9ELNS1_11target_archE1100ELNS1_3gpuE3ELNS1_3repE0EEENS1_30default_config_static_selectorELNS0_4arch9wavefront6targetE1EEEvT1_.kd
    .uniform_work_group_size: 1
    .uses_dynamic_stack: false
    .vgpr_count:     0
    .vgpr_spill_count: 0
    .wavefront_size: 64
  - .args:
      - .offset:         0
        .size:           128
        .value_kind:     by_value
    .group_segment_fixed_size: 0
    .kernarg_segment_align: 8
    .kernarg_segment_size: 128
    .language:       OpenCL C
    .language_version:
      - 2
      - 0
    .max_flat_workgroup_size: 384
    .name:           _ZN7rocprim17ROCPRIM_400000_NS6detail17trampoline_kernelINS0_14default_configENS1_25partition_config_selectorILNS1_17partition_subalgoE8EsNS0_10empty_typeEbEEZZNS1_14partition_implILS5_8ELb0ES3_jN6thrust23THRUST_200600_302600_NS6detail15normal_iteratorINSA_10device_ptrIsEEEEPS6_PKS6_NS0_5tupleIJSF_S6_EEENSJ_IJSG_SG_EEENS0_18inequality_wrapperINSA_8equal_toIsEEEEPmJS6_EEE10hipError_tPvRmT3_T4_T5_T6_T7_T9_mT8_P12ihipStream_tbDpT10_ENKUlT_T0_E_clISt17integral_constantIbLb1EES1A_EEDaS15_S16_EUlS15_E_NS1_11comp_targetILNS1_3genE8ELNS1_11target_archE1030ELNS1_3gpuE2ELNS1_3repE0EEENS1_30default_config_static_selectorELNS0_4arch9wavefront6targetE1EEEvT1_
    .private_segment_fixed_size: 0
    .sgpr_count:     4
    .sgpr_spill_count: 0
    .symbol:         _ZN7rocprim17ROCPRIM_400000_NS6detail17trampoline_kernelINS0_14default_configENS1_25partition_config_selectorILNS1_17partition_subalgoE8EsNS0_10empty_typeEbEEZZNS1_14partition_implILS5_8ELb0ES3_jN6thrust23THRUST_200600_302600_NS6detail15normal_iteratorINSA_10device_ptrIsEEEEPS6_PKS6_NS0_5tupleIJSF_S6_EEENSJ_IJSG_SG_EEENS0_18inequality_wrapperINSA_8equal_toIsEEEEPmJS6_EEE10hipError_tPvRmT3_T4_T5_T6_T7_T9_mT8_P12ihipStream_tbDpT10_ENKUlT_T0_E_clISt17integral_constantIbLb1EES1A_EEDaS15_S16_EUlS15_E_NS1_11comp_targetILNS1_3genE8ELNS1_11target_archE1030ELNS1_3gpuE2ELNS1_3repE0EEENS1_30default_config_static_selectorELNS0_4arch9wavefront6targetE1EEEvT1_.kd
    .uniform_work_group_size: 1
    .uses_dynamic_stack: false
    .vgpr_count:     0
    .vgpr_spill_count: 0
    .wavefront_size: 64
  - .args:
      - .offset:         0
        .size:           112
        .value_kind:     by_value
    .group_segment_fixed_size: 0
    .kernarg_segment_align: 8
    .kernarg_segment_size: 112
    .language:       OpenCL C
    .language_version:
      - 2
      - 0
    .max_flat_workgroup_size: 256
    .name:           _ZN7rocprim17ROCPRIM_400000_NS6detail17trampoline_kernelINS0_14default_configENS1_25partition_config_selectorILNS1_17partition_subalgoE8EsNS0_10empty_typeEbEEZZNS1_14partition_implILS5_8ELb0ES3_jN6thrust23THRUST_200600_302600_NS6detail15normal_iteratorINSA_10device_ptrIsEEEEPS6_PKS6_NS0_5tupleIJSF_S6_EEENSJ_IJSG_SG_EEENS0_18inequality_wrapperINSA_8equal_toIsEEEEPmJS6_EEE10hipError_tPvRmT3_T4_T5_T6_T7_T9_mT8_P12ihipStream_tbDpT10_ENKUlT_T0_E_clISt17integral_constantIbLb1EES19_IbLb0EEEEDaS15_S16_EUlS15_E_NS1_11comp_targetILNS1_3genE0ELNS1_11target_archE4294967295ELNS1_3gpuE0ELNS1_3repE0EEENS1_30default_config_static_selectorELNS0_4arch9wavefront6targetE1EEEvT1_
    .private_segment_fixed_size: 0
    .sgpr_count:     4
    .sgpr_spill_count: 0
    .symbol:         _ZN7rocprim17ROCPRIM_400000_NS6detail17trampoline_kernelINS0_14default_configENS1_25partition_config_selectorILNS1_17partition_subalgoE8EsNS0_10empty_typeEbEEZZNS1_14partition_implILS5_8ELb0ES3_jN6thrust23THRUST_200600_302600_NS6detail15normal_iteratorINSA_10device_ptrIsEEEEPS6_PKS6_NS0_5tupleIJSF_S6_EEENSJ_IJSG_SG_EEENS0_18inequality_wrapperINSA_8equal_toIsEEEEPmJS6_EEE10hipError_tPvRmT3_T4_T5_T6_T7_T9_mT8_P12ihipStream_tbDpT10_ENKUlT_T0_E_clISt17integral_constantIbLb1EES19_IbLb0EEEEDaS15_S16_EUlS15_E_NS1_11comp_targetILNS1_3genE0ELNS1_11target_archE4294967295ELNS1_3gpuE0ELNS1_3repE0EEENS1_30default_config_static_selectorELNS0_4arch9wavefront6targetE1EEEvT1_.kd
    .uniform_work_group_size: 1
    .uses_dynamic_stack: false
    .vgpr_count:     0
    .vgpr_spill_count: 0
    .wavefront_size: 64
  - .args:
      - .offset:         0
        .size:           112
        .value_kind:     by_value
    .group_segment_fixed_size: 0
    .kernarg_segment_align: 8
    .kernarg_segment_size: 112
    .language:       OpenCL C
    .language_version:
      - 2
      - 0
    .max_flat_workgroup_size: 512
    .name:           _ZN7rocprim17ROCPRIM_400000_NS6detail17trampoline_kernelINS0_14default_configENS1_25partition_config_selectorILNS1_17partition_subalgoE8EsNS0_10empty_typeEbEEZZNS1_14partition_implILS5_8ELb0ES3_jN6thrust23THRUST_200600_302600_NS6detail15normal_iteratorINSA_10device_ptrIsEEEEPS6_PKS6_NS0_5tupleIJSF_S6_EEENSJ_IJSG_SG_EEENS0_18inequality_wrapperINSA_8equal_toIsEEEEPmJS6_EEE10hipError_tPvRmT3_T4_T5_T6_T7_T9_mT8_P12ihipStream_tbDpT10_ENKUlT_T0_E_clISt17integral_constantIbLb1EES19_IbLb0EEEEDaS15_S16_EUlS15_E_NS1_11comp_targetILNS1_3genE5ELNS1_11target_archE942ELNS1_3gpuE9ELNS1_3repE0EEENS1_30default_config_static_selectorELNS0_4arch9wavefront6targetE1EEEvT1_
    .private_segment_fixed_size: 0
    .sgpr_count:     4
    .sgpr_spill_count: 0
    .symbol:         _ZN7rocprim17ROCPRIM_400000_NS6detail17trampoline_kernelINS0_14default_configENS1_25partition_config_selectorILNS1_17partition_subalgoE8EsNS0_10empty_typeEbEEZZNS1_14partition_implILS5_8ELb0ES3_jN6thrust23THRUST_200600_302600_NS6detail15normal_iteratorINSA_10device_ptrIsEEEEPS6_PKS6_NS0_5tupleIJSF_S6_EEENSJ_IJSG_SG_EEENS0_18inequality_wrapperINSA_8equal_toIsEEEEPmJS6_EEE10hipError_tPvRmT3_T4_T5_T6_T7_T9_mT8_P12ihipStream_tbDpT10_ENKUlT_T0_E_clISt17integral_constantIbLb1EES19_IbLb0EEEEDaS15_S16_EUlS15_E_NS1_11comp_targetILNS1_3genE5ELNS1_11target_archE942ELNS1_3gpuE9ELNS1_3repE0EEENS1_30default_config_static_selectorELNS0_4arch9wavefront6targetE1EEEvT1_.kd
    .uniform_work_group_size: 1
    .uses_dynamic_stack: false
    .vgpr_count:     0
    .vgpr_spill_count: 0
    .wavefront_size: 64
  - .args:
      - .offset:         0
        .size:           112
        .value_kind:     by_value
    .group_segment_fixed_size: 0
    .kernarg_segment_align: 8
    .kernarg_segment_size: 112
    .language:       OpenCL C
    .language_version:
      - 2
      - 0
    .max_flat_workgroup_size: 256
    .name:           _ZN7rocprim17ROCPRIM_400000_NS6detail17trampoline_kernelINS0_14default_configENS1_25partition_config_selectorILNS1_17partition_subalgoE8EsNS0_10empty_typeEbEEZZNS1_14partition_implILS5_8ELb0ES3_jN6thrust23THRUST_200600_302600_NS6detail15normal_iteratorINSA_10device_ptrIsEEEEPS6_PKS6_NS0_5tupleIJSF_S6_EEENSJ_IJSG_SG_EEENS0_18inequality_wrapperINSA_8equal_toIsEEEEPmJS6_EEE10hipError_tPvRmT3_T4_T5_T6_T7_T9_mT8_P12ihipStream_tbDpT10_ENKUlT_T0_E_clISt17integral_constantIbLb1EES19_IbLb0EEEEDaS15_S16_EUlS15_E_NS1_11comp_targetILNS1_3genE4ELNS1_11target_archE910ELNS1_3gpuE8ELNS1_3repE0EEENS1_30default_config_static_selectorELNS0_4arch9wavefront6targetE1EEEvT1_
    .private_segment_fixed_size: 0
    .sgpr_count:     4
    .sgpr_spill_count: 0
    .symbol:         _ZN7rocprim17ROCPRIM_400000_NS6detail17trampoline_kernelINS0_14default_configENS1_25partition_config_selectorILNS1_17partition_subalgoE8EsNS0_10empty_typeEbEEZZNS1_14partition_implILS5_8ELb0ES3_jN6thrust23THRUST_200600_302600_NS6detail15normal_iteratorINSA_10device_ptrIsEEEEPS6_PKS6_NS0_5tupleIJSF_S6_EEENSJ_IJSG_SG_EEENS0_18inequality_wrapperINSA_8equal_toIsEEEEPmJS6_EEE10hipError_tPvRmT3_T4_T5_T6_T7_T9_mT8_P12ihipStream_tbDpT10_ENKUlT_T0_E_clISt17integral_constantIbLb1EES19_IbLb0EEEEDaS15_S16_EUlS15_E_NS1_11comp_targetILNS1_3genE4ELNS1_11target_archE910ELNS1_3gpuE8ELNS1_3repE0EEENS1_30default_config_static_selectorELNS0_4arch9wavefront6targetE1EEEvT1_.kd
    .uniform_work_group_size: 1
    .uses_dynamic_stack: false
    .vgpr_count:     0
    .vgpr_spill_count: 0
    .wavefront_size: 64
  - .args:
      - .offset:         0
        .size:           112
        .value_kind:     by_value
    .group_segment_fixed_size: 0
    .kernarg_segment_align: 8
    .kernarg_segment_size: 112
    .language:       OpenCL C
    .language_version:
      - 2
      - 0
    .max_flat_workgroup_size: 256
    .name:           _ZN7rocprim17ROCPRIM_400000_NS6detail17trampoline_kernelINS0_14default_configENS1_25partition_config_selectorILNS1_17partition_subalgoE8EsNS0_10empty_typeEbEEZZNS1_14partition_implILS5_8ELb0ES3_jN6thrust23THRUST_200600_302600_NS6detail15normal_iteratorINSA_10device_ptrIsEEEEPS6_PKS6_NS0_5tupleIJSF_S6_EEENSJ_IJSG_SG_EEENS0_18inequality_wrapperINSA_8equal_toIsEEEEPmJS6_EEE10hipError_tPvRmT3_T4_T5_T6_T7_T9_mT8_P12ihipStream_tbDpT10_ENKUlT_T0_E_clISt17integral_constantIbLb1EES19_IbLb0EEEEDaS15_S16_EUlS15_E_NS1_11comp_targetILNS1_3genE3ELNS1_11target_archE908ELNS1_3gpuE7ELNS1_3repE0EEENS1_30default_config_static_selectorELNS0_4arch9wavefront6targetE1EEEvT1_
    .private_segment_fixed_size: 0
    .sgpr_count:     4
    .sgpr_spill_count: 0
    .symbol:         _ZN7rocprim17ROCPRIM_400000_NS6detail17trampoline_kernelINS0_14default_configENS1_25partition_config_selectorILNS1_17partition_subalgoE8EsNS0_10empty_typeEbEEZZNS1_14partition_implILS5_8ELb0ES3_jN6thrust23THRUST_200600_302600_NS6detail15normal_iteratorINSA_10device_ptrIsEEEEPS6_PKS6_NS0_5tupleIJSF_S6_EEENSJ_IJSG_SG_EEENS0_18inequality_wrapperINSA_8equal_toIsEEEEPmJS6_EEE10hipError_tPvRmT3_T4_T5_T6_T7_T9_mT8_P12ihipStream_tbDpT10_ENKUlT_T0_E_clISt17integral_constantIbLb1EES19_IbLb0EEEEDaS15_S16_EUlS15_E_NS1_11comp_targetILNS1_3genE3ELNS1_11target_archE908ELNS1_3gpuE7ELNS1_3repE0EEENS1_30default_config_static_selectorELNS0_4arch9wavefront6targetE1EEEvT1_.kd
    .uniform_work_group_size: 1
    .uses_dynamic_stack: false
    .vgpr_count:     0
    .vgpr_spill_count: 0
    .wavefront_size: 64
  - .args:
      - .offset:         0
        .size:           112
        .value_kind:     by_value
    .group_segment_fixed_size: 0
    .kernarg_segment_align: 8
    .kernarg_segment_size: 112
    .language:       OpenCL C
    .language_version:
      - 2
      - 0
    .max_flat_workgroup_size: 192
    .name:           _ZN7rocprim17ROCPRIM_400000_NS6detail17trampoline_kernelINS0_14default_configENS1_25partition_config_selectorILNS1_17partition_subalgoE8EsNS0_10empty_typeEbEEZZNS1_14partition_implILS5_8ELb0ES3_jN6thrust23THRUST_200600_302600_NS6detail15normal_iteratorINSA_10device_ptrIsEEEEPS6_PKS6_NS0_5tupleIJSF_S6_EEENSJ_IJSG_SG_EEENS0_18inequality_wrapperINSA_8equal_toIsEEEEPmJS6_EEE10hipError_tPvRmT3_T4_T5_T6_T7_T9_mT8_P12ihipStream_tbDpT10_ENKUlT_T0_E_clISt17integral_constantIbLb1EES19_IbLb0EEEEDaS15_S16_EUlS15_E_NS1_11comp_targetILNS1_3genE2ELNS1_11target_archE906ELNS1_3gpuE6ELNS1_3repE0EEENS1_30default_config_static_selectorELNS0_4arch9wavefront6targetE1EEEvT1_
    .private_segment_fixed_size: 0
    .sgpr_count:     4
    .sgpr_spill_count: 0
    .symbol:         _ZN7rocprim17ROCPRIM_400000_NS6detail17trampoline_kernelINS0_14default_configENS1_25partition_config_selectorILNS1_17partition_subalgoE8EsNS0_10empty_typeEbEEZZNS1_14partition_implILS5_8ELb0ES3_jN6thrust23THRUST_200600_302600_NS6detail15normal_iteratorINSA_10device_ptrIsEEEEPS6_PKS6_NS0_5tupleIJSF_S6_EEENSJ_IJSG_SG_EEENS0_18inequality_wrapperINSA_8equal_toIsEEEEPmJS6_EEE10hipError_tPvRmT3_T4_T5_T6_T7_T9_mT8_P12ihipStream_tbDpT10_ENKUlT_T0_E_clISt17integral_constantIbLb1EES19_IbLb0EEEEDaS15_S16_EUlS15_E_NS1_11comp_targetILNS1_3genE2ELNS1_11target_archE906ELNS1_3gpuE6ELNS1_3repE0EEENS1_30default_config_static_selectorELNS0_4arch9wavefront6targetE1EEEvT1_.kd
    .uniform_work_group_size: 1
    .uses_dynamic_stack: false
    .vgpr_count:     0
    .vgpr_spill_count: 0
    .wavefront_size: 64
  - .args:
      - .offset:         0
        .size:           112
        .value_kind:     by_value
    .group_segment_fixed_size: 0
    .kernarg_segment_align: 8
    .kernarg_segment_size: 112
    .language:       OpenCL C
    .language_version:
      - 2
      - 0
    .max_flat_workgroup_size: 256
    .name:           _ZN7rocprim17ROCPRIM_400000_NS6detail17trampoline_kernelINS0_14default_configENS1_25partition_config_selectorILNS1_17partition_subalgoE8EsNS0_10empty_typeEbEEZZNS1_14partition_implILS5_8ELb0ES3_jN6thrust23THRUST_200600_302600_NS6detail15normal_iteratorINSA_10device_ptrIsEEEEPS6_PKS6_NS0_5tupleIJSF_S6_EEENSJ_IJSG_SG_EEENS0_18inequality_wrapperINSA_8equal_toIsEEEEPmJS6_EEE10hipError_tPvRmT3_T4_T5_T6_T7_T9_mT8_P12ihipStream_tbDpT10_ENKUlT_T0_E_clISt17integral_constantIbLb1EES19_IbLb0EEEEDaS15_S16_EUlS15_E_NS1_11comp_targetILNS1_3genE10ELNS1_11target_archE1200ELNS1_3gpuE4ELNS1_3repE0EEENS1_30default_config_static_selectorELNS0_4arch9wavefront6targetE1EEEvT1_
    .private_segment_fixed_size: 0
    .sgpr_count:     4
    .sgpr_spill_count: 0
    .symbol:         _ZN7rocprim17ROCPRIM_400000_NS6detail17trampoline_kernelINS0_14default_configENS1_25partition_config_selectorILNS1_17partition_subalgoE8EsNS0_10empty_typeEbEEZZNS1_14partition_implILS5_8ELb0ES3_jN6thrust23THRUST_200600_302600_NS6detail15normal_iteratorINSA_10device_ptrIsEEEEPS6_PKS6_NS0_5tupleIJSF_S6_EEENSJ_IJSG_SG_EEENS0_18inequality_wrapperINSA_8equal_toIsEEEEPmJS6_EEE10hipError_tPvRmT3_T4_T5_T6_T7_T9_mT8_P12ihipStream_tbDpT10_ENKUlT_T0_E_clISt17integral_constantIbLb1EES19_IbLb0EEEEDaS15_S16_EUlS15_E_NS1_11comp_targetILNS1_3genE10ELNS1_11target_archE1200ELNS1_3gpuE4ELNS1_3repE0EEENS1_30default_config_static_selectorELNS0_4arch9wavefront6targetE1EEEvT1_.kd
    .uniform_work_group_size: 1
    .uses_dynamic_stack: false
    .vgpr_count:     0
    .vgpr_spill_count: 0
    .wavefront_size: 64
  - .args:
      - .offset:         0
        .size:           112
        .value_kind:     by_value
    .group_segment_fixed_size: 0
    .kernarg_segment_align: 8
    .kernarg_segment_size: 112
    .language:       OpenCL C
    .language_version:
      - 2
      - 0
    .max_flat_workgroup_size: 128
    .name:           _ZN7rocprim17ROCPRIM_400000_NS6detail17trampoline_kernelINS0_14default_configENS1_25partition_config_selectorILNS1_17partition_subalgoE8EsNS0_10empty_typeEbEEZZNS1_14partition_implILS5_8ELb0ES3_jN6thrust23THRUST_200600_302600_NS6detail15normal_iteratorINSA_10device_ptrIsEEEEPS6_PKS6_NS0_5tupleIJSF_S6_EEENSJ_IJSG_SG_EEENS0_18inequality_wrapperINSA_8equal_toIsEEEEPmJS6_EEE10hipError_tPvRmT3_T4_T5_T6_T7_T9_mT8_P12ihipStream_tbDpT10_ENKUlT_T0_E_clISt17integral_constantIbLb1EES19_IbLb0EEEEDaS15_S16_EUlS15_E_NS1_11comp_targetILNS1_3genE9ELNS1_11target_archE1100ELNS1_3gpuE3ELNS1_3repE0EEENS1_30default_config_static_selectorELNS0_4arch9wavefront6targetE1EEEvT1_
    .private_segment_fixed_size: 0
    .sgpr_count:     4
    .sgpr_spill_count: 0
    .symbol:         _ZN7rocprim17ROCPRIM_400000_NS6detail17trampoline_kernelINS0_14default_configENS1_25partition_config_selectorILNS1_17partition_subalgoE8EsNS0_10empty_typeEbEEZZNS1_14partition_implILS5_8ELb0ES3_jN6thrust23THRUST_200600_302600_NS6detail15normal_iteratorINSA_10device_ptrIsEEEEPS6_PKS6_NS0_5tupleIJSF_S6_EEENSJ_IJSG_SG_EEENS0_18inequality_wrapperINSA_8equal_toIsEEEEPmJS6_EEE10hipError_tPvRmT3_T4_T5_T6_T7_T9_mT8_P12ihipStream_tbDpT10_ENKUlT_T0_E_clISt17integral_constantIbLb1EES19_IbLb0EEEEDaS15_S16_EUlS15_E_NS1_11comp_targetILNS1_3genE9ELNS1_11target_archE1100ELNS1_3gpuE3ELNS1_3repE0EEENS1_30default_config_static_selectorELNS0_4arch9wavefront6targetE1EEEvT1_.kd
    .uniform_work_group_size: 1
    .uses_dynamic_stack: false
    .vgpr_count:     0
    .vgpr_spill_count: 0
    .wavefront_size: 64
  - .args:
      - .offset:         0
        .size:           112
        .value_kind:     by_value
    .group_segment_fixed_size: 0
    .kernarg_segment_align: 8
    .kernarg_segment_size: 112
    .language:       OpenCL C
    .language_version:
      - 2
      - 0
    .max_flat_workgroup_size: 384
    .name:           _ZN7rocprim17ROCPRIM_400000_NS6detail17trampoline_kernelINS0_14default_configENS1_25partition_config_selectorILNS1_17partition_subalgoE8EsNS0_10empty_typeEbEEZZNS1_14partition_implILS5_8ELb0ES3_jN6thrust23THRUST_200600_302600_NS6detail15normal_iteratorINSA_10device_ptrIsEEEEPS6_PKS6_NS0_5tupleIJSF_S6_EEENSJ_IJSG_SG_EEENS0_18inequality_wrapperINSA_8equal_toIsEEEEPmJS6_EEE10hipError_tPvRmT3_T4_T5_T6_T7_T9_mT8_P12ihipStream_tbDpT10_ENKUlT_T0_E_clISt17integral_constantIbLb1EES19_IbLb0EEEEDaS15_S16_EUlS15_E_NS1_11comp_targetILNS1_3genE8ELNS1_11target_archE1030ELNS1_3gpuE2ELNS1_3repE0EEENS1_30default_config_static_selectorELNS0_4arch9wavefront6targetE1EEEvT1_
    .private_segment_fixed_size: 0
    .sgpr_count:     4
    .sgpr_spill_count: 0
    .symbol:         _ZN7rocprim17ROCPRIM_400000_NS6detail17trampoline_kernelINS0_14default_configENS1_25partition_config_selectorILNS1_17partition_subalgoE8EsNS0_10empty_typeEbEEZZNS1_14partition_implILS5_8ELb0ES3_jN6thrust23THRUST_200600_302600_NS6detail15normal_iteratorINSA_10device_ptrIsEEEEPS6_PKS6_NS0_5tupleIJSF_S6_EEENSJ_IJSG_SG_EEENS0_18inequality_wrapperINSA_8equal_toIsEEEEPmJS6_EEE10hipError_tPvRmT3_T4_T5_T6_T7_T9_mT8_P12ihipStream_tbDpT10_ENKUlT_T0_E_clISt17integral_constantIbLb1EES19_IbLb0EEEEDaS15_S16_EUlS15_E_NS1_11comp_targetILNS1_3genE8ELNS1_11target_archE1030ELNS1_3gpuE2ELNS1_3repE0EEENS1_30default_config_static_selectorELNS0_4arch9wavefront6targetE1EEEvT1_.kd
    .uniform_work_group_size: 1
    .uses_dynamic_stack: false
    .vgpr_count:     0
    .vgpr_spill_count: 0
    .wavefront_size: 64
  - .args:
      - .offset:         0
        .size:           128
        .value_kind:     by_value
    .group_segment_fixed_size: 0
    .kernarg_segment_align: 8
    .kernarg_segment_size: 128
    .language:       OpenCL C
    .language_version:
      - 2
      - 0
    .max_flat_workgroup_size: 256
    .name:           _ZN7rocprim17ROCPRIM_400000_NS6detail17trampoline_kernelINS0_14default_configENS1_25partition_config_selectorILNS1_17partition_subalgoE8EsNS0_10empty_typeEbEEZZNS1_14partition_implILS5_8ELb0ES3_jN6thrust23THRUST_200600_302600_NS6detail15normal_iteratorINSA_10device_ptrIsEEEEPS6_PKS6_NS0_5tupleIJSF_S6_EEENSJ_IJSG_SG_EEENS0_18inequality_wrapperINSA_8equal_toIsEEEEPmJS6_EEE10hipError_tPvRmT3_T4_T5_T6_T7_T9_mT8_P12ihipStream_tbDpT10_ENKUlT_T0_E_clISt17integral_constantIbLb0EES19_IbLb1EEEEDaS15_S16_EUlS15_E_NS1_11comp_targetILNS1_3genE0ELNS1_11target_archE4294967295ELNS1_3gpuE0ELNS1_3repE0EEENS1_30default_config_static_selectorELNS0_4arch9wavefront6targetE1EEEvT1_
    .private_segment_fixed_size: 0
    .sgpr_count:     4
    .sgpr_spill_count: 0
    .symbol:         _ZN7rocprim17ROCPRIM_400000_NS6detail17trampoline_kernelINS0_14default_configENS1_25partition_config_selectorILNS1_17partition_subalgoE8EsNS0_10empty_typeEbEEZZNS1_14partition_implILS5_8ELb0ES3_jN6thrust23THRUST_200600_302600_NS6detail15normal_iteratorINSA_10device_ptrIsEEEEPS6_PKS6_NS0_5tupleIJSF_S6_EEENSJ_IJSG_SG_EEENS0_18inequality_wrapperINSA_8equal_toIsEEEEPmJS6_EEE10hipError_tPvRmT3_T4_T5_T6_T7_T9_mT8_P12ihipStream_tbDpT10_ENKUlT_T0_E_clISt17integral_constantIbLb0EES19_IbLb1EEEEDaS15_S16_EUlS15_E_NS1_11comp_targetILNS1_3genE0ELNS1_11target_archE4294967295ELNS1_3gpuE0ELNS1_3repE0EEENS1_30default_config_static_selectorELNS0_4arch9wavefront6targetE1EEEvT1_.kd
    .uniform_work_group_size: 1
    .uses_dynamic_stack: false
    .vgpr_count:     0
    .vgpr_spill_count: 0
    .wavefront_size: 64
  - .args:
      - .offset:         0
        .size:           128
        .value_kind:     by_value
    .group_segment_fixed_size: 0
    .kernarg_segment_align: 8
    .kernarg_segment_size: 128
    .language:       OpenCL C
    .language_version:
      - 2
      - 0
    .max_flat_workgroup_size: 512
    .name:           _ZN7rocprim17ROCPRIM_400000_NS6detail17trampoline_kernelINS0_14default_configENS1_25partition_config_selectorILNS1_17partition_subalgoE8EsNS0_10empty_typeEbEEZZNS1_14partition_implILS5_8ELb0ES3_jN6thrust23THRUST_200600_302600_NS6detail15normal_iteratorINSA_10device_ptrIsEEEEPS6_PKS6_NS0_5tupleIJSF_S6_EEENSJ_IJSG_SG_EEENS0_18inequality_wrapperINSA_8equal_toIsEEEEPmJS6_EEE10hipError_tPvRmT3_T4_T5_T6_T7_T9_mT8_P12ihipStream_tbDpT10_ENKUlT_T0_E_clISt17integral_constantIbLb0EES19_IbLb1EEEEDaS15_S16_EUlS15_E_NS1_11comp_targetILNS1_3genE5ELNS1_11target_archE942ELNS1_3gpuE9ELNS1_3repE0EEENS1_30default_config_static_selectorELNS0_4arch9wavefront6targetE1EEEvT1_
    .private_segment_fixed_size: 0
    .sgpr_count:     4
    .sgpr_spill_count: 0
    .symbol:         _ZN7rocprim17ROCPRIM_400000_NS6detail17trampoline_kernelINS0_14default_configENS1_25partition_config_selectorILNS1_17partition_subalgoE8EsNS0_10empty_typeEbEEZZNS1_14partition_implILS5_8ELb0ES3_jN6thrust23THRUST_200600_302600_NS6detail15normal_iteratorINSA_10device_ptrIsEEEEPS6_PKS6_NS0_5tupleIJSF_S6_EEENSJ_IJSG_SG_EEENS0_18inequality_wrapperINSA_8equal_toIsEEEEPmJS6_EEE10hipError_tPvRmT3_T4_T5_T6_T7_T9_mT8_P12ihipStream_tbDpT10_ENKUlT_T0_E_clISt17integral_constantIbLb0EES19_IbLb1EEEEDaS15_S16_EUlS15_E_NS1_11comp_targetILNS1_3genE5ELNS1_11target_archE942ELNS1_3gpuE9ELNS1_3repE0EEENS1_30default_config_static_selectorELNS0_4arch9wavefront6targetE1EEEvT1_.kd
    .uniform_work_group_size: 1
    .uses_dynamic_stack: false
    .vgpr_count:     0
    .vgpr_spill_count: 0
    .wavefront_size: 64
  - .args:
      - .offset:         0
        .size:           128
        .value_kind:     by_value
    .group_segment_fixed_size: 0
    .kernarg_segment_align: 8
    .kernarg_segment_size: 128
    .language:       OpenCL C
    .language_version:
      - 2
      - 0
    .max_flat_workgroup_size: 256
    .name:           _ZN7rocprim17ROCPRIM_400000_NS6detail17trampoline_kernelINS0_14default_configENS1_25partition_config_selectorILNS1_17partition_subalgoE8EsNS0_10empty_typeEbEEZZNS1_14partition_implILS5_8ELb0ES3_jN6thrust23THRUST_200600_302600_NS6detail15normal_iteratorINSA_10device_ptrIsEEEEPS6_PKS6_NS0_5tupleIJSF_S6_EEENSJ_IJSG_SG_EEENS0_18inequality_wrapperINSA_8equal_toIsEEEEPmJS6_EEE10hipError_tPvRmT3_T4_T5_T6_T7_T9_mT8_P12ihipStream_tbDpT10_ENKUlT_T0_E_clISt17integral_constantIbLb0EES19_IbLb1EEEEDaS15_S16_EUlS15_E_NS1_11comp_targetILNS1_3genE4ELNS1_11target_archE910ELNS1_3gpuE8ELNS1_3repE0EEENS1_30default_config_static_selectorELNS0_4arch9wavefront6targetE1EEEvT1_
    .private_segment_fixed_size: 0
    .sgpr_count:     4
    .sgpr_spill_count: 0
    .symbol:         _ZN7rocprim17ROCPRIM_400000_NS6detail17trampoline_kernelINS0_14default_configENS1_25partition_config_selectorILNS1_17partition_subalgoE8EsNS0_10empty_typeEbEEZZNS1_14partition_implILS5_8ELb0ES3_jN6thrust23THRUST_200600_302600_NS6detail15normal_iteratorINSA_10device_ptrIsEEEEPS6_PKS6_NS0_5tupleIJSF_S6_EEENSJ_IJSG_SG_EEENS0_18inequality_wrapperINSA_8equal_toIsEEEEPmJS6_EEE10hipError_tPvRmT3_T4_T5_T6_T7_T9_mT8_P12ihipStream_tbDpT10_ENKUlT_T0_E_clISt17integral_constantIbLb0EES19_IbLb1EEEEDaS15_S16_EUlS15_E_NS1_11comp_targetILNS1_3genE4ELNS1_11target_archE910ELNS1_3gpuE8ELNS1_3repE0EEENS1_30default_config_static_selectorELNS0_4arch9wavefront6targetE1EEEvT1_.kd
    .uniform_work_group_size: 1
    .uses_dynamic_stack: false
    .vgpr_count:     0
    .vgpr_spill_count: 0
    .wavefront_size: 64
  - .args:
      - .offset:         0
        .size:           128
        .value_kind:     by_value
    .group_segment_fixed_size: 0
    .kernarg_segment_align: 8
    .kernarg_segment_size: 128
    .language:       OpenCL C
    .language_version:
      - 2
      - 0
    .max_flat_workgroup_size: 256
    .name:           _ZN7rocprim17ROCPRIM_400000_NS6detail17trampoline_kernelINS0_14default_configENS1_25partition_config_selectorILNS1_17partition_subalgoE8EsNS0_10empty_typeEbEEZZNS1_14partition_implILS5_8ELb0ES3_jN6thrust23THRUST_200600_302600_NS6detail15normal_iteratorINSA_10device_ptrIsEEEEPS6_PKS6_NS0_5tupleIJSF_S6_EEENSJ_IJSG_SG_EEENS0_18inequality_wrapperINSA_8equal_toIsEEEEPmJS6_EEE10hipError_tPvRmT3_T4_T5_T6_T7_T9_mT8_P12ihipStream_tbDpT10_ENKUlT_T0_E_clISt17integral_constantIbLb0EES19_IbLb1EEEEDaS15_S16_EUlS15_E_NS1_11comp_targetILNS1_3genE3ELNS1_11target_archE908ELNS1_3gpuE7ELNS1_3repE0EEENS1_30default_config_static_selectorELNS0_4arch9wavefront6targetE1EEEvT1_
    .private_segment_fixed_size: 0
    .sgpr_count:     4
    .sgpr_spill_count: 0
    .symbol:         _ZN7rocprim17ROCPRIM_400000_NS6detail17trampoline_kernelINS0_14default_configENS1_25partition_config_selectorILNS1_17partition_subalgoE8EsNS0_10empty_typeEbEEZZNS1_14partition_implILS5_8ELb0ES3_jN6thrust23THRUST_200600_302600_NS6detail15normal_iteratorINSA_10device_ptrIsEEEEPS6_PKS6_NS0_5tupleIJSF_S6_EEENSJ_IJSG_SG_EEENS0_18inequality_wrapperINSA_8equal_toIsEEEEPmJS6_EEE10hipError_tPvRmT3_T4_T5_T6_T7_T9_mT8_P12ihipStream_tbDpT10_ENKUlT_T0_E_clISt17integral_constantIbLb0EES19_IbLb1EEEEDaS15_S16_EUlS15_E_NS1_11comp_targetILNS1_3genE3ELNS1_11target_archE908ELNS1_3gpuE7ELNS1_3repE0EEENS1_30default_config_static_selectorELNS0_4arch9wavefront6targetE1EEEvT1_.kd
    .uniform_work_group_size: 1
    .uses_dynamic_stack: false
    .vgpr_count:     0
    .vgpr_spill_count: 0
    .wavefront_size: 64
  - .args:
      - .offset:         0
        .size:           128
        .value_kind:     by_value
    .group_segment_fixed_size: 6920
    .kernarg_segment_align: 8
    .kernarg_segment_size: 128
    .language:       OpenCL C
    .language_version:
      - 2
      - 0
    .max_flat_workgroup_size: 192
    .name:           _ZN7rocprim17ROCPRIM_400000_NS6detail17trampoline_kernelINS0_14default_configENS1_25partition_config_selectorILNS1_17partition_subalgoE8EsNS0_10empty_typeEbEEZZNS1_14partition_implILS5_8ELb0ES3_jN6thrust23THRUST_200600_302600_NS6detail15normal_iteratorINSA_10device_ptrIsEEEEPS6_PKS6_NS0_5tupleIJSF_S6_EEENSJ_IJSG_SG_EEENS0_18inequality_wrapperINSA_8equal_toIsEEEEPmJS6_EEE10hipError_tPvRmT3_T4_T5_T6_T7_T9_mT8_P12ihipStream_tbDpT10_ENKUlT_T0_E_clISt17integral_constantIbLb0EES19_IbLb1EEEEDaS15_S16_EUlS15_E_NS1_11comp_targetILNS1_3genE2ELNS1_11target_archE906ELNS1_3gpuE6ELNS1_3repE0EEENS1_30default_config_static_selectorELNS0_4arch9wavefront6targetE1EEEvT1_
    .private_segment_fixed_size: 0
    .sgpr_count:     65
    .sgpr_spill_count: 0
    .symbol:         _ZN7rocprim17ROCPRIM_400000_NS6detail17trampoline_kernelINS0_14default_configENS1_25partition_config_selectorILNS1_17partition_subalgoE8EsNS0_10empty_typeEbEEZZNS1_14partition_implILS5_8ELb0ES3_jN6thrust23THRUST_200600_302600_NS6detail15normal_iteratorINSA_10device_ptrIsEEEEPS6_PKS6_NS0_5tupleIJSF_S6_EEENSJ_IJSG_SG_EEENS0_18inequality_wrapperINSA_8equal_toIsEEEEPmJS6_EEE10hipError_tPvRmT3_T4_T5_T6_T7_T9_mT8_P12ihipStream_tbDpT10_ENKUlT_T0_E_clISt17integral_constantIbLb0EES19_IbLb1EEEEDaS15_S16_EUlS15_E_NS1_11comp_targetILNS1_3genE2ELNS1_11target_archE906ELNS1_3gpuE6ELNS1_3repE0EEENS1_30default_config_static_selectorELNS0_4arch9wavefront6targetE1EEEvT1_.kd
    .uniform_work_group_size: 1
    .uses_dynamic_stack: false
    .vgpr_count:     84
    .vgpr_spill_count: 0
    .wavefront_size: 64
  - .args:
      - .offset:         0
        .size:           128
        .value_kind:     by_value
    .group_segment_fixed_size: 0
    .kernarg_segment_align: 8
    .kernarg_segment_size: 128
    .language:       OpenCL C
    .language_version:
      - 2
      - 0
    .max_flat_workgroup_size: 256
    .name:           _ZN7rocprim17ROCPRIM_400000_NS6detail17trampoline_kernelINS0_14default_configENS1_25partition_config_selectorILNS1_17partition_subalgoE8EsNS0_10empty_typeEbEEZZNS1_14partition_implILS5_8ELb0ES3_jN6thrust23THRUST_200600_302600_NS6detail15normal_iteratorINSA_10device_ptrIsEEEEPS6_PKS6_NS0_5tupleIJSF_S6_EEENSJ_IJSG_SG_EEENS0_18inequality_wrapperINSA_8equal_toIsEEEEPmJS6_EEE10hipError_tPvRmT3_T4_T5_T6_T7_T9_mT8_P12ihipStream_tbDpT10_ENKUlT_T0_E_clISt17integral_constantIbLb0EES19_IbLb1EEEEDaS15_S16_EUlS15_E_NS1_11comp_targetILNS1_3genE10ELNS1_11target_archE1200ELNS1_3gpuE4ELNS1_3repE0EEENS1_30default_config_static_selectorELNS0_4arch9wavefront6targetE1EEEvT1_
    .private_segment_fixed_size: 0
    .sgpr_count:     4
    .sgpr_spill_count: 0
    .symbol:         _ZN7rocprim17ROCPRIM_400000_NS6detail17trampoline_kernelINS0_14default_configENS1_25partition_config_selectorILNS1_17partition_subalgoE8EsNS0_10empty_typeEbEEZZNS1_14partition_implILS5_8ELb0ES3_jN6thrust23THRUST_200600_302600_NS6detail15normal_iteratorINSA_10device_ptrIsEEEEPS6_PKS6_NS0_5tupleIJSF_S6_EEENSJ_IJSG_SG_EEENS0_18inequality_wrapperINSA_8equal_toIsEEEEPmJS6_EEE10hipError_tPvRmT3_T4_T5_T6_T7_T9_mT8_P12ihipStream_tbDpT10_ENKUlT_T0_E_clISt17integral_constantIbLb0EES19_IbLb1EEEEDaS15_S16_EUlS15_E_NS1_11comp_targetILNS1_3genE10ELNS1_11target_archE1200ELNS1_3gpuE4ELNS1_3repE0EEENS1_30default_config_static_selectorELNS0_4arch9wavefront6targetE1EEEvT1_.kd
    .uniform_work_group_size: 1
    .uses_dynamic_stack: false
    .vgpr_count:     0
    .vgpr_spill_count: 0
    .wavefront_size: 64
  - .args:
      - .offset:         0
        .size:           128
        .value_kind:     by_value
    .group_segment_fixed_size: 0
    .kernarg_segment_align: 8
    .kernarg_segment_size: 128
    .language:       OpenCL C
    .language_version:
      - 2
      - 0
    .max_flat_workgroup_size: 128
    .name:           _ZN7rocprim17ROCPRIM_400000_NS6detail17trampoline_kernelINS0_14default_configENS1_25partition_config_selectorILNS1_17partition_subalgoE8EsNS0_10empty_typeEbEEZZNS1_14partition_implILS5_8ELb0ES3_jN6thrust23THRUST_200600_302600_NS6detail15normal_iteratorINSA_10device_ptrIsEEEEPS6_PKS6_NS0_5tupleIJSF_S6_EEENSJ_IJSG_SG_EEENS0_18inequality_wrapperINSA_8equal_toIsEEEEPmJS6_EEE10hipError_tPvRmT3_T4_T5_T6_T7_T9_mT8_P12ihipStream_tbDpT10_ENKUlT_T0_E_clISt17integral_constantIbLb0EES19_IbLb1EEEEDaS15_S16_EUlS15_E_NS1_11comp_targetILNS1_3genE9ELNS1_11target_archE1100ELNS1_3gpuE3ELNS1_3repE0EEENS1_30default_config_static_selectorELNS0_4arch9wavefront6targetE1EEEvT1_
    .private_segment_fixed_size: 0
    .sgpr_count:     4
    .sgpr_spill_count: 0
    .symbol:         _ZN7rocprim17ROCPRIM_400000_NS6detail17trampoline_kernelINS0_14default_configENS1_25partition_config_selectorILNS1_17partition_subalgoE8EsNS0_10empty_typeEbEEZZNS1_14partition_implILS5_8ELb0ES3_jN6thrust23THRUST_200600_302600_NS6detail15normal_iteratorINSA_10device_ptrIsEEEEPS6_PKS6_NS0_5tupleIJSF_S6_EEENSJ_IJSG_SG_EEENS0_18inequality_wrapperINSA_8equal_toIsEEEEPmJS6_EEE10hipError_tPvRmT3_T4_T5_T6_T7_T9_mT8_P12ihipStream_tbDpT10_ENKUlT_T0_E_clISt17integral_constantIbLb0EES19_IbLb1EEEEDaS15_S16_EUlS15_E_NS1_11comp_targetILNS1_3genE9ELNS1_11target_archE1100ELNS1_3gpuE3ELNS1_3repE0EEENS1_30default_config_static_selectorELNS0_4arch9wavefront6targetE1EEEvT1_.kd
    .uniform_work_group_size: 1
    .uses_dynamic_stack: false
    .vgpr_count:     0
    .vgpr_spill_count: 0
    .wavefront_size: 64
  - .args:
      - .offset:         0
        .size:           128
        .value_kind:     by_value
    .group_segment_fixed_size: 0
    .kernarg_segment_align: 8
    .kernarg_segment_size: 128
    .language:       OpenCL C
    .language_version:
      - 2
      - 0
    .max_flat_workgroup_size: 384
    .name:           _ZN7rocprim17ROCPRIM_400000_NS6detail17trampoline_kernelINS0_14default_configENS1_25partition_config_selectorILNS1_17partition_subalgoE8EsNS0_10empty_typeEbEEZZNS1_14partition_implILS5_8ELb0ES3_jN6thrust23THRUST_200600_302600_NS6detail15normal_iteratorINSA_10device_ptrIsEEEEPS6_PKS6_NS0_5tupleIJSF_S6_EEENSJ_IJSG_SG_EEENS0_18inequality_wrapperINSA_8equal_toIsEEEEPmJS6_EEE10hipError_tPvRmT3_T4_T5_T6_T7_T9_mT8_P12ihipStream_tbDpT10_ENKUlT_T0_E_clISt17integral_constantIbLb0EES19_IbLb1EEEEDaS15_S16_EUlS15_E_NS1_11comp_targetILNS1_3genE8ELNS1_11target_archE1030ELNS1_3gpuE2ELNS1_3repE0EEENS1_30default_config_static_selectorELNS0_4arch9wavefront6targetE1EEEvT1_
    .private_segment_fixed_size: 0
    .sgpr_count:     4
    .sgpr_spill_count: 0
    .symbol:         _ZN7rocprim17ROCPRIM_400000_NS6detail17trampoline_kernelINS0_14default_configENS1_25partition_config_selectorILNS1_17partition_subalgoE8EsNS0_10empty_typeEbEEZZNS1_14partition_implILS5_8ELb0ES3_jN6thrust23THRUST_200600_302600_NS6detail15normal_iteratorINSA_10device_ptrIsEEEEPS6_PKS6_NS0_5tupleIJSF_S6_EEENSJ_IJSG_SG_EEENS0_18inequality_wrapperINSA_8equal_toIsEEEEPmJS6_EEE10hipError_tPvRmT3_T4_T5_T6_T7_T9_mT8_P12ihipStream_tbDpT10_ENKUlT_T0_E_clISt17integral_constantIbLb0EES19_IbLb1EEEEDaS15_S16_EUlS15_E_NS1_11comp_targetILNS1_3genE8ELNS1_11target_archE1030ELNS1_3gpuE2ELNS1_3repE0EEENS1_30default_config_static_selectorELNS0_4arch9wavefront6targetE1EEEvT1_.kd
    .uniform_work_group_size: 1
    .uses_dynamic_stack: false
    .vgpr_count:     0
    .vgpr_spill_count: 0
    .wavefront_size: 64
  - .args:
      - .offset:         0
        .size:           112
        .value_kind:     by_value
    .group_segment_fixed_size: 0
    .kernarg_segment_align: 8
    .kernarg_segment_size: 112
    .language:       OpenCL C
    .language_version:
      - 2
      - 0
    .max_flat_workgroup_size: 256
    .name:           _ZN7rocprim17ROCPRIM_400000_NS6detail17trampoline_kernelINS0_14default_configENS1_25partition_config_selectorILNS1_17partition_subalgoE8EsNS0_10empty_typeEbEEZZNS1_14partition_implILS5_8ELb0ES3_jN6thrust23THRUST_200600_302600_NS6detail15normal_iteratorINSA_10device_ptrIsEEEEPS6_PKS6_NS0_5tupleIJSF_S6_EEENSJ_IJSG_SG_EEENS0_18inequality_wrapperI22is_equal_div_10_uniqueIsEEEPmJS6_EEE10hipError_tPvRmT3_T4_T5_T6_T7_T9_mT8_P12ihipStream_tbDpT10_ENKUlT_T0_E_clISt17integral_constantIbLb0EES1A_EEDaS15_S16_EUlS15_E_NS1_11comp_targetILNS1_3genE0ELNS1_11target_archE4294967295ELNS1_3gpuE0ELNS1_3repE0EEENS1_30default_config_static_selectorELNS0_4arch9wavefront6targetE1EEEvT1_
    .private_segment_fixed_size: 0
    .sgpr_count:     4
    .sgpr_spill_count: 0
    .symbol:         _ZN7rocprim17ROCPRIM_400000_NS6detail17trampoline_kernelINS0_14default_configENS1_25partition_config_selectorILNS1_17partition_subalgoE8EsNS0_10empty_typeEbEEZZNS1_14partition_implILS5_8ELb0ES3_jN6thrust23THRUST_200600_302600_NS6detail15normal_iteratorINSA_10device_ptrIsEEEEPS6_PKS6_NS0_5tupleIJSF_S6_EEENSJ_IJSG_SG_EEENS0_18inequality_wrapperI22is_equal_div_10_uniqueIsEEEPmJS6_EEE10hipError_tPvRmT3_T4_T5_T6_T7_T9_mT8_P12ihipStream_tbDpT10_ENKUlT_T0_E_clISt17integral_constantIbLb0EES1A_EEDaS15_S16_EUlS15_E_NS1_11comp_targetILNS1_3genE0ELNS1_11target_archE4294967295ELNS1_3gpuE0ELNS1_3repE0EEENS1_30default_config_static_selectorELNS0_4arch9wavefront6targetE1EEEvT1_.kd
    .uniform_work_group_size: 1
    .uses_dynamic_stack: false
    .vgpr_count:     0
    .vgpr_spill_count: 0
    .wavefront_size: 64
  - .args:
      - .offset:         0
        .size:           112
        .value_kind:     by_value
    .group_segment_fixed_size: 0
    .kernarg_segment_align: 8
    .kernarg_segment_size: 112
    .language:       OpenCL C
    .language_version:
      - 2
      - 0
    .max_flat_workgroup_size: 512
    .name:           _ZN7rocprim17ROCPRIM_400000_NS6detail17trampoline_kernelINS0_14default_configENS1_25partition_config_selectorILNS1_17partition_subalgoE8EsNS0_10empty_typeEbEEZZNS1_14partition_implILS5_8ELb0ES3_jN6thrust23THRUST_200600_302600_NS6detail15normal_iteratorINSA_10device_ptrIsEEEEPS6_PKS6_NS0_5tupleIJSF_S6_EEENSJ_IJSG_SG_EEENS0_18inequality_wrapperI22is_equal_div_10_uniqueIsEEEPmJS6_EEE10hipError_tPvRmT3_T4_T5_T6_T7_T9_mT8_P12ihipStream_tbDpT10_ENKUlT_T0_E_clISt17integral_constantIbLb0EES1A_EEDaS15_S16_EUlS15_E_NS1_11comp_targetILNS1_3genE5ELNS1_11target_archE942ELNS1_3gpuE9ELNS1_3repE0EEENS1_30default_config_static_selectorELNS0_4arch9wavefront6targetE1EEEvT1_
    .private_segment_fixed_size: 0
    .sgpr_count:     4
    .sgpr_spill_count: 0
    .symbol:         _ZN7rocprim17ROCPRIM_400000_NS6detail17trampoline_kernelINS0_14default_configENS1_25partition_config_selectorILNS1_17partition_subalgoE8EsNS0_10empty_typeEbEEZZNS1_14partition_implILS5_8ELb0ES3_jN6thrust23THRUST_200600_302600_NS6detail15normal_iteratorINSA_10device_ptrIsEEEEPS6_PKS6_NS0_5tupleIJSF_S6_EEENSJ_IJSG_SG_EEENS0_18inequality_wrapperI22is_equal_div_10_uniqueIsEEEPmJS6_EEE10hipError_tPvRmT3_T4_T5_T6_T7_T9_mT8_P12ihipStream_tbDpT10_ENKUlT_T0_E_clISt17integral_constantIbLb0EES1A_EEDaS15_S16_EUlS15_E_NS1_11comp_targetILNS1_3genE5ELNS1_11target_archE942ELNS1_3gpuE9ELNS1_3repE0EEENS1_30default_config_static_selectorELNS0_4arch9wavefront6targetE1EEEvT1_.kd
    .uniform_work_group_size: 1
    .uses_dynamic_stack: false
    .vgpr_count:     0
    .vgpr_spill_count: 0
    .wavefront_size: 64
  - .args:
      - .offset:         0
        .size:           112
        .value_kind:     by_value
    .group_segment_fixed_size: 0
    .kernarg_segment_align: 8
    .kernarg_segment_size: 112
    .language:       OpenCL C
    .language_version:
      - 2
      - 0
    .max_flat_workgroup_size: 256
    .name:           _ZN7rocprim17ROCPRIM_400000_NS6detail17trampoline_kernelINS0_14default_configENS1_25partition_config_selectorILNS1_17partition_subalgoE8EsNS0_10empty_typeEbEEZZNS1_14partition_implILS5_8ELb0ES3_jN6thrust23THRUST_200600_302600_NS6detail15normal_iteratorINSA_10device_ptrIsEEEEPS6_PKS6_NS0_5tupleIJSF_S6_EEENSJ_IJSG_SG_EEENS0_18inequality_wrapperI22is_equal_div_10_uniqueIsEEEPmJS6_EEE10hipError_tPvRmT3_T4_T5_T6_T7_T9_mT8_P12ihipStream_tbDpT10_ENKUlT_T0_E_clISt17integral_constantIbLb0EES1A_EEDaS15_S16_EUlS15_E_NS1_11comp_targetILNS1_3genE4ELNS1_11target_archE910ELNS1_3gpuE8ELNS1_3repE0EEENS1_30default_config_static_selectorELNS0_4arch9wavefront6targetE1EEEvT1_
    .private_segment_fixed_size: 0
    .sgpr_count:     4
    .sgpr_spill_count: 0
    .symbol:         _ZN7rocprim17ROCPRIM_400000_NS6detail17trampoline_kernelINS0_14default_configENS1_25partition_config_selectorILNS1_17partition_subalgoE8EsNS0_10empty_typeEbEEZZNS1_14partition_implILS5_8ELb0ES3_jN6thrust23THRUST_200600_302600_NS6detail15normal_iteratorINSA_10device_ptrIsEEEEPS6_PKS6_NS0_5tupleIJSF_S6_EEENSJ_IJSG_SG_EEENS0_18inequality_wrapperI22is_equal_div_10_uniqueIsEEEPmJS6_EEE10hipError_tPvRmT3_T4_T5_T6_T7_T9_mT8_P12ihipStream_tbDpT10_ENKUlT_T0_E_clISt17integral_constantIbLb0EES1A_EEDaS15_S16_EUlS15_E_NS1_11comp_targetILNS1_3genE4ELNS1_11target_archE910ELNS1_3gpuE8ELNS1_3repE0EEENS1_30default_config_static_selectorELNS0_4arch9wavefront6targetE1EEEvT1_.kd
    .uniform_work_group_size: 1
    .uses_dynamic_stack: false
    .vgpr_count:     0
    .vgpr_spill_count: 0
    .wavefront_size: 64
  - .args:
      - .offset:         0
        .size:           112
        .value_kind:     by_value
    .group_segment_fixed_size: 0
    .kernarg_segment_align: 8
    .kernarg_segment_size: 112
    .language:       OpenCL C
    .language_version:
      - 2
      - 0
    .max_flat_workgroup_size: 256
    .name:           _ZN7rocprim17ROCPRIM_400000_NS6detail17trampoline_kernelINS0_14default_configENS1_25partition_config_selectorILNS1_17partition_subalgoE8EsNS0_10empty_typeEbEEZZNS1_14partition_implILS5_8ELb0ES3_jN6thrust23THRUST_200600_302600_NS6detail15normal_iteratorINSA_10device_ptrIsEEEEPS6_PKS6_NS0_5tupleIJSF_S6_EEENSJ_IJSG_SG_EEENS0_18inequality_wrapperI22is_equal_div_10_uniqueIsEEEPmJS6_EEE10hipError_tPvRmT3_T4_T5_T6_T7_T9_mT8_P12ihipStream_tbDpT10_ENKUlT_T0_E_clISt17integral_constantIbLb0EES1A_EEDaS15_S16_EUlS15_E_NS1_11comp_targetILNS1_3genE3ELNS1_11target_archE908ELNS1_3gpuE7ELNS1_3repE0EEENS1_30default_config_static_selectorELNS0_4arch9wavefront6targetE1EEEvT1_
    .private_segment_fixed_size: 0
    .sgpr_count:     4
    .sgpr_spill_count: 0
    .symbol:         _ZN7rocprim17ROCPRIM_400000_NS6detail17trampoline_kernelINS0_14default_configENS1_25partition_config_selectorILNS1_17partition_subalgoE8EsNS0_10empty_typeEbEEZZNS1_14partition_implILS5_8ELb0ES3_jN6thrust23THRUST_200600_302600_NS6detail15normal_iteratorINSA_10device_ptrIsEEEEPS6_PKS6_NS0_5tupleIJSF_S6_EEENSJ_IJSG_SG_EEENS0_18inequality_wrapperI22is_equal_div_10_uniqueIsEEEPmJS6_EEE10hipError_tPvRmT3_T4_T5_T6_T7_T9_mT8_P12ihipStream_tbDpT10_ENKUlT_T0_E_clISt17integral_constantIbLb0EES1A_EEDaS15_S16_EUlS15_E_NS1_11comp_targetILNS1_3genE3ELNS1_11target_archE908ELNS1_3gpuE7ELNS1_3repE0EEENS1_30default_config_static_selectorELNS0_4arch9wavefront6targetE1EEEvT1_.kd
    .uniform_work_group_size: 1
    .uses_dynamic_stack: false
    .vgpr_count:     0
    .vgpr_spill_count: 0
    .wavefront_size: 64
  - .args:
      - .offset:         0
        .size:           112
        .value_kind:     by_value
    .group_segment_fixed_size: 6920
    .kernarg_segment_align: 8
    .kernarg_segment_size: 112
    .language:       OpenCL C
    .language_version:
      - 2
      - 0
    .max_flat_workgroup_size: 192
    .name:           _ZN7rocprim17ROCPRIM_400000_NS6detail17trampoline_kernelINS0_14default_configENS1_25partition_config_selectorILNS1_17partition_subalgoE8EsNS0_10empty_typeEbEEZZNS1_14partition_implILS5_8ELb0ES3_jN6thrust23THRUST_200600_302600_NS6detail15normal_iteratorINSA_10device_ptrIsEEEEPS6_PKS6_NS0_5tupleIJSF_S6_EEENSJ_IJSG_SG_EEENS0_18inequality_wrapperI22is_equal_div_10_uniqueIsEEEPmJS6_EEE10hipError_tPvRmT3_T4_T5_T6_T7_T9_mT8_P12ihipStream_tbDpT10_ENKUlT_T0_E_clISt17integral_constantIbLb0EES1A_EEDaS15_S16_EUlS15_E_NS1_11comp_targetILNS1_3genE2ELNS1_11target_archE906ELNS1_3gpuE6ELNS1_3repE0EEENS1_30default_config_static_selectorELNS0_4arch9wavefront6targetE1EEEvT1_
    .private_segment_fixed_size: 0
    .sgpr_count:     64
    .sgpr_spill_count: 0
    .symbol:         _ZN7rocprim17ROCPRIM_400000_NS6detail17trampoline_kernelINS0_14default_configENS1_25partition_config_selectorILNS1_17partition_subalgoE8EsNS0_10empty_typeEbEEZZNS1_14partition_implILS5_8ELb0ES3_jN6thrust23THRUST_200600_302600_NS6detail15normal_iteratorINSA_10device_ptrIsEEEEPS6_PKS6_NS0_5tupleIJSF_S6_EEENSJ_IJSG_SG_EEENS0_18inequality_wrapperI22is_equal_div_10_uniqueIsEEEPmJS6_EEE10hipError_tPvRmT3_T4_T5_T6_T7_T9_mT8_P12ihipStream_tbDpT10_ENKUlT_T0_E_clISt17integral_constantIbLb0EES1A_EEDaS15_S16_EUlS15_E_NS1_11comp_targetILNS1_3genE2ELNS1_11target_archE906ELNS1_3gpuE6ELNS1_3repE0EEENS1_30default_config_static_selectorELNS0_4arch9wavefront6targetE1EEEvT1_.kd
    .uniform_work_group_size: 1
    .uses_dynamic_stack: false
    .vgpr_count:     82
    .vgpr_spill_count: 0
    .wavefront_size: 64
  - .args:
      - .offset:         0
        .size:           112
        .value_kind:     by_value
    .group_segment_fixed_size: 0
    .kernarg_segment_align: 8
    .kernarg_segment_size: 112
    .language:       OpenCL C
    .language_version:
      - 2
      - 0
    .max_flat_workgroup_size: 256
    .name:           _ZN7rocprim17ROCPRIM_400000_NS6detail17trampoline_kernelINS0_14default_configENS1_25partition_config_selectorILNS1_17partition_subalgoE8EsNS0_10empty_typeEbEEZZNS1_14partition_implILS5_8ELb0ES3_jN6thrust23THRUST_200600_302600_NS6detail15normal_iteratorINSA_10device_ptrIsEEEEPS6_PKS6_NS0_5tupleIJSF_S6_EEENSJ_IJSG_SG_EEENS0_18inequality_wrapperI22is_equal_div_10_uniqueIsEEEPmJS6_EEE10hipError_tPvRmT3_T4_T5_T6_T7_T9_mT8_P12ihipStream_tbDpT10_ENKUlT_T0_E_clISt17integral_constantIbLb0EES1A_EEDaS15_S16_EUlS15_E_NS1_11comp_targetILNS1_3genE10ELNS1_11target_archE1200ELNS1_3gpuE4ELNS1_3repE0EEENS1_30default_config_static_selectorELNS0_4arch9wavefront6targetE1EEEvT1_
    .private_segment_fixed_size: 0
    .sgpr_count:     4
    .sgpr_spill_count: 0
    .symbol:         _ZN7rocprim17ROCPRIM_400000_NS6detail17trampoline_kernelINS0_14default_configENS1_25partition_config_selectorILNS1_17partition_subalgoE8EsNS0_10empty_typeEbEEZZNS1_14partition_implILS5_8ELb0ES3_jN6thrust23THRUST_200600_302600_NS6detail15normal_iteratorINSA_10device_ptrIsEEEEPS6_PKS6_NS0_5tupleIJSF_S6_EEENSJ_IJSG_SG_EEENS0_18inequality_wrapperI22is_equal_div_10_uniqueIsEEEPmJS6_EEE10hipError_tPvRmT3_T4_T5_T6_T7_T9_mT8_P12ihipStream_tbDpT10_ENKUlT_T0_E_clISt17integral_constantIbLb0EES1A_EEDaS15_S16_EUlS15_E_NS1_11comp_targetILNS1_3genE10ELNS1_11target_archE1200ELNS1_3gpuE4ELNS1_3repE0EEENS1_30default_config_static_selectorELNS0_4arch9wavefront6targetE1EEEvT1_.kd
    .uniform_work_group_size: 1
    .uses_dynamic_stack: false
    .vgpr_count:     0
    .vgpr_spill_count: 0
    .wavefront_size: 64
  - .args:
      - .offset:         0
        .size:           112
        .value_kind:     by_value
    .group_segment_fixed_size: 0
    .kernarg_segment_align: 8
    .kernarg_segment_size: 112
    .language:       OpenCL C
    .language_version:
      - 2
      - 0
    .max_flat_workgroup_size: 128
    .name:           _ZN7rocprim17ROCPRIM_400000_NS6detail17trampoline_kernelINS0_14default_configENS1_25partition_config_selectorILNS1_17partition_subalgoE8EsNS0_10empty_typeEbEEZZNS1_14partition_implILS5_8ELb0ES3_jN6thrust23THRUST_200600_302600_NS6detail15normal_iteratorINSA_10device_ptrIsEEEEPS6_PKS6_NS0_5tupleIJSF_S6_EEENSJ_IJSG_SG_EEENS0_18inequality_wrapperI22is_equal_div_10_uniqueIsEEEPmJS6_EEE10hipError_tPvRmT3_T4_T5_T6_T7_T9_mT8_P12ihipStream_tbDpT10_ENKUlT_T0_E_clISt17integral_constantIbLb0EES1A_EEDaS15_S16_EUlS15_E_NS1_11comp_targetILNS1_3genE9ELNS1_11target_archE1100ELNS1_3gpuE3ELNS1_3repE0EEENS1_30default_config_static_selectorELNS0_4arch9wavefront6targetE1EEEvT1_
    .private_segment_fixed_size: 0
    .sgpr_count:     4
    .sgpr_spill_count: 0
    .symbol:         _ZN7rocprim17ROCPRIM_400000_NS6detail17trampoline_kernelINS0_14default_configENS1_25partition_config_selectorILNS1_17partition_subalgoE8EsNS0_10empty_typeEbEEZZNS1_14partition_implILS5_8ELb0ES3_jN6thrust23THRUST_200600_302600_NS6detail15normal_iteratorINSA_10device_ptrIsEEEEPS6_PKS6_NS0_5tupleIJSF_S6_EEENSJ_IJSG_SG_EEENS0_18inequality_wrapperI22is_equal_div_10_uniqueIsEEEPmJS6_EEE10hipError_tPvRmT3_T4_T5_T6_T7_T9_mT8_P12ihipStream_tbDpT10_ENKUlT_T0_E_clISt17integral_constantIbLb0EES1A_EEDaS15_S16_EUlS15_E_NS1_11comp_targetILNS1_3genE9ELNS1_11target_archE1100ELNS1_3gpuE3ELNS1_3repE0EEENS1_30default_config_static_selectorELNS0_4arch9wavefront6targetE1EEEvT1_.kd
    .uniform_work_group_size: 1
    .uses_dynamic_stack: false
    .vgpr_count:     0
    .vgpr_spill_count: 0
    .wavefront_size: 64
  - .args:
      - .offset:         0
        .size:           112
        .value_kind:     by_value
    .group_segment_fixed_size: 0
    .kernarg_segment_align: 8
    .kernarg_segment_size: 112
    .language:       OpenCL C
    .language_version:
      - 2
      - 0
    .max_flat_workgroup_size: 384
    .name:           _ZN7rocprim17ROCPRIM_400000_NS6detail17trampoline_kernelINS0_14default_configENS1_25partition_config_selectorILNS1_17partition_subalgoE8EsNS0_10empty_typeEbEEZZNS1_14partition_implILS5_8ELb0ES3_jN6thrust23THRUST_200600_302600_NS6detail15normal_iteratorINSA_10device_ptrIsEEEEPS6_PKS6_NS0_5tupleIJSF_S6_EEENSJ_IJSG_SG_EEENS0_18inequality_wrapperI22is_equal_div_10_uniqueIsEEEPmJS6_EEE10hipError_tPvRmT3_T4_T5_T6_T7_T9_mT8_P12ihipStream_tbDpT10_ENKUlT_T0_E_clISt17integral_constantIbLb0EES1A_EEDaS15_S16_EUlS15_E_NS1_11comp_targetILNS1_3genE8ELNS1_11target_archE1030ELNS1_3gpuE2ELNS1_3repE0EEENS1_30default_config_static_selectorELNS0_4arch9wavefront6targetE1EEEvT1_
    .private_segment_fixed_size: 0
    .sgpr_count:     4
    .sgpr_spill_count: 0
    .symbol:         _ZN7rocprim17ROCPRIM_400000_NS6detail17trampoline_kernelINS0_14default_configENS1_25partition_config_selectorILNS1_17partition_subalgoE8EsNS0_10empty_typeEbEEZZNS1_14partition_implILS5_8ELb0ES3_jN6thrust23THRUST_200600_302600_NS6detail15normal_iteratorINSA_10device_ptrIsEEEEPS6_PKS6_NS0_5tupleIJSF_S6_EEENSJ_IJSG_SG_EEENS0_18inequality_wrapperI22is_equal_div_10_uniqueIsEEEPmJS6_EEE10hipError_tPvRmT3_T4_T5_T6_T7_T9_mT8_P12ihipStream_tbDpT10_ENKUlT_T0_E_clISt17integral_constantIbLb0EES1A_EEDaS15_S16_EUlS15_E_NS1_11comp_targetILNS1_3genE8ELNS1_11target_archE1030ELNS1_3gpuE2ELNS1_3repE0EEENS1_30default_config_static_selectorELNS0_4arch9wavefront6targetE1EEEvT1_.kd
    .uniform_work_group_size: 1
    .uses_dynamic_stack: false
    .vgpr_count:     0
    .vgpr_spill_count: 0
    .wavefront_size: 64
  - .args:
      - .offset:         0
        .size:           128
        .value_kind:     by_value
    .group_segment_fixed_size: 0
    .kernarg_segment_align: 8
    .kernarg_segment_size: 128
    .language:       OpenCL C
    .language_version:
      - 2
      - 0
    .max_flat_workgroup_size: 256
    .name:           _ZN7rocprim17ROCPRIM_400000_NS6detail17trampoline_kernelINS0_14default_configENS1_25partition_config_selectorILNS1_17partition_subalgoE8EsNS0_10empty_typeEbEEZZNS1_14partition_implILS5_8ELb0ES3_jN6thrust23THRUST_200600_302600_NS6detail15normal_iteratorINSA_10device_ptrIsEEEEPS6_PKS6_NS0_5tupleIJSF_S6_EEENSJ_IJSG_SG_EEENS0_18inequality_wrapperI22is_equal_div_10_uniqueIsEEEPmJS6_EEE10hipError_tPvRmT3_T4_T5_T6_T7_T9_mT8_P12ihipStream_tbDpT10_ENKUlT_T0_E_clISt17integral_constantIbLb1EES1A_EEDaS15_S16_EUlS15_E_NS1_11comp_targetILNS1_3genE0ELNS1_11target_archE4294967295ELNS1_3gpuE0ELNS1_3repE0EEENS1_30default_config_static_selectorELNS0_4arch9wavefront6targetE1EEEvT1_
    .private_segment_fixed_size: 0
    .sgpr_count:     4
    .sgpr_spill_count: 0
    .symbol:         _ZN7rocprim17ROCPRIM_400000_NS6detail17trampoline_kernelINS0_14default_configENS1_25partition_config_selectorILNS1_17partition_subalgoE8EsNS0_10empty_typeEbEEZZNS1_14partition_implILS5_8ELb0ES3_jN6thrust23THRUST_200600_302600_NS6detail15normal_iteratorINSA_10device_ptrIsEEEEPS6_PKS6_NS0_5tupleIJSF_S6_EEENSJ_IJSG_SG_EEENS0_18inequality_wrapperI22is_equal_div_10_uniqueIsEEEPmJS6_EEE10hipError_tPvRmT3_T4_T5_T6_T7_T9_mT8_P12ihipStream_tbDpT10_ENKUlT_T0_E_clISt17integral_constantIbLb1EES1A_EEDaS15_S16_EUlS15_E_NS1_11comp_targetILNS1_3genE0ELNS1_11target_archE4294967295ELNS1_3gpuE0ELNS1_3repE0EEENS1_30default_config_static_selectorELNS0_4arch9wavefront6targetE1EEEvT1_.kd
    .uniform_work_group_size: 1
    .uses_dynamic_stack: false
    .vgpr_count:     0
    .vgpr_spill_count: 0
    .wavefront_size: 64
  - .args:
      - .offset:         0
        .size:           128
        .value_kind:     by_value
    .group_segment_fixed_size: 0
    .kernarg_segment_align: 8
    .kernarg_segment_size: 128
    .language:       OpenCL C
    .language_version:
      - 2
      - 0
    .max_flat_workgroup_size: 512
    .name:           _ZN7rocprim17ROCPRIM_400000_NS6detail17trampoline_kernelINS0_14default_configENS1_25partition_config_selectorILNS1_17partition_subalgoE8EsNS0_10empty_typeEbEEZZNS1_14partition_implILS5_8ELb0ES3_jN6thrust23THRUST_200600_302600_NS6detail15normal_iteratorINSA_10device_ptrIsEEEEPS6_PKS6_NS0_5tupleIJSF_S6_EEENSJ_IJSG_SG_EEENS0_18inequality_wrapperI22is_equal_div_10_uniqueIsEEEPmJS6_EEE10hipError_tPvRmT3_T4_T5_T6_T7_T9_mT8_P12ihipStream_tbDpT10_ENKUlT_T0_E_clISt17integral_constantIbLb1EES1A_EEDaS15_S16_EUlS15_E_NS1_11comp_targetILNS1_3genE5ELNS1_11target_archE942ELNS1_3gpuE9ELNS1_3repE0EEENS1_30default_config_static_selectorELNS0_4arch9wavefront6targetE1EEEvT1_
    .private_segment_fixed_size: 0
    .sgpr_count:     4
    .sgpr_spill_count: 0
    .symbol:         _ZN7rocprim17ROCPRIM_400000_NS6detail17trampoline_kernelINS0_14default_configENS1_25partition_config_selectorILNS1_17partition_subalgoE8EsNS0_10empty_typeEbEEZZNS1_14partition_implILS5_8ELb0ES3_jN6thrust23THRUST_200600_302600_NS6detail15normal_iteratorINSA_10device_ptrIsEEEEPS6_PKS6_NS0_5tupleIJSF_S6_EEENSJ_IJSG_SG_EEENS0_18inequality_wrapperI22is_equal_div_10_uniqueIsEEEPmJS6_EEE10hipError_tPvRmT3_T4_T5_T6_T7_T9_mT8_P12ihipStream_tbDpT10_ENKUlT_T0_E_clISt17integral_constantIbLb1EES1A_EEDaS15_S16_EUlS15_E_NS1_11comp_targetILNS1_3genE5ELNS1_11target_archE942ELNS1_3gpuE9ELNS1_3repE0EEENS1_30default_config_static_selectorELNS0_4arch9wavefront6targetE1EEEvT1_.kd
    .uniform_work_group_size: 1
    .uses_dynamic_stack: false
    .vgpr_count:     0
    .vgpr_spill_count: 0
    .wavefront_size: 64
  - .args:
      - .offset:         0
        .size:           128
        .value_kind:     by_value
    .group_segment_fixed_size: 0
    .kernarg_segment_align: 8
    .kernarg_segment_size: 128
    .language:       OpenCL C
    .language_version:
      - 2
      - 0
    .max_flat_workgroup_size: 256
    .name:           _ZN7rocprim17ROCPRIM_400000_NS6detail17trampoline_kernelINS0_14default_configENS1_25partition_config_selectorILNS1_17partition_subalgoE8EsNS0_10empty_typeEbEEZZNS1_14partition_implILS5_8ELb0ES3_jN6thrust23THRUST_200600_302600_NS6detail15normal_iteratorINSA_10device_ptrIsEEEEPS6_PKS6_NS0_5tupleIJSF_S6_EEENSJ_IJSG_SG_EEENS0_18inequality_wrapperI22is_equal_div_10_uniqueIsEEEPmJS6_EEE10hipError_tPvRmT3_T4_T5_T6_T7_T9_mT8_P12ihipStream_tbDpT10_ENKUlT_T0_E_clISt17integral_constantIbLb1EES1A_EEDaS15_S16_EUlS15_E_NS1_11comp_targetILNS1_3genE4ELNS1_11target_archE910ELNS1_3gpuE8ELNS1_3repE0EEENS1_30default_config_static_selectorELNS0_4arch9wavefront6targetE1EEEvT1_
    .private_segment_fixed_size: 0
    .sgpr_count:     4
    .sgpr_spill_count: 0
    .symbol:         _ZN7rocprim17ROCPRIM_400000_NS6detail17trampoline_kernelINS0_14default_configENS1_25partition_config_selectorILNS1_17partition_subalgoE8EsNS0_10empty_typeEbEEZZNS1_14partition_implILS5_8ELb0ES3_jN6thrust23THRUST_200600_302600_NS6detail15normal_iteratorINSA_10device_ptrIsEEEEPS6_PKS6_NS0_5tupleIJSF_S6_EEENSJ_IJSG_SG_EEENS0_18inequality_wrapperI22is_equal_div_10_uniqueIsEEEPmJS6_EEE10hipError_tPvRmT3_T4_T5_T6_T7_T9_mT8_P12ihipStream_tbDpT10_ENKUlT_T0_E_clISt17integral_constantIbLb1EES1A_EEDaS15_S16_EUlS15_E_NS1_11comp_targetILNS1_3genE4ELNS1_11target_archE910ELNS1_3gpuE8ELNS1_3repE0EEENS1_30default_config_static_selectorELNS0_4arch9wavefront6targetE1EEEvT1_.kd
    .uniform_work_group_size: 1
    .uses_dynamic_stack: false
    .vgpr_count:     0
    .vgpr_spill_count: 0
    .wavefront_size: 64
  - .args:
      - .offset:         0
        .size:           128
        .value_kind:     by_value
    .group_segment_fixed_size: 0
    .kernarg_segment_align: 8
    .kernarg_segment_size: 128
    .language:       OpenCL C
    .language_version:
      - 2
      - 0
    .max_flat_workgroup_size: 256
    .name:           _ZN7rocprim17ROCPRIM_400000_NS6detail17trampoline_kernelINS0_14default_configENS1_25partition_config_selectorILNS1_17partition_subalgoE8EsNS0_10empty_typeEbEEZZNS1_14partition_implILS5_8ELb0ES3_jN6thrust23THRUST_200600_302600_NS6detail15normal_iteratorINSA_10device_ptrIsEEEEPS6_PKS6_NS0_5tupleIJSF_S6_EEENSJ_IJSG_SG_EEENS0_18inequality_wrapperI22is_equal_div_10_uniqueIsEEEPmJS6_EEE10hipError_tPvRmT3_T4_T5_T6_T7_T9_mT8_P12ihipStream_tbDpT10_ENKUlT_T0_E_clISt17integral_constantIbLb1EES1A_EEDaS15_S16_EUlS15_E_NS1_11comp_targetILNS1_3genE3ELNS1_11target_archE908ELNS1_3gpuE7ELNS1_3repE0EEENS1_30default_config_static_selectorELNS0_4arch9wavefront6targetE1EEEvT1_
    .private_segment_fixed_size: 0
    .sgpr_count:     4
    .sgpr_spill_count: 0
    .symbol:         _ZN7rocprim17ROCPRIM_400000_NS6detail17trampoline_kernelINS0_14default_configENS1_25partition_config_selectorILNS1_17partition_subalgoE8EsNS0_10empty_typeEbEEZZNS1_14partition_implILS5_8ELb0ES3_jN6thrust23THRUST_200600_302600_NS6detail15normal_iteratorINSA_10device_ptrIsEEEEPS6_PKS6_NS0_5tupleIJSF_S6_EEENSJ_IJSG_SG_EEENS0_18inequality_wrapperI22is_equal_div_10_uniqueIsEEEPmJS6_EEE10hipError_tPvRmT3_T4_T5_T6_T7_T9_mT8_P12ihipStream_tbDpT10_ENKUlT_T0_E_clISt17integral_constantIbLb1EES1A_EEDaS15_S16_EUlS15_E_NS1_11comp_targetILNS1_3genE3ELNS1_11target_archE908ELNS1_3gpuE7ELNS1_3repE0EEENS1_30default_config_static_selectorELNS0_4arch9wavefront6targetE1EEEvT1_.kd
    .uniform_work_group_size: 1
    .uses_dynamic_stack: false
    .vgpr_count:     0
    .vgpr_spill_count: 0
    .wavefront_size: 64
  - .args:
      - .offset:         0
        .size:           128
        .value_kind:     by_value
    .group_segment_fixed_size: 0
    .kernarg_segment_align: 8
    .kernarg_segment_size: 128
    .language:       OpenCL C
    .language_version:
      - 2
      - 0
    .max_flat_workgroup_size: 192
    .name:           _ZN7rocprim17ROCPRIM_400000_NS6detail17trampoline_kernelINS0_14default_configENS1_25partition_config_selectorILNS1_17partition_subalgoE8EsNS0_10empty_typeEbEEZZNS1_14partition_implILS5_8ELb0ES3_jN6thrust23THRUST_200600_302600_NS6detail15normal_iteratorINSA_10device_ptrIsEEEEPS6_PKS6_NS0_5tupleIJSF_S6_EEENSJ_IJSG_SG_EEENS0_18inequality_wrapperI22is_equal_div_10_uniqueIsEEEPmJS6_EEE10hipError_tPvRmT3_T4_T5_T6_T7_T9_mT8_P12ihipStream_tbDpT10_ENKUlT_T0_E_clISt17integral_constantIbLb1EES1A_EEDaS15_S16_EUlS15_E_NS1_11comp_targetILNS1_3genE2ELNS1_11target_archE906ELNS1_3gpuE6ELNS1_3repE0EEENS1_30default_config_static_selectorELNS0_4arch9wavefront6targetE1EEEvT1_
    .private_segment_fixed_size: 0
    .sgpr_count:     4
    .sgpr_spill_count: 0
    .symbol:         _ZN7rocprim17ROCPRIM_400000_NS6detail17trampoline_kernelINS0_14default_configENS1_25partition_config_selectorILNS1_17partition_subalgoE8EsNS0_10empty_typeEbEEZZNS1_14partition_implILS5_8ELb0ES3_jN6thrust23THRUST_200600_302600_NS6detail15normal_iteratorINSA_10device_ptrIsEEEEPS6_PKS6_NS0_5tupleIJSF_S6_EEENSJ_IJSG_SG_EEENS0_18inequality_wrapperI22is_equal_div_10_uniqueIsEEEPmJS6_EEE10hipError_tPvRmT3_T4_T5_T6_T7_T9_mT8_P12ihipStream_tbDpT10_ENKUlT_T0_E_clISt17integral_constantIbLb1EES1A_EEDaS15_S16_EUlS15_E_NS1_11comp_targetILNS1_3genE2ELNS1_11target_archE906ELNS1_3gpuE6ELNS1_3repE0EEENS1_30default_config_static_selectorELNS0_4arch9wavefront6targetE1EEEvT1_.kd
    .uniform_work_group_size: 1
    .uses_dynamic_stack: false
    .vgpr_count:     0
    .vgpr_spill_count: 0
    .wavefront_size: 64
  - .args:
      - .offset:         0
        .size:           128
        .value_kind:     by_value
    .group_segment_fixed_size: 0
    .kernarg_segment_align: 8
    .kernarg_segment_size: 128
    .language:       OpenCL C
    .language_version:
      - 2
      - 0
    .max_flat_workgroup_size: 256
    .name:           _ZN7rocprim17ROCPRIM_400000_NS6detail17trampoline_kernelINS0_14default_configENS1_25partition_config_selectorILNS1_17partition_subalgoE8EsNS0_10empty_typeEbEEZZNS1_14partition_implILS5_8ELb0ES3_jN6thrust23THRUST_200600_302600_NS6detail15normal_iteratorINSA_10device_ptrIsEEEEPS6_PKS6_NS0_5tupleIJSF_S6_EEENSJ_IJSG_SG_EEENS0_18inequality_wrapperI22is_equal_div_10_uniqueIsEEEPmJS6_EEE10hipError_tPvRmT3_T4_T5_T6_T7_T9_mT8_P12ihipStream_tbDpT10_ENKUlT_T0_E_clISt17integral_constantIbLb1EES1A_EEDaS15_S16_EUlS15_E_NS1_11comp_targetILNS1_3genE10ELNS1_11target_archE1200ELNS1_3gpuE4ELNS1_3repE0EEENS1_30default_config_static_selectorELNS0_4arch9wavefront6targetE1EEEvT1_
    .private_segment_fixed_size: 0
    .sgpr_count:     4
    .sgpr_spill_count: 0
    .symbol:         _ZN7rocprim17ROCPRIM_400000_NS6detail17trampoline_kernelINS0_14default_configENS1_25partition_config_selectorILNS1_17partition_subalgoE8EsNS0_10empty_typeEbEEZZNS1_14partition_implILS5_8ELb0ES3_jN6thrust23THRUST_200600_302600_NS6detail15normal_iteratorINSA_10device_ptrIsEEEEPS6_PKS6_NS0_5tupleIJSF_S6_EEENSJ_IJSG_SG_EEENS0_18inequality_wrapperI22is_equal_div_10_uniqueIsEEEPmJS6_EEE10hipError_tPvRmT3_T4_T5_T6_T7_T9_mT8_P12ihipStream_tbDpT10_ENKUlT_T0_E_clISt17integral_constantIbLb1EES1A_EEDaS15_S16_EUlS15_E_NS1_11comp_targetILNS1_3genE10ELNS1_11target_archE1200ELNS1_3gpuE4ELNS1_3repE0EEENS1_30default_config_static_selectorELNS0_4arch9wavefront6targetE1EEEvT1_.kd
    .uniform_work_group_size: 1
    .uses_dynamic_stack: false
    .vgpr_count:     0
    .vgpr_spill_count: 0
    .wavefront_size: 64
  - .args:
      - .offset:         0
        .size:           128
        .value_kind:     by_value
    .group_segment_fixed_size: 0
    .kernarg_segment_align: 8
    .kernarg_segment_size: 128
    .language:       OpenCL C
    .language_version:
      - 2
      - 0
    .max_flat_workgroup_size: 128
    .name:           _ZN7rocprim17ROCPRIM_400000_NS6detail17trampoline_kernelINS0_14default_configENS1_25partition_config_selectorILNS1_17partition_subalgoE8EsNS0_10empty_typeEbEEZZNS1_14partition_implILS5_8ELb0ES3_jN6thrust23THRUST_200600_302600_NS6detail15normal_iteratorINSA_10device_ptrIsEEEEPS6_PKS6_NS0_5tupleIJSF_S6_EEENSJ_IJSG_SG_EEENS0_18inequality_wrapperI22is_equal_div_10_uniqueIsEEEPmJS6_EEE10hipError_tPvRmT3_T4_T5_T6_T7_T9_mT8_P12ihipStream_tbDpT10_ENKUlT_T0_E_clISt17integral_constantIbLb1EES1A_EEDaS15_S16_EUlS15_E_NS1_11comp_targetILNS1_3genE9ELNS1_11target_archE1100ELNS1_3gpuE3ELNS1_3repE0EEENS1_30default_config_static_selectorELNS0_4arch9wavefront6targetE1EEEvT1_
    .private_segment_fixed_size: 0
    .sgpr_count:     4
    .sgpr_spill_count: 0
    .symbol:         _ZN7rocprim17ROCPRIM_400000_NS6detail17trampoline_kernelINS0_14default_configENS1_25partition_config_selectorILNS1_17partition_subalgoE8EsNS0_10empty_typeEbEEZZNS1_14partition_implILS5_8ELb0ES3_jN6thrust23THRUST_200600_302600_NS6detail15normal_iteratorINSA_10device_ptrIsEEEEPS6_PKS6_NS0_5tupleIJSF_S6_EEENSJ_IJSG_SG_EEENS0_18inequality_wrapperI22is_equal_div_10_uniqueIsEEEPmJS6_EEE10hipError_tPvRmT3_T4_T5_T6_T7_T9_mT8_P12ihipStream_tbDpT10_ENKUlT_T0_E_clISt17integral_constantIbLb1EES1A_EEDaS15_S16_EUlS15_E_NS1_11comp_targetILNS1_3genE9ELNS1_11target_archE1100ELNS1_3gpuE3ELNS1_3repE0EEENS1_30default_config_static_selectorELNS0_4arch9wavefront6targetE1EEEvT1_.kd
    .uniform_work_group_size: 1
    .uses_dynamic_stack: false
    .vgpr_count:     0
    .vgpr_spill_count: 0
    .wavefront_size: 64
  - .args:
      - .offset:         0
        .size:           128
        .value_kind:     by_value
    .group_segment_fixed_size: 0
    .kernarg_segment_align: 8
    .kernarg_segment_size: 128
    .language:       OpenCL C
    .language_version:
      - 2
      - 0
    .max_flat_workgroup_size: 384
    .name:           _ZN7rocprim17ROCPRIM_400000_NS6detail17trampoline_kernelINS0_14default_configENS1_25partition_config_selectorILNS1_17partition_subalgoE8EsNS0_10empty_typeEbEEZZNS1_14partition_implILS5_8ELb0ES3_jN6thrust23THRUST_200600_302600_NS6detail15normal_iteratorINSA_10device_ptrIsEEEEPS6_PKS6_NS0_5tupleIJSF_S6_EEENSJ_IJSG_SG_EEENS0_18inequality_wrapperI22is_equal_div_10_uniqueIsEEEPmJS6_EEE10hipError_tPvRmT3_T4_T5_T6_T7_T9_mT8_P12ihipStream_tbDpT10_ENKUlT_T0_E_clISt17integral_constantIbLb1EES1A_EEDaS15_S16_EUlS15_E_NS1_11comp_targetILNS1_3genE8ELNS1_11target_archE1030ELNS1_3gpuE2ELNS1_3repE0EEENS1_30default_config_static_selectorELNS0_4arch9wavefront6targetE1EEEvT1_
    .private_segment_fixed_size: 0
    .sgpr_count:     4
    .sgpr_spill_count: 0
    .symbol:         _ZN7rocprim17ROCPRIM_400000_NS6detail17trampoline_kernelINS0_14default_configENS1_25partition_config_selectorILNS1_17partition_subalgoE8EsNS0_10empty_typeEbEEZZNS1_14partition_implILS5_8ELb0ES3_jN6thrust23THRUST_200600_302600_NS6detail15normal_iteratorINSA_10device_ptrIsEEEEPS6_PKS6_NS0_5tupleIJSF_S6_EEENSJ_IJSG_SG_EEENS0_18inequality_wrapperI22is_equal_div_10_uniqueIsEEEPmJS6_EEE10hipError_tPvRmT3_T4_T5_T6_T7_T9_mT8_P12ihipStream_tbDpT10_ENKUlT_T0_E_clISt17integral_constantIbLb1EES1A_EEDaS15_S16_EUlS15_E_NS1_11comp_targetILNS1_3genE8ELNS1_11target_archE1030ELNS1_3gpuE2ELNS1_3repE0EEENS1_30default_config_static_selectorELNS0_4arch9wavefront6targetE1EEEvT1_.kd
    .uniform_work_group_size: 1
    .uses_dynamic_stack: false
    .vgpr_count:     0
    .vgpr_spill_count: 0
    .wavefront_size: 64
  - .args:
      - .offset:         0
        .size:           112
        .value_kind:     by_value
    .group_segment_fixed_size: 0
    .kernarg_segment_align: 8
    .kernarg_segment_size: 112
    .language:       OpenCL C
    .language_version:
      - 2
      - 0
    .max_flat_workgroup_size: 256
    .name:           _ZN7rocprim17ROCPRIM_400000_NS6detail17trampoline_kernelINS0_14default_configENS1_25partition_config_selectorILNS1_17partition_subalgoE8EsNS0_10empty_typeEbEEZZNS1_14partition_implILS5_8ELb0ES3_jN6thrust23THRUST_200600_302600_NS6detail15normal_iteratorINSA_10device_ptrIsEEEEPS6_PKS6_NS0_5tupleIJSF_S6_EEENSJ_IJSG_SG_EEENS0_18inequality_wrapperI22is_equal_div_10_uniqueIsEEEPmJS6_EEE10hipError_tPvRmT3_T4_T5_T6_T7_T9_mT8_P12ihipStream_tbDpT10_ENKUlT_T0_E_clISt17integral_constantIbLb1EES19_IbLb0EEEEDaS15_S16_EUlS15_E_NS1_11comp_targetILNS1_3genE0ELNS1_11target_archE4294967295ELNS1_3gpuE0ELNS1_3repE0EEENS1_30default_config_static_selectorELNS0_4arch9wavefront6targetE1EEEvT1_
    .private_segment_fixed_size: 0
    .sgpr_count:     4
    .sgpr_spill_count: 0
    .symbol:         _ZN7rocprim17ROCPRIM_400000_NS6detail17trampoline_kernelINS0_14default_configENS1_25partition_config_selectorILNS1_17partition_subalgoE8EsNS0_10empty_typeEbEEZZNS1_14partition_implILS5_8ELb0ES3_jN6thrust23THRUST_200600_302600_NS6detail15normal_iteratorINSA_10device_ptrIsEEEEPS6_PKS6_NS0_5tupleIJSF_S6_EEENSJ_IJSG_SG_EEENS0_18inequality_wrapperI22is_equal_div_10_uniqueIsEEEPmJS6_EEE10hipError_tPvRmT3_T4_T5_T6_T7_T9_mT8_P12ihipStream_tbDpT10_ENKUlT_T0_E_clISt17integral_constantIbLb1EES19_IbLb0EEEEDaS15_S16_EUlS15_E_NS1_11comp_targetILNS1_3genE0ELNS1_11target_archE4294967295ELNS1_3gpuE0ELNS1_3repE0EEENS1_30default_config_static_selectorELNS0_4arch9wavefront6targetE1EEEvT1_.kd
    .uniform_work_group_size: 1
    .uses_dynamic_stack: false
    .vgpr_count:     0
    .vgpr_spill_count: 0
    .wavefront_size: 64
  - .args:
      - .offset:         0
        .size:           112
        .value_kind:     by_value
    .group_segment_fixed_size: 0
    .kernarg_segment_align: 8
    .kernarg_segment_size: 112
    .language:       OpenCL C
    .language_version:
      - 2
      - 0
    .max_flat_workgroup_size: 512
    .name:           _ZN7rocprim17ROCPRIM_400000_NS6detail17trampoline_kernelINS0_14default_configENS1_25partition_config_selectorILNS1_17partition_subalgoE8EsNS0_10empty_typeEbEEZZNS1_14partition_implILS5_8ELb0ES3_jN6thrust23THRUST_200600_302600_NS6detail15normal_iteratorINSA_10device_ptrIsEEEEPS6_PKS6_NS0_5tupleIJSF_S6_EEENSJ_IJSG_SG_EEENS0_18inequality_wrapperI22is_equal_div_10_uniqueIsEEEPmJS6_EEE10hipError_tPvRmT3_T4_T5_T6_T7_T9_mT8_P12ihipStream_tbDpT10_ENKUlT_T0_E_clISt17integral_constantIbLb1EES19_IbLb0EEEEDaS15_S16_EUlS15_E_NS1_11comp_targetILNS1_3genE5ELNS1_11target_archE942ELNS1_3gpuE9ELNS1_3repE0EEENS1_30default_config_static_selectorELNS0_4arch9wavefront6targetE1EEEvT1_
    .private_segment_fixed_size: 0
    .sgpr_count:     4
    .sgpr_spill_count: 0
    .symbol:         _ZN7rocprim17ROCPRIM_400000_NS6detail17trampoline_kernelINS0_14default_configENS1_25partition_config_selectorILNS1_17partition_subalgoE8EsNS0_10empty_typeEbEEZZNS1_14partition_implILS5_8ELb0ES3_jN6thrust23THRUST_200600_302600_NS6detail15normal_iteratorINSA_10device_ptrIsEEEEPS6_PKS6_NS0_5tupleIJSF_S6_EEENSJ_IJSG_SG_EEENS0_18inequality_wrapperI22is_equal_div_10_uniqueIsEEEPmJS6_EEE10hipError_tPvRmT3_T4_T5_T6_T7_T9_mT8_P12ihipStream_tbDpT10_ENKUlT_T0_E_clISt17integral_constantIbLb1EES19_IbLb0EEEEDaS15_S16_EUlS15_E_NS1_11comp_targetILNS1_3genE5ELNS1_11target_archE942ELNS1_3gpuE9ELNS1_3repE0EEENS1_30default_config_static_selectorELNS0_4arch9wavefront6targetE1EEEvT1_.kd
    .uniform_work_group_size: 1
    .uses_dynamic_stack: false
    .vgpr_count:     0
    .vgpr_spill_count: 0
    .wavefront_size: 64
  - .args:
      - .offset:         0
        .size:           112
        .value_kind:     by_value
    .group_segment_fixed_size: 0
    .kernarg_segment_align: 8
    .kernarg_segment_size: 112
    .language:       OpenCL C
    .language_version:
      - 2
      - 0
    .max_flat_workgroup_size: 256
    .name:           _ZN7rocprim17ROCPRIM_400000_NS6detail17trampoline_kernelINS0_14default_configENS1_25partition_config_selectorILNS1_17partition_subalgoE8EsNS0_10empty_typeEbEEZZNS1_14partition_implILS5_8ELb0ES3_jN6thrust23THRUST_200600_302600_NS6detail15normal_iteratorINSA_10device_ptrIsEEEEPS6_PKS6_NS0_5tupleIJSF_S6_EEENSJ_IJSG_SG_EEENS0_18inequality_wrapperI22is_equal_div_10_uniqueIsEEEPmJS6_EEE10hipError_tPvRmT3_T4_T5_T6_T7_T9_mT8_P12ihipStream_tbDpT10_ENKUlT_T0_E_clISt17integral_constantIbLb1EES19_IbLb0EEEEDaS15_S16_EUlS15_E_NS1_11comp_targetILNS1_3genE4ELNS1_11target_archE910ELNS1_3gpuE8ELNS1_3repE0EEENS1_30default_config_static_selectorELNS0_4arch9wavefront6targetE1EEEvT1_
    .private_segment_fixed_size: 0
    .sgpr_count:     4
    .sgpr_spill_count: 0
    .symbol:         _ZN7rocprim17ROCPRIM_400000_NS6detail17trampoline_kernelINS0_14default_configENS1_25partition_config_selectorILNS1_17partition_subalgoE8EsNS0_10empty_typeEbEEZZNS1_14partition_implILS5_8ELb0ES3_jN6thrust23THRUST_200600_302600_NS6detail15normal_iteratorINSA_10device_ptrIsEEEEPS6_PKS6_NS0_5tupleIJSF_S6_EEENSJ_IJSG_SG_EEENS0_18inequality_wrapperI22is_equal_div_10_uniqueIsEEEPmJS6_EEE10hipError_tPvRmT3_T4_T5_T6_T7_T9_mT8_P12ihipStream_tbDpT10_ENKUlT_T0_E_clISt17integral_constantIbLb1EES19_IbLb0EEEEDaS15_S16_EUlS15_E_NS1_11comp_targetILNS1_3genE4ELNS1_11target_archE910ELNS1_3gpuE8ELNS1_3repE0EEENS1_30default_config_static_selectorELNS0_4arch9wavefront6targetE1EEEvT1_.kd
    .uniform_work_group_size: 1
    .uses_dynamic_stack: false
    .vgpr_count:     0
    .vgpr_spill_count: 0
    .wavefront_size: 64
  - .args:
      - .offset:         0
        .size:           112
        .value_kind:     by_value
    .group_segment_fixed_size: 0
    .kernarg_segment_align: 8
    .kernarg_segment_size: 112
    .language:       OpenCL C
    .language_version:
      - 2
      - 0
    .max_flat_workgroup_size: 256
    .name:           _ZN7rocprim17ROCPRIM_400000_NS6detail17trampoline_kernelINS0_14default_configENS1_25partition_config_selectorILNS1_17partition_subalgoE8EsNS0_10empty_typeEbEEZZNS1_14partition_implILS5_8ELb0ES3_jN6thrust23THRUST_200600_302600_NS6detail15normal_iteratorINSA_10device_ptrIsEEEEPS6_PKS6_NS0_5tupleIJSF_S6_EEENSJ_IJSG_SG_EEENS0_18inequality_wrapperI22is_equal_div_10_uniqueIsEEEPmJS6_EEE10hipError_tPvRmT3_T4_T5_T6_T7_T9_mT8_P12ihipStream_tbDpT10_ENKUlT_T0_E_clISt17integral_constantIbLb1EES19_IbLb0EEEEDaS15_S16_EUlS15_E_NS1_11comp_targetILNS1_3genE3ELNS1_11target_archE908ELNS1_3gpuE7ELNS1_3repE0EEENS1_30default_config_static_selectorELNS0_4arch9wavefront6targetE1EEEvT1_
    .private_segment_fixed_size: 0
    .sgpr_count:     4
    .sgpr_spill_count: 0
    .symbol:         _ZN7rocprim17ROCPRIM_400000_NS6detail17trampoline_kernelINS0_14default_configENS1_25partition_config_selectorILNS1_17partition_subalgoE8EsNS0_10empty_typeEbEEZZNS1_14partition_implILS5_8ELb0ES3_jN6thrust23THRUST_200600_302600_NS6detail15normal_iteratorINSA_10device_ptrIsEEEEPS6_PKS6_NS0_5tupleIJSF_S6_EEENSJ_IJSG_SG_EEENS0_18inequality_wrapperI22is_equal_div_10_uniqueIsEEEPmJS6_EEE10hipError_tPvRmT3_T4_T5_T6_T7_T9_mT8_P12ihipStream_tbDpT10_ENKUlT_T0_E_clISt17integral_constantIbLb1EES19_IbLb0EEEEDaS15_S16_EUlS15_E_NS1_11comp_targetILNS1_3genE3ELNS1_11target_archE908ELNS1_3gpuE7ELNS1_3repE0EEENS1_30default_config_static_selectorELNS0_4arch9wavefront6targetE1EEEvT1_.kd
    .uniform_work_group_size: 1
    .uses_dynamic_stack: false
    .vgpr_count:     0
    .vgpr_spill_count: 0
    .wavefront_size: 64
  - .args:
      - .offset:         0
        .size:           112
        .value_kind:     by_value
    .group_segment_fixed_size: 0
    .kernarg_segment_align: 8
    .kernarg_segment_size: 112
    .language:       OpenCL C
    .language_version:
      - 2
      - 0
    .max_flat_workgroup_size: 192
    .name:           _ZN7rocprim17ROCPRIM_400000_NS6detail17trampoline_kernelINS0_14default_configENS1_25partition_config_selectorILNS1_17partition_subalgoE8EsNS0_10empty_typeEbEEZZNS1_14partition_implILS5_8ELb0ES3_jN6thrust23THRUST_200600_302600_NS6detail15normal_iteratorINSA_10device_ptrIsEEEEPS6_PKS6_NS0_5tupleIJSF_S6_EEENSJ_IJSG_SG_EEENS0_18inequality_wrapperI22is_equal_div_10_uniqueIsEEEPmJS6_EEE10hipError_tPvRmT3_T4_T5_T6_T7_T9_mT8_P12ihipStream_tbDpT10_ENKUlT_T0_E_clISt17integral_constantIbLb1EES19_IbLb0EEEEDaS15_S16_EUlS15_E_NS1_11comp_targetILNS1_3genE2ELNS1_11target_archE906ELNS1_3gpuE6ELNS1_3repE0EEENS1_30default_config_static_selectorELNS0_4arch9wavefront6targetE1EEEvT1_
    .private_segment_fixed_size: 0
    .sgpr_count:     4
    .sgpr_spill_count: 0
    .symbol:         _ZN7rocprim17ROCPRIM_400000_NS6detail17trampoline_kernelINS0_14default_configENS1_25partition_config_selectorILNS1_17partition_subalgoE8EsNS0_10empty_typeEbEEZZNS1_14partition_implILS5_8ELb0ES3_jN6thrust23THRUST_200600_302600_NS6detail15normal_iteratorINSA_10device_ptrIsEEEEPS6_PKS6_NS0_5tupleIJSF_S6_EEENSJ_IJSG_SG_EEENS0_18inequality_wrapperI22is_equal_div_10_uniqueIsEEEPmJS6_EEE10hipError_tPvRmT3_T4_T5_T6_T7_T9_mT8_P12ihipStream_tbDpT10_ENKUlT_T0_E_clISt17integral_constantIbLb1EES19_IbLb0EEEEDaS15_S16_EUlS15_E_NS1_11comp_targetILNS1_3genE2ELNS1_11target_archE906ELNS1_3gpuE6ELNS1_3repE0EEENS1_30default_config_static_selectorELNS0_4arch9wavefront6targetE1EEEvT1_.kd
    .uniform_work_group_size: 1
    .uses_dynamic_stack: false
    .vgpr_count:     0
    .vgpr_spill_count: 0
    .wavefront_size: 64
  - .args:
      - .offset:         0
        .size:           112
        .value_kind:     by_value
    .group_segment_fixed_size: 0
    .kernarg_segment_align: 8
    .kernarg_segment_size: 112
    .language:       OpenCL C
    .language_version:
      - 2
      - 0
    .max_flat_workgroup_size: 256
    .name:           _ZN7rocprim17ROCPRIM_400000_NS6detail17trampoline_kernelINS0_14default_configENS1_25partition_config_selectorILNS1_17partition_subalgoE8EsNS0_10empty_typeEbEEZZNS1_14partition_implILS5_8ELb0ES3_jN6thrust23THRUST_200600_302600_NS6detail15normal_iteratorINSA_10device_ptrIsEEEEPS6_PKS6_NS0_5tupleIJSF_S6_EEENSJ_IJSG_SG_EEENS0_18inequality_wrapperI22is_equal_div_10_uniqueIsEEEPmJS6_EEE10hipError_tPvRmT3_T4_T5_T6_T7_T9_mT8_P12ihipStream_tbDpT10_ENKUlT_T0_E_clISt17integral_constantIbLb1EES19_IbLb0EEEEDaS15_S16_EUlS15_E_NS1_11comp_targetILNS1_3genE10ELNS1_11target_archE1200ELNS1_3gpuE4ELNS1_3repE0EEENS1_30default_config_static_selectorELNS0_4arch9wavefront6targetE1EEEvT1_
    .private_segment_fixed_size: 0
    .sgpr_count:     4
    .sgpr_spill_count: 0
    .symbol:         _ZN7rocprim17ROCPRIM_400000_NS6detail17trampoline_kernelINS0_14default_configENS1_25partition_config_selectorILNS1_17partition_subalgoE8EsNS0_10empty_typeEbEEZZNS1_14partition_implILS5_8ELb0ES3_jN6thrust23THRUST_200600_302600_NS6detail15normal_iteratorINSA_10device_ptrIsEEEEPS6_PKS6_NS0_5tupleIJSF_S6_EEENSJ_IJSG_SG_EEENS0_18inequality_wrapperI22is_equal_div_10_uniqueIsEEEPmJS6_EEE10hipError_tPvRmT3_T4_T5_T6_T7_T9_mT8_P12ihipStream_tbDpT10_ENKUlT_T0_E_clISt17integral_constantIbLb1EES19_IbLb0EEEEDaS15_S16_EUlS15_E_NS1_11comp_targetILNS1_3genE10ELNS1_11target_archE1200ELNS1_3gpuE4ELNS1_3repE0EEENS1_30default_config_static_selectorELNS0_4arch9wavefront6targetE1EEEvT1_.kd
    .uniform_work_group_size: 1
    .uses_dynamic_stack: false
    .vgpr_count:     0
    .vgpr_spill_count: 0
    .wavefront_size: 64
  - .args:
      - .offset:         0
        .size:           112
        .value_kind:     by_value
    .group_segment_fixed_size: 0
    .kernarg_segment_align: 8
    .kernarg_segment_size: 112
    .language:       OpenCL C
    .language_version:
      - 2
      - 0
    .max_flat_workgroup_size: 128
    .name:           _ZN7rocprim17ROCPRIM_400000_NS6detail17trampoline_kernelINS0_14default_configENS1_25partition_config_selectorILNS1_17partition_subalgoE8EsNS0_10empty_typeEbEEZZNS1_14partition_implILS5_8ELb0ES3_jN6thrust23THRUST_200600_302600_NS6detail15normal_iteratorINSA_10device_ptrIsEEEEPS6_PKS6_NS0_5tupleIJSF_S6_EEENSJ_IJSG_SG_EEENS0_18inequality_wrapperI22is_equal_div_10_uniqueIsEEEPmJS6_EEE10hipError_tPvRmT3_T4_T5_T6_T7_T9_mT8_P12ihipStream_tbDpT10_ENKUlT_T0_E_clISt17integral_constantIbLb1EES19_IbLb0EEEEDaS15_S16_EUlS15_E_NS1_11comp_targetILNS1_3genE9ELNS1_11target_archE1100ELNS1_3gpuE3ELNS1_3repE0EEENS1_30default_config_static_selectorELNS0_4arch9wavefront6targetE1EEEvT1_
    .private_segment_fixed_size: 0
    .sgpr_count:     4
    .sgpr_spill_count: 0
    .symbol:         _ZN7rocprim17ROCPRIM_400000_NS6detail17trampoline_kernelINS0_14default_configENS1_25partition_config_selectorILNS1_17partition_subalgoE8EsNS0_10empty_typeEbEEZZNS1_14partition_implILS5_8ELb0ES3_jN6thrust23THRUST_200600_302600_NS6detail15normal_iteratorINSA_10device_ptrIsEEEEPS6_PKS6_NS0_5tupleIJSF_S6_EEENSJ_IJSG_SG_EEENS0_18inequality_wrapperI22is_equal_div_10_uniqueIsEEEPmJS6_EEE10hipError_tPvRmT3_T4_T5_T6_T7_T9_mT8_P12ihipStream_tbDpT10_ENKUlT_T0_E_clISt17integral_constantIbLb1EES19_IbLb0EEEEDaS15_S16_EUlS15_E_NS1_11comp_targetILNS1_3genE9ELNS1_11target_archE1100ELNS1_3gpuE3ELNS1_3repE0EEENS1_30default_config_static_selectorELNS0_4arch9wavefront6targetE1EEEvT1_.kd
    .uniform_work_group_size: 1
    .uses_dynamic_stack: false
    .vgpr_count:     0
    .vgpr_spill_count: 0
    .wavefront_size: 64
  - .args:
      - .offset:         0
        .size:           112
        .value_kind:     by_value
    .group_segment_fixed_size: 0
    .kernarg_segment_align: 8
    .kernarg_segment_size: 112
    .language:       OpenCL C
    .language_version:
      - 2
      - 0
    .max_flat_workgroup_size: 384
    .name:           _ZN7rocprim17ROCPRIM_400000_NS6detail17trampoline_kernelINS0_14default_configENS1_25partition_config_selectorILNS1_17partition_subalgoE8EsNS0_10empty_typeEbEEZZNS1_14partition_implILS5_8ELb0ES3_jN6thrust23THRUST_200600_302600_NS6detail15normal_iteratorINSA_10device_ptrIsEEEEPS6_PKS6_NS0_5tupleIJSF_S6_EEENSJ_IJSG_SG_EEENS0_18inequality_wrapperI22is_equal_div_10_uniqueIsEEEPmJS6_EEE10hipError_tPvRmT3_T4_T5_T6_T7_T9_mT8_P12ihipStream_tbDpT10_ENKUlT_T0_E_clISt17integral_constantIbLb1EES19_IbLb0EEEEDaS15_S16_EUlS15_E_NS1_11comp_targetILNS1_3genE8ELNS1_11target_archE1030ELNS1_3gpuE2ELNS1_3repE0EEENS1_30default_config_static_selectorELNS0_4arch9wavefront6targetE1EEEvT1_
    .private_segment_fixed_size: 0
    .sgpr_count:     4
    .sgpr_spill_count: 0
    .symbol:         _ZN7rocprim17ROCPRIM_400000_NS6detail17trampoline_kernelINS0_14default_configENS1_25partition_config_selectorILNS1_17partition_subalgoE8EsNS0_10empty_typeEbEEZZNS1_14partition_implILS5_8ELb0ES3_jN6thrust23THRUST_200600_302600_NS6detail15normal_iteratorINSA_10device_ptrIsEEEEPS6_PKS6_NS0_5tupleIJSF_S6_EEENSJ_IJSG_SG_EEENS0_18inequality_wrapperI22is_equal_div_10_uniqueIsEEEPmJS6_EEE10hipError_tPvRmT3_T4_T5_T6_T7_T9_mT8_P12ihipStream_tbDpT10_ENKUlT_T0_E_clISt17integral_constantIbLb1EES19_IbLb0EEEEDaS15_S16_EUlS15_E_NS1_11comp_targetILNS1_3genE8ELNS1_11target_archE1030ELNS1_3gpuE2ELNS1_3repE0EEENS1_30default_config_static_selectorELNS0_4arch9wavefront6targetE1EEEvT1_.kd
    .uniform_work_group_size: 1
    .uses_dynamic_stack: false
    .vgpr_count:     0
    .vgpr_spill_count: 0
    .wavefront_size: 64
  - .args:
      - .offset:         0
        .size:           128
        .value_kind:     by_value
    .group_segment_fixed_size: 0
    .kernarg_segment_align: 8
    .kernarg_segment_size: 128
    .language:       OpenCL C
    .language_version:
      - 2
      - 0
    .max_flat_workgroup_size: 256
    .name:           _ZN7rocprim17ROCPRIM_400000_NS6detail17trampoline_kernelINS0_14default_configENS1_25partition_config_selectorILNS1_17partition_subalgoE8EsNS0_10empty_typeEbEEZZNS1_14partition_implILS5_8ELb0ES3_jN6thrust23THRUST_200600_302600_NS6detail15normal_iteratorINSA_10device_ptrIsEEEEPS6_PKS6_NS0_5tupleIJSF_S6_EEENSJ_IJSG_SG_EEENS0_18inequality_wrapperI22is_equal_div_10_uniqueIsEEEPmJS6_EEE10hipError_tPvRmT3_T4_T5_T6_T7_T9_mT8_P12ihipStream_tbDpT10_ENKUlT_T0_E_clISt17integral_constantIbLb0EES19_IbLb1EEEEDaS15_S16_EUlS15_E_NS1_11comp_targetILNS1_3genE0ELNS1_11target_archE4294967295ELNS1_3gpuE0ELNS1_3repE0EEENS1_30default_config_static_selectorELNS0_4arch9wavefront6targetE1EEEvT1_
    .private_segment_fixed_size: 0
    .sgpr_count:     4
    .sgpr_spill_count: 0
    .symbol:         _ZN7rocprim17ROCPRIM_400000_NS6detail17trampoline_kernelINS0_14default_configENS1_25partition_config_selectorILNS1_17partition_subalgoE8EsNS0_10empty_typeEbEEZZNS1_14partition_implILS5_8ELb0ES3_jN6thrust23THRUST_200600_302600_NS6detail15normal_iteratorINSA_10device_ptrIsEEEEPS6_PKS6_NS0_5tupleIJSF_S6_EEENSJ_IJSG_SG_EEENS0_18inequality_wrapperI22is_equal_div_10_uniqueIsEEEPmJS6_EEE10hipError_tPvRmT3_T4_T5_T6_T7_T9_mT8_P12ihipStream_tbDpT10_ENKUlT_T0_E_clISt17integral_constantIbLb0EES19_IbLb1EEEEDaS15_S16_EUlS15_E_NS1_11comp_targetILNS1_3genE0ELNS1_11target_archE4294967295ELNS1_3gpuE0ELNS1_3repE0EEENS1_30default_config_static_selectorELNS0_4arch9wavefront6targetE1EEEvT1_.kd
    .uniform_work_group_size: 1
    .uses_dynamic_stack: false
    .vgpr_count:     0
    .vgpr_spill_count: 0
    .wavefront_size: 64
  - .args:
      - .offset:         0
        .size:           128
        .value_kind:     by_value
    .group_segment_fixed_size: 0
    .kernarg_segment_align: 8
    .kernarg_segment_size: 128
    .language:       OpenCL C
    .language_version:
      - 2
      - 0
    .max_flat_workgroup_size: 512
    .name:           _ZN7rocprim17ROCPRIM_400000_NS6detail17trampoline_kernelINS0_14default_configENS1_25partition_config_selectorILNS1_17partition_subalgoE8EsNS0_10empty_typeEbEEZZNS1_14partition_implILS5_8ELb0ES3_jN6thrust23THRUST_200600_302600_NS6detail15normal_iteratorINSA_10device_ptrIsEEEEPS6_PKS6_NS0_5tupleIJSF_S6_EEENSJ_IJSG_SG_EEENS0_18inequality_wrapperI22is_equal_div_10_uniqueIsEEEPmJS6_EEE10hipError_tPvRmT3_T4_T5_T6_T7_T9_mT8_P12ihipStream_tbDpT10_ENKUlT_T0_E_clISt17integral_constantIbLb0EES19_IbLb1EEEEDaS15_S16_EUlS15_E_NS1_11comp_targetILNS1_3genE5ELNS1_11target_archE942ELNS1_3gpuE9ELNS1_3repE0EEENS1_30default_config_static_selectorELNS0_4arch9wavefront6targetE1EEEvT1_
    .private_segment_fixed_size: 0
    .sgpr_count:     4
    .sgpr_spill_count: 0
    .symbol:         _ZN7rocprim17ROCPRIM_400000_NS6detail17trampoline_kernelINS0_14default_configENS1_25partition_config_selectorILNS1_17partition_subalgoE8EsNS0_10empty_typeEbEEZZNS1_14partition_implILS5_8ELb0ES3_jN6thrust23THRUST_200600_302600_NS6detail15normal_iteratorINSA_10device_ptrIsEEEEPS6_PKS6_NS0_5tupleIJSF_S6_EEENSJ_IJSG_SG_EEENS0_18inequality_wrapperI22is_equal_div_10_uniqueIsEEEPmJS6_EEE10hipError_tPvRmT3_T4_T5_T6_T7_T9_mT8_P12ihipStream_tbDpT10_ENKUlT_T0_E_clISt17integral_constantIbLb0EES19_IbLb1EEEEDaS15_S16_EUlS15_E_NS1_11comp_targetILNS1_3genE5ELNS1_11target_archE942ELNS1_3gpuE9ELNS1_3repE0EEENS1_30default_config_static_selectorELNS0_4arch9wavefront6targetE1EEEvT1_.kd
    .uniform_work_group_size: 1
    .uses_dynamic_stack: false
    .vgpr_count:     0
    .vgpr_spill_count: 0
    .wavefront_size: 64
  - .args:
      - .offset:         0
        .size:           128
        .value_kind:     by_value
    .group_segment_fixed_size: 0
    .kernarg_segment_align: 8
    .kernarg_segment_size: 128
    .language:       OpenCL C
    .language_version:
      - 2
      - 0
    .max_flat_workgroup_size: 256
    .name:           _ZN7rocprim17ROCPRIM_400000_NS6detail17trampoline_kernelINS0_14default_configENS1_25partition_config_selectorILNS1_17partition_subalgoE8EsNS0_10empty_typeEbEEZZNS1_14partition_implILS5_8ELb0ES3_jN6thrust23THRUST_200600_302600_NS6detail15normal_iteratorINSA_10device_ptrIsEEEEPS6_PKS6_NS0_5tupleIJSF_S6_EEENSJ_IJSG_SG_EEENS0_18inequality_wrapperI22is_equal_div_10_uniqueIsEEEPmJS6_EEE10hipError_tPvRmT3_T4_T5_T6_T7_T9_mT8_P12ihipStream_tbDpT10_ENKUlT_T0_E_clISt17integral_constantIbLb0EES19_IbLb1EEEEDaS15_S16_EUlS15_E_NS1_11comp_targetILNS1_3genE4ELNS1_11target_archE910ELNS1_3gpuE8ELNS1_3repE0EEENS1_30default_config_static_selectorELNS0_4arch9wavefront6targetE1EEEvT1_
    .private_segment_fixed_size: 0
    .sgpr_count:     4
    .sgpr_spill_count: 0
    .symbol:         _ZN7rocprim17ROCPRIM_400000_NS6detail17trampoline_kernelINS0_14default_configENS1_25partition_config_selectorILNS1_17partition_subalgoE8EsNS0_10empty_typeEbEEZZNS1_14partition_implILS5_8ELb0ES3_jN6thrust23THRUST_200600_302600_NS6detail15normal_iteratorINSA_10device_ptrIsEEEEPS6_PKS6_NS0_5tupleIJSF_S6_EEENSJ_IJSG_SG_EEENS0_18inequality_wrapperI22is_equal_div_10_uniqueIsEEEPmJS6_EEE10hipError_tPvRmT3_T4_T5_T6_T7_T9_mT8_P12ihipStream_tbDpT10_ENKUlT_T0_E_clISt17integral_constantIbLb0EES19_IbLb1EEEEDaS15_S16_EUlS15_E_NS1_11comp_targetILNS1_3genE4ELNS1_11target_archE910ELNS1_3gpuE8ELNS1_3repE0EEENS1_30default_config_static_selectorELNS0_4arch9wavefront6targetE1EEEvT1_.kd
    .uniform_work_group_size: 1
    .uses_dynamic_stack: false
    .vgpr_count:     0
    .vgpr_spill_count: 0
    .wavefront_size: 64
  - .args:
      - .offset:         0
        .size:           128
        .value_kind:     by_value
    .group_segment_fixed_size: 0
    .kernarg_segment_align: 8
    .kernarg_segment_size: 128
    .language:       OpenCL C
    .language_version:
      - 2
      - 0
    .max_flat_workgroup_size: 256
    .name:           _ZN7rocprim17ROCPRIM_400000_NS6detail17trampoline_kernelINS0_14default_configENS1_25partition_config_selectorILNS1_17partition_subalgoE8EsNS0_10empty_typeEbEEZZNS1_14partition_implILS5_8ELb0ES3_jN6thrust23THRUST_200600_302600_NS6detail15normal_iteratorINSA_10device_ptrIsEEEEPS6_PKS6_NS0_5tupleIJSF_S6_EEENSJ_IJSG_SG_EEENS0_18inequality_wrapperI22is_equal_div_10_uniqueIsEEEPmJS6_EEE10hipError_tPvRmT3_T4_T5_T6_T7_T9_mT8_P12ihipStream_tbDpT10_ENKUlT_T0_E_clISt17integral_constantIbLb0EES19_IbLb1EEEEDaS15_S16_EUlS15_E_NS1_11comp_targetILNS1_3genE3ELNS1_11target_archE908ELNS1_3gpuE7ELNS1_3repE0EEENS1_30default_config_static_selectorELNS0_4arch9wavefront6targetE1EEEvT1_
    .private_segment_fixed_size: 0
    .sgpr_count:     4
    .sgpr_spill_count: 0
    .symbol:         _ZN7rocprim17ROCPRIM_400000_NS6detail17trampoline_kernelINS0_14default_configENS1_25partition_config_selectorILNS1_17partition_subalgoE8EsNS0_10empty_typeEbEEZZNS1_14partition_implILS5_8ELb0ES3_jN6thrust23THRUST_200600_302600_NS6detail15normal_iteratorINSA_10device_ptrIsEEEEPS6_PKS6_NS0_5tupleIJSF_S6_EEENSJ_IJSG_SG_EEENS0_18inequality_wrapperI22is_equal_div_10_uniqueIsEEEPmJS6_EEE10hipError_tPvRmT3_T4_T5_T6_T7_T9_mT8_P12ihipStream_tbDpT10_ENKUlT_T0_E_clISt17integral_constantIbLb0EES19_IbLb1EEEEDaS15_S16_EUlS15_E_NS1_11comp_targetILNS1_3genE3ELNS1_11target_archE908ELNS1_3gpuE7ELNS1_3repE0EEENS1_30default_config_static_selectorELNS0_4arch9wavefront6targetE1EEEvT1_.kd
    .uniform_work_group_size: 1
    .uses_dynamic_stack: false
    .vgpr_count:     0
    .vgpr_spill_count: 0
    .wavefront_size: 64
  - .args:
      - .offset:         0
        .size:           128
        .value_kind:     by_value
    .group_segment_fixed_size: 6920
    .kernarg_segment_align: 8
    .kernarg_segment_size: 128
    .language:       OpenCL C
    .language_version:
      - 2
      - 0
    .max_flat_workgroup_size: 192
    .name:           _ZN7rocprim17ROCPRIM_400000_NS6detail17trampoline_kernelINS0_14default_configENS1_25partition_config_selectorILNS1_17partition_subalgoE8EsNS0_10empty_typeEbEEZZNS1_14partition_implILS5_8ELb0ES3_jN6thrust23THRUST_200600_302600_NS6detail15normal_iteratorINSA_10device_ptrIsEEEEPS6_PKS6_NS0_5tupleIJSF_S6_EEENSJ_IJSG_SG_EEENS0_18inequality_wrapperI22is_equal_div_10_uniqueIsEEEPmJS6_EEE10hipError_tPvRmT3_T4_T5_T6_T7_T9_mT8_P12ihipStream_tbDpT10_ENKUlT_T0_E_clISt17integral_constantIbLb0EES19_IbLb1EEEEDaS15_S16_EUlS15_E_NS1_11comp_targetILNS1_3genE2ELNS1_11target_archE906ELNS1_3gpuE6ELNS1_3repE0EEENS1_30default_config_static_selectorELNS0_4arch9wavefront6targetE1EEEvT1_
    .private_segment_fixed_size: 0
    .sgpr_count:     65
    .sgpr_spill_count: 0
    .symbol:         _ZN7rocprim17ROCPRIM_400000_NS6detail17trampoline_kernelINS0_14default_configENS1_25partition_config_selectorILNS1_17partition_subalgoE8EsNS0_10empty_typeEbEEZZNS1_14partition_implILS5_8ELb0ES3_jN6thrust23THRUST_200600_302600_NS6detail15normal_iteratorINSA_10device_ptrIsEEEEPS6_PKS6_NS0_5tupleIJSF_S6_EEENSJ_IJSG_SG_EEENS0_18inequality_wrapperI22is_equal_div_10_uniqueIsEEEPmJS6_EEE10hipError_tPvRmT3_T4_T5_T6_T7_T9_mT8_P12ihipStream_tbDpT10_ENKUlT_T0_E_clISt17integral_constantIbLb0EES19_IbLb1EEEEDaS15_S16_EUlS15_E_NS1_11comp_targetILNS1_3genE2ELNS1_11target_archE906ELNS1_3gpuE6ELNS1_3repE0EEENS1_30default_config_static_selectorELNS0_4arch9wavefront6targetE1EEEvT1_.kd
    .uniform_work_group_size: 1
    .uses_dynamic_stack: false
    .vgpr_count:     84
    .vgpr_spill_count: 0
    .wavefront_size: 64
  - .args:
      - .offset:         0
        .size:           128
        .value_kind:     by_value
    .group_segment_fixed_size: 0
    .kernarg_segment_align: 8
    .kernarg_segment_size: 128
    .language:       OpenCL C
    .language_version:
      - 2
      - 0
    .max_flat_workgroup_size: 256
    .name:           _ZN7rocprim17ROCPRIM_400000_NS6detail17trampoline_kernelINS0_14default_configENS1_25partition_config_selectorILNS1_17partition_subalgoE8EsNS0_10empty_typeEbEEZZNS1_14partition_implILS5_8ELb0ES3_jN6thrust23THRUST_200600_302600_NS6detail15normal_iteratorINSA_10device_ptrIsEEEEPS6_PKS6_NS0_5tupleIJSF_S6_EEENSJ_IJSG_SG_EEENS0_18inequality_wrapperI22is_equal_div_10_uniqueIsEEEPmJS6_EEE10hipError_tPvRmT3_T4_T5_T6_T7_T9_mT8_P12ihipStream_tbDpT10_ENKUlT_T0_E_clISt17integral_constantIbLb0EES19_IbLb1EEEEDaS15_S16_EUlS15_E_NS1_11comp_targetILNS1_3genE10ELNS1_11target_archE1200ELNS1_3gpuE4ELNS1_3repE0EEENS1_30default_config_static_selectorELNS0_4arch9wavefront6targetE1EEEvT1_
    .private_segment_fixed_size: 0
    .sgpr_count:     4
    .sgpr_spill_count: 0
    .symbol:         _ZN7rocprim17ROCPRIM_400000_NS6detail17trampoline_kernelINS0_14default_configENS1_25partition_config_selectorILNS1_17partition_subalgoE8EsNS0_10empty_typeEbEEZZNS1_14partition_implILS5_8ELb0ES3_jN6thrust23THRUST_200600_302600_NS6detail15normal_iteratorINSA_10device_ptrIsEEEEPS6_PKS6_NS0_5tupleIJSF_S6_EEENSJ_IJSG_SG_EEENS0_18inequality_wrapperI22is_equal_div_10_uniqueIsEEEPmJS6_EEE10hipError_tPvRmT3_T4_T5_T6_T7_T9_mT8_P12ihipStream_tbDpT10_ENKUlT_T0_E_clISt17integral_constantIbLb0EES19_IbLb1EEEEDaS15_S16_EUlS15_E_NS1_11comp_targetILNS1_3genE10ELNS1_11target_archE1200ELNS1_3gpuE4ELNS1_3repE0EEENS1_30default_config_static_selectorELNS0_4arch9wavefront6targetE1EEEvT1_.kd
    .uniform_work_group_size: 1
    .uses_dynamic_stack: false
    .vgpr_count:     0
    .vgpr_spill_count: 0
    .wavefront_size: 64
  - .args:
      - .offset:         0
        .size:           128
        .value_kind:     by_value
    .group_segment_fixed_size: 0
    .kernarg_segment_align: 8
    .kernarg_segment_size: 128
    .language:       OpenCL C
    .language_version:
      - 2
      - 0
    .max_flat_workgroup_size: 128
    .name:           _ZN7rocprim17ROCPRIM_400000_NS6detail17trampoline_kernelINS0_14default_configENS1_25partition_config_selectorILNS1_17partition_subalgoE8EsNS0_10empty_typeEbEEZZNS1_14partition_implILS5_8ELb0ES3_jN6thrust23THRUST_200600_302600_NS6detail15normal_iteratorINSA_10device_ptrIsEEEEPS6_PKS6_NS0_5tupleIJSF_S6_EEENSJ_IJSG_SG_EEENS0_18inequality_wrapperI22is_equal_div_10_uniqueIsEEEPmJS6_EEE10hipError_tPvRmT3_T4_T5_T6_T7_T9_mT8_P12ihipStream_tbDpT10_ENKUlT_T0_E_clISt17integral_constantIbLb0EES19_IbLb1EEEEDaS15_S16_EUlS15_E_NS1_11comp_targetILNS1_3genE9ELNS1_11target_archE1100ELNS1_3gpuE3ELNS1_3repE0EEENS1_30default_config_static_selectorELNS0_4arch9wavefront6targetE1EEEvT1_
    .private_segment_fixed_size: 0
    .sgpr_count:     4
    .sgpr_spill_count: 0
    .symbol:         _ZN7rocprim17ROCPRIM_400000_NS6detail17trampoline_kernelINS0_14default_configENS1_25partition_config_selectorILNS1_17partition_subalgoE8EsNS0_10empty_typeEbEEZZNS1_14partition_implILS5_8ELb0ES3_jN6thrust23THRUST_200600_302600_NS6detail15normal_iteratorINSA_10device_ptrIsEEEEPS6_PKS6_NS0_5tupleIJSF_S6_EEENSJ_IJSG_SG_EEENS0_18inequality_wrapperI22is_equal_div_10_uniqueIsEEEPmJS6_EEE10hipError_tPvRmT3_T4_T5_T6_T7_T9_mT8_P12ihipStream_tbDpT10_ENKUlT_T0_E_clISt17integral_constantIbLb0EES19_IbLb1EEEEDaS15_S16_EUlS15_E_NS1_11comp_targetILNS1_3genE9ELNS1_11target_archE1100ELNS1_3gpuE3ELNS1_3repE0EEENS1_30default_config_static_selectorELNS0_4arch9wavefront6targetE1EEEvT1_.kd
    .uniform_work_group_size: 1
    .uses_dynamic_stack: false
    .vgpr_count:     0
    .vgpr_spill_count: 0
    .wavefront_size: 64
  - .args:
      - .offset:         0
        .size:           128
        .value_kind:     by_value
    .group_segment_fixed_size: 0
    .kernarg_segment_align: 8
    .kernarg_segment_size: 128
    .language:       OpenCL C
    .language_version:
      - 2
      - 0
    .max_flat_workgroup_size: 384
    .name:           _ZN7rocprim17ROCPRIM_400000_NS6detail17trampoline_kernelINS0_14default_configENS1_25partition_config_selectorILNS1_17partition_subalgoE8EsNS0_10empty_typeEbEEZZNS1_14partition_implILS5_8ELb0ES3_jN6thrust23THRUST_200600_302600_NS6detail15normal_iteratorINSA_10device_ptrIsEEEEPS6_PKS6_NS0_5tupleIJSF_S6_EEENSJ_IJSG_SG_EEENS0_18inequality_wrapperI22is_equal_div_10_uniqueIsEEEPmJS6_EEE10hipError_tPvRmT3_T4_T5_T6_T7_T9_mT8_P12ihipStream_tbDpT10_ENKUlT_T0_E_clISt17integral_constantIbLb0EES19_IbLb1EEEEDaS15_S16_EUlS15_E_NS1_11comp_targetILNS1_3genE8ELNS1_11target_archE1030ELNS1_3gpuE2ELNS1_3repE0EEENS1_30default_config_static_selectorELNS0_4arch9wavefront6targetE1EEEvT1_
    .private_segment_fixed_size: 0
    .sgpr_count:     4
    .sgpr_spill_count: 0
    .symbol:         _ZN7rocprim17ROCPRIM_400000_NS6detail17trampoline_kernelINS0_14default_configENS1_25partition_config_selectorILNS1_17partition_subalgoE8EsNS0_10empty_typeEbEEZZNS1_14partition_implILS5_8ELb0ES3_jN6thrust23THRUST_200600_302600_NS6detail15normal_iteratorINSA_10device_ptrIsEEEEPS6_PKS6_NS0_5tupleIJSF_S6_EEENSJ_IJSG_SG_EEENS0_18inequality_wrapperI22is_equal_div_10_uniqueIsEEEPmJS6_EEE10hipError_tPvRmT3_T4_T5_T6_T7_T9_mT8_P12ihipStream_tbDpT10_ENKUlT_T0_E_clISt17integral_constantIbLb0EES19_IbLb1EEEEDaS15_S16_EUlS15_E_NS1_11comp_targetILNS1_3genE8ELNS1_11target_archE1030ELNS1_3gpuE2ELNS1_3repE0EEENS1_30default_config_static_selectorELNS0_4arch9wavefront6targetE1EEEvT1_.kd
    .uniform_work_group_size: 1
    .uses_dynamic_stack: false
    .vgpr_count:     0
    .vgpr_spill_count: 0
    .wavefront_size: 64
  - .args:
      - .offset:         0
        .size:           120
        .value_kind:     by_value
    .group_segment_fixed_size: 0
    .kernarg_segment_align: 8
    .kernarg_segment_size: 120
    .language:       OpenCL C
    .language_version:
      - 2
      - 0
    .max_flat_workgroup_size: 512
    .name:           _ZN7rocprim17ROCPRIM_400000_NS6detail17trampoline_kernelINS0_14default_configENS1_25partition_config_selectorILNS1_17partition_subalgoE8EyNS0_10empty_typeEbEEZZNS1_14partition_implILS5_8ELb0ES3_jN6thrust23THRUST_200600_302600_NS6detail15normal_iteratorINSA_10device_ptrIyEEEEPS6_PKS6_NS0_5tupleIJNSA_16discard_iteratorINSA_11use_defaultEEES6_EEENSJ_IJSG_SG_EEENS0_18inequality_wrapperINSA_8equal_toIyEEEEPmJS6_EEE10hipError_tPvRmT3_T4_T5_T6_T7_T9_mT8_P12ihipStream_tbDpT10_ENKUlT_T0_E_clISt17integral_constantIbLb0EES1D_EEDaS18_S19_EUlS18_E_NS1_11comp_targetILNS1_3genE0ELNS1_11target_archE4294967295ELNS1_3gpuE0ELNS1_3repE0EEENS1_30default_config_static_selectorELNS0_4arch9wavefront6targetE1EEEvT1_
    .private_segment_fixed_size: 0
    .sgpr_count:     4
    .sgpr_spill_count: 0
    .symbol:         _ZN7rocprim17ROCPRIM_400000_NS6detail17trampoline_kernelINS0_14default_configENS1_25partition_config_selectorILNS1_17partition_subalgoE8EyNS0_10empty_typeEbEEZZNS1_14partition_implILS5_8ELb0ES3_jN6thrust23THRUST_200600_302600_NS6detail15normal_iteratorINSA_10device_ptrIyEEEEPS6_PKS6_NS0_5tupleIJNSA_16discard_iteratorINSA_11use_defaultEEES6_EEENSJ_IJSG_SG_EEENS0_18inequality_wrapperINSA_8equal_toIyEEEEPmJS6_EEE10hipError_tPvRmT3_T4_T5_T6_T7_T9_mT8_P12ihipStream_tbDpT10_ENKUlT_T0_E_clISt17integral_constantIbLb0EES1D_EEDaS18_S19_EUlS18_E_NS1_11comp_targetILNS1_3genE0ELNS1_11target_archE4294967295ELNS1_3gpuE0ELNS1_3repE0EEENS1_30default_config_static_selectorELNS0_4arch9wavefront6targetE1EEEvT1_.kd
    .uniform_work_group_size: 1
    .uses_dynamic_stack: false
    .vgpr_count:     0
    .vgpr_spill_count: 0
    .wavefront_size: 64
  - .args:
      - .offset:         0
        .size:           120
        .value_kind:     by_value
    .group_segment_fixed_size: 0
    .kernarg_segment_align: 8
    .kernarg_segment_size: 120
    .language:       OpenCL C
    .language_version:
      - 2
      - 0
    .max_flat_workgroup_size: 512
    .name:           _ZN7rocprim17ROCPRIM_400000_NS6detail17trampoline_kernelINS0_14default_configENS1_25partition_config_selectorILNS1_17partition_subalgoE8EyNS0_10empty_typeEbEEZZNS1_14partition_implILS5_8ELb0ES3_jN6thrust23THRUST_200600_302600_NS6detail15normal_iteratorINSA_10device_ptrIyEEEEPS6_PKS6_NS0_5tupleIJNSA_16discard_iteratorINSA_11use_defaultEEES6_EEENSJ_IJSG_SG_EEENS0_18inequality_wrapperINSA_8equal_toIyEEEEPmJS6_EEE10hipError_tPvRmT3_T4_T5_T6_T7_T9_mT8_P12ihipStream_tbDpT10_ENKUlT_T0_E_clISt17integral_constantIbLb0EES1D_EEDaS18_S19_EUlS18_E_NS1_11comp_targetILNS1_3genE5ELNS1_11target_archE942ELNS1_3gpuE9ELNS1_3repE0EEENS1_30default_config_static_selectorELNS0_4arch9wavefront6targetE1EEEvT1_
    .private_segment_fixed_size: 0
    .sgpr_count:     4
    .sgpr_spill_count: 0
    .symbol:         _ZN7rocprim17ROCPRIM_400000_NS6detail17trampoline_kernelINS0_14default_configENS1_25partition_config_selectorILNS1_17partition_subalgoE8EyNS0_10empty_typeEbEEZZNS1_14partition_implILS5_8ELb0ES3_jN6thrust23THRUST_200600_302600_NS6detail15normal_iteratorINSA_10device_ptrIyEEEEPS6_PKS6_NS0_5tupleIJNSA_16discard_iteratorINSA_11use_defaultEEES6_EEENSJ_IJSG_SG_EEENS0_18inequality_wrapperINSA_8equal_toIyEEEEPmJS6_EEE10hipError_tPvRmT3_T4_T5_T6_T7_T9_mT8_P12ihipStream_tbDpT10_ENKUlT_T0_E_clISt17integral_constantIbLb0EES1D_EEDaS18_S19_EUlS18_E_NS1_11comp_targetILNS1_3genE5ELNS1_11target_archE942ELNS1_3gpuE9ELNS1_3repE0EEENS1_30default_config_static_selectorELNS0_4arch9wavefront6targetE1EEEvT1_.kd
    .uniform_work_group_size: 1
    .uses_dynamic_stack: false
    .vgpr_count:     0
    .vgpr_spill_count: 0
    .wavefront_size: 64
  - .args:
      - .offset:         0
        .size:           120
        .value_kind:     by_value
    .group_segment_fixed_size: 0
    .kernarg_segment_align: 8
    .kernarg_segment_size: 120
    .language:       OpenCL C
    .language_version:
      - 2
      - 0
    .max_flat_workgroup_size: 256
    .name:           _ZN7rocprim17ROCPRIM_400000_NS6detail17trampoline_kernelINS0_14default_configENS1_25partition_config_selectorILNS1_17partition_subalgoE8EyNS0_10empty_typeEbEEZZNS1_14partition_implILS5_8ELb0ES3_jN6thrust23THRUST_200600_302600_NS6detail15normal_iteratorINSA_10device_ptrIyEEEEPS6_PKS6_NS0_5tupleIJNSA_16discard_iteratorINSA_11use_defaultEEES6_EEENSJ_IJSG_SG_EEENS0_18inequality_wrapperINSA_8equal_toIyEEEEPmJS6_EEE10hipError_tPvRmT3_T4_T5_T6_T7_T9_mT8_P12ihipStream_tbDpT10_ENKUlT_T0_E_clISt17integral_constantIbLb0EES1D_EEDaS18_S19_EUlS18_E_NS1_11comp_targetILNS1_3genE4ELNS1_11target_archE910ELNS1_3gpuE8ELNS1_3repE0EEENS1_30default_config_static_selectorELNS0_4arch9wavefront6targetE1EEEvT1_
    .private_segment_fixed_size: 0
    .sgpr_count:     4
    .sgpr_spill_count: 0
    .symbol:         _ZN7rocprim17ROCPRIM_400000_NS6detail17trampoline_kernelINS0_14default_configENS1_25partition_config_selectorILNS1_17partition_subalgoE8EyNS0_10empty_typeEbEEZZNS1_14partition_implILS5_8ELb0ES3_jN6thrust23THRUST_200600_302600_NS6detail15normal_iteratorINSA_10device_ptrIyEEEEPS6_PKS6_NS0_5tupleIJNSA_16discard_iteratorINSA_11use_defaultEEES6_EEENSJ_IJSG_SG_EEENS0_18inequality_wrapperINSA_8equal_toIyEEEEPmJS6_EEE10hipError_tPvRmT3_T4_T5_T6_T7_T9_mT8_P12ihipStream_tbDpT10_ENKUlT_T0_E_clISt17integral_constantIbLb0EES1D_EEDaS18_S19_EUlS18_E_NS1_11comp_targetILNS1_3genE4ELNS1_11target_archE910ELNS1_3gpuE8ELNS1_3repE0EEENS1_30default_config_static_selectorELNS0_4arch9wavefront6targetE1EEEvT1_.kd
    .uniform_work_group_size: 1
    .uses_dynamic_stack: false
    .vgpr_count:     0
    .vgpr_spill_count: 0
    .wavefront_size: 64
  - .args:
      - .offset:         0
        .size:           120
        .value_kind:     by_value
    .group_segment_fixed_size: 0
    .kernarg_segment_align: 8
    .kernarg_segment_size: 120
    .language:       OpenCL C
    .language_version:
      - 2
      - 0
    .max_flat_workgroup_size: 512
    .name:           _ZN7rocprim17ROCPRIM_400000_NS6detail17trampoline_kernelINS0_14default_configENS1_25partition_config_selectorILNS1_17partition_subalgoE8EyNS0_10empty_typeEbEEZZNS1_14partition_implILS5_8ELb0ES3_jN6thrust23THRUST_200600_302600_NS6detail15normal_iteratorINSA_10device_ptrIyEEEEPS6_PKS6_NS0_5tupleIJNSA_16discard_iteratorINSA_11use_defaultEEES6_EEENSJ_IJSG_SG_EEENS0_18inequality_wrapperINSA_8equal_toIyEEEEPmJS6_EEE10hipError_tPvRmT3_T4_T5_T6_T7_T9_mT8_P12ihipStream_tbDpT10_ENKUlT_T0_E_clISt17integral_constantIbLb0EES1D_EEDaS18_S19_EUlS18_E_NS1_11comp_targetILNS1_3genE3ELNS1_11target_archE908ELNS1_3gpuE7ELNS1_3repE0EEENS1_30default_config_static_selectorELNS0_4arch9wavefront6targetE1EEEvT1_
    .private_segment_fixed_size: 0
    .sgpr_count:     4
    .sgpr_spill_count: 0
    .symbol:         _ZN7rocprim17ROCPRIM_400000_NS6detail17trampoline_kernelINS0_14default_configENS1_25partition_config_selectorILNS1_17partition_subalgoE8EyNS0_10empty_typeEbEEZZNS1_14partition_implILS5_8ELb0ES3_jN6thrust23THRUST_200600_302600_NS6detail15normal_iteratorINSA_10device_ptrIyEEEEPS6_PKS6_NS0_5tupleIJNSA_16discard_iteratorINSA_11use_defaultEEES6_EEENSJ_IJSG_SG_EEENS0_18inequality_wrapperINSA_8equal_toIyEEEEPmJS6_EEE10hipError_tPvRmT3_T4_T5_T6_T7_T9_mT8_P12ihipStream_tbDpT10_ENKUlT_T0_E_clISt17integral_constantIbLb0EES1D_EEDaS18_S19_EUlS18_E_NS1_11comp_targetILNS1_3genE3ELNS1_11target_archE908ELNS1_3gpuE7ELNS1_3repE0EEENS1_30default_config_static_selectorELNS0_4arch9wavefront6targetE1EEEvT1_.kd
    .uniform_work_group_size: 1
    .uses_dynamic_stack: false
    .vgpr_count:     0
    .vgpr_spill_count: 0
    .wavefront_size: 64
  - .args:
      - .offset:         0
        .size:           120
        .value_kind:     by_value
    .group_segment_fixed_size: 14344
    .kernarg_segment_align: 8
    .kernarg_segment_size: 120
    .language:       OpenCL C
    .language_version:
      - 2
      - 0
    .max_flat_workgroup_size: 256
    .name:           _ZN7rocprim17ROCPRIM_400000_NS6detail17trampoline_kernelINS0_14default_configENS1_25partition_config_selectorILNS1_17partition_subalgoE8EyNS0_10empty_typeEbEEZZNS1_14partition_implILS5_8ELb0ES3_jN6thrust23THRUST_200600_302600_NS6detail15normal_iteratorINSA_10device_ptrIyEEEEPS6_PKS6_NS0_5tupleIJNSA_16discard_iteratorINSA_11use_defaultEEES6_EEENSJ_IJSG_SG_EEENS0_18inequality_wrapperINSA_8equal_toIyEEEEPmJS6_EEE10hipError_tPvRmT3_T4_T5_T6_T7_T9_mT8_P12ihipStream_tbDpT10_ENKUlT_T0_E_clISt17integral_constantIbLb0EES1D_EEDaS18_S19_EUlS18_E_NS1_11comp_targetILNS1_3genE2ELNS1_11target_archE906ELNS1_3gpuE6ELNS1_3repE0EEENS1_30default_config_static_selectorELNS0_4arch9wavefront6targetE1EEEvT1_
    .private_segment_fixed_size: 0
    .sgpr_count:     40
    .sgpr_spill_count: 0
    .symbol:         _ZN7rocprim17ROCPRIM_400000_NS6detail17trampoline_kernelINS0_14default_configENS1_25partition_config_selectorILNS1_17partition_subalgoE8EyNS0_10empty_typeEbEEZZNS1_14partition_implILS5_8ELb0ES3_jN6thrust23THRUST_200600_302600_NS6detail15normal_iteratorINSA_10device_ptrIyEEEEPS6_PKS6_NS0_5tupleIJNSA_16discard_iteratorINSA_11use_defaultEEES6_EEENSJ_IJSG_SG_EEENS0_18inequality_wrapperINSA_8equal_toIyEEEEPmJS6_EEE10hipError_tPvRmT3_T4_T5_T6_T7_T9_mT8_P12ihipStream_tbDpT10_ENKUlT_T0_E_clISt17integral_constantIbLb0EES1D_EEDaS18_S19_EUlS18_E_NS1_11comp_targetILNS1_3genE2ELNS1_11target_archE906ELNS1_3gpuE6ELNS1_3repE0EEENS1_30default_config_static_selectorELNS0_4arch9wavefront6targetE1EEEvT1_.kd
    .uniform_work_group_size: 1
    .uses_dynamic_stack: false
    .vgpr_count:     57
    .vgpr_spill_count: 0
    .wavefront_size: 64
  - .args:
      - .offset:         0
        .size:           120
        .value_kind:     by_value
    .group_segment_fixed_size: 0
    .kernarg_segment_align: 8
    .kernarg_segment_size: 120
    .language:       OpenCL C
    .language_version:
      - 2
      - 0
    .max_flat_workgroup_size: 384
    .name:           _ZN7rocprim17ROCPRIM_400000_NS6detail17trampoline_kernelINS0_14default_configENS1_25partition_config_selectorILNS1_17partition_subalgoE8EyNS0_10empty_typeEbEEZZNS1_14partition_implILS5_8ELb0ES3_jN6thrust23THRUST_200600_302600_NS6detail15normal_iteratorINSA_10device_ptrIyEEEEPS6_PKS6_NS0_5tupleIJNSA_16discard_iteratorINSA_11use_defaultEEES6_EEENSJ_IJSG_SG_EEENS0_18inequality_wrapperINSA_8equal_toIyEEEEPmJS6_EEE10hipError_tPvRmT3_T4_T5_T6_T7_T9_mT8_P12ihipStream_tbDpT10_ENKUlT_T0_E_clISt17integral_constantIbLb0EES1D_EEDaS18_S19_EUlS18_E_NS1_11comp_targetILNS1_3genE10ELNS1_11target_archE1200ELNS1_3gpuE4ELNS1_3repE0EEENS1_30default_config_static_selectorELNS0_4arch9wavefront6targetE1EEEvT1_
    .private_segment_fixed_size: 0
    .sgpr_count:     4
    .sgpr_spill_count: 0
    .symbol:         _ZN7rocprim17ROCPRIM_400000_NS6detail17trampoline_kernelINS0_14default_configENS1_25partition_config_selectorILNS1_17partition_subalgoE8EyNS0_10empty_typeEbEEZZNS1_14partition_implILS5_8ELb0ES3_jN6thrust23THRUST_200600_302600_NS6detail15normal_iteratorINSA_10device_ptrIyEEEEPS6_PKS6_NS0_5tupleIJNSA_16discard_iteratorINSA_11use_defaultEEES6_EEENSJ_IJSG_SG_EEENS0_18inequality_wrapperINSA_8equal_toIyEEEEPmJS6_EEE10hipError_tPvRmT3_T4_T5_T6_T7_T9_mT8_P12ihipStream_tbDpT10_ENKUlT_T0_E_clISt17integral_constantIbLb0EES1D_EEDaS18_S19_EUlS18_E_NS1_11comp_targetILNS1_3genE10ELNS1_11target_archE1200ELNS1_3gpuE4ELNS1_3repE0EEENS1_30default_config_static_selectorELNS0_4arch9wavefront6targetE1EEEvT1_.kd
    .uniform_work_group_size: 1
    .uses_dynamic_stack: false
    .vgpr_count:     0
    .vgpr_spill_count: 0
    .wavefront_size: 64
  - .args:
      - .offset:         0
        .size:           120
        .value_kind:     by_value
    .group_segment_fixed_size: 0
    .kernarg_segment_align: 8
    .kernarg_segment_size: 120
    .language:       OpenCL C
    .language_version:
      - 2
      - 0
    .max_flat_workgroup_size: 512
    .name:           _ZN7rocprim17ROCPRIM_400000_NS6detail17trampoline_kernelINS0_14default_configENS1_25partition_config_selectorILNS1_17partition_subalgoE8EyNS0_10empty_typeEbEEZZNS1_14partition_implILS5_8ELb0ES3_jN6thrust23THRUST_200600_302600_NS6detail15normal_iteratorINSA_10device_ptrIyEEEEPS6_PKS6_NS0_5tupleIJNSA_16discard_iteratorINSA_11use_defaultEEES6_EEENSJ_IJSG_SG_EEENS0_18inequality_wrapperINSA_8equal_toIyEEEEPmJS6_EEE10hipError_tPvRmT3_T4_T5_T6_T7_T9_mT8_P12ihipStream_tbDpT10_ENKUlT_T0_E_clISt17integral_constantIbLb0EES1D_EEDaS18_S19_EUlS18_E_NS1_11comp_targetILNS1_3genE9ELNS1_11target_archE1100ELNS1_3gpuE3ELNS1_3repE0EEENS1_30default_config_static_selectorELNS0_4arch9wavefront6targetE1EEEvT1_
    .private_segment_fixed_size: 0
    .sgpr_count:     4
    .sgpr_spill_count: 0
    .symbol:         _ZN7rocprim17ROCPRIM_400000_NS6detail17trampoline_kernelINS0_14default_configENS1_25partition_config_selectorILNS1_17partition_subalgoE8EyNS0_10empty_typeEbEEZZNS1_14partition_implILS5_8ELb0ES3_jN6thrust23THRUST_200600_302600_NS6detail15normal_iteratorINSA_10device_ptrIyEEEEPS6_PKS6_NS0_5tupleIJNSA_16discard_iteratorINSA_11use_defaultEEES6_EEENSJ_IJSG_SG_EEENS0_18inequality_wrapperINSA_8equal_toIyEEEEPmJS6_EEE10hipError_tPvRmT3_T4_T5_T6_T7_T9_mT8_P12ihipStream_tbDpT10_ENKUlT_T0_E_clISt17integral_constantIbLb0EES1D_EEDaS18_S19_EUlS18_E_NS1_11comp_targetILNS1_3genE9ELNS1_11target_archE1100ELNS1_3gpuE3ELNS1_3repE0EEENS1_30default_config_static_selectorELNS0_4arch9wavefront6targetE1EEEvT1_.kd
    .uniform_work_group_size: 1
    .uses_dynamic_stack: false
    .vgpr_count:     0
    .vgpr_spill_count: 0
    .wavefront_size: 64
  - .args:
      - .offset:         0
        .size:           120
        .value_kind:     by_value
    .group_segment_fixed_size: 0
    .kernarg_segment_align: 8
    .kernarg_segment_size: 120
    .language:       OpenCL C
    .language_version:
      - 2
      - 0
    .max_flat_workgroup_size: 512
    .name:           _ZN7rocprim17ROCPRIM_400000_NS6detail17trampoline_kernelINS0_14default_configENS1_25partition_config_selectorILNS1_17partition_subalgoE8EyNS0_10empty_typeEbEEZZNS1_14partition_implILS5_8ELb0ES3_jN6thrust23THRUST_200600_302600_NS6detail15normal_iteratorINSA_10device_ptrIyEEEEPS6_PKS6_NS0_5tupleIJNSA_16discard_iteratorINSA_11use_defaultEEES6_EEENSJ_IJSG_SG_EEENS0_18inequality_wrapperINSA_8equal_toIyEEEEPmJS6_EEE10hipError_tPvRmT3_T4_T5_T6_T7_T9_mT8_P12ihipStream_tbDpT10_ENKUlT_T0_E_clISt17integral_constantIbLb0EES1D_EEDaS18_S19_EUlS18_E_NS1_11comp_targetILNS1_3genE8ELNS1_11target_archE1030ELNS1_3gpuE2ELNS1_3repE0EEENS1_30default_config_static_selectorELNS0_4arch9wavefront6targetE1EEEvT1_
    .private_segment_fixed_size: 0
    .sgpr_count:     4
    .sgpr_spill_count: 0
    .symbol:         _ZN7rocprim17ROCPRIM_400000_NS6detail17trampoline_kernelINS0_14default_configENS1_25partition_config_selectorILNS1_17partition_subalgoE8EyNS0_10empty_typeEbEEZZNS1_14partition_implILS5_8ELb0ES3_jN6thrust23THRUST_200600_302600_NS6detail15normal_iteratorINSA_10device_ptrIyEEEEPS6_PKS6_NS0_5tupleIJNSA_16discard_iteratorINSA_11use_defaultEEES6_EEENSJ_IJSG_SG_EEENS0_18inequality_wrapperINSA_8equal_toIyEEEEPmJS6_EEE10hipError_tPvRmT3_T4_T5_T6_T7_T9_mT8_P12ihipStream_tbDpT10_ENKUlT_T0_E_clISt17integral_constantIbLb0EES1D_EEDaS18_S19_EUlS18_E_NS1_11comp_targetILNS1_3genE8ELNS1_11target_archE1030ELNS1_3gpuE2ELNS1_3repE0EEENS1_30default_config_static_selectorELNS0_4arch9wavefront6targetE1EEEvT1_.kd
    .uniform_work_group_size: 1
    .uses_dynamic_stack: false
    .vgpr_count:     0
    .vgpr_spill_count: 0
    .wavefront_size: 64
  - .args:
      - .offset:         0
        .size:           136
        .value_kind:     by_value
    .group_segment_fixed_size: 0
    .kernarg_segment_align: 8
    .kernarg_segment_size: 136
    .language:       OpenCL C
    .language_version:
      - 2
      - 0
    .max_flat_workgroup_size: 512
    .name:           _ZN7rocprim17ROCPRIM_400000_NS6detail17trampoline_kernelINS0_14default_configENS1_25partition_config_selectorILNS1_17partition_subalgoE8EyNS0_10empty_typeEbEEZZNS1_14partition_implILS5_8ELb0ES3_jN6thrust23THRUST_200600_302600_NS6detail15normal_iteratorINSA_10device_ptrIyEEEEPS6_PKS6_NS0_5tupleIJNSA_16discard_iteratorINSA_11use_defaultEEES6_EEENSJ_IJSG_SG_EEENS0_18inequality_wrapperINSA_8equal_toIyEEEEPmJS6_EEE10hipError_tPvRmT3_T4_T5_T6_T7_T9_mT8_P12ihipStream_tbDpT10_ENKUlT_T0_E_clISt17integral_constantIbLb1EES1D_EEDaS18_S19_EUlS18_E_NS1_11comp_targetILNS1_3genE0ELNS1_11target_archE4294967295ELNS1_3gpuE0ELNS1_3repE0EEENS1_30default_config_static_selectorELNS0_4arch9wavefront6targetE1EEEvT1_
    .private_segment_fixed_size: 0
    .sgpr_count:     4
    .sgpr_spill_count: 0
    .symbol:         _ZN7rocprim17ROCPRIM_400000_NS6detail17trampoline_kernelINS0_14default_configENS1_25partition_config_selectorILNS1_17partition_subalgoE8EyNS0_10empty_typeEbEEZZNS1_14partition_implILS5_8ELb0ES3_jN6thrust23THRUST_200600_302600_NS6detail15normal_iteratorINSA_10device_ptrIyEEEEPS6_PKS6_NS0_5tupleIJNSA_16discard_iteratorINSA_11use_defaultEEES6_EEENSJ_IJSG_SG_EEENS0_18inequality_wrapperINSA_8equal_toIyEEEEPmJS6_EEE10hipError_tPvRmT3_T4_T5_T6_T7_T9_mT8_P12ihipStream_tbDpT10_ENKUlT_T0_E_clISt17integral_constantIbLb1EES1D_EEDaS18_S19_EUlS18_E_NS1_11comp_targetILNS1_3genE0ELNS1_11target_archE4294967295ELNS1_3gpuE0ELNS1_3repE0EEENS1_30default_config_static_selectorELNS0_4arch9wavefront6targetE1EEEvT1_.kd
    .uniform_work_group_size: 1
    .uses_dynamic_stack: false
    .vgpr_count:     0
    .vgpr_spill_count: 0
    .wavefront_size: 64
  - .args:
      - .offset:         0
        .size:           136
        .value_kind:     by_value
    .group_segment_fixed_size: 0
    .kernarg_segment_align: 8
    .kernarg_segment_size: 136
    .language:       OpenCL C
    .language_version:
      - 2
      - 0
    .max_flat_workgroup_size: 512
    .name:           _ZN7rocprim17ROCPRIM_400000_NS6detail17trampoline_kernelINS0_14default_configENS1_25partition_config_selectorILNS1_17partition_subalgoE8EyNS0_10empty_typeEbEEZZNS1_14partition_implILS5_8ELb0ES3_jN6thrust23THRUST_200600_302600_NS6detail15normal_iteratorINSA_10device_ptrIyEEEEPS6_PKS6_NS0_5tupleIJNSA_16discard_iteratorINSA_11use_defaultEEES6_EEENSJ_IJSG_SG_EEENS0_18inequality_wrapperINSA_8equal_toIyEEEEPmJS6_EEE10hipError_tPvRmT3_T4_T5_T6_T7_T9_mT8_P12ihipStream_tbDpT10_ENKUlT_T0_E_clISt17integral_constantIbLb1EES1D_EEDaS18_S19_EUlS18_E_NS1_11comp_targetILNS1_3genE5ELNS1_11target_archE942ELNS1_3gpuE9ELNS1_3repE0EEENS1_30default_config_static_selectorELNS0_4arch9wavefront6targetE1EEEvT1_
    .private_segment_fixed_size: 0
    .sgpr_count:     4
    .sgpr_spill_count: 0
    .symbol:         _ZN7rocprim17ROCPRIM_400000_NS6detail17trampoline_kernelINS0_14default_configENS1_25partition_config_selectorILNS1_17partition_subalgoE8EyNS0_10empty_typeEbEEZZNS1_14partition_implILS5_8ELb0ES3_jN6thrust23THRUST_200600_302600_NS6detail15normal_iteratorINSA_10device_ptrIyEEEEPS6_PKS6_NS0_5tupleIJNSA_16discard_iteratorINSA_11use_defaultEEES6_EEENSJ_IJSG_SG_EEENS0_18inequality_wrapperINSA_8equal_toIyEEEEPmJS6_EEE10hipError_tPvRmT3_T4_T5_T6_T7_T9_mT8_P12ihipStream_tbDpT10_ENKUlT_T0_E_clISt17integral_constantIbLb1EES1D_EEDaS18_S19_EUlS18_E_NS1_11comp_targetILNS1_3genE5ELNS1_11target_archE942ELNS1_3gpuE9ELNS1_3repE0EEENS1_30default_config_static_selectorELNS0_4arch9wavefront6targetE1EEEvT1_.kd
    .uniform_work_group_size: 1
    .uses_dynamic_stack: false
    .vgpr_count:     0
    .vgpr_spill_count: 0
    .wavefront_size: 64
  - .args:
      - .offset:         0
        .size:           136
        .value_kind:     by_value
    .group_segment_fixed_size: 0
    .kernarg_segment_align: 8
    .kernarg_segment_size: 136
    .language:       OpenCL C
    .language_version:
      - 2
      - 0
    .max_flat_workgroup_size: 256
    .name:           _ZN7rocprim17ROCPRIM_400000_NS6detail17trampoline_kernelINS0_14default_configENS1_25partition_config_selectorILNS1_17partition_subalgoE8EyNS0_10empty_typeEbEEZZNS1_14partition_implILS5_8ELb0ES3_jN6thrust23THRUST_200600_302600_NS6detail15normal_iteratorINSA_10device_ptrIyEEEEPS6_PKS6_NS0_5tupleIJNSA_16discard_iteratorINSA_11use_defaultEEES6_EEENSJ_IJSG_SG_EEENS0_18inequality_wrapperINSA_8equal_toIyEEEEPmJS6_EEE10hipError_tPvRmT3_T4_T5_T6_T7_T9_mT8_P12ihipStream_tbDpT10_ENKUlT_T0_E_clISt17integral_constantIbLb1EES1D_EEDaS18_S19_EUlS18_E_NS1_11comp_targetILNS1_3genE4ELNS1_11target_archE910ELNS1_3gpuE8ELNS1_3repE0EEENS1_30default_config_static_selectorELNS0_4arch9wavefront6targetE1EEEvT1_
    .private_segment_fixed_size: 0
    .sgpr_count:     4
    .sgpr_spill_count: 0
    .symbol:         _ZN7rocprim17ROCPRIM_400000_NS6detail17trampoline_kernelINS0_14default_configENS1_25partition_config_selectorILNS1_17partition_subalgoE8EyNS0_10empty_typeEbEEZZNS1_14partition_implILS5_8ELb0ES3_jN6thrust23THRUST_200600_302600_NS6detail15normal_iteratorINSA_10device_ptrIyEEEEPS6_PKS6_NS0_5tupleIJNSA_16discard_iteratorINSA_11use_defaultEEES6_EEENSJ_IJSG_SG_EEENS0_18inequality_wrapperINSA_8equal_toIyEEEEPmJS6_EEE10hipError_tPvRmT3_T4_T5_T6_T7_T9_mT8_P12ihipStream_tbDpT10_ENKUlT_T0_E_clISt17integral_constantIbLb1EES1D_EEDaS18_S19_EUlS18_E_NS1_11comp_targetILNS1_3genE4ELNS1_11target_archE910ELNS1_3gpuE8ELNS1_3repE0EEENS1_30default_config_static_selectorELNS0_4arch9wavefront6targetE1EEEvT1_.kd
    .uniform_work_group_size: 1
    .uses_dynamic_stack: false
    .vgpr_count:     0
    .vgpr_spill_count: 0
    .wavefront_size: 64
  - .args:
      - .offset:         0
        .size:           136
        .value_kind:     by_value
    .group_segment_fixed_size: 0
    .kernarg_segment_align: 8
    .kernarg_segment_size: 136
    .language:       OpenCL C
    .language_version:
      - 2
      - 0
    .max_flat_workgroup_size: 512
    .name:           _ZN7rocprim17ROCPRIM_400000_NS6detail17trampoline_kernelINS0_14default_configENS1_25partition_config_selectorILNS1_17partition_subalgoE8EyNS0_10empty_typeEbEEZZNS1_14partition_implILS5_8ELb0ES3_jN6thrust23THRUST_200600_302600_NS6detail15normal_iteratorINSA_10device_ptrIyEEEEPS6_PKS6_NS0_5tupleIJNSA_16discard_iteratorINSA_11use_defaultEEES6_EEENSJ_IJSG_SG_EEENS0_18inequality_wrapperINSA_8equal_toIyEEEEPmJS6_EEE10hipError_tPvRmT3_T4_T5_T6_T7_T9_mT8_P12ihipStream_tbDpT10_ENKUlT_T0_E_clISt17integral_constantIbLb1EES1D_EEDaS18_S19_EUlS18_E_NS1_11comp_targetILNS1_3genE3ELNS1_11target_archE908ELNS1_3gpuE7ELNS1_3repE0EEENS1_30default_config_static_selectorELNS0_4arch9wavefront6targetE1EEEvT1_
    .private_segment_fixed_size: 0
    .sgpr_count:     4
    .sgpr_spill_count: 0
    .symbol:         _ZN7rocprim17ROCPRIM_400000_NS6detail17trampoline_kernelINS0_14default_configENS1_25partition_config_selectorILNS1_17partition_subalgoE8EyNS0_10empty_typeEbEEZZNS1_14partition_implILS5_8ELb0ES3_jN6thrust23THRUST_200600_302600_NS6detail15normal_iteratorINSA_10device_ptrIyEEEEPS6_PKS6_NS0_5tupleIJNSA_16discard_iteratorINSA_11use_defaultEEES6_EEENSJ_IJSG_SG_EEENS0_18inequality_wrapperINSA_8equal_toIyEEEEPmJS6_EEE10hipError_tPvRmT3_T4_T5_T6_T7_T9_mT8_P12ihipStream_tbDpT10_ENKUlT_T0_E_clISt17integral_constantIbLb1EES1D_EEDaS18_S19_EUlS18_E_NS1_11comp_targetILNS1_3genE3ELNS1_11target_archE908ELNS1_3gpuE7ELNS1_3repE0EEENS1_30default_config_static_selectorELNS0_4arch9wavefront6targetE1EEEvT1_.kd
    .uniform_work_group_size: 1
    .uses_dynamic_stack: false
    .vgpr_count:     0
    .vgpr_spill_count: 0
    .wavefront_size: 64
  - .args:
      - .offset:         0
        .size:           136
        .value_kind:     by_value
    .group_segment_fixed_size: 0
    .kernarg_segment_align: 8
    .kernarg_segment_size: 136
    .language:       OpenCL C
    .language_version:
      - 2
      - 0
    .max_flat_workgroup_size: 256
    .name:           _ZN7rocprim17ROCPRIM_400000_NS6detail17trampoline_kernelINS0_14default_configENS1_25partition_config_selectorILNS1_17partition_subalgoE8EyNS0_10empty_typeEbEEZZNS1_14partition_implILS5_8ELb0ES3_jN6thrust23THRUST_200600_302600_NS6detail15normal_iteratorINSA_10device_ptrIyEEEEPS6_PKS6_NS0_5tupleIJNSA_16discard_iteratorINSA_11use_defaultEEES6_EEENSJ_IJSG_SG_EEENS0_18inequality_wrapperINSA_8equal_toIyEEEEPmJS6_EEE10hipError_tPvRmT3_T4_T5_T6_T7_T9_mT8_P12ihipStream_tbDpT10_ENKUlT_T0_E_clISt17integral_constantIbLb1EES1D_EEDaS18_S19_EUlS18_E_NS1_11comp_targetILNS1_3genE2ELNS1_11target_archE906ELNS1_3gpuE6ELNS1_3repE0EEENS1_30default_config_static_selectorELNS0_4arch9wavefront6targetE1EEEvT1_
    .private_segment_fixed_size: 0
    .sgpr_count:     4
    .sgpr_spill_count: 0
    .symbol:         _ZN7rocprim17ROCPRIM_400000_NS6detail17trampoline_kernelINS0_14default_configENS1_25partition_config_selectorILNS1_17partition_subalgoE8EyNS0_10empty_typeEbEEZZNS1_14partition_implILS5_8ELb0ES3_jN6thrust23THRUST_200600_302600_NS6detail15normal_iteratorINSA_10device_ptrIyEEEEPS6_PKS6_NS0_5tupleIJNSA_16discard_iteratorINSA_11use_defaultEEES6_EEENSJ_IJSG_SG_EEENS0_18inequality_wrapperINSA_8equal_toIyEEEEPmJS6_EEE10hipError_tPvRmT3_T4_T5_T6_T7_T9_mT8_P12ihipStream_tbDpT10_ENKUlT_T0_E_clISt17integral_constantIbLb1EES1D_EEDaS18_S19_EUlS18_E_NS1_11comp_targetILNS1_3genE2ELNS1_11target_archE906ELNS1_3gpuE6ELNS1_3repE0EEENS1_30default_config_static_selectorELNS0_4arch9wavefront6targetE1EEEvT1_.kd
    .uniform_work_group_size: 1
    .uses_dynamic_stack: false
    .vgpr_count:     0
    .vgpr_spill_count: 0
    .wavefront_size: 64
  - .args:
      - .offset:         0
        .size:           136
        .value_kind:     by_value
    .group_segment_fixed_size: 0
    .kernarg_segment_align: 8
    .kernarg_segment_size: 136
    .language:       OpenCL C
    .language_version:
      - 2
      - 0
    .max_flat_workgroup_size: 384
    .name:           _ZN7rocprim17ROCPRIM_400000_NS6detail17trampoline_kernelINS0_14default_configENS1_25partition_config_selectorILNS1_17partition_subalgoE8EyNS0_10empty_typeEbEEZZNS1_14partition_implILS5_8ELb0ES3_jN6thrust23THRUST_200600_302600_NS6detail15normal_iteratorINSA_10device_ptrIyEEEEPS6_PKS6_NS0_5tupleIJNSA_16discard_iteratorINSA_11use_defaultEEES6_EEENSJ_IJSG_SG_EEENS0_18inequality_wrapperINSA_8equal_toIyEEEEPmJS6_EEE10hipError_tPvRmT3_T4_T5_T6_T7_T9_mT8_P12ihipStream_tbDpT10_ENKUlT_T0_E_clISt17integral_constantIbLb1EES1D_EEDaS18_S19_EUlS18_E_NS1_11comp_targetILNS1_3genE10ELNS1_11target_archE1200ELNS1_3gpuE4ELNS1_3repE0EEENS1_30default_config_static_selectorELNS0_4arch9wavefront6targetE1EEEvT1_
    .private_segment_fixed_size: 0
    .sgpr_count:     4
    .sgpr_spill_count: 0
    .symbol:         _ZN7rocprim17ROCPRIM_400000_NS6detail17trampoline_kernelINS0_14default_configENS1_25partition_config_selectorILNS1_17partition_subalgoE8EyNS0_10empty_typeEbEEZZNS1_14partition_implILS5_8ELb0ES3_jN6thrust23THRUST_200600_302600_NS6detail15normal_iteratorINSA_10device_ptrIyEEEEPS6_PKS6_NS0_5tupleIJNSA_16discard_iteratorINSA_11use_defaultEEES6_EEENSJ_IJSG_SG_EEENS0_18inequality_wrapperINSA_8equal_toIyEEEEPmJS6_EEE10hipError_tPvRmT3_T4_T5_T6_T7_T9_mT8_P12ihipStream_tbDpT10_ENKUlT_T0_E_clISt17integral_constantIbLb1EES1D_EEDaS18_S19_EUlS18_E_NS1_11comp_targetILNS1_3genE10ELNS1_11target_archE1200ELNS1_3gpuE4ELNS1_3repE0EEENS1_30default_config_static_selectorELNS0_4arch9wavefront6targetE1EEEvT1_.kd
    .uniform_work_group_size: 1
    .uses_dynamic_stack: false
    .vgpr_count:     0
    .vgpr_spill_count: 0
    .wavefront_size: 64
  - .args:
      - .offset:         0
        .size:           136
        .value_kind:     by_value
    .group_segment_fixed_size: 0
    .kernarg_segment_align: 8
    .kernarg_segment_size: 136
    .language:       OpenCL C
    .language_version:
      - 2
      - 0
    .max_flat_workgroup_size: 512
    .name:           _ZN7rocprim17ROCPRIM_400000_NS6detail17trampoline_kernelINS0_14default_configENS1_25partition_config_selectorILNS1_17partition_subalgoE8EyNS0_10empty_typeEbEEZZNS1_14partition_implILS5_8ELb0ES3_jN6thrust23THRUST_200600_302600_NS6detail15normal_iteratorINSA_10device_ptrIyEEEEPS6_PKS6_NS0_5tupleIJNSA_16discard_iteratorINSA_11use_defaultEEES6_EEENSJ_IJSG_SG_EEENS0_18inequality_wrapperINSA_8equal_toIyEEEEPmJS6_EEE10hipError_tPvRmT3_T4_T5_T6_T7_T9_mT8_P12ihipStream_tbDpT10_ENKUlT_T0_E_clISt17integral_constantIbLb1EES1D_EEDaS18_S19_EUlS18_E_NS1_11comp_targetILNS1_3genE9ELNS1_11target_archE1100ELNS1_3gpuE3ELNS1_3repE0EEENS1_30default_config_static_selectorELNS0_4arch9wavefront6targetE1EEEvT1_
    .private_segment_fixed_size: 0
    .sgpr_count:     4
    .sgpr_spill_count: 0
    .symbol:         _ZN7rocprim17ROCPRIM_400000_NS6detail17trampoline_kernelINS0_14default_configENS1_25partition_config_selectorILNS1_17partition_subalgoE8EyNS0_10empty_typeEbEEZZNS1_14partition_implILS5_8ELb0ES3_jN6thrust23THRUST_200600_302600_NS6detail15normal_iteratorINSA_10device_ptrIyEEEEPS6_PKS6_NS0_5tupleIJNSA_16discard_iteratorINSA_11use_defaultEEES6_EEENSJ_IJSG_SG_EEENS0_18inequality_wrapperINSA_8equal_toIyEEEEPmJS6_EEE10hipError_tPvRmT3_T4_T5_T6_T7_T9_mT8_P12ihipStream_tbDpT10_ENKUlT_T0_E_clISt17integral_constantIbLb1EES1D_EEDaS18_S19_EUlS18_E_NS1_11comp_targetILNS1_3genE9ELNS1_11target_archE1100ELNS1_3gpuE3ELNS1_3repE0EEENS1_30default_config_static_selectorELNS0_4arch9wavefront6targetE1EEEvT1_.kd
    .uniform_work_group_size: 1
    .uses_dynamic_stack: false
    .vgpr_count:     0
    .vgpr_spill_count: 0
    .wavefront_size: 64
  - .args:
      - .offset:         0
        .size:           136
        .value_kind:     by_value
    .group_segment_fixed_size: 0
    .kernarg_segment_align: 8
    .kernarg_segment_size: 136
    .language:       OpenCL C
    .language_version:
      - 2
      - 0
    .max_flat_workgroup_size: 512
    .name:           _ZN7rocprim17ROCPRIM_400000_NS6detail17trampoline_kernelINS0_14default_configENS1_25partition_config_selectorILNS1_17partition_subalgoE8EyNS0_10empty_typeEbEEZZNS1_14partition_implILS5_8ELb0ES3_jN6thrust23THRUST_200600_302600_NS6detail15normal_iteratorINSA_10device_ptrIyEEEEPS6_PKS6_NS0_5tupleIJNSA_16discard_iteratorINSA_11use_defaultEEES6_EEENSJ_IJSG_SG_EEENS0_18inequality_wrapperINSA_8equal_toIyEEEEPmJS6_EEE10hipError_tPvRmT3_T4_T5_T6_T7_T9_mT8_P12ihipStream_tbDpT10_ENKUlT_T0_E_clISt17integral_constantIbLb1EES1D_EEDaS18_S19_EUlS18_E_NS1_11comp_targetILNS1_3genE8ELNS1_11target_archE1030ELNS1_3gpuE2ELNS1_3repE0EEENS1_30default_config_static_selectorELNS0_4arch9wavefront6targetE1EEEvT1_
    .private_segment_fixed_size: 0
    .sgpr_count:     4
    .sgpr_spill_count: 0
    .symbol:         _ZN7rocprim17ROCPRIM_400000_NS6detail17trampoline_kernelINS0_14default_configENS1_25partition_config_selectorILNS1_17partition_subalgoE8EyNS0_10empty_typeEbEEZZNS1_14partition_implILS5_8ELb0ES3_jN6thrust23THRUST_200600_302600_NS6detail15normal_iteratorINSA_10device_ptrIyEEEEPS6_PKS6_NS0_5tupleIJNSA_16discard_iteratorINSA_11use_defaultEEES6_EEENSJ_IJSG_SG_EEENS0_18inequality_wrapperINSA_8equal_toIyEEEEPmJS6_EEE10hipError_tPvRmT3_T4_T5_T6_T7_T9_mT8_P12ihipStream_tbDpT10_ENKUlT_T0_E_clISt17integral_constantIbLb1EES1D_EEDaS18_S19_EUlS18_E_NS1_11comp_targetILNS1_3genE8ELNS1_11target_archE1030ELNS1_3gpuE2ELNS1_3repE0EEENS1_30default_config_static_selectorELNS0_4arch9wavefront6targetE1EEEvT1_.kd
    .uniform_work_group_size: 1
    .uses_dynamic_stack: false
    .vgpr_count:     0
    .vgpr_spill_count: 0
    .wavefront_size: 64
  - .args:
      - .offset:         0
        .size:           120
        .value_kind:     by_value
    .group_segment_fixed_size: 0
    .kernarg_segment_align: 8
    .kernarg_segment_size: 120
    .language:       OpenCL C
    .language_version:
      - 2
      - 0
    .max_flat_workgroup_size: 512
    .name:           _ZN7rocprim17ROCPRIM_400000_NS6detail17trampoline_kernelINS0_14default_configENS1_25partition_config_selectorILNS1_17partition_subalgoE8EyNS0_10empty_typeEbEEZZNS1_14partition_implILS5_8ELb0ES3_jN6thrust23THRUST_200600_302600_NS6detail15normal_iteratorINSA_10device_ptrIyEEEEPS6_PKS6_NS0_5tupleIJNSA_16discard_iteratorINSA_11use_defaultEEES6_EEENSJ_IJSG_SG_EEENS0_18inequality_wrapperINSA_8equal_toIyEEEEPmJS6_EEE10hipError_tPvRmT3_T4_T5_T6_T7_T9_mT8_P12ihipStream_tbDpT10_ENKUlT_T0_E_clISt17integral_constantIbLb1EES1C_IbLb0EEEEDaS18_S19_EUlS18_E_NS1_11comp_targetILNS1_3genE0ELNS1_11target_archE4294967295ELNS1_3gpuE0ELNS1_3repE0EEENS1_30default_config_static_selectorELNS0_4arch9wavefront6targetE1EEEvT1_
    .private_segment_fixed_size: 0
    .sgpr_count:     4
    .sgpr_spill_count: 0
    .symbol:         _ZN7rocprim17ROCPRIM_400000_NS6detail17trampoline_kernelINS0_14default_configENS1_25partition_config_selectorILNS1_17partition_subalgoE8EyNS0_10empty_typeEbEEZZNS1_14partition_implILS5_8ELb0ES3_jN6thrust23THRUST_200600_302600_NS6detail15normal_iteratorINSA_10device_ptrIyEEEEPS6_PKS6_NS0_5tupleIJNSA_16discard_iteratorINSA_11use_defaultEEES6_EEENSJ_IJSG_SG_EEENS0_18inequality_wrapperINSA_8equal_toIyEEEEPmJS6_EEE10hipError_tPvRmT3_T4_T5_T6_T7_T9_mT8_P12ihipStream_tbDpT10_ENKUlT_T0_E_clISt17integral_constantIbLb1EES1C_IbLb0EEEEDaS18_S19_EUlS18_E_NS1_11comp_targetILNS1_3genE0ELNS1_11target_archE4294967295ELNS1_3gpuE0ELNS1_3repE0EEENS1_30default_config_static_selectorELNS0_4arch9wavefront6targetE1EEEvT1_.kd
    .uniform_work_group_size: 1
    .uses_dynamic_stack: false
    .vgpr_count:     0
    .vgpr_spill_count: 0
    .wavefront_size: 64
  - .args:
      - .offset:         0
        .size:           120
        .value_kind:     by_value
    .group_segment_fixed_size: 0
    .kernarg_segment_align: 8
    .kernarg_segment_size: 120
    .language:       OpenCL C
    .language_version:
      - 2
      - 0
    .max_flat_workgroup_size: 512
    .name:           _ZN7rocprim17ROCPRIM_400000_NS6detail17trampoline_kernelINS0_14default_configENS1_25partition_config_selectorILNS1_17partition_subalgoE8EyNS0_10empty_typeEbEEZZNS1_14partition_implILS5_8ELb0ES3_jN6thrust23THRUST_200600_302600_NS6detail15normal_iteratorINSA_10device_ptrIyEEEEPS6_PKS6_NS0_5tupleIJNSA_16discard_iteratorINSA_11use_defaultEEES6_EEENSJ_IJSG_SG_EEENS0_18inequality_wrapperINSA_8equal_toIyEEEEPmJS6_EEE10hipError_tPvRmT3_T4_T5_T6_T7_T9_mT8_P12ihipStream_tbDpT10_ENKUlT_T0_E_clISt17integral_constantIbLb1EES1C_IbLb0EEEEDaS18_S19_EUlS18_E_NS1_11comp_targetILNS1_3genE5ELNS1_11target_archE942ELNS1_3gpuE9ELNS1_3repE0EEENS1_30default_config_static_selectorELNS0_4arch9wavefront6targetE1EEEvT1_
    .private_segment_fixed_size: 0
    .sgpr_count:     4
    .sgpr_spill_count: 0
    .symbol:         _ZN7rocprim17ROCPRIM_400000_NS6detail17trampoline_kernelINS0_14default_configENS1_25partition_config_selectorILNS1_17partition_subalgoE8EyNS0_10empty_typeEbEEZZNS1_14partition_implILS5_8ELb0ES3_jN6thrust23THRUST_200600_302600_NS6detail15normal_iteratorINSA_10device_ptrIyEEEEPS6_PKS6_NS0_5tupleIJNSA_16discard_iteratorINSA_11use_defaultEEES6_EEENSJ_IJSG_SG_EEENS0_18inequality_wrapperINSA_8equal_toIyEEEEPmJS6_EEE10hipError_tPvRmT3_T4_T5_T6_T7_T9_mT8_P12ihipStream_tbDpT10_ENKUlT_T0_E_clISt17integral_constantIbLb1EES1C_IbLb0EEEEDaS18_S19_EUlS18_E_NS1_11comp_targetILNS1_3genE5ELNS1_11target_archE942ELNS1_3gpuE9ELNS1_3repE0EEENS1_30default_config_static_selectorELNS0_4arch9wavefront6targetE1EEEvT1_.kd
    .uniform_work_group_size: 1
    .uses_dynamic_stack: false
    .vgpr_count:     0
    .vgpr_spill_count: 0
    .wavefront_size: 64
  - .args:
      - .offset:         0
        .size:           120
        .value_kind:     by_value
    .group_segment_fixed_size: 0
    .kernarg_segment_align: 8
    .kernarg_segment_size: 120
    .language:       OpenCL C
    .language_version:
      - 2
      - 0
    .max_flat_workgroup_size: 256
    .name:           _ZN7rocprim17ROCPRIM_400000_NS6detail17trampoline_kernelINS0_14default_configENS1_25partition_config_selectorILNS1_17partition_subalgoE8EyNS0_10empty_typeEbEEZZNS1_14partition_implILS5_8ELb0ES3_jN6thrust23THRUST_200600_302600_NS6detail15normal_iteratorINSA_10device_ptrIyEEEEPS6_PKS6_NS0_5tupleIJNSA_16discard_iteratorINSA_11use_defaultEEES6_EEENSJ_IJSG_SG_EEENS0_18inequality_wrapperINSA_8equal_toIyEEEEPmJS6_EEE10hipError_tPvRmT3_T4_T5_T6_T7_T9_mT8_P12ihipStream_tbDpT10_ENKUlT_T0_E_clISt17integral_constantIbLb1EES1C_IbLb0EEEEDaS18_S19_EUlS18_E_NS1_11comp_targetILNS1_3genE4ELNS1_11target_archE910ELNS1_3gpuE8ELNS1_3repE0EEENS1_30default_config_static_selectorELNS0_4arch9wavefront6targetE1EEEvT1_
    .private_segment_fixed_size: 0
    .sgpr_count:     4
    .sgpr_spill_count: 0
    .symbol:         _ZN7rocprim17ROCPRIM_400000_NS6detail17trampoline_kernelINS0_14default_configENS1_25partition_config_selectorILNS1_17partition_subalgoE8EyNS0_10empty_typeEbEEZZNS1_14partition_implILS5_8ELb0ES3_jN6thrust23THRUST_200600_302600_NS6detail15normal_iteratorINSA_10device_ptrIyEEEEPS6_PKS6_NS0_5tupleIJNSA_16discard_iteratorINSA_11use_defaultEEES6_EEENSJ_IJSG_SG_EEENS0_18inequality_wrapperINSA_8equal_toIyEEEEPmJS6_EEE10hipError_tPvRmT3_T4_T5_T6_T7_T9_mT8_P12ihipStream_tbDpT10_ENKUlT_T0_E_clISt17integral_constantIbLb1EES1C_IbLb0EEEEDaS18_S19_EUlS18_E_NS1_11comp_targetILNS1_3genE4ELNS1_11target_archE910ELNS1_3gpuE8ELNS1_3repE0EEENS1_30default_config_static_selectorELNS0_4arch9wavefront6targetE1EEEvT1_.kd
    .uniform_work_group_size: 1
    .uses_dynamic_stack: false
    .vgpr_count:     0
    .vgpr_spill_count: 0
    .wavefront_size: 64
  - .args:
      - .offset:         0
        .size:           120
        .value_kind:     by_value
    .group_segment_fixed_size: 0
    .kernarg_segment_align: 8
    .kernarg_segment_size: 120
    .language:       OpenCL C
    .language_version:
      - 2
      - 0
    .max_flat_workgroup_size: 512
    .name:           _ZN7rocprim17ROCPRIM_400000_NS6detail17trampoline_kernelINS0_14default_configENS1_25partition_config_selectorILNS1_17partition_subalgoE8EyNS0_10empty_typeEbEEZZNS1_14partition_implILS5_8ELb0ES3_jN6thrust23THRUST_200600_302600_NS6detail15normal_iteratorINSA_10device_ptrIyEEEEPS6_PKS6_NS0_5tupleIJNSA_16discard_iteratorINSA_11use_defaultEEES6_EEENSJ_IJSG_SG_EEENS0_18inequality_wrapperINSA_8equal_toIyEEEEPmJS6_EEE10hipError_tPvRmT3_T4_T5_T6_T7_T9_mT8_P12ihipStream_tbDpT10_ENKUlT_T0_E_clISt17integral_constantIbLb1EES1C_IbLb0EEEEDaS18_S19_EUlS18_E_NS1_11comp_targetILNS1_3genE3ELNS1_11target_archE908ELNS1_3gpuE7ELNS1_3repE0EEENS1_30default_config_static_selectorELNS0_4arch9wavefront6targetE1EEEvT1_
    .private_segment_fixed_size: 0
    .sgpr_count:     4
    .sgpr_spill_count: 0
    .symbol:         _ZN7rocprim17ROCPRIM_400000_NS6detail17trampoline_kernelINS0_14default_configENS1_25partition_config_selectorILNS1_17partition_subalgoE8EyNS0_10empty_typeEbEEZZNS1_14partition_implILS5_8ELb0ES3_jN6thrust23THRUST_200600_302600_NS6detail15normal_iteratorINSA_10device_ptrIyEEEEPS6_PKS6_NS0_5tupleIJNSA_16discard_iteratorINSA_11use_defaultEEES6_EEENSJ_IJSG_SG_EEENS0_18inequality_wrapperINSA_8equal_toIyEEEEPmJS6_EEE10hipError_tPvRmT3_T4_T5_T6_T7_T9_mT8_P12ihipStream_tbDpT10_ENKUlT_T0_E_clISt17integral_constantIbLb1EES1C_IbLb0EEEEDaS18_S19_EUlS18_E_NS1_11comp_targetILNS1_3genE3ELNS1_11target_archE908ELNS1_3gpuE7ELNS1_3repE0EEENS1_30default_config_static_selectorELNS0_4arch9wavefront6targetE1EEEvT1_.kd
    .uniform_work_group_size: 1
    .uses_dynamic_stack: false
    .vgpr_count:     0
    .vgpr_spill_count: 0
    .wavefront_size: 64
  - .args:
      - .offset:         0
        .size:           120
        .value_kind:     by_value
    .group_segment_fixed_size: 0
    .kernarg_segment_align: 8
    .kernarg_segment_size: 120
    .language:       OpenCL C
    .language_version:
      - 2
      - 0
    .max_flat_workgroup_size: 256
    .name:           _ZN7rocprim17ROCPRIM_400000_NS6detail17trampoline_kernelINS0_14default_configENS1_25partition_config_selectorILNS1_17partition_subalgoE8EyNS0_10empty_typeEbEEZZNS1_14partition_implILS5_8ELb0ES3_jN6thrust23THRUST_200600_302600_NS6detail15normal_iteratorINSA_10device_ptrIyEEEEPS6_PKS6_NS0_5tupleIJNSA_16discard_iteratorINSA_11use_defaultEEES6_EEENSJ_IJSG_SG_EEENS0_18inequality_wrapperINSA_8equal_toIyEEEEPmJS6_EEE10hipError_tPvRmT3_T4_T5_T6_T7_T9_mT8_P12ihipStream_tbDpT10_ENKUlT_T0_E_clISt17integral_constantIbLb1EES1C_IbLb0EEEEDaS18_S19_EUlS18_E_NS1_11comp_targetILNS1_3genE2ELNS1_11target_archE906ELNS1_3gpuE6ELNS1_3repE0EEENS1_30default_config_static_selectorELNS0_4arch9wavefront6targetE1EEEvT1_
    .private_segment_fixed_size: 0
    .sgpr_count:     4
    .sgpr_spill_count: 0
    .symbol:         _ZN7rocprim17ROCPRIM_400000_NS6detail17trampoline_kernelINS0_14default_configENS1_25partition_config_selectorILNS1_17partition_subalgoE8EyNS0_10empty_typeEbEEZZNS1_14partition_implILS5_8ELb0ES3_jN6thrust23THRUST_200600_302600_NS6detail15normal_iteratorINSA_10device_ptrIyEEEEPS6_PKS6_NS0_5tupleIJNSA_16discard_iteratorINSA_11use_defaultEEES6_EEENSJ_IJSG_SG_EEENS0_18inequality_wrapperINSA_8equal_toIyEEEEPmJS6_EEE10hipError_tPvRmT3_T4_T5_T6_T7_T9_mT8_P12ihipStream_tbDpT10_ENKUlT_T0_E_clISt17integral_constantIbLb1EES1C_IbLb0EEEEDaS18_S19_EUlS18_E_NS1_11comp_targetILNS1_3genE2ELNS1_11target_archE906ELNS1_3gpuE6ELNS1_3repE0EEENS1_30default_config_static_selectorELNS0_4arch9wavefront6targetE1EEEvT1_.kd
    .uniform_work_group_size: 1
    .uses_dynamic_stack: false
    .vgpr_count:     0
    .vgpr_spill_count: 0
    .wavefront_size: 64
  - .args:
      - .offset:         0
        .size:           120
        .value_kind:     by_value
    .group_segment_fixed_size: 0
    .kernarg_segment_align: 8
    .kernarg_segment_size: 120
    .language:       OpenCL C
    .language_version:
      - 2
      - 0
    .max_flat_workgroup_size: 384
    .name:           _ZN7rocprim17ROCPRIM_400000_NS6detail17trampoline_kernelINS0_14default_configENS1_25partition_config_selectorILNS1_17partition_subalgoE8EyNS0_10empty_typeEbEEZZNS1_14partition_implILS5_8ELb0ES3_jN6thrust23THRUST_200600_302600_NS6detail15normal_iteratorINSA_10device_ptrIyEEEEPS6_PKS6_NS0_5tupleIJNSA_16discard_iteratorINSA_11use_defaultEEES6_EEENSJ_IJSG_SG_EEENS0_18inequality_wrapperINSA_8equal_toIyEEEEPmJS6_EEE10hipError_tPvRmT3_T4_T5_T6_T7_T9_mT8_P12ihipStream_tbDpT10_ENKUlT_T0_E_clISt17integral_constantIbLb1EES1C_IbLb0EEEEDaS18_S19_EUlS18_E_NS1_11comp_targetILNS1_3genE10ELNS1_11target_archE1200ELNS1_3gpuE4ELNS1_3repE0EEENS1_30default_config_static_selectorELNS0_4arch9wavefront6targetE1EEEvT1_
    .private_segment_fixed_size: 0
    .sgpr_count:     4
    .sgpr_spill_count: 0
    .symbol:         _ZN7rocprim17ROCPRIM_400000_NS6detail17trampoline_kernelINS0_14default_configENS1_25partition_config_selectorILNS1_17partition_subalgoE8EyNS0_10empty_typeEbEEZZNS1_14partition_implILS5_8ELb0ES3_jN6thrust23THRUST_200600_302600_NS6detail15normal_iteratorINSA_10device_ptrIyEEEEPS6_PKS6_NS0_5tupleIJNSA_16discard_iteratorINSA_11use_defaultEEES6_EEENSJ_IJSG_SG_EEENS0_18inequality_wrapperINSA_8equal_toIyEEEEPmJS6_EEE10hipError_tPvRmT3_T4_T5_T6_T7_T9_mT8_P12ihipStream_tbDpT10_ENKUlT_T0_E_clISt17integral_constantIbLb1EES1C_IbLb0EEEEDaS18_S19_EUlS18_E_NS1_11comp_targetILNS1_3genE10ELNS1_11target_archE1200ELNS1_3gpuE4ELNS1_3repE0EEENS1_30default_config_static_selectorELNS0_4arch9wavefront6targetE1EEEvT1_.kd
    .uniform_work_group_size: 1
    .uses_dynamic_stack: false
    .vgpr_count:     0
    .vgpr_spill_count: 0
    .wavefront_size: 64
  - .args:
      - .offset:         0
        .size:           120
        .value_kind:     by_value
    .group_segment_fixed_size: 0
    .kernarg_segment_align: 8
    .kernarg_segment_size: 120
    .language:       OpenCL C
    .language_version:
      - 2
      - 0
    .max_flat_workgroup_size: 512
    .name:           _ZN7rocprim17ROCPRIM_400000_NS6detail17trampoline_kernelINS0_14default_configENS1_25partition_config_selectorILNS1_17partition_subalgoE8EyNS0_10empty_typeEbEEZZNS1_14partition_implILS5_8ELb0ES3_jN6thrust23THRUST_200600_302600_NS6detail15normal_iteratorINSA_10device_ptrIyEEEEPS6_PKS6_NS0_5tupleIJNSA_16discard_iteratorINSA_11use_defaultEEES6_EEENSJ_IJSG_SG_EEENS0_18inequality_wrapperINSA_8equal_toIyEEEEPmJS6_EEE10hipError_tPvRmT3_T4_T5_T6_T7_T9_mT8_P12ihipStream_tbDpT10_ENKUlT_T0_E_clISt17integral_constantIbLb1EES1C_IbLb0EEEEDaS18_S19_EUlS18_E_NS1_11comp_targetILNS1_3genE9ELNS1_11target_archE1100ELNS1_3gpuE3ELNS1_3repE0EEENS1_30default_config_static_selectorELNS0_4arch9wavefront6targetE1EEEvT1_
    .private_segment_fixed_size: 0
    .sgpr_count:     4
    .sgpr_spill_count: 0
    .symbol:         _ZN7rocprim17ROCPRIM_400000_NS6detail17trampoline_kernelINS0_14default_configENS1_25partition_config_selectorILNS1_17partition_subalgoE8EyNS0_10empty_typeEbEEZZNS1_14partition_implILS5_8ELb0ES3_jN6thrust23THRUST_200600_302600_NS6detail15normal_iteratorINSA_10device_ptrIyEEEEPS6_PKS6_NS0_5tupleIJNSA_16discard_iteratorINSA_11use_defaultEEES6_EEENSJ_IJSG_SG_EEENS0_18inequality_wrapperINSA_8equal_toIyEEEEPmJS6_EEE10hipError_tPvRmT3_T4_T5_T6_T7_T9_mT8_P12ihipStream_tbDpT10_ENKUlT_T0_E_clISt17integral_constantIbLb1EES1C_IbLb0EEEEDaS18_S19_EUlS18_E_NS1_11comp_targetILNS1_3genE9ELNS1_11target_archE1100ELNS1_3gpuE3ELNS1_3repE0EEENS1_30default_config_static_selectorELNS0_4arch9wavefront6targetE1EEEvT1_.kd
    .uniform_work_group_size: 1
    .uses_dynamic_stack: false
    .vgpr_count:     0
    .vgpr_spill_count: 0
    .wavefront_size: 64
  - .args:
      - .offset:         0
        .size:           120
        .value_kind:     by_value
    .group_segment_fixed_size: 0
    .kernarg_segment_align: 8
    .kernarg_segment_size: 120
    .language:       OpenCL C
    .language_version:
      - 2
      - 0
    .max_flat_workgroup_size: 512
    .name:           _ZN7rocprim17ROCPRIM_400000_NS6detail17trampoline_kernelINS0_14default_configENS1_25partition_config_selectorILNS1_17partition_subalgoE8EyNS0_10empty_typeEbEEZZNS1_14partition_implILS5_8ELb0ES3_jN6thrust23THRUST_200600_302600_NS6detail15normal_iteratorINSA_10device_ptrIyEEEEPS6_PKS6_NS0_5tupleIJNSA_16discard_iteratorINSA_11use_defaultEEES6_EEENSJ_IJSG_SG_EEENS0_18inequality_wrapperINSA_8equal_toIyEEEEPmJS6_EEE10hipError_tPvRmT3_T4_T5_T6_T7_T9_mT8_P12ihipStream_tbDpT10_ENKUlT_T0_E_clISt17integral_constantIbLb1EES1C_IbLb0EEEEDaS18_S19_EUlS18_E_NS1_11comp_targetILNS1_3genE8ELNS1_11target_archE1030ELNS1_3gpuE2ELNS1_3repE0EEENS1_30default_config_static_selectorELNS0_4arch9wavefront6targetE1EEEvT1_
    .private_segment_fixed_size: 0
    .sgpr_count:     4
    .sgpr_spill_count: 0
    .symbol:         _ZN7rocprim17ROCPRIM_400000_NS6detail17trampoline_kernelINS0_14default_configENS1_25partition_config_selectorILNS1_17partition_subalgoE8EyNS0_10empty_typeEbEEZZNS1_14partition_implILS5_8ELb0ES3_jN6thrust23THRUST_200600_302600_NS6detail15normal_iteratorINSA_10device_ptrIyEEEEPS6_PKS6_NS0_5tupleIJNSA_16discard_iteratorINSA_11use_defaultEEES6_EEENSJ_IJSG_SG_EEENS0_18inequality_wrapperINSA_8equal_toIyEEEEPmJS6_EEE10hipError_tPvRmT3_T4_T5_T6_T7_T9_mT8_P12ihipStream_tbDpT10_ENKUlT_T0_E_clISt17integral_constantIbLb1EES1C_IbLb0EEEEDaS18_S19_EUlS18_E_NS1_11comp_targetILNS1_3genE8ELNS1_11target_archE1030ELNS1_3gpuE2ELNS1_3repE0EEENS1_30default_config_static_selectorELNS0_4arch9wavefront6targetE1EEEvT1_.kd
    .uniform_work_group_size: 1
    .uses_dynamic_stack: false
    .vgpr_count:     0
    .vgpr_spill_count: 0
    .wavefront_size: 64
  - .args:
      - .offset:         0
        .size:           136
        .value_kind:     by_value
    .group_segment_fixed_size: 0
    .kernarg_segment_align: 8
    .kernarg_segment_size: 136
    .language:       OpenCL C
    .language_version:
      - 2
      - 0
    .max_flat_workgroup_size: 512
    .name:           _ZN7rocprim17ROCPRIM_400000_NS6detail17trampoline_kernelINS0_14default_configENS1_25partition_config_selectorILNS1_17partition_subalgoE8EyNS0_10empty_typeEbEEZZNS1_14partition_implILS5_8ELb0ES3_jN6thrust23THRUST_200600_302600_NS6detail15normal_iteratorINSA_10device_ptrIyEEEEPS6_PKS6_NS0_5tupleIJNSA_16discard_iteratorINSA_11use_defaultEEES6_EEENSJ_IJSG_SG_EEENS0_18inequality_wrapperINSA_8equal_toIyEEEEPmJS6_EEE10hipError_tPvRmT3_T4_T5_T6_T7_T9_mT8_P12ihipStream_tbDpT10_ENKUlT_T0_E_clISt17integral_constantIbLb0EES1C_IbLb1EEEEDaS18_S19_EUlS18_E_NS1_11comp_targetILNS1_3genE0ELNS1_11target_archE4294967295ELNS1_3gpuE0ELNS1_3repE0EEENS1_30default_config_static_selectorELNS0_4arch9wavefront6targetE1EEEvT1_
    .private_segment_fixed_size: 0
    .sgpr_count:     4
    .sgpr_spill_count: 0
    .symbol:         _ZN7rocprim17ROCPRIM_400000_NS6detail17trampoline_kernelINS0_14default_configENS1_25partition_config_selectorILNS1_17partition_subalgoE8EyNS0_10empty_typeEbEEZZNS1_14partition_implILS5_8ELb0ES3_jN6thrust23THRUST_200600_302600_NS6detail15normal_iteratorINSA_10device_ptrIyEEEEPS6_PKS6_NS0_5tupleIJNSA_16discard_iteratorINSA_11use_defaultEEES6_EEENSJ_IJSG_SG_EEENS0_18inequality_wrapperINSA_8equal_toIyEEEEPmJS6_EEE10hipError_tPvRmT3_T4_T5_T6_T7_T9_mT8_P12ihipStream_tbDpT10_ENKUlT_T0_E_clISt17integral_constantIbLb0EES1C_IbLb1EEEEDaS18_S19_EUlS18_E_NS1_11comp_targetILNS1_3genE0ELNS1_11target_archE4294967295ELNS1_3gpuE0ELNS1_3repE0EEENS1_30default_config_static_selectorELNS0_4arch9wavefront6targetE1EEEvT1_.kd
    .uniform_work_group_size: 1
    .uses_dynamic_stack: false
    .vgpr_count:     0
    .vgpr_spill_count: 0
    .wavefront_size: 64
  - .args:
      - .offset:         0
        .size:           136
        .value_kind:     by_value
    .group_segment_fixed_size: 0
    .kernarg_segment_align: 8
    .kernarg_segment_size: 136
    .language:       OpenCL C
    .language_version:
      - 2
      - 0
    .max_flat_workgroup_size: 512
    .name:           _ZN7rocprim17ROCPRIM_400000_NS6detail17trampoline_kernelINS0_14default_configENS1_25partition_config_selectorILNS1_17partition_subalgoE8EyNS0_10empty_typeEbEEZZNS1_14partition_implILS5_8ELb0ES3_jN6thrust23THRUST_200600_302600_NS6detail15normal_iteratorINSA_10device_ptrIyEEEEPS6_PKS6_NS0_5tupleIJNSA_16discard_iteratorINSA_11use_defaultEEES6_EEENSJ_IJSG_SG_EEENS0_18inequality_wrapperINSA_8equal_toIyEEEEPmJS6_EEE10hipError_tPvRmT3_T4_T5_T6_T7_T9_mT8_P12ihipStream_tbDpT10_ENKUlT_T0_E_clISt17integral_constantIbLb0EES1C_IbLb1EEEEDaS18_S19_EUlS18_E_NS1_11comp_targetILNS1_3genE5ELNS1_11target_archE942ELNS1_3gpuE9ELNS1_3repE0EEENS1_30default_config_static_selectorELNS0_4arch9wavefront6targetE1EEEvT1_
    .private_segment_fixed_size: 0
    .sgpr_count:     4
    .sgpr_spill_count: 0
    .symbol:         _ZN7rocprim17ROCPRIM_400000_NS6detail17trampoline_kernelINS0_14default_configENS1_25partition_config_selectorILNS1_17partition_subalgoE8EyNS0_10empty_typeEbEEZZNS1_14partition_implILS5_8ELb0ES3_jN6thrust23THRUST_200600_302600_NS6detail15normal_iteratorINSA_10device_ptrIyEEEEPS6_PKS6_NS0_5tupleIJNSA_16discard_iteratorINSA_11use_defaultEEES6_EEENSJ_IJSG_SG_EEENS0_18inequality_wrapperINSA_8equal_toIyEEEEPmJS6_EEE10hipError_tPvRmT3_T4_T5_T6_T7_T9_mT8_P12ihipStream_tbDpT10_ENKUlT_T0_E_clISt17integral_constantIbLb0EES1C_IbLb1EEEEDaS18_S19_EUlS18_E_NS1_11comp_targetILNS1_3genE5ELNS1_11target_archE942ELNS1_3gpuE9ELNS1_3repE0EEENS1_30default_config_static_selectorELNS0_4arch9wavefront6targetE1EEEvT1_.kd
    .uniform_work_group_size: 1
    .uses_dynamic_stack: false
    .vgpr_count:     0
    .vgpr_spill_count: 0
    .wavefront_size: 64
  - .args:
      - .offset:         0
        .size:           136
        .value_kind:     by_value
    .group_segment_fixed_size: 0
    .kernarg_segment_align: 8
    .kernarg_segment_size: 136
    .language:       OpenCL C
    .language_version:
      - 2
      - 0
    .max_flat_workgroup_size: 256
    .name:           _ZN7rocprim17ROCPRIM_400000_NS6detail17trampoline_kernelINS0_14default_configENS1_25partition_config_selectorILNS1_17partition_subalgoE8EyNS0_10empty_typeEbEEZZNS1_14partition_implILS5_8ELb0ES3_jN6thrust23THRUST_200600_302600_NS6detail15normal_iteratorINSA_10device_ptrIyEEEEPS6_PKS6_NS0_5tupleIJNSA_16discard_iteratorINSA_11use_defaultEEES6_EEENSJ_IJSG_SG_EEENS0_18inequality_wrapperINSA_8equal_toIyEEEEPmJS6_EEE10hipError_tPvRmT3_T4_T5_T6_T7_T9_mT8_P12ihipStream_tbDpT10_ENKUlT_T0_E_clISt17integral_constantIbLb0EES1C_IbLb1EEEEDaS18_S19_EUlS18_E_NS1_11comp_targetILNS1_3genE4ELNS1_11target_archE910ELNS1_3gpuE8ELNS1_3repE0EEENS1_30default_config_static_selectorELNS0_4arch9wavefront6targetE1EEEvT1_
    .private_segment_fixed_size: 0
    .sgpr_count:     4
    .sgpr_spill_count: 0
    .symbol:         _ZN7rocprim17ROCPRIM_400000_NS6detail17trampoline_kernelINS0_14default_configENS1_25partition_config_selectorILNS1_17partition_subalgoE8EyNS0_10empty_typeEbEEZZNS1_14partition_implILS5_8ELb0ES3_jN6thrust23THRUST_200600_302600_NS6detail15normal_iteratorINSA_10device_ptrIyEEEEPS6_PKS6_NS0_5tupleIJNSA_16discard_iteratorINSA_11use_defaultEEES6_EEENSJ_IJSG_SG_EEENS0_18inequality_wrapperINSA_8equal_toIyEEEEPmJS6_EEE10hipError_tPvRmT3_T4_T5_T6_T7_T9_mT8_P12ihipStream_tbDpT10_ENKUlT_T0_E_clISt17integral_constantIbLb0EES1C_IbLb1EEEEDaS18_S19_EUlS18_E_NS1_11comp_targetILNS1_3genE4ELNS1_11target_archE910ELNS1_3gpuE8ELNS1_3repE0EEENS1_30default_config_static_selectorELNS0_4arch9wavefront6targetE1EEEvT1_.kd
    .uniform_work_group_size: 1
    .uses_dynamic_stack: false
    .vgpr_count:     0
    .vgpr_spill_count: 0
    .wavefront_size: 64
  - .args:
      - .offset:         0
        .size:           136
        .value_kind:     by_value
    .group_segment_fixed_size: 0
    .kernarg_segment_align: 8
    .kernarg_segment_size: 136
    .language:       OpenCL C
    .language_version:
      - 2
      - 0
    .max_flat_workgroup_size: 512
    .name:           _ZN7rocprim17ROCPRIM_400000_NS6detail17trampoline_kernelINS0_14default_configENS1_25partition_config_selectorILNS1_17partition_subalgoE8EyNS0_10empty_typeEbEEZZNS1_14partition_implILS5_8ELb0ES3_jN6thrust23THRUST_200600_302600_NS6detail15normal_iteratorINSA_10device_ptrIyEEEEPS6_PKS6_NS0_5tupleIJNSA_16discard_iteratorINSA_11use_defaultEEES6_EEENSJ_IJSG_SG_EEENS0_18inequality_wrapperINSA_8equal_toIyEEEEPmJS6_EEE10hipError_tPvRmT3_T4_T5_T6_T7_T9_mT8_P12ihipStream_tbDpT10_ENKUlT_T0_E_clISt17integral_constantIbLb0EES1C_IbLb1EEEEDaS18_S19_EUlS18_E_NS1_11comp_targetILNS1_3genE3ELNS1_11target_archE908ELNS1_3gpuE7ELNS1_3repE0EEENS1_30default_config_static_selectorELNS0_4arch9wavefront6targetE1EEEvT1_
    .private_segment_fixed_size: 0
    .sgpr_count:     4
    .sgpr_spill_count: 0
    .symbol:         _ZN7rocprim17ROCPRIM_400000_NS6detail17trampoline_kernelINS0_14default_configENS1_25partition_config_selectorILNS1_17partition_subalgoE8EyNS0_10empty_typeEbEEZZNS1_14partition_implILS5_8ELb0ES3_jN6thrust23THRUST_200600_302600_NS6detail15normal_iteratorINSA_10device_ptrIyEEEEPS6_PKS6_NS0_5tupleIJNSA_16discard_iteratorINSA_11use_defaultEEES6_EEENSJ_IJSG_SG_EEENS0_18inequality_wrapperINSA_8equal_toIyEEEEPmJS6_EEE10hipError_tPvRmT3_T4_T5_T6_T7_T9_mT8_P12ihipStream_tbDpT10_ENKUlT_T0_E_clISt17integral_constantIbLb0EES1C_IbLb1EEEEDaS18_S19_EUlS18_E_NS1_11comp_targetILNS1_3genE3ELNS1_11target_archE908ELNS1_3gpuE7ELNS1_3repE0EEENS1_30default_config_static_selectorELNS0_4arch9wavefront6targetE1EEEvT1_.kd
    .uniform_work_group_size: 1
    .uses_dynamic_stack: false
    .vgpr_count:     0
    .vgpr_spill_count: 0
    .wavefront_size: 64
  - .args:
      - .offset:         0
        .size:           136
        .value_kind:     by_value
    .group_segment_fixed_size: 14344
    .kernarg_segment_align: 8
    .kernarg_segment_size: 136
    .language:       OpenCL C
    .language_version:
      - 2
      - 0
    .max_flat_workgroup_size: 256
    .name:           _ZN7rocprim17ROCPRIM_400000_NS6detail17trampoline_kernelINS0_14default_configENS1_25partition_config_selectorILNS1_17partition_subalgoE8EyNS0_10empty_typeEbEEZZNS1_14partition_implILS5_8ELb0ES3_jN6thrust23THRUST_200600_302600_NS6detail15normal_iteratorINSA_10device_ptrIyEEEEPS6_PKS6_NS0_5tupleIJNSA_16discard_iteratorINSA_11use_defaultEEES6_EEENSJ_IJSG_SG_EEENS0_18inequality_wrapperINSA_8equal_toIyEEEEPmJS6_EEE10hipError_tPvRmT3_T4_T5_T6_T7_T9_mT8_P12ihipStream_tbDpT10_ENKUlT_T0_E_clISt17integral_constantIbLb0EES1C_IbLb1EEEEDaS18_S19_EUlS18_E_NS1_11comp_targetILNS1_3genE2ELNS1_11target_archE906ELNS1_3gpuE6ELNS1_3repE0EEENS1_30default_config_static_selectorELNS0_4arch9wavefront6targetE1EEEvT1_
    .private_segment_fixed_size: 0
    .sgpr_count:     39
    .sgpr_spill_count: 0
    .symbol:         _ZN7rocprim17ROCPRIM_400000_NS6detail17trampoline_kernelINS0_14default_configENS1_25partition_config_selectorILNS1_17partition_subalgoE8EyNS0_10empty_typeEbEEZZNS1_14partition_implILS5_8ELb0ES3_jN6thrust23THRUST_200600_302600_NS6detail15normal_iteratorINSA_10device_ptrIyEEEEPS6_PKS6_NS0_5tupleIJNSA_16discard_iteratorINSA_11use_defaultEEES6_EEENSJ_IJSG_SG_EEENS0_18inequality_wrapperINSA_8equal_toIyEEEEPmJS6_EEE10hipError_tPvRmT3_T4_T5_T6_T7_T9_mT8_P12ihipStream_tbDpT10_ENKUlT_T0_E_clISt17integral_constantIbLb0EES1C_IbLb1EEEEDaS18_S19_EUlS18_E_NS1_11comp_targetILNS1_3genE2ELNS1_11target_archE906ELNS1_3gpuE6ELNS1_3repE0EEENS1_30default_config_static_selectorELNS0_4arch9wavefront6targetE1EEEvT1_.kd
    .uniform_work_group_size: 1
    .uses_dynamic_stack: false
    .vgpr_count:     59
    .vgpr_spill_count: 0
    .wavefront_size: 64
  - .args:
      - .offset:         0
        .size:           136
        .value_kind:     by_value
    .group_segment_fixed_size: 0
    .kernarg_segment_align: 8
    .kernarg_segment_size: 136
    .language:       OpenCL C
    .language_version:
      - 2
      - 0
    .max_flat_workgroup_size: 384
    .name:           _ZN7rocprim17ROCPRIM_400000_NS6detail17trampoline_kernelINS0_14default_configENS1_25partition_config_selectorILNS1_17partition_subalgoE8EyNS0_10empty_typeEbEEZZNS1_14partition_implILS5_8ELb0ES3_jN6thrust23THRUST_200600_302600_NS6detail15normal_iteratorINSA_10device_ptrIyEEEEPS6_PKS6_NS0_5tupleIJNSA_16discard_iteratorINSA_11use_defaultEEES6_EEENSJ_IJSG_SG_EEENS0_18inequality_wrapperINSA_8equal_toIyEEEEPmJS6_EEE10hipError_tPvRmT3_T4_T5_T6_T7_T9_mT8_P12ihipStream_tbDpT10_ENKUlT_T0_E_clISt17integral_constantIbLb0EES1C_IbLb1EEEEDaS18_S19_EUlS18_E_NS1_11comp_targetILNS1_3genE10ELNS1_11target_archE1200ELNS1_3gpuE4ELNS1_3repE0EEENS1_30default_config_static_selectorELNS0_4arch9wavefront6targetE1EEEvT1_
    .private_segment_fixed_size: 0
    .sgpr_count:     4
    .sgpr_spill_count: 0
    .symbol:         _ZN7rocprim17ROCPRIM_400000_NS6detail17trampoline_kernelINS0_14default_configENS1_25partition_config_selectorILNS1_17partition_subalgoE8EyNS0_10empty_typeEbEEZZNS1_14partition_implILS5_8ELb0ES3_jN6thrust23THRUST_200600_302600_NS6detail15normal_iteratorINSA_10device_ptrIyEEEEPS6_PKS6_NS0_5tupleIJNSA_16discard_iteratorINSA_11use_defaultEEES6_EEENSJ_IJSG_SG_EEENS0_18inequality_wrapperINSA_8equal_toIyEEEEPmJS6_EEE10hipError_tPvRmT3_T4_T5_T6_T7_T9_mT8_P12ihipStream_tbDpT10_ENKUlT_T0_E_clISt17integral_constantIbLb0EES1C_IbLb1EEEEDaS18_S19_EUlS18_E_NS1_11comp_targetILNS1_3genE10ELNS1_11target_archE1200ELNS1_3gpuE4ELNS1_3repE0EEENS1_30default_config_static_selectorELNS0_4arch9wavefront6targetE1EEEvT1_.kd
    .uniform_work_group_size: 1
    .uses_dynamic_stack: false
    .vgpr_count:     0
    .vgpr_spill_count: 0
    .wavefront_size: 64
  - .args:
      - .offset:         0
        .size:           136
        .value_kind:     by_value
    .group_segment_fixed_size: 0
    .kernarg_segment_align: 8
    .kernarg_segment_size: 136
    .language:       OpenCL C
    .language_version:
      - 2
      - 0
    .max_flat_workgroup_size: 512
    .name:           _ZN7rocprim17ROCPRIM_400000_NS6detail17trampoline_kernelINS0_14default_configENS1_25partition_config_selectorILNS1_17partition_subalgoE8EyNS0_10empty_typeEbEEZZNS1_14partition_implILS5_8ELb0ES3_jN6thrust23THRUST_200600_302600_NS6detail15normal_iteratorINSA_10device_ptrIyEEEEPS6_PKS6_NS0_5tupleIJNSA_16discard_iteratorINSA_11use_defaultEEES6_EEENSJ_IJSG_SG_EEENS0_18inequality_wrapperINSA_8equal_toIyEEEEPmJS6_EEE10hipError_tPvRmT3_T4_T5_T6_T7_T9_mT8_P12ihipStream_tbDpT10_ENKUlT_T0_E_clISt17integral_constantIbLb0EES1C_IbLb1EEEEDaS18_S19_EUlS18_E_NS1_11comp_targetILNS1_3genE9ELNS1_11target_archE1100ELNS1_3gpuE3ELNS1_3repE0EEENS1_30default_config_static_selectorELNS0_4arch9wavefront6targetE1EEEvT1_
    .private_segment_fixed_size: 0
    .sgpr_count:     4
    .sgpr_spill_count: 0
    .symbol:         _ZN7rocprim17ROCPRIM_400000_NS6detail17trampoline_kernelINS0_14default_configENS1_25partition_config_selectorILNS1_17partition_subalgoE8EyNS0_10empty_typeEbEEZZNS1_14partition_implILS5_8ELb0ES3_jN6thrust23THRUST_200600_302600_NS6detail15normal_iteratorINSA_10device_ptrIyEEEEPS6_PKS6_NS0_5tupleIJNSA_16discard_iteratorINSA_11use_defaultEEES6_EEENSJ_IJSG_SG_EEENS0_18inequality_wrapperINSA_8equal_toIyEEEEPmJS6_EEE10hipError_tPvRmT3_T4_T5_T6_T7_T9_mT8_P12ihipStream_tbDpT10_ENKUlT_T0_E_clISt17integral_constantIbLb0EES1C_IbLb1EEEEDaS18_S19_EUlS18_E_NS1_11comp_targetILNS1_3genE9ELNS1_11target_archE1100ELNS1_3gpuE3ELNS1_3repE0EEENS1_30default_config_static_selectorELNS0_4arch9wavefront6targetE1EEEvT1_.kd
    .uniform_work_group_size: 1
    .uses_dynamic_stack: false
    .vgpr_count:     0
    .vgpr_spill_count: 0
    .wavefront_size: 64
  - .args:
      - .offset:         0
        .size:           136
        .value_kind:     by_value
    .group_segment_fixed_size: 0
    .kernarg_segment_align: 8
    .kernarg_segment_size: 136
    .language:       OpenCL C
    .language_version:
      - 2
      - 0
    .max_flat_workgroup_size: 512
    .name:           _ZN7rocprim17ROCPRIM_400000_NS6detail17trampoline_kernelINS0_14default_configENS1_25partition_config_selectorILNS1_17partition_subalgoE8EyNS0_10empty_typeEbEEZZNS1_14partition_implILS5_8ELb0ES3_jN6thrust23THRUST_200600_302600_NS6detail15normal_iteratorINSA_10device_ptrIyEEEEPS6_PKS6_NS0_5tupleIJNSA_16discard_iteratorINSA_11use_defaultEEES6_EEENSJ_IJSG_SG_EEENS0_18inequality_wrapperINSA_8equal_toIyEEEEPmJS6_EEE10hipError_tPvRmT3_T4_T5_T6_T7_T9_mT8_P12ihipStream_tbDpT10_ENKUlT_T0_E_clISt17integral_constantIbLb0EES1C_IbLb1EEEEDaS18_S19_EUlS18_E_NS1_11comp_targetILNS1_3genE8ELNS1_11target_archE1030ELNS1_3gpuE2ELNS1_3repE0EEENS1_30default_config_static_selectorELNS0_4arch9wavefront6targetE1EEEvT1_
    .private_segment_fixed_size: 0
    .sgpr_count:     4
    .sgpr_spill_count: 0
    .symbol:         _ZN7rocprim17ROCPRIM_400000_NS6detail17trampoline_kernelINS0_14default_configENS1_25partition_config_selectorILNS1_17partition_subalgoE8EyNS0_10empty_typeEbEEZZNS1_14partition_implILS5_8ELb0ES3_jN6thrust23THRUST_200600_302600_NS6detail15normal_iteratorINSA_10device_ptrIyEEEEPS6_PKS6_NS0_5tupleIJNSA_16discard_iteratorINSA_11use_defaultEEES6_EEENSJ_IJSG_SG_EEENS0_18inequality_wrapperINSA_8equal_toIyEEEEPmJS6_EEE10hipError_tPvRmT3_T4_T5_T6_T7_T9_mT8_P12ihipStream_tbDpT10_ENKUlT_T0_E_clISt17integral_constantIbLb0EES1C_IbLb1EEEEDaS18_S19_EUlS18_E_NS1_11comp_targetILNS1_3genE8ELNS1_11target_archE1030ELNS1_3gpuE2ELNS1_3repE0EEENS1_30default_config_static_selectorELNS0_4arch9wavefront6targetE1EEEvT1_.kd
    .uniform_work_group_size: 1
    .uses_dynamic_stack: false
    .vgpr_count:     0
    .vgpr_spill_count: 0
    .wavefront_size: 64
  - .args:
      - .offset:         0
        .size:           120
        .value_kind:     by_value
    .group_segment_fixed_size: 0
    .kernarg_segment_align: 8
    .kernarg_segment_size: 120
    .language:       OpenCL C
    .language_version:
      - 2
      - 0
    .max_flat_workgroup_size: 512
    .name:           _ZN7rocprim17ROCPRIM_400000_NS6detail17trampoline_kernelINS0_14default_configENS1_25partition_config_selectorILNS1_17partition_subalgoE8EjNS0_10empty_typeEbEEZZNS1_14partition_implILS5_8ELb0ES3_jN6thrust23THRUST_200600_302600_NS6detail15normal_iteratorINSA_10device_ptrIjEEEEPS6_PKS6_NS0_5tupleIJNSA_16discard_iteratorINSA_11use_defaultEEES6_EEENSJ_IJSG_SG_EEENS0_18inequality_wrapperINSA_8equal_toIjEEEEPmJS6_EEE10hipError_tPvRmT3_T4_T5_T6_T7_T9_mT8_P12ihipStream_tbDpT10_ENKUlT_T0_E_clISt17integral_constantIbLb0EES1D_EEDaS18_S19_EUlS18_E_NS1_11comp_targetILNS1_3genE0ELNS1_11target_archE4294967295ELNS1_3gpuE0ELNS1_3repE0EEENS1_30default_config_static_selectorELNS0_4arch9wavefront6targetE1EEEvT1_
    .private_segment_fixed_size: 0
    .sgpr_count:     4
    .sgpr_spill_count: 0
    .symbol:         _ZN7rocprim17ROCPRIM_400000_NS6detail17trampoline_kernelINS0_14default_configENS1_25partition_config_selectorILNS1_17partition_subalgoE8EjNS0_10empty_typeEbEEZZNS1_14partition_implILS5_8ELb0ES3_jN6thrust23THRUST_200600_302600_NS6detail15normal_iteratorINSA_10device_ptrIjEEEEPS6_PKS6_NS0_5tupleIJNSA_16discard_iteratorINSA_11use_defaultEEES6_EEENSJ_IJSG_SG_EEENS0_18inequality_wrapperINSA_8equal_toIjEEEEPmJS6_EEE10hipError_tPvRmT3_T4_T5_T6_T7_T9_mT8_P12ihipStream_tbDpT10_ENKUlT_T0_E_clISt17integral_constantIbLb0EES1D_EEDaS18_S19_EUlS18_E_NS1_11comp_targetILNS1_3genE0ELNS1_11target_archE4294967295ELNS1_3gpuE0ELNS1_3repE0EEENS1_30default_config_static_selectorELNS0_4arch9wavefront6targetE1EEEvT1_.kd
    .uniform_work_group_size: 1
    .uses_dynamic_stack: false
    .vgpr_count:     0
    .vgpr_spill_count: 0
    .wavefront_size: 64
  - .args:
      - .offset:         0
        .size:           120
        .value_kind:     by_value
    .group_segment_fixed_size: 0
    .kernarg_segment_align: 8
    .kernarg_segment_size: 120
    .language:       OpenCL C
    .language_version:
      - 2
      - 0
    .max_flat_workgroup_size: 512
    .name:           _ZN7rocprim17ROCPRIM_400000_NS6detail17trampoline_kernelINS0_14default_configENS1_25partition_config_selectorILNS1_17partition_subalgoE8EjNS0_10empty_typeEbEEZZNS1_14partition_implILS5_8ELb0ES3_jN6thrust23THRUST_200600_302600_NS6detail15normal_iteratorINSA_10device_ptrIjEEEEPS6_PKS6_NS0_5tupleIJNSA_16discard_iteratorINSA_11use_defaultEEES6_EEENSJ_IJSG_SG_EEENS0_18inequality_wrapperINSA_8equal_toIjEEEEPmJS6_EEE10hipError_tPvRmT3_T4_T5_T6_T7_T9_mT8_P12ihipStream_tbDpT10_ENKUlT_T0_E_clISt17integral_constantIbLb0EES1D_EEDaS18_S19_EUlS18_E_NS1_11comp_targetILNS1_3genE5ELNS1_11target_archE942ELNS1_3gpuE9ELNS1_3repE0EEENS1_30default_config_static_selectorELNS0_4arch9wavefront6targetE1EEEvT1_
    .private_segment_fixed_size: 0
    .sgpr_count:     4
    .sgpr_spill_count: 0
    .symbol:         _ZN7rocprim17ROCPRIM_400000_NS6detail17trampoline_kernelINS0_14default_configENS1_25partition_config_selectorILNS1_17partition_subalgoE8EjNS0_10empty_typeEbEEZZNS1_14partition_implILS5_8ELb0ES3_jN6thrust23THRUST_200600_302600_NS6detail15normal_iteratorINSA_10device_ptrIjEEEEPS6_PKS6_NS0_5tupleIJNSA_16discard_iteratorINSA_11use_defaultEEES6_EEENSJ_IJSG_SG_EEENS0_18inequality_wrapperINSA_8equal_toIjEEEEPmJS6_EEE10hipError_tPvRmT3_T4_T5_T6_T7_T9_mT8_P12ihipStream_tbDpT10_ENKUlT_T0_E_clISt17integral_constantIbLb0EES1D_EEDaS18_S19_EUlS18_E_NS1_11comp_targetILNS1_3genE5ELNS1_11target_archE942ELNS1_3gpuE9ELNS1_3repE0EEENS1_30default_config_static_selectorELNS0_4arch9wavefront6targetE1EEEvT1_.kd
    .uniform_work_group_size: 1
    .uses_dynamic_stack: false
    .vgpr_count:     0
    .vgpr_spill_count: 0
    .wavefront_size: 64
  - .args:
      - .offset:         0
        .size:           120
        .value_kind:     by_value
    .group_segment_fixed_size: 0
    .kernarg_segment_align: 8
    .kernarg_segment_size: 120
    .language:       OpenCL C
    .language_version:
      - 2
      - 0
    .max_flat_workgroup_size: 256
    .name:           _ZN7rocprim17ROCPRIM_400000_NS6detail17trampoline_kernelINS0_14default_configENS1_25partition_config_selectorILNS1_17partition_subalgoE8EjNS0_10empty_typeEbEEZZNS1_14partition_implILS5_8ELb0ES3_jN6thrust23THRUST_200600_302600_NS6detail15normal_iteratorINSA_10device_ptrIjEEEEPS6_PKS6_NS0_5tupleIJNSA_16discard_iteratorINSA_11use_defaultEEES6_EEENSJ_IJSG_SG_EEENS0_18inequality_wrapperINSA_8equal_toIjEEEEPmJS6_EEE10hipError_tPvRmT3_T4_T5_T6_T7_T9_mT8_P12ihipStream_tbDpT10_ENKUlT_T0_E_clISt17integral_constantIbLb0EES1D_EEDaS18_S19_EUlS18_E_NS1_11comp_targetILNS1_3genE4ELNS1_11target_archE910ELNS1_3gpuE8ELNS1_3repE0EEENS1_30default_config_static_selectorELNS0_4arch9wavefront6targetE1EEEvT1_
    .private_segment_fixed_size: 0
    .sgpr_count:     4
    .sgpr_spill_count: 0
    .symbol:         _ZN7rocprim17ROCPRIM_400000_NS6detail17trampoline_kernelINS0_14default_configENS1_25partition_config_selectorILNS1_17partition_subalgoE8EjNS0_10empty_typeEbEEZZNS1_14partition_implILS5_8ELb0ES3_jN6thrust23THRUST_200600_302600_NS6detail15normal_iteratorINSA_10device_ptrIjEEEEPS6_PKS6_NS0_5tupleIJNSA_16discard_iteratorINSA_11use_defaultEEES6_EEENSJ_IJSG_SG_EEENS0_18inequality_wrapperINSA_8equal_toIjEEEEPmJS6_EEE10hipError_tPvRmT3_T4_T5_T6_T7_T9_mT8_P12ihipStream_tbDpT10_ENKUlT_T0_E_clISt17integral_constantIbLb0EES1D_EEDaS18_S19_EUlS18_E_NS1_11comp_targetILNS1_3genE4ELNS1_11target_archE910ELNS1_3gpuE8ELNS1_3repE0EEENS1_30default_config_static_selectorELNS0_4arch9wavefront6targetE1EEEvT1_.kd
    .uniform_work_group_size: 1
    .uses_dynamic_stack: false
    .vgpr_count:     0
    .vgpr_spill_count: 0
    .wavefront_size: 64
  - .args:
      - .offset:         0
        .size:           120
        .value_kind:     by_value
    .group_segment_fixed_size: 0
    .kernarg_segment_align: 8
    .kernarg_segment_size: 120
    .language:       OpenCL C
    .language_version:
      - 2
      - 0
    .max_flat_workgroup_size: 512
    .name:           _ZN7rocprim17ROCPRIM_400000_NS6detail17trampoline_kernelINS0_14default_configENS1_25partition_config_selectorILNS1_17partition_subalgoE8EjNS0_10empty_typeEbEEZZNS1_14partition_implILS5_8ELb0ES3_jN6thrust23THRUST_200600_302600_NS6detail15normal_iteratorINSA_10device_ptrIjEEEEPS6_PKS6_NS0_5tupleIJNSA_16discard_iteratorINSA_11use_defaultEEES6_EEENSJ_IJSG_SG_EEENS0_18inequality_wrapperINSA_8equal_toIjEEEEPmJS6_EEE10hipError_tPvRmT3_T4_T5_T6_T7_T9_mT8_P12ihipStream_tbDpT10_ENKUlT_T0_E_clISt17integral_constantIbLb0EES1D_EEDaS18_S19_EUlS18_E_NS1_11comp_targetILNS1_3genE3ELNS1_11target_archE908ELNS1_3gpuE7ELNS1_3repE0EEENS1_30default_config_static_selectorELNS0_4arch9wavefront6targetE1EEEvT1_
    .private_segment_fixed_size: 0
    .sgpr_count:     4
    .sgpr_spill_count: 0
    .symbol:         _ZN7rocprim17ROCPRIM_400000_NS6detail17trampoline_kernelINS0_14default_configENS1_25partition_config_selectorILNS1_17partition_subalgoE8EjNS0_10empty_typeEbEEZZNS1_14partition_implILS5_8ELb0ES3_jN6thrust23THRUST_200600_302600_NS6detail15normal_iteratorINSA_10device_ptrIjEEEEPS6_PKS6_NS0_5tupleIJNSA_16discard_iteratorINSA_11use_defaultEEES6_EEENSJ_IJSG_SG_EEENS0_18inequality_wrapperINSA_8equal_toIjEEEEPmJS6_EEE10hipError_tPvRmT3_T4_T5_T6_T7_T9_mT8_P12ihipStream_tbDpT10_ENKUlT_T0_E_clISt17integral_constantIbLb0EES1D_EEDaS18_S19_EUlS18_E_NS1_11comp_targetILNS1_3genE3ELNS1_11target_archE908ELNS1_3gpuE7ELNS1_3repE0EEENS1_30default_config_static_selectorELNS0_4arch9wavefront6targetE1EEEvT1_.kd
    .uniform_work_group_size: 1
    .uses_dynamic_stack: false
    .vgpr_count:     0
    .vgpr_spill_count: 0
    .wavefront_size: 64
  - .args:
      - .offset:         0
        .size:           120
        .value_kind:     by_value
    .group_segment_fixed_size: 16904
    .kernarg_segment_align: 8
    .kernarg_segment_size: 120
    .language:       OpenCL C
    .language_version:
      - 2
      - 0
    .max_flat_workgroup_size: 256
    .name:           _ZN7rocprim17ROCPRIM_400000_NS6detail17trampoline_kernelINS0_14default_configENS1_25partition_config_selectorILNS1_17partition_subalgoE8EjNS0_10empty_typeEbEEZZNS1_14partition_implILS5_8ELb0ES3_jN6thrust23THRUST_200600_302600_NS6detail15normal_iteratorINSA_10device_ptrIjEEEEPS6_PKS6_NS0_5tupleIJNSA_16discard_iteratorINSA_11use_defaultEEES6_EEENSJ_IJSG_SG_EEENS0_18inequality_wrapperINSA_8equal_toIjEEEEPmJS6_EEE10hipError_tPvRmT3_T4_T5_T6_T7_T9_mT8_P12ihipStream_tbDpT10_ENKUlT_T0_E_clISt17integral_constantIbLb0EES1D_EEDaS18_S19_EUlS18_E_NS1_11comp_targetILNS1_3genE2ELNS1_11target_archE906ELNS1_3gpuE6ELNS1_3repE0EEENS1_30default_config_static_selectorELNS0_4arch9wavefront6targetE1EEEvT1_
    .private_segment_fixed_size: 0
    .sgpr_count:     58
    .sgpr_spill_count: 0
    .symbol:         _ZN7rocprim17ROCPRIM_400000_NS6detail17trampoline_kernelINS0_14default_configENS1_25partition_config_selectorILNS1_17partition_subalgoE8EjNS0_10empty_typeEbEEZZNS1_14partition_implILS5_8ELb0ES3_jN6thrust23THRUST_200600_302600_NS6detail15normal_iteratorINSA_10device_ptrIjEEEEPS6_PKS6_NS0_5tupleIJNSA_16discard_iteratorINSA_11use_defaultEEES6_EEENSJ_IJSG_SG_EEENS0_18inequality_wrapperINSA_8equal_toIjEEEEPmJS6_EEE10hipError_tPvRmT3_T4_T5_T6_T7_T9_mT8_P12ihipStream_tbDpT10_ENKUlT_T0_E_clISt17integral_constantIbLb0EES1D_EEDaS18_S19_EUlS18_E_NS1_11comp_targetILNS1_3genE2ELNS1_11target_archE906ELNS1_3gpuE6ELNS1_3repE0EEENS1_30default_config_static_selectorELNS0_4arch9wavefront6targetE1EEEvT1_.kd
    .uniform_work_group_size: 1
    .uses_dynamic_stack: false
    .vgpr_count:     75
    .vgpr_spill_count: 0
    .wavefront_size: 64
  - .args:
      - .offset:         0
        .size:           120
        .value_kind:     by_value
    .group_segment_fixed_size: 0
    .kernarg_segment_align: 8
    .kernarg_segment_size: 120
    .language:       OpenCL C
    .language_version:
      - 2
      - 0
    .max_flat_workgroup_size: 384
    .name:           _ZN7rocprim17ROCPRIM_400000_NS6detail17trampoline_kernelINS0_14default_configENS1_25partition_config_selectorILNS1_17partition_subalgoE8EjNS0_10empty_typeEbEEZZNS1_14partition_implILS5_8ELb0ES3_jN6thrust23THRUST_200600_302600_NS6detail15normal_iteratorINSA_10device_ptrIjEEEEPS6_PKS6_NS0_5tupleIJNSA_16discard_iteratorINSA_11use_defaultEEES6_EEENSJ_IJSG_SG_EEENS0_18inequality_wrapperINSA_8equal_toIjEEEEPmJS6_EEE10hipError_tPvRmT3_T4_T5_T6_T7_T9_mT8_P12ihipStream_tbDpT10_ENKUlT_T0_E_clISt17integral_constantIbLb0EES1D_EEDaS18_S19_EUlS18_E_NS1_11comp_targetILNS1_3genE10ELNS1_11target_archE1200ELNS1_3gpuE4ELNS1_3repE0EEENS1_30default_config_static_selectorELNS0_4arch9wavefront6targetE1EEEvT1_
    .private_segment_fixed_size: 0
    .sgpr_count:     4
    .sgpr_spill_count: 0
    .symbol:         _ZN7rocprim17ROCPRIM_400000_NS6detail17trampoline_kernelINS0_14default_configENS1_25partition_config_selectorILNS1_17partition_subalgoE8EjNS0_10empty_typeEbEEZZNS1_14partition_implILS5_8ELb0ES3_jN6thrust23THRUST_200600_302600_NS6detail15normal_iteratorINSA_10device_ptrIjEEEEPS6_PKS6_NS0_5tupleIJNSA_16discard_iteratorINSA_11use_defaultEEES6_EEENSJ_IJSG_SG_EEENS0_18inequality_wrapperINSA_8equal_toIjEEEEPmJS6_EEE10hipError_tPvRmT3_T4_T5_T6_T7_T9_mT8_P12ihipStream_tbDpT10_ENKUlT_T0_E_clISt17integral_constantIbLb0EES1D_EEDaS18_S19_EUlS18_E_NS1_11comp_targetILNS1_3genE10ELNS1_11target_archE1200ELNS1_3gpuE4ELNS1_3repE0EEENS1_30default_config_static_selectorELNS0_4arch9wavefront6targetE1EEEvT1_.kd
    .uniform_work_group_size: 1
    .uses_dynamic_stack: false
    .vgpr_count:     0
    .vgpr_spill_count: 0
    .wavefront_size: 64
  - .args:
      - .offset:         0
        .size:           120
        .value_kind:     by_value
    .group_segment_fixed_size: 0
    .kernarg_segment_align: 8
    .kernarg_segment_size: 120
    .language:       OpenCL C
    .language_version:
      - 2
      - 0
    .max_flat_workgroup_size: 384
    .name:           _ZN7rocprim17ROCPRIM_400000_NS6detail17trampoline_kernelINS0_14default_configENS1_25partition_config_selectorILNS1_17partition_subalgoE8EjNS0_10empty_typeEbEEZZNS1_14partition_implILS5_8ELb0ES3_jN6thrust23THRUST_200600_302600_NS6detail15normal_iteratorINSA_10device_ptrIjEEEEPS6_PKS6_NS0_5tupleIJNSA_16discard_iteratorINSA_11use_defaultEEES6_EEENSJ_IJSG_SG_EEENS0_18inequality_wrapperINSA_8equal_toIjEEEEPmJS6_EEE10hipError_tPvRmT3_T4_T5_T6_T7_T9_mT8_P12ihipStream_tbDpT10_ENKUlT_T0_E_clISt17integral_constantIbLb0EES1D_EEDaS18_S19_EUlS18_E_NS1_11comp_targetILNS1_3genE9ELNS1_11target_archE1100ELNS1_3gpuE3ELNS1_3repE0EEENS1_30default_config_static_selectorELNS0_4arch9wavefront6targetE1EEEvT1_
    .private_segment_fixed_size: 0
    .sgpr_count:     4
    .sgpr_spill_count: 0
    .symbol:         _ZN7rocprim17ROCPRIM_400000_NS6detail17trampoline_kernelINS0_14default_configENS1_25partition_config_selectorILNS1_17partition_subalgoE8EjNS0_10empty_typeEbEEZZNS1_14partition_implILS5_8ELb0ES3_jN6thrust23THRUST_200600_302600_NS6detail15normal_iteratorINSA_10device_ptrIjEEEEPS6_PKS6_NS0_5tupleIJNSA_16discard_iteratorINSA_11use_defaultEEES6_EEENSJ_IJSG_SG_EEENS0_18inequality_wrapperINSA_8equal_toIjEEEEPmJS6_EEE10hipError_tPvRmT3_T4_T5_T6_T7_T9_mT8_P12ihipStream_tbDpT10_ENKUlT_T0_E_clISt17integral_constantIbLb0EES1D_EEDaS18_S19_EUlS18_E_NS1_11comp_targetILNS1_3genE9ELNS1_11target_archE1100ELNS1_3gpuE3ELNS1_3repE0EEENS1_30default_config_static_selectorELNS0_4arch9wavefront6targetE1EEEvT1_.kd
    .uniform_work_group_size: 1
    .uses_dynamic_stack: false
    .vgpr_count:     0
    .vgpr_spill_count: 0
    .wavefront_size: 64
  - .args:
      - .offset:         0
        .size:           120
        .value_kind:     by_value
    .group_segment_fixed_size: 0
    .kernarg_segment_align: 8
    .kernarg_segment_size: 120
    .language:       OpenCL C
    .language_version:
      - 2
      - 0
    .max_flat_workgroup_size: 512
    .name:           _ZN7rocprim17ROCPRIM_400000_NS6detail17trampoline_kernelINS0_14default_configENS1_25partition_config_selectorILNS1_17partition_subalgoE8EjNS0_10empty_typeEbEEZZNS1_14partition_implILS5_8ELb0ES3_jN6thrust23THRUST_200600_302600_NS6detail15normal_iteratorINSA_10device_ptrIjEEEEPS6_PKS6_NS0_5tupleIJNSA_16discard_iteratorINSA_11use_defaultEEES6_EEENSJ_IJSG_SG_EEENS0_18inequality_wrapperINSA_8equal_toIjEEEEPmJS6_EEE10hipError_tPvRmT3_T4_T5_T6_T7_T9_mT8_P12ihipStream_tbDpT10_ENKUlT_T0_E_clISt17integral_constantIbLb0EES1D_EEDaS18_S19_EUlS18_E_NS1_11comp_targetILNS1_3genE8ELNS1_11target_archE1030ELNS1_3gpuE2ELNS1_3repE0EEENS1_30default_config_static_selectorELNS0_4arch9wavefront6targetE1EEEvT1_
    .private_segment_fixed_size: 0
    .sgpr_count:     4
    .sgpr_spill_count: 0
    .symbol:         _ZN7rocprim17ROCPRIM_400000_NS6detail17trampoline_kernelINS0_14default_configENS1_25partition_config_selectorILNS1_17partition_subalgoE8EjNS0_10empty_typeEbEEZZNS1_14partition_implILS5_8ELb0ES3_jN6thrust23THRUST_200600_302600_NS6detail15normal_iteratorINSA_10device_ptrIjEEEEPS6_PKS6_NS0_5tupleIJNSA_16discard_iteratorINSA_11use_defaultEEES6_EEENSJ_IJSG_SG_EEENS0_18inequality_wrapperINSA_8equal_toIjEEEEPmJS6_EEE10hipError_tPvRmT3_T4_T5_T6_T7_T9_mT8_P12ihipStream_tbDpT10_ENKUlT_T0_E_clISt17integral_constantIbLb0EES1D_EEDaS18_S19_EUlS18_E_NS1_11comp_targetILNS1_3genE8ELNS1_11target_archE1030ELNS1_3gpuE2ELNS1_3repE0EEENS1_30default_config_static_selectorELNS0_4arch9wavefront6targetE1EEEvT1_.kd
    .uniform_work_group_size: 1
    .uses_dynamic_stack: false
    .vgpr_count:     0
    .vgpr_spill_count: 0
    .wavefront_size: 64
  - .args:
      - .offset:         0
        .size:           136
        .value_kind:     by_value
    .group_segment_fixed_size: 0
    .kernarg_segment_align: 8
    .kernarg_segment_size: 136
    .language:       OpenCL C
    .language_version:
      - 2
      - 0
    .max_flat_workgroup_size: 512
    .name:           _ZN7rocprim17ROCPRIM_400000_NS6detail17trampoline_kernelINS0_14default_configENS1_25partition_config_selectorILNS1_17partition_subalgoE8EjNS0_10empty_typeEbEEZZNS1_14partition_implILS5_8ELb0ES3_jN6thrust23THRUST_200600_302600_NS6detail15normal_iteratorINSA_10device_ptrIjEEEEPS6_PKS6_NS0_5tupleIJNSA_16discard_iteratorINSA_11use_defaultEEES6_EEENSJ_IJSG_SG_EEENS0_18inequality_wrapperINSA_8equal_toIjEEEEPmJS6_EEE10hipError_tPvRmT3_T4_T5_T6_T7_T9_mT8_P12ihipStream_tbDpT10_ENKUlT_T0_E_clISt17integral_constantIbLb1EES1D_EEDaS18_S19_EUlS18_E_NS1_11comp_targetILNS1_3genE0ELNS1_11target_archE4294967295ELNS1_3gpuE0ELNS1_3repE0EEENS1_30default_config_static_selectorELNS0_4arch9wavefront6targetE1EEEvT1_
    .private_segment_fixed_size: 0
    .sgpr_count:     4
    .sgpr_spill_count: 0
    .symbol:         _ZN7rocprim17ROCPRIM_400000_NS6detail17trampoline_kernelINS0_14default_configENS1_25partition_config_selectorILNS1_17partition_subalgoE8EjNS0_10empty_typeEbEEZZNS1_14partition_implILS5_8ELb0ES3_jN6thrust23THRUST_200600_302600_NS6detail15normal_iteratorINSA_10device_ptrIjEEEEPS6_PKS6_NS0_5tupleIJNSA_16discard_iteratorINSA_11use_defaultEEES6_EEENSJ_IJSG_SG_EEENS0_18inequality_wrapperINSA_8equal_toIjEEEEPmJS6_EEE10hipError_tPvRmT3_T4_T5_T6_T7_T9_mT8_P12ihipStream_tbDpT10_ENKUlT_T0_E_clISt17integral_constantIbLb1EES1D_EEDaS18_S19_EUlS18_E_NS1_11comp_targetILNS1_3genE0ELNS1_11target_archE4294967295ELNS1_3gpuE0ELNS1_3repE0EEENS1_30default_config_static_selectorELNS0_4arch9wavefront6targetE1EEEvT1_.kd
    .uniform_work_group_size: 1
    .uses_dynamic_stack: false
    .vgpr_count:     0
    .vgpr_spill_count: 0
    .wavefront_size: 64
  - .args:
      - .offset:         0
        .size:           136
        .value_kind:     by_value
    .group_segment_fixed_size: 0
    .kernarg_segment_align: 8
    .kernarg_segment_size: 136
    .language:       OpenCL C
    .language_version:
      - 2
      - 0
    .max_flat_workgroup_size: 512
    .name:           _ZN7rocprim17ROCPRIM_400000_NS6detail17trampoline_kernelINS0_14default_configENS1_25partition_config_selectorILNS1_17partition_subalgoE8EjNS0_10empty_typeEbEEZZNS1_14partition_implILS5_8ELb0ES3_jN6thrust23THRUST_200600_302600_NS6detail15normal_iteratorINSA_10device_ptrIjEEEEPS6_PKS6_NS0_5tupleIJNSA_16discard_iteratorINSA_11use_defaultEEES6_EEENSJ_IJSG_SG_EEENS0_18inequality_wrapperINSA_8equal_toIjEEEEPmJS6_EEE10hipError_tPvRmT3_T4_T5_T6_T7_T9_mT8_P12ihipStream_tbDpT10_ENKUlT_T0_E_clISt17integral_constantIbLb1EES1D_EEDaS18_S19_EUlS18_E_NS1_11comp_targetILNS1_3genE5ELNS1_11target_archE942ELNS1_3gpuE9ELNS1_3repE0EEENS1_30default_config_static_selectorELNS0_4arch9wavefront6targetE1EEEvT1_
    .private_segment_fixed_size: 0
    .sgpr_count:     4
    .sgpr_spill_count: 0
    .symbol:         _ZN7rocprim17ROCPRIM_400000_NS6detail17trampoline_kernelINS0_14default_configENS1_25partition_config_selectorILNS1_17partition_subalgoE8EjNS0_10empty_typeEbEEZZNS1_14partition_implILS5_8ELb0ES3_jN6thrust23THRUST_200600_302600_NS6detail15normal_iteratorINSA_10device_ptrIjEEEEPS6_PKS6_NS0_5tupleIJNSA_16discard_iteratorINSA_11use_defaultEEES6_EEENSJ_IJSG_SG_EEENS0_18inequality_wrapperINSA_8equal_toIjEEEEPmJS6_EEE10hipError_tPvRmT3_T4_T5_T6_T7_T9_mT8_P12ihipStream_tbDpT10_ENKUlT_T0_E_clISt17integral_constantIbLb1EES1D_EEDaS18_S19_EUlS18_E_NS1_11comp_targetILNS1_3genE5ELNS1_11target_archE942ELNS1_3gpuE9ELNS1_3repE0EEENS1_30default_config_static_selectorELNS0_4arch9wavefront6targetE1EEEvT1_.kd
    .uniform_work_group_size: 1
    .uses_dynamic_stack: false
    .vgpr_count:     0
    .vgpr_spill_count: 0
    .wavefront_size: 64
  - .args:
      - .offset:         0
        .size:           136
        .value_kind:     by_value
    .group_segment_fixed_size: 0
    .kernarg_segment_align: 8
    .kernarg_segment_size: 136
    .language:       OpenCL C
    .language_version:
      - 2
      - 0
    .max_flat_workgroup_size: 256
    .name:           _ZN7rocprim17ROCPRIM_400000_NS6detail17trampoline_kernelINS0_14default_configENS1_25partition_config_selectorILNS1_17partition_subalgoE8EjNS0_10empty_typeEbEEZZNS1_14partition_implILS5_8ELb0ES3_jN6thrust23THRUST_200600_302600_NS6detail15normal_iteratorINSA_10device_ptrIjEEEEPS6_PKS6_NS0_5tupleIJNSA_16discard_iteratorINSA_11use_defaultEEES6_EEENSJ_IJSG_SG_EEENS0_18inequality_wrapperINSA_8equal_toIjEEEEPmJS6_EEE10hipError_tPvRmT3_T4_T5_T6_T7_T9_mT8_P12ihipStream_tbDpT10_ENKUlT_T0_E_clISt17integral_constantIbLb1EES1D_EEDaS18_S19_EUlS18_E_NS1_11comp_targetILNS1_3genE4ELNS1_11target_archE910ELNS1_3gpuE8ELNS1_3repE0EEENS1_30default_config_static_selectorELNS0_4arch9wavefront6targetE1EEEvT1_
    .private_segment_fixed_size: 0
    .sgpr_count:     4
    .sgpr_spill_count: 0
    .symbol:         _ZN7rocprim17ROCPRIM_400000_NS6detail17trampoline_kernelINS0_14default_configENS1_25partition_config_selectorILNS1_17partition_subalgoE8EjNS0_10empty_typeEbEEZZNS1_14partition_implILS5_8ELb0ES3_jN6thrust23THRUST_200600_302600_NS6detail15normal_iteratorINSA_10device_ptrIjEEEEPS6_PKS6_NS0_5tupleIJNSA_16discard_iteratorINSA_11use_defaultEEES6_EEENSJ_IJSG_SG_EEENS0_18inequality_wrapperINSA_8equal_toIjEEEEPmJS6_EEE10hipError_tPvRmT3_T4_T5_T6_T7_T9_mT8_P12ihipStream_tbDpT10_ENKUlT_T0_E_clISt17integral_constantIbLb1EES1D_EEDaS18_S19_EUlS18_E_NS1_11comp_targetILNS1_3genE4ELNS1_11target_archE910ELNS1_3gpuE8ELNS1_3repE0EEENS1_30default_config_static_selectorELNS0_4arch9wavefront6targetE1EEEvT1_.kd
    .uniform_work_group_size: 1
    .uses_dynamic_stack: false
    .vgpr_count:     0
    .vgpr_spill_count: 0
    .wavefront_size: 64
  - .args:
      - .offset:         0
        .size:           136
        .value_kind:     by_value
    .group_segment_fixed_size: 0
    .kernarg_segment_align: 8
    .kernarg_segment_size: 136
    .language:       OpenCL C
    .language_version:
      - 2
      - 0
    .max_flat_workgroup_size: 512
    .name:           _ZN7rocprim17ROCPRIM_400000_NS6detail17trampoline_kernelINS0_14default_configENS1_25partition_config_selectorILNS1_17partition_subalgoE8EjNS0_10empty_typeEbEEZZNS1_14partition_implILS5_8ELb0ES3_jN6thrust23THRUST_200600_302600_NS6detail15normal_iteratorINSA_10device_ptrIjEEEEPS6_PKS6_NS0_5tupleIJNSA_16discard_iteratorINSA_11use_defaultEEES6_EEENSJ_IJSG_SG_EEENS0_18inequality_wrapperINSA_8equal_toIjEEEEPmJS6_EEE10hipError_tPvRmT3_T4_T5_T6_T7_T9_mT8_P12ihipStream_tbDpT10_ENKUlT_T0_E_clISt17integral_constantIbLb1EES1D_EEDaS18_S19_EUlS18_E_NS1_11comp_targetILNS1_3genE3ELNS1_11target_archE908ELNS1_3gpuE7ELNS1_3repE0EEENS1_30default_config_static_selectorELNS0_4arch9wavefront6targetE1EEEvT1_
    .private_segment_fixed_size: 0
    .sgpr_count:     4
    .sgpr_spill_count: 0
    .symbol:         _ZN7rocprim17ROCPRIM_400000_NS6detail17trampoline_kernelINS0_14default_configENS1_25partition_config_selectorILNS1_17partition_subalgoE8EjNS0_10empty_typeEbEEZZNS1_14partition_implILS5_8ELb0ES3_jN6thrust23THRUST_200600_302600_NS6detail15normal_iteratorINSA_10device_ptrIjEEEEPS6_PKS6_NS0_5tupleIJNSA_16discard_iteratorINSA_11use_defaultEEES6_EEENSJ_IJSG_SG_EEENS0_18inequality_wrapperINSA_8equal_toIjEEEEPmJS6_EEE10hipError_tPvRmT3_T4_T5_T6_T7_T9_mT8_P12ihipStream_tbDpT10_ENKUlT_T0_E_clISt17integral_constantIbLb1EES1D_EEDaS18_S19_EUlS18_E_NS1_11comp_targetILNS1_3genE3ELNS1_11target_archE908ELNS1_3gpuE7ELNS1_3repE0EEENS1_30default_config_static_selectorELNS0_4arch9wavefront6targetE1EEEvT1_.kd
    .uniform_work_group_size: 1
    .uses_dynamic_stack: false
    .vgpr_count:     0
    .vgpr_spill_count: 0
    .wavefront_size: 64
  - .args:
      - .offset:         0
        .size:           136
        .value_kind:     by_value
    .group_segment_fixed_size: 0
    .kernarg_segment_align: 8
    .kernarg_segment_size: 136
    .language:       OpenCL C
    .language_version:
      - 2
      - 0
    .max_flat_workgroup_size: 256
    .name:           _ZN7rocprim17ROCPRIM_400000_NS6detail17trampoline_kernelINS0_14default_configENS1_25partition_config_selectorILNS1_17partition_subalgoE8EjNS0_10empty_typeEbEEZZNS1_14partition_implILS5_8ELb0ES3_jN6thrust23THRUST_200600_302600_NS6detail15normal_iteratorINSA_10device_ptrIjEEEEPS6_PKS6_NS0_5tupleIJNSA_16discard_iteratorINSA_11use_defaultEEES6_EEENSJ_IJSG_SG_EEENS0_18inequality_wrapperINSA_8equal_toIjEEEEPmJS6_EEE10hipError_tPvRmT3_T4_T5_T6_T7_T9_mT8_P12ihipStream_tbDpT10_ENKUlT_T0_E_clISt17integral_constantIbLb1EES1D_EEDaS18_S19_EUlS18_E_NS1_11comp_targetILNS1_3genE2ELNS1_11target_archE906ELNS1_3gpuE6ELNS1_3repE0EEENS1_30default_config_static_selectorELNS0_4arch9wavefront6targetE1EEEvT1_
    .private_segment_fixed_size: 0
    .sgpr_count:     4
    .sgpr_spill_count: 0
    .symbol:         _ZN7rocprim17ROCPRIM_400000_NS6detail17trampoline_kernelINS0_14default_configENS1_25partition_config_selectorILNS1_17partition_subalgoE8EjNS0_10empty_typeEbEEZZNS1_14partition_implILS5_8ELb0ES3_jN6thrust23THRUST_200600_302600_NS6detail15normal_iteratorINSA_10device_ptrIjEEEEPS6_PKS6_NS0_5tupleIJNSA_16discard_iteratorINSA_11use_defaultEEES6_EEENSJ_IJSG_SG_EEENS0_18inequality_wrapperINSA_8equal_toIjEEEEPmJS6_EEE10hipError_tPvRmT3_T4_T5_T6_T7_T9_mT8_P12ihipStream_tbDpT10_ENKUlT_T0_E_clISt17integral_constantIbLb1EES1D_EEDaS18_S19_EUlS18_E_NS1_11comp_targetILNS1_3genE2ELNS1_11target_archE906ELNS1_3gpuE6ELNS1_3repE0EEENS1_30default_config_static_selectorELNS0_4arch9wavefront6targetE1EEEvT1_.kd
    .uniform_work_group_size: 1
    .uses_dynamic_stack: false
    .vgpr_count:     0
    .vgpr_spill_count: 0
    .wavefront_size: 64
  - .args:
      - .offset:         0
        .size:           136
        .value_kind:     by_value
    .group_segment_fixed_size: 0
    .kernarg_segment_align: 8
    .kernarg_segment_size: 136
    .language:       OpenCL C
    .language_version:
      - 2
      - 0
    .max_flat_workgroup_size: 384
    .name:           _ZN7rocprim17ROCPRIM_400000_NS6detail17trampoline_kernelINS0_14default_configENS1_25partition_config_selectorILNS1_17partition_subalgoE8EjNS0_10empty_typeEbEEZZNS1_14partition_implILS5_8ELb0ES3_jN6thrust23THRUST_200600_302600_NS6detail15normal_iteratorINSA_10device_ptrIjEEEEPS6_PKS6_NS0_5tupleIJNSA_16discard_iteratorINSA_11use_defaultEEES6_EEENSJ_IJSG_SG_EEENS0_18inequality_wrapperINSA_8equal_toIjEEEEPmJS6_EEE10hipError_tPvRmT3_T4_T5_T6_T7_T9_mT8_P12ihipStream_tbDpT10_ENKUlT_T0_E_clISt17integral_constantIbLb1EES1D_EEDaS18_S19_EUlS18_E_NS1_11comp_targetILNS1_3genE10ELNS1_11target_archE1200ELNS1_3gpuE4ELNS1_3repE0EEENS1_30default_config_static_selectorELNS0_4arch9wavefront6targetE1EEEvT1_
    .private_segment_fixed_size: 0
    .sgpr_count:     4
    .sgpr_spill_count: 0
    .symbol:         _ZN7rocprim17ROCPRIM_400000_NS6detail17trampoline_kernelINS0_14default_configENS1_25partition_config_selectorILNS1_17partition_subalgoE8EjNS0_10empty_typeEbEEZZNS1_14partition_implILS5_8ELb0ES3_jN6thrust23THRUST_200600_302600_NS6detail15normal_iteratorINSA_10device_ptrIjEEEEPS6_PKS6_NS0_5tupleIJNSA_16discard_iteratorINSA_11use_defaultEEES6_EEENSJ_IJSG_SG_EEENS0_18inequality_wrapperINSA_8equal_toIjEEEEPmJS6_EEE10hipError_tPvRmT3_T4_T5_T6_T7_T9_mT8_P12ihipStream_tbDpT10_ENKUlT_T0_E_clISt17integral_constantIbLb1EES1D_EEDaS18_S19_EUlS18_E_NS1_11comp_targetILNS1_3genE10ELNS1_11target_archE1200ELNS1_3gpuE4ELNS1_3repE0EEENS1_30default_config_static_selectorELNS0_4arch9wavefront6targetE1EEEvT1_.kd
    .uniform_work_group_size: 1
    .uses_dynamic_stack: false
    .vgpr_count:     0
    .vgpr_spill_count: 0
    .wavefront_size: 64
  - .args:
      - .offset:         0
        .size:           136
        .value_kind:     by_value
    .group_segment_fixed_size: 0
    .kernarg_segment_align: 8
    .kernarg_segment_size: 136
    .language:       OpenCL C
    .language_version:
      - 2
      - 0
    .max_flat_workgroup_size: 384
    .name:           _ZN7rocprim17ROCPRIM_400000_NS6detail17trampoline_kernelINS0_14default_configENS1_25partition_config_selectorILNS1_17partition_subalgoE8EjNS0_10empty_typeEbEEZZNS1_14partition_implILS5_8ELb0ES3_jN6thrust23THRUST_200600_302600_NS6detail15normal_iteratorINSA_10device_ptrIjEEEEPS6_PKS6_NS0_5tupleIJNSA_16discard_iteratorINSA_11use_defaultEEES6_EEENSJ_IJSG_SG_EEENS0_18inequality_wrapperINSA_8equal_toIjEEEEPmJS6_EEE10hipError_tPvRmT3_T4_T5_T6_T7_T9_mT8_P12ihipStream_tbDpT10_ENKUlT_T0_E_clISt17integral_constantIbLb1EES1D_EEDaS18_S19_EUlS18_E_NS1_11comp_targetILNS1_3genE9ELNS1_11target_archE1100ELNS1_3gpuE3ELNS1_3repE0EEENS1_30default_config_static_selectorELNS0_4arch9wavefront6targetE1EEEvT1_
    .private_segment_fixed_size: 0
    .sgpr_count:     4
    .sgpr_spill_count: 0
    .symbol:         _ZN7rocprim17ROCPRIM_400000_NS6detail17trampoline_kernelINS0_14default_configENS1_25partition_config_selectorILNS1_17partition_subalgoE8EjNS0_10empty_typeEbEEZZNS1_14partition_implILS5_8ELb0ES3_jN6thrust23THRUST_200600_302600_NS6detail15normal_iteratorINSA_10device_ptrIjEEEEPS6_PKS6_NS0_5tupleIJNSA_16discard_iteratorINSA_11use_defaultEEES6_EEENSJ_IJSG_SG_EEENS0_18inequality_wrapperINSA_8equal_toIjEEEEPmJS6_EEE10hipError_tPvRmT3_T4_T5_T6_T7_T9_mT8_P12ihipStream_tbDpT10_ENKUlT_T0_E_clISt17integral_constantIbLb1EES1D_EEDaS18_S19_EUlS18_E_NS1_11comp_targetILNS1_3genE9ELNS1_11target_archE1100ELNS1_3gpuE3ELNS1_3repE0EEENS1_30default_config_static_selectorELNS0_4arch9wavefront6targetE1EEEvT1_.kd
    .uniform_work_group_size: 1
    .uses_dynamic_stack: false
    .vgpr_count:     0
    .vgpr_spill_count: 0
    .wavefront_size: 64
  - .args:
      - .offset:         0
        .size:           136
        .value_kind:     by_value
    .group_segment_fixed_size: 0
    .kernarg_segment_align: 8
    .kernarg_segment_size: 136
    .language:       OpenCL C
    .language_version:
      - 2
      - 0
    .max_flat_workgroup_size: 512
    .name:           _ZN7rocprim17ROCPRIM_400000_NS6detail17trampoline_kernelINS0_14default_configENS1_25partition_config_selectorILNS1_17partition_subalgoE8EjNS0_10empty_typeEbEEZZNS1_14partition_implILS5_8ELb0ES3_jN6thrust23THRUST_200600_302600_NS6detail15normal_iteratorINSA_10device_ptrIjEEEEPS6_PKS6_NS0_5tupleIJNSA_16discard_iteratorINSA_11use_defaultEEES6_EEENSJ_IJSG_SG_EEENS0_18inequality_wrapperINSA_8equal_toIjEEEEPmJS6_EEE10hipError_tPvRmT3_T4_T5_T6_T7_T9_mT8_P12ihipStream_tbDpT10_ENKUlT_T0_E_clISt17integral_constantIbLb1EES1D_EEDaS18_S19_EUlS18_E_NS1_11comp_targetILNS1_3genE8ELNS1_11target_archE1030ELNS1_3gpuE2ELNS1_3repE0EEENS1_30default_config_static_selectorELNS0_4arch9wavefront6targetE1EEEvT1_
    .private_segment_fixed_size: 0
    .sgpr_count:     4
    .sgpr_spill_count: 0
    .symbol:         _ZN7rocprim17ROCPRIM_400000_NS6detail17trampoline_kernelINS0_14default_configENS1_25partition_config_selectorILNS1_17partition_subalgoE8EjNS0_10empty_typeEbEEZZNS1_14partition_implILS5_8ELb0ES3_jN6thrust23THRUST_200600_302600_NS6detail15normal_iteratorINSA_10device_ptrIjEEEEPS6_PKS6_NS0_5tupleIJNSA_16discard_iteratorINSA_11use_defaultEEES6_EEENSJ_IJSG_SG_EEENS0_18inequality_wrapperINSA_8equal_toIjEEEEPmJS6_EEE10hipError_tPvRmT3_T4_T5_T6_T7_T9_mT8_P12ihipStream_tbDpT10_ENKUlT_T0_E_clISt17integral_constantIbLb1EES1D_EEDaS18_S19_EUlS18_E_NS1_11comp_targetILNS1_3genE8ELNS1_11target_archE1030ELNS1_3gpuE2ELNS1_3repE0EEENS1_30default_config_static_selectorELNS0_4arch9wavefront6targetE1EEEvT1_.kd
    .uniform_work_group_size: 1
    .uses_dynamic_stack: false
    .vgpr_count:     0
    .vgpr_spill_count: 0
    .wavefront_size: 64
  - .args:
      - .offset:         0
        .size:           120
        .value_kind:     by_value
    .group_segment_fixed_size: 0
    .kernarg_segment_align: 8
    .kernarg_segment_size: 120
    .language:       OpenCL C
    .language_version:
      - 2
      - 0
    .max_flat_workgroup_size: 512
    .name:           _ZN7rocprim17ROCPRIM_400000_NS6detail17trampoline_kernelINS0_14default_configENS1_25partition_config_selectorILNS1_17partition_subalgoE8EjNS0_10empty_typeEbEEZZNS1_14partition_implILS5_8ELb0ES3_jN6thrust23THRUST_200600_302600_NS6detail15normal_iteratorINSA_10device_ptrIjEEEEPS6_PKS6_NS0_5tupleIJNSA_16discard_iteratorINSA_11use_defaultEEES6_EEENSJ_IJSG_SG_EEENS0_18inequality_wrapperINSA_8equal_toIjEEEEPmJS6_EEE10hipError_tPvRmT3_T4_T5_T6_T7_T9_mT8_P12ihipStream_tbDpT10_ENKUlT_T0_E_clISt17integral_constantIbLb1EES1C_IbLb0EEEEDaS18_S19_EUlS18_E_NS1_11comp_targetILNS1_3genE0ELNS1_11target_archE4294967295ELNS1_3gpuE0ELNS1_3repE0EEENS1_30default_config_static_selectorELNS0_4arch9wavefront6targetE1EEEvT1_
    .private_segment_fixed_size: 0
    .sgpr_count:     4
    .sgpr_spill_count: 0
    .symbol:         _ZN7rocprim17ROCPRIM_400000_NS6detail17trampoline_kernelINS0_14default_configENS1_25partition_config_selectorILNS1_17partition_subalgoE8EjNS0_10empty_typeEbEEZZNS1_14partition_implILS5_8ELb0ES3_jN6thrust23THRUST_200600_302600_NS6detail15normal_iteratorINSA_10device_ptrIjEEEEPS6_PKS6_NS0_5tupleIJNSA_16discard_iteratorINSA_11use_defaultEEES6_EEENSJ_IJSG_SG_EEENS0_18inequality_wrapperINSA_8equal_toIjEEEEPmJS6_EEE10hipError_tPvRmT3_T4_T5_T6_T7_T9_mT8_P12ihipStream_tbDpT10_ENKUlT_T0_E_clISt17integral_constantIbLb1EES1C_IbLb0EEEEDaS18_S19_EUlS18_E_NS1_11comp_targetILNS1_3genE0ELNS1_11target_archE4294967295ELNS1_3gpuE0ELNS1_3repE0EEENS1_30default_config_static_selectorELNS0_4arch9wavefront6targetE1EEEvT1_.kd
    .uniform_work_group_size: 1
    .uses_dynamic_stack: false
    .vgpr_count:     0
    .vgpr_spill_count: 0
    .wavefront_size: 64
  - .args:
      - .offset:         0
        .size:           120
        .value_kind:     by_value
    .group_segment_fixed_size: 0
    .kernarg_segment_align: 8
    .kernarg_segment_size: 120
    .language:       OpenCL C
    .language_version:
      - 2
      - 0
    .max_flat_workgroup_size: 512
    .name:           _ZN7rocprim17ROCPRIM_400000_NS6detail17trampoline_kernelINS0_14default_configENS1_25partition_config_selectorILNS1_17partition_subalgoE8EjNS0_10empty_typeEbEEZZNS1_14partition_implILS5_8ELb0ES3_jN6thrust23THRUST_200600_302600_NS6detail15normal_iteratorINSA_10device_ptrIjEEEEPS6_PKS6_NS0_5tupleIJNSA_16discard_iteratorINSA_11use_defaultEEES6_EEENSJ_IJSG_SG_EEENS0_18inequality_wrapperINSA_8equal_toIjEEEEPmJS6_EEE10hipError_tPvRmT3_T4_T5_T6_T7_T9_mT8_P12ihipStream_tbDpT10_ENKUlT_T0_E_clISt17integral_constantIbLb1EES1C_IbLb0EEEEDaS18_S19_EUlS18_E_NS1_11comp_targetILNS1_3genE5ELNS1_11target_archE942ELNS1_3gpuE9ELNS1_3repE0EEENS1_30default_config_static_selectorELNS0_4arch9wavefront6targetE1EEEvT1_
    .private_segment_fixed_size: 0
    .sgpr_count:     4
    .sgpr_spill_count: 0
    .symbol:         _ZN7rocprim17ROCPRIM_400000_NS6detail17trampoline_kernelINS0_14default_configENS1_25partition_config_selectorILNS1_17partition_subalgoE8EjNS0_10empty_typeEbEEZZNS1_14partition_implILS5_8ELb0ES3_jN6thrust23THRUST_200600_302600_NS6detail15normal_iteratorINSA_10device_ptrIjEEEEPS6_PKS6_NS0_5tupleIJNSA_16discard_iteratorINSA_11use_defaultEEES6_EEENSJ_IJSG_SG_EEENS0_18inequality_wrapperINSA_8equal_toIjEEEEPmJS6_EEE10hipError_tPvRmT3_T4_T5_T6_T7_T9_mT8_P12ihipStream_tbDpT10_ENKUlT_T0_E_clISt17integral_constantIbLb1EES1C_IbLb0EEEEDaS18_S19_EUlS18_E_NS1_11comp_targetILNS1_3genE5ELNS1_11target_archE942ELNS1_3gpuE9ELNS1_3repE0EEENS1_30default_config_static_selectorELNS0_4arch9wavefront6targetE1EEEvT1_.kd
    .uniform_work_group_size: 1
    .uses_dynamic_stack: false
    .vgpr_count:     0
    .vgpr_spill_count: 0
    .wavefront_size: 64
  - .args:
      - .offset:         0
        .size:           120
        .value_kind:     by_value
    .group_segment_fixed_size: 0
    .kernarg_segment_align: 8
    .kernarg_segment_size: 120
    .language:       OpenCL C
    .language_version:
      - 2
      - 0
    .max_flat_workgroup_size: 256
    .name:           _ZN7rocprim17ROCPRIM_400000_NS6detail17trampoline_kernelINS0_14default_configENS1_25partition_config_selectorILNS1_17partition_subalgoE8EjNS0_10empty_typeEbEEZZNS1_14partition_implILS5_8ELb0ES3_jN6thrust23THRUST_200600_302600_NS6detail15normal_iteratorINSA_10device_ptrIjEEEEPS6_PKS6_NS0_5tupleIJNSA_16discard_iteratorINSA_11use_defaultEEES6_EEENSJ_IJSG_SG_EEENS0_18inequality_wrapperINSA_8equal_toIjEEEEPmJS6_EEE10hipError_tPvRmT3_T4_T5_T6_T7_T9_mT8_P12ihipStream_tbDpT10_ENKUlT_T0_E_clISt17integral_constantIbLb1EES1C_IbLb0EEEEDaS18_S19_EUlS18_E_NS1_11comp_targetILNS1_3genE4ELNS1_11target_archE910ELNS1_3gpuE8ELNS1_3repE0EEENS1_30default_config_static_selectorELNS0_4arch9wavefront6targetE1EEEvT1_
    .private_segment_fixed_size: 0
    .sgpr_count:     4
    .sgpr_spill_count: 0
    .symbol:         _ZN7rocprim17ROCPRIM_400000_NS6detail17trampoline_kernelINS0_14default_configENS1_25partition_config_selectorILNS1_17partition_subalgoE8EjNS0_10empty_typeEbEEZZNS1_14partition_implILS5_8ELb0ES3_jN6thrust23THRUST_200600_302600_NS6detail15normal_iteratorINSA_10device_ptrIjEEEEPS6_PKS6_NS0_5tupleIJNSA_16discard_iteratorINSA_11use_defaultEEES6_EEENSJ_IJSG_SG_EEENS0_18inequality_wrapperINSA_8equal_toIjEEEEPmJS6_EEE10hipError_tPvRmT3_T4_T5_T6_T7_T9_mT8_P12ihipStream_tbDpT10_ENKUlT_T0_E_clISt17integral_constantIbLb1EES1C_IbLb0EEEEDaS18_S19_EUlS18_E_NS1_11comp_targetILNS1_3genE4ELNS1_11target_archE910ELNS1_3gpuE8ELNS1_3repE0EEENS1_30default_config_static_selectorELNS0_4arch9wavefront6targetE1EEEvT1_.kd
    .uniform_work_group_size: 1
    .uses_dynamic_stack: false
    .vgpr_count:     0
    .vgpr_spill_count: 0
    .wavefront_size: 64
  - .args:
      - .offset:         0
        .size:           120
        .value_kind:     by_value
    .group_segment_fixed_size: 0
    .kernarg_segment_align: 8
    .kernarg_segment_size: 120
    .language:       OpenCL C
    .language_version:
      - 2
      - 0
    .max_flat_workgroup_size: 512
    .name:           _ZN7rocprim17ROCPRIM_400000_NS6detail17trampoline_kernelINS0_14default_configENS1_25partition_config_selectorILNS1_17partition_subalgoE8EjNS0_10empty_typeEbEEZZNS1_14partition_implILS5_8ELb0ES3_jN6thrust23THRUST_200600_302600_NS6detail15normal_iteratorINSA_10device_ptrIjEEEEPS6_PKS6_NS0_5tupleIJNSA_16discard_iteratorINSA_11use_defaultEEES6_EEENSJ_IJSG_SG_EEENS0_18inequality_wrapperINSA_8equal_toIjEEEEPmJS6_EEE10hipError_tPvRmT3_T4_T5_T6_T7_T9_mT8_P12ihipStream_tbDpT10_ENKUlT_T0_E_clISt17integral_constantIbLb1EES1C_IbLb0EEEEDaS18_S19_EUlS18_E_NS1_11comp_targetILNS1_3genE3ELNS1_11target_archE908ELNS1_3gpuE7ELNS1_3repE0EEENS1_30default_config_static_selectorELNS0_4arch9wavefront6targetE1EEEvT1_
    .private_segment_fixed_size: 0
    .sgpr_count:     4
    .sgpr_spill_count: 0
    .symbol:         _ZN7rocprim17ROCPRIM_400000_NS6detail17trampoline_kernelINS0_14default_configENS1_25partition_config_selectorILNS1_17partition_subalgoE8EjNS0_10empty_typeEbEEZZNS1_14partition_implILS5_8ELb0ES3_jN6thrust23THRUST_200600_302600_NS6detail15normal_iteratorINSA_10device_ptrIjEEEEPS6_PKS6_NS0_5tupleIJNSA_16discard_iteratorINSA_11use_defaultEEES6_EEENSJ_IJSG_SG_EEENS0_18inequality_wrapperINSA_8equal_toIjEEEEPmJS6_EEE10hipError_tPvRmT3_T4_T5_T6_T7_T9_mT8_P12ihipStream_tbDpT10_ENKUlT_T0_E_clISt17integral_constantIbLb1EES1C_IbLb0EEEEDaS18_S19_EUlS18_E_NS1_11comp_targetILNS1_3genE3ELNS1_11target_archE908ELNS1_3gpuE7ELNS1_3repE0EEENS1_30default_config_static_selectorELNS0_4arch9wavefront6targetE1EEEvT1_.kd
    .uniform_work_group_size: 1
    .uses_dynamic_stack: false
    .vgpr_count:     0
    .vgpr_spill_count: 0
    .wavefront_size: 64
  - .args:
      - .offset:         0
        .size:           120
        .value_kind:     by_value
    .group_segment_fixed_size: 0
    .kernarg_segment_align: 8
    .kernarg_segment_size: 120
    .language:       OpenCL C
    .language_version:
      - 2
      - 0
    .max_flat_workgroup_size: 256
    .name:           _ZN7rocprim17ROCPRIM_400000_NS6detail17trampoline_kernelINS0_14default_configENS1_25partition_config_selectorILNS1_17partition_subalgoE8EjNS0_10empty_typeEbEEZZNS1_14partition_implILS5_8ELb0ES3_jN6thrust23THRUST_200600_302600_NS6detail15normal_iteratorINSA_10device_ptrIjEEEEPS6_PKS6_NS0_5tupleIJNSA_16discard_iteratorINSA_11use_defaultEEES6_EEENSJ_IJSG_SG_EEENS0_18inequality_wrapperINSA_8equal_toIjEEEEPmJS6_EEE10hipError_tPvRmT3_T4_T5_T6_T7_T9_mT8_P12ihipStream_tbDpT10_ENKUlT_T0_E_clISt17integral_constantIbLb1EES1C_IbLb0EEEEDaS18_S19_EUlS18_E_NS1_11comp_targetILNS1_3genE2ELNS1_11target_archE906ELNS1_3gpuE6ELNS1_3repE0EEENS1_30default_config_static_selectorELNS0_4arch9wavefront6targetE1EEEvT1_
    .private_segment_fixed_size: 0
    .sgpr_count:     4
    .sgpr_spill_count: 0
    .symbol:         _ZN7rocprim17ROCPRIM_400000_NS6detail17trampoline_kernelINS0_14default_configENS1_25partition_config_selectorILNS1_17partition_subalgoE8EjNS0_10empty_typeEbEEZZNS1_14partition_implILS5_8ELb0ES3_jN6thrust23THRUST_200600_302600_NS6detail15normal_iteratorINSA_10device_ptrIjEEEEPS6_PKS6_NS0_5tupleIJNSA_16discard_iteratorINSA_11use_defaultEEES6_EEENSJ_IJSG_SG_EEENS0_18inequality_wrapperINSA_8equal_toIjEEEEPmJS6_EEE10hipError_tPvRmT3_T4_T5_T6_T7_T9_mT8_P12ihipStream_tbDpT10_ENKUlT_T0_E_clISt17integral_constantIbLb1EES1C_IbLb0EEEEDaS18_S19_EUlS18_E_NS1_11comp_targetILNS1_3genE2ELNS1_11target_archE906ELNS1_3gpuE6ELNS1_3repE0EEENS1_30default_config_static_selectorELNS0_4arch9wavefront6targetE1EEEvT1_.kd
    .uniform_work_group_size: 1
    .uses_dynamic_stack: false
    .vgpr_count:     0
    .vgpr_spill_count: 0
    .wavefront_size: 64
  - .args:
      - .offset:         0
        .size:           120
        .value_kind:     by_value
    .group_segment_fixed_size: 0
    .kernarg_segment_align: 8
    .kernarg_segment_size: 120
    .language:       OpenCL C
    .language_version:
      - 2
      - 0
    .max_flat_workgroup_size: 384
    .name:           _ZN7rocprim17ROCPRIM_400000_NS6detail17trampoline_kernelINS0_14default_configENS1_25partition_config_selectorILNS1_17partition_subalgoE8EjNS0_10empty_typeEbEEZZNS1_14partition_implILS5_8ELb0ES3_jN6thrust23THRUST_200600_302600_NS6detail15normal_iteratorINSA_10device_ptrIjEEEEPS6_PKS6_NS0_5tupleIJNSA_16discard_iteratorINSA_11use_defaultEEES6_EEENSJ_IJSG_SG_EEENS0_18inequality_wrapperINSA_8equal_toIjEEEEPmJS6_EEE10hipError_tPvRmT3_T4_T5_T6_T7_T9_mT8_P12ihipStream_tbDpT10_ENKUlT_T0_E_clISt17integral_constantIbLb1EES1C_IbLb0EEEEDaS18_S19_EUlS18_E_NS1_11comp_targetILNS1_3genE10ELNS1_11target_archE1200ELNS1_3gpuE4ELNS1_3repE0EEENS1_30default_config_static_selectorELNS0_4arch9wavefront6targetE1EEEvT1_
    .private_segment_fixed_size: 0
    .sgpr_count:     4
    .sgpr_spill_count: 0
    .symbol:         _ZN7rocprim17ROCPRIM_400000_NS6detail17trampoline_kernelINS0_14default_configENS1_25partition_config_selectorILNS1_17partition_subalgoE8EjNS0_10empty_typeEbEEZZNS1_14partition_implILS5_8ELb0ES3_jN6thrust23THRUST_200600_302600_NS6detail15normal_iteratorINSA_10device_ptrIjEEEEPS6_PKS6_NS0_5tupleIJNSA_16discard_iteratorINSA_11use_defaultEEES6_EEENSJ_IJSG_SG_EEENS0_18inequality_wrapperINSA_8equal_toIjEEEEPmJS6_EEE10hipError_tPvRmT3_T4_T5_T6_T7_T9_mT8_P12ihipStream_tbDpT10_ENKUlT_T0_E_clISt17integral_constantIbLb1EES1C_IbLb0EEEEDaS18_S19_EUlS18_E_NS1_11comp_targetILNS1_3genE10ELNS1_11target_archE1200ELNS1_3gpuE4ELNS1_3repE0EEENS1_30default_config_static_selectorELNS0_4arch9wavefront6targetE1EEEvT1_.kd
    .uniform_work_group_size: 1
    .uses_dynamic_stack: false
    .vgpr_count:     0
    .vgpr_spill_count: 0
    .wavefront_size: 64
  - .args:
      - .offset:         0
        .size:           120
        .value_kind:     by_value
    .group_segment_fixed_size: 0
    .kernarg_segment_align: 8
    .kernarg_segment_size: 120
    .language:       OpenCL C
    .language_version:
      - 2
      - 0
    .max_flat_workgroup_size: 384
    .name:           _ZN7rocprim17ROCPRIM_400000_NS6detail17trampoline_kernelINS0_14default_configENS1_25partition_config_selectorILNS1_17partition_subalgoE8EjNS0_10empty_typeEbEEZZNS1_14partition_implILS5_8ELb0ES3_jN6thrust23THRUST_200600_302600_NS6detail15normal_iteratorINSA_10device_ptrIjEEEEPS6_PKS6_NS0_5tupleIJNSA_16discard_iteratorINSA_11use_defaultEEES6_EEENSJ_IJSG_SG_EEENS0_18inequality_wrapperINSA_8equal_toIjEEEEPmJS6_EEE10hipError_tPvRmT3_T4_T5_T6_T7_T9_mT8_P12ihipStream_tbDpT10_ENKUlT_T0_E_clISt17integral_constantIbLb1EES1C_IbLb0EEEEDaS18_S19_EUlS18_E_NS1_11comp_targetILNS1_3genE9ELNS1_11target_archE1100ELNS1_3gpuE3ELNS1_3repE0EEENS1_30default_config_static_selectorELNS0_4arch9wavefront6targetE1EEEvT1_
    .private_segment_fixed_size: 0
    .sgpr_count:     4
    .sgpr_spill_count: 0
    .symbol:         _ZN7rocprim17ROCPRIM_400000_NS6detail17trampoline_kernelINS0_14default_configENS1_25partition_config_selectorILNS1_17partition_subalgoE8EjNS0_10empty_typeEbEEZZNS1_14partition_implILS5_8ELb0ES3_jN6thrust23THRUST_200600_302600_NS6detail15normal_iteratorINSA_10device_ptrIjEEEEPS6_PKS6_NS0_5tupleIJNSA_16discard_iteratorINSA_11use_defaultEEES6_EEENSJ_IJSG_SG_EEENS0_18inequality_wrapperINSA_8equal_toIjEEEEPmJS6_EEE10hipError_tPvRmT3_T4_T5_T6_T7_T9_mT8_P12ihipStream_tbDpT10_ENKUlT_T0_E_clISt17integral_constantIbLb1EES1C_IbLb0EEEEDaS18_S19_EUlS18_E_NS1_11comp_targetILNS1_3genE9ELNS1_11target_archE1100ELNS1_3gpuE3ELNS1_3repE0EEENS1_30default_config_static_selectorELNS0_4arch9wavefront6targetE1EEEvT1_.kd
    .uniform_work_group_size: 1
    .uses_dynamic_stack: false
    .vgpr_count:     0
    .vgpr_spill_count: 0
    .wavefront_size: 64
  - .args:
      - .offset:         0
        .size:           120
        .value_kind:     by_value
    .group_segment_fixed_size: 0
    .kernarg_segment_align: 8
    .kernarg_segment_size: 120
    .language:       OpenCL C
    .language_version:
      - 2
      - 0
    .max_flat_workgroup_size: 512
    .name:           _ZN7rocprim17ROCPRIM_400000_NS6detail17trampoline_kernelINS0_14default_configENS1_25partition_config_selectorILNS1_17partition_subalgoE8EjNS0_10empty_typeEbEEZZNS1_14partition_implILS5_8ELb0ES3_jN6thrust23THRUST_200600_302600_NS6detail15normal_iteratorINSA_10device_ptrIjEEEEPS6_PKS6_NS0_5tupleIJNSA_16discard_iteratorINSA_11use_defaultEEES6_EEENSJ_IJSG_SG_EEENS0_18inequality_wrapperINSA_8equal_toIjEEEEPmJS6_EEE10hipError_tPvRmT3_T4_T5_T6_T7_T9_mT8_P12ihipStream_tbDpT10_ENKUlT_T0_E_clISt17integral_constantIbLb1EES1C_IbLb0EEEEDaS18_S19_EUlS18_E_NS1_11comp_targetILNS1_3genE8ELNS1_11target_archE1030ELNS1_3gpuE2ELNS1_3repE0EEENS1_30default_config_static_selectorELNS0_4arch9wavefront6targetE1EEEvT1_
    .private_segment_fixed_size: 0
    .sgpr_count:     4
    .sgpr_spill_count: 0
    .symbol:         _ZN7rocprim17ROCPRIM_400000_NS6detail17trampoline_kernelINS0_14default_configENS1_25partition_config_selectorILNS1_17partition_subalgoE8EjNS0_10empty_typeEbEEZZNS1_14partition_implILS5_8ELb0ES3_jN6thrust23THRUST_200600_302600_NS6detail15normal_iteratorINSA_10device_ptrIjEEEEPS6_PKS6_NS0_5tupleIJNSA_16discard_iteratorINSA_11use_defaultEEES6_EEENSJ_IJSG_SG_EEENS0_18inequality_wrapperINSA_8equal_toIjEEEEPmJS6_EEE10hipError_tPvRmT3_T4_T5_T6_T7_T9_mT8_P12ihipStream_tbDpT10_ENKUlT_T0_E_clISt17integral_constantIbLb1EES1C_IbLb0EEEEDaS18_S19_EUlS18_E_NS1_11comp_targetILNS1_3genE8ELNS1_11target_archE1030ELNS1_3gpuE2ELNS1_3repE0EEENS1_30default_config_static_selectorELNS0_4arch9wavefront6targetE1EEEvT1_.kd
    .uniform_work_group_size: 1
    .uses_dynamic_stack: false
    .vgpr_count:     0
    .vgpr_spill_count: 0
    .wavefront_size: 64
  - .args:
      - .offset:         0
        .size:           136
        .value_kind:     by_value
    .group_segment_fixed_size: 0
    .kernarg_segment_align: 8
    .kernarg_segment_size: 136
    .language:       OpenCL C
    .language_version:
      - 2
      - 0
    .max_flat_workgroup_size: 512
    .name:           _ZN7rocprim17ROCPRIM_400000_NS6detail17trampoline_kernelINS0_14default_configENS1_25partition_config_selectorILNS1_17partition_subalgoE8EjNS0_10empty_typeEbEEZZNS1_14partition_implILS5_8ELb0ES3_jN6thrust23THRUST_200600_302600_NS6detail15normal_iteratorINSA_10device_ptrIjEEEEPS6_PKS6_NS0_5tupleIJNSA_16discard_iteratorINSA_11use_defaultEEES6_EEENSJ_IJSG_SG_EEENS0_18inequality_wrapperINSA_8equal_toIjEEEEPmJS6_EEE10hipError_tPvRmT3_T4_T5_T6_T7_T9_mT8_P12ihipStream_tbDpT10_ENKUlT_T0_E_clISt17integral_constantIbLb0EES1C_IbLb1EEEEDaS18_S19_EUlS18_E_NS1_11comp_targetILNS1_3genE0ELNS1_11target_archE4294967295ELNS1_3gpuE0ELNS1_3repE0EEENS1_30default_config_static_selectorELNS0_4arch9wavefront6targetE1EEEvT1_
    .private_segment_fixed_size: 0
    .sgpr_count:     4
    .sgpr_spill_count: 0
    .symbol:         _ZN7rocprim17ROCPRIM_400000_NS6detail17trampoline_kernelINS0_14default_configENS1_25partition_config_selectorILNS1_17partition_subalgoE8EjNS0_10empty_typeEbEEZZNS1_14partition_implILS5_8ELb0ES3_jN6thrust23THRUST_200600_302600_NS6detail15normal_iteratorINSA_10device_ptrIjEEEEPS6_PKS6_NS0_5tupleIJNSA_16discard_iteratorINSA_11use_defaultEEES6_EEENSJ_IJSG_SG_EEENS0_18inequality_wrapperINSA_8equal_toIjEEEEPmJS6_EEE10hipError_tPvRmT3_T4_T5_T6_T7_T9_mT8_P12ihipStream_tbDpT10_ENKUlT_T0_E_clISt17integral_constantIbLb0EES1C_IbLb1EEEEDaS18_S19_EUlS18_E_NS1_11comp_targetILNS1_3genE0ELNS1_11target_archE4294967295ELNS1_3gpuE0ELNS1_3repE0EEENS1_30default_config_static_selectorELNS0_4arch9wavefront6targetE1EEEvT1_.kd
    .uniform_work_group_size: 1
    .uses_dynamic_stack: false
    .vgpr_count:     0
    .vgpr_spill_count: 0
    .wavefront_size: 64
  - .args:
      - .offset:         0
        .size:           136
        .value_kind:     by_value
    .group_segment_fixed_size: 0
    .kernarg_segment_align: 8
    .kernarg_segment_size: 136
    .language:       OpenCL C
    .language_version:
      - 2
      - 0
    .max_flat_workgroup_size: 512
    .name:           _ZN7rocprim17ROCPRIM_400000_NS6detail17trampoline_kernelINS0_14default_configENS1_25partition_config_selectorILNS1_17partition_subalgoE8EjNS0_10empty_typeEbEEZZNS1_14partition_implILS5_8ELb0ES3_jN6thrust23THRUST_200600_302600_NS6detail15normal_iteratorINSA_10device_ptrIjEEEEPS6_PKS6_NS0_5tupleIJNSA_16discard_iteratorINSA_11use_defaultEEES6_EEENSJ_IJSG_SG_EEENS0_18inequality_wrapperINSA_8equal_toIjEEEEPmJS6_EEE10hipError_tPvRmT3_T4_T5_T6_T7_T9_mT8_P12ihipStream_tbDpT10_ENKUlT_T0_E_clISt17integral_constantIbLb0EES1C_IbLb1EEEEDaS18_S19_EUlS18_E_NS1_11comp_targetILNS1_3genE5ELNS1_11target_archE942ELNS1_3gpuE9ELNS1_3repE0EEENS1_30default_config_static_selectorELNS0_4arch9wavefront6targetE1EEEvT1_
    .private_segment_fixed_size: 0
    .sgpr_count:     4
    .sgpr_spill_count: 0
    .symbol:         _ZN7rocprim17ROCPRIM_400000_NS6detail17trampoline_kernelINS0_14default_configENS1_25partition_config_selectorILNS1_17partition_subalgoE8EjNS0_10empty_typeEbEEZZNS1_14partition_implILS5_8ELb0ES3_jN6thrust23THRUST_200600_302600_NS6detail15normal_iteratorINSA_10device_ptrIjEEEEPS6_PKS6_NS0_5tupleIJNSA_16discard_iteratorINSA_11use_defaultEEES6_EEENSJ_IJSG_SG_EEENS0_18inequality_wrapperINSA_8equal_toIjEEEEPmJS6_EEE10hipError_tPvRmT3_T4_T5_T6_T7_T9_mT8_P12ihipStream_tbDpT10_ENKUlT_T0_E_clISt17integral_constantIbLb0EES1C_IbLb1EEEEDaS18_S19_EUlS18_E_NS1_11comp_targetILNS1_3genE5ELNS1_11target_archE942ELNS1_3gpuE9ELNS1_3repE0EEENS1_30default_config_static_selectorELNS0_4arch9wavefront6targetE1EEEvT1_.kd
    .uniform_work_group_size: 1
    .uses_dynamic_stack: false
    .vgpr_count:     0
    .vgpr_spill_count: 0
    .wavefront_size: 64
  - .args:
      - .offset:         0
        .size:           136
        .value_kind:     by_value
    .group_segment_fixed_size: 0
    .kernarg_segment_align: 8
    .kernarg_segment_size: 136
    .language:       OpenCL C
    .language_version:
      - 2
      - 0
    .max_flat_workgroup_size: 256
    .name:           _ZN7rocprim17ROCPRIM_400000_NS6detail17trampoline_kernelINS0_14default_configENS1_25partition_config_selectorILNS1_17partition_subalgoE8EjNS0_10empty_typeEbEEZZNS1_14partition_implILS5_8ELb0ES3_jN6thrust23THRUST_200600_302600_NS6detail15normal_iteratorINSA_10device_ptrIjEEEEPS6_PKS6_NS0_5tupleIJNSA_16discard_iteratorINSA_11use_defaultEEES6_EEENSJ_IJSG_SG_EEENS0_18inequality_wrapperINSA_8equal_toIjEEEEPmJS6_EEE10hipError_tPvRmT3_T4_T5_T6_T7_T9_mT8_P12ihipStream_tbDpT10_ENKUlT_T0_E_clISt17integral_constantIbLb0EES1C_IbLb1EEEEDaS18_S19_EUlS18_E_NS1_11comp_targetILNS1_3genE4ELNS1_11target_archE910ELNS1_3gpuE8ELNS1_3repE0EEENS1_30default_config_static_selectorELNS0_4arch9wavefront6targetE1EEEvT1_
    .private_segment_fixed_size: 0
    .sgpr_count:     4
    .sgpr_spill_count: 0
    .symbol:         _ZN7rocprim17ROCPRIM_400000_NS6detail17trampoline_kernelINS0_14default_configENS1_25partition_config_selectorILNS1_17partition_subalgoE8EjNS0_10empty_typeEbEEZZNS1_14partition_implILS5_8ELb0ES3_jN6thrust23THRUST_200600_302600_NS6detail15normal_iteratorINSA_10device_ptrIjEEEEPS6_PKS6_NS0_5tupleIJNSA_16discard_iteratorINSA_11use_defaultEEES6_EEENSJ_IJSG_SG_EEENS0_18inequality_wrapperINSA_8equal_toIjEEEEPmJS6_EEE10hipError_tPvRmT3_T4_T5_T6_T7_T9_mT8_P12ihipStream_tbDpT10_ENKUlT_T0_E_clISt17integral_constantIbLb0EES1C_IbLb1EEEEDaS18_S19_EUlS18_E_NS1_11comp_targetILNS1_3genE4ELNS1_11target_archE910ELNS1_3gpuE8ELNS1_3repE0EEENS1_30default_config_static_selectorELNS0_4arch9wavefront6targetE1EEEvT1_.kd
    .uniform_work_group_size: 1
    .uses_dynamic_stack: false
    .vgpr_count:     0
    .vgpr_spill_count: 0
    .wavefront_size: 64
  - .args:
      - .offset:         0
        .size:           136
        .value_kind:     by_value
    .group_segment_fixed_size: 0
    .kernarg_segment_align: 8
    .kernarg_segment_size: 136
    .language:       OpenCL C
    .language_version:
      - 2
      - 0
    .max_flat_workgroup_size: 512
    .name:           _ZN7rocprim17ROCPRIM_400000_NS6detail17trampoline_kernelINS0_14default_configENS1_25partition_config_selectorILNS1_17partition_subalgoE8EjNS0_10empty_typeEbEEZZNS1_14partition_implILS5_8ELb0ES3_jN6thrust23THRUST_200600_302600_NS6detail15normal_iteratorINSA_10device_ptrIjEEEEPS6_PKS6_NS0_5tupleIJNSA_16discard_iteratorINSA_11use_defaultEEES6_EEENSJ_IJSG_SG_EEENS0_18inequality_wrapperINSA_8equal_toIjEEEEPmJS6_EEE10hipError_tPvRmT3_T4_T5_T6_T7_T9_mT8_P12ihipStream_tbDpT10_ENKUlT_T0_E_clISt17integral_constantIbLb0EES1C_IbLb1EEEEDaS18_S19_EUlS18_E_NS1_11comp_targetILNS1_3genE3ELNS1_11target_archE908ELNS1_3gpuE7ELNS1_3repE0EEENS1_30default_config_static_selectorELNS0_4arch9wavefront6targetE1EEEvT1_
    .private_segment_fixed_size: 0
    .sgpr_count:     4
    .sgpr_spill_count: 0
    .symbol:         _ZN7rocprim17ROCPRIM_400000_NS6detail17trampoline_kernelINS0_14default_configENS1_25partition_config_selectorILNS1_17partition_subalgoE8EjNS0_10empty_typeEbEEZZNS1_14partition_implILS5_8ELb0ES3_jN6thrust23THRUST_200600_302600_NS6detail15normal_iteratorINSA_10device_ptrIjEEEEPS6_PKS6_NS0_5tupleIJNSA_16discard_iteratorINSA_11use_defaultEEES6_EEENSJ_IJSG_SG_EEENS0_18inequality_wrapperINSA_8equal_toIjEEEEPmJS6_EEE10hipError_tPvRmT3_T4_T5_T6_T7_T9_mT8_P12ihipStream_tbDpT10_ENKUlT_T0_E_clISt17integral_constantIbLb0EES1C_IbLb1EEEEDaS18_S19_EUlS18_E_NS1_11comp_targetILNS1_3genE3ELNS1_11target_archE908ELNS1_3gpuE7ELNS1_3repE0EEENS1_30default_config_static_selectorELNS0_4arch9wavefront6targetE1EEEvT1_.kd
    .uniform_work_group_size: 1
    .uses_dynamic_stack: false
    .vgpr_count:     0
    .vgpr_spill_count: 0
    .wavefront_size: 64
  - .args:
      - .offset:         0
        .size:           136
        .value_kind:     by_value
    .group_segment_fixed_size: 16904
    .kernarg_segment_align: 8
    .kernarg_segment_size: 136
    .language:       OpenCL C
    .language_version:
      - 2
      - 0
    .max_flat_workgroup_size: 256
    .name:           _ZN7rocprim17ROCPRIM_400000_NS6detail17trampoline_kernelINS0_14default_configENS1_25partition_config_selectorILNS1_17partition_subalgoE8EjNS0_10empty_typeEbEEZZNS1_14partition_implILS5_8ELb0ES3_jN6thrust23THRUST_200600_302600_NS6detail15normal_iteratorINSA_10device_ptrIjEEEEPS6_PKS6_NS0_5tupleIJNSA_16discard_iteratorINSA_11use_defaultEEES6_EEENSJ_IJSG_SG_EEENS0_18inequality_wrapperINSA_8equal_toIjEEEEPmJS6_EEE10hipError_tPvRmT3_T4_T5_T6_T7_T9_mT8_P12ihipStream_tbDpT10_ENKUlT_T0_E_clISt17integral_constantIbLb0EES1C_IbLb1EEEEDaS18_S19_EUlS18_E_NS1_11comp_targetILNS1_3genE2ELNS1_11target_archE906ELNS1_3gpuE6ELNS1_3repE0EEENS1_30default_config_static_selectorELNS0_4arch9wavefront6targetE1EEEvT1_
    .private_segment_fixed_size: 0
    .sgpr_count:     57
    .sgpr_spill_count: 0
    .symbol:         _ZN7rocprim17ROCPRIM_400000_NS6detail17trampoline_kernelINS0_14default_configENS1_25partition_config_selectorILNS1_17partition_subalgoE8EjNS0_10empty_typeEbEEZZNS1_14partition_implILS5_8ELb0ES3_jN6thrust23THRUST_200600_302600_NS6detail15normal_iteratorINSA_10device_ptrIjEEEEPS6_PKS6_NS0_5tupleIJNSA_16discard_iteratorINSA_11use_defaultEEES6_EEENSJ_IJSG_SG_EEENS0_18inequality_wrapperINSA_8equal_toIjEEEEPmJS6_EEE10hipError_tPvRmT3_T4_T5_T6_T7_T9_mT8_P12ihipStream_tbDpT10_ENKUlT_T0_E_clISt17integral_constantIbLb0EES1C_IbLb1EEEEDaS18_S19_EUlS18_E_NS1_11comp_targetILNS1_3genE2ELNS1_11target_archE906ELNS1_3gpuE6ELNS1_3repE0EEENS1_30default_config_static_selectorELNS0_4arch9wavefront6targetE1EEEvT1_.kd
    .uniform_work_group_size: 1
    .uses_dynamic_stack: false
    .vgpr_count:     77
    .vgpr_spill_count: 0
    .wavefront_size: 64
  - .args:
      - .offset:         0
        .size:           136
        .value_kind:     by_value
    .group_segment_fixed_size: 0
    .kernarg_segment_align: 8
    .kernarg_segment_size: 136
    .language:       OpenCL C
    .language_version:
      - 2
      - 0
    .max_flat_workgroup_size: 384
    .name:           _ZN7rocprim17ROCPRIM_400000_NS6detail17trampoline_kernelINS0_14default_configENS1_25partition_config_selectorILNS1_17partition_subalgoE8EjNS0_10empty_typeEbEEZZNS1_14partition_implILS5_8ELb0ES3_jN6thrust23THRUST_200600_302600_NS6detail15normal_iteratorINSA_10device_ptrIjEEEEPS6_PKS6_NS0_5tupleIJNSA_16discard_iteratorINSA_11use_defaultEEES6_EEENSJ_IJSG_SG_EEENS0_18inequality_wrapperINSA_8equal_toIjEEEEPmJS6_EEE10hipError_tPvRmT3_T4_T5_T6_T7_T9_mT8_P12ihipStream_tbDpT10_ENKUlT_T0_E_clISt17integral_constantIbLb0EES1C_IbLb1EEEEDaS18_S19_EUlS18_E_NS1_11comp_targetILNS1_3genE10ELNS1_11target_archE1200ELNS1_3gpuE4ELNS1_3repE0EEENS1_30default_config_static_selectorELNS0_4arch9wavefront6targetE1EEEvT1_
    .private_segment_fixed_size: 0
    .sgpr_count:     4
    .sgpr_spill_count: 0
    .symbol:         _ZN7rocprim17ROCPRIM_400000_NS6detail17trampoline_kernelINS0_14default_configENS1_25partition_config_selectorILNS1_17partition_subalgoE8EjNS0_10empty_typeEbEEZZNS1_14partition_implILS5_8ELb0ES3_jN6thrust23THRUST_200600_302600_NS6detail15normal_iteratorINSA_10device_ptrIjEEEEPS6_PKS6_NS0_5tupleIJNSA_16discard_iteratorINSA_11use_defaultEEES6_EEENSJ_IJSG_SG_EEENS0_18inequality_wrapperINSA_8equal_toIjEEEEPmJS6_EEE10hipError_tPvRmT3_T4_T5_T6_T7_T9_mT8_P12ihipStream_tbDpT10_ENKUlT_T0_E_clISt17integral_constantIbLb0EES1C_IbLb1EEEEDaS18_S19_EUlS18_E_NS1_11comp_targetILNS1_3genE10ELNS1_11target_archE1200ELNS1_3gpuE4ELNS1_3repE0EEENS1_30default_config_static_selectorELNS0_4arch9wavefront6targetE1EEEvT1_.kd
    .uniform_work_group_size: 1
    .uses_dynamic_stack: false
    .vgpr_count:     0
    .vgpr_spill_count: 0
    .wavefront_size: 64
  - .args:
      - .offset:         0
        .size:           136
        .value_kind:     by_value
    .group_segment_fixed_size: 0
    .kernarg_segment_align: 8
    .kernarg_segment_size: 136
    .language:       OpenCL C
    .language_version:
      - 2
      - 0
    .max_flat_workgroup_size: 384
    .name:           _ZN7rocprim17ROCPRIM_400000_NS6detail17trampoline_kernelINS0_14default_configENS1_25partition_config_selectorILNS1_17partition_subalgoE8EjNS0_10empty_typeEbEEZZNS1_14partition_implILS5_8ELb0ES3_jN6thrust23THRUST_200600_302600_NS6detail15normal_iteratorINSA_10device_ptrIjEEEEPS6_PKS6_NS0_5tupleIJNSA_16discard_iteratorINSA_11use_defaultEEES6_EEENSJ_IJSG_SG_EEENS0_18inequality_wrapperINSA_8equal_toIjEEEEPmJS6_EEE10hipError_tPvRmT3_T4_T5_T6_T7_T9_mT8_P12ihipStream_tbDpT10_ENKUlT_T0_E_clISt17integral_constantIbLb0EES1C_IbLb1EEEEDaS18_S19_EUlS18_E_NS1_11comp_targetILNS1_3genE9ELNS1_11target_archE1100ELNS1_3gpuE3ELNS1_3repE0EEENS1_30default_config_static_selectorELNS0_4arch9wavefront6targetE1EEEvT1_
    .private_segment_fixed_size: 0
    .sgpr_count:     4
    .sgpr_spill_count: 0
    .symbol:         _ZN7rocprim17ROCPRIM_400000_NS6detail17trampoline_kernelINS0_14default_configENS1_25partition_config_selectorILNS1_17partition_subalgoE8EjNS0_10empty_typeEbEEZZNS1_14partition_implILS5_8ELb0ES3_jN6thrust23THRUST_200600_302600_NS6detail15normal_iteratorINSA_10device_ptrIjEEEEPS6_PKS6_NS0_5tupleIJNSA_16discard_iteratorINSA_11use_defaultEEES6_EEENSJ_IJSG_SG_EEENS0_18inequality_wrapperINSA_8equal_toIjEEEEPmJS6_EEE10hipError_tPvRmT3_T4_T5_T6_T7_T9_mT8_P12ihipStream_tbDpT10_ENKUlT_T0_E_clISt17integral_constantIbLb0EES1C_IbLb1EEEEDaS18_S19_EUlS18_E_NS1_11comp_targetILNS1_3genE9ELNS1_11target_archE1100ELNS1_3gpuE3ELNS1_3repE0EEENS1_30default_config_static_selectorELNS0_4arch9wavefront6targetE1EEEvT1_.kd
    .uniform_work_group_size: 1
    .uses_dynamic_stack: false
    .vgpr_count:     0
    .vgpr_spill_count: 0
    .wavefront_size: 64
  - .args:
      - .offset:         0
        .size:           136
        .value_kind:     by_value
    .group_segment_fixed_size: 0
    .kernarg_segment_align: 8
    .kernarg_segment_size: 136
    .language:       OpenCL C
    .language_version:
      - 2
      - 0
    .max_flat_workgroup_size: 512
    .name:           _ZN7rocprim17ROCPRIM_400000_NS6detail17trampoline_kernelINS0_14default_configENS1_25partition_config_selectorILNS1_17partition_subalgoE8EjNS0_10empty_typeEbEEZZNS1_14partition_implILS5_8ELb0ES3_jN6thrust23THRUST_200600_302600_NS6detail15normal_iteratorINSA_10device_ptrIjEEEEPS6_PKS6_NS0_5tupleIJNSA_16discard_iteratorINSA_11use_defaultEEES6_EEENSJ_IJSG_SG_EEENS0_18inequality_wrapperINSA_8equal_toIjEEEEPmJS6_EEE10hipError_tPvRmT3_T4_T5_T6_T7_T9_mT8_P12ihipStream_tbDpT10_ENKUlT_T0_E_clISt17integral_constantIbLb0EES1C_IbLb1EEEEDaS18_S19_EUlS18_E_NS1_11comp_targetILNS1_3genE8ELNS1_11target_archE1030ELNS1_3gpuE2ELNS1_3repE0EEENS1_30default_config_static_selectorELNS0_4arch9wavefront6targetE1EEEvT1_
    .private_segment_fixed_size: 0
    .sgpr_count:     4
    .sgpr_spill_count: 0
    .symbol:         _ZN7rocprim17ROCPRIM_400000_NS6detail17trampoline_kernelINS0_14default_configENS1_25partition_config_selectorILNS1_17partition_subalgoE8EjNS0_10empty_typeEbEEZZNS1_14partition_implILS5_8ELb0ES3_jN6thrust23THRUST_200600_302600_NS6detail15normal_iteratorINSA_10device_ptrIjEEEEPS6_PKS6_NS0_5tupleIJNSA_16discard_iteratorINSA_11use_defaultEEES6_EEENSJ_IJSG_SG_EEENS0_18inequality_wrapperINSA_8equal_toIjEEEEPmJS6_EEE10hipError_tPvRmT3_T4_T5_T6_T7_T9_mT8_P12ihipStream_tbDpT10_ENKUlT_T0_E_clISt17integral_constantIbLb0EES1C_IbLb1EEEEDaS18_S19_EUlS18_E_NS1_11comp_targetILNS1_3genE8ELNS1_11target_archE1030ELNS1_3gpuE2ELNS1_3repE0EEENS1_30default_config_static_selectorELNS0_4arch9wavefront6targetE1EEEvT1_.kd
    .uniform_work_group_size: 1
    .uses_dynamic_stack: false
    .vgpr_count:     0
    .vgpr_spill_count: 0
    .wavefront_size: 64
  - .args:
      - .offset:         0
        .size:           120
        .value_kind:     by_value
    .group_segment_fixed_size: 0
    .kernarg_segment_align: 8
    .kernarg_segment_size: 120
    .language:       OpenCL C
    .language_version:
      - 2
      - 0
    .max_flat_workgroup_size: 256
    .name:           _ZN7rocprim17ROCPRIM_400000_NS6detail17trampoline_kernelINS0_14default_configENS1_25partition_config_selectorILNS1_17partition_subalgoE8EtNS0_10empty_typeEbEEZZNS1_14partition_implILS5_8ELb0ES3_jN6thrust23THRUST_200600_302600_NS6detail15normal_iteratorINSA_10device_ptrItEEEEPS6_PKS6_NS0_5tupleIJNSA_16discard_iteratorINSA_11use_defaultEEES6_EEENSJ_IJSG_SG_EEENS0_18inequality_wrapperINSA_8equal_toItEEEEPmJS6_EEE10hipError_tPvRmT3_T4_T5_T6_T7_T9_mT8_P12ihipStream_tbDpT10_ENKUlT_T0_E_clISt17integral_constantIbLb0EES1D_EEDaS18_S19_EUlS18_E_NS1_11comp_targetILNS1_3genE0ELNS1_11target_archE4294967295ELNS1_3gpuE0ELNS1_3repE0EEENS1_30default_config_static_selectorELNS0_4arch9wavefront6targetE1EEEvT1_
    .private_segment_fixed_size: 0
    .sgpr_count:     4
    .sgpr_spill_count: 0
    .symbol:         _ZN7rocprim17ROCPRIM_400000_NS6detail17trampoline_kernelINS0_14default_configENS1_25partition_config_selectorILNS1_17partition_subalgoE8EtNS0_10empty_typeEbEEZZNS1_14partition_implILS5_8ELb0ES3_jN6thrust23THRUST_200600_302600_NS6detail15normal_iteratorINSA_10device_ptrItEEEEPS6_PKS6_NS0_5tupleIJNSA_16discard_iteratorINSA_11use_defaultEEES6_EEENSJ_IJSG_SG_EEENS0_18inequality_wrapperINSA_8equal_toItEEEEPmJS6_EEE10hipError_tPvRmT3_T4_T5_T6_T7_T9_mT8_P12ihipStream_tbDpT10_ENKUlT_T0_E_clISt17integral_constantIbLb0EES1D_EEDaS18_S19_EUlS18_E_NS1_11comp_targetILNS1_3genE0ELNS1_11target_archE4294967295ELNS1_3gpuE0ELNS1_3repE0EEENS1_30default_config_static_selectorELNS0_4arch9wavefront6targetE1EEEvT1_.kd
    .uniform_work_group_size: 1
    .uses_dynamic_stack: false
    .vgpr_count:     0
    .vgpr_spill_count: 0
    .wavefront_size: 64
  - .args:
      - .offset:         0
        .size:           120
        .value_kind:     by_value
    .group_segment_fixed_size: 0
    .kernarg_segment_align: 8
    .kernarg_segment_size: 120
    .language:       OpenCL C
    .language_version:
      - 2
      - 0
    .max_flat_workgroup_size: 512
    .name:           _ZN7rocprim17ROCPRIM_400000_NS6detail17trampoline_kernelINS0_14default_configENS1_25partition_config_selectorILNS1_17partition_subalgoE8EtNS0_10empty_typeEbEEZZNS1_14partition_implILS5_8ELb0ES3_jN6thrust23THRUST_200600_302600_NS6detail15normal_iteratorINSA_10device_ptrItEEEEPS6_PKS6_NS0_5tupleIJNSA_16discard_iteratorINSA_11use_defaultEEES6_EEENSJ_IJSG_SG_EEENS0_18inequality_wrapperINSA_8equal_toItEEEEPmJS6_EEE10hipError_tPvRmT3_T4_T5_T6_T7_T9_mT8_P12ihipStream_tbDpT10_ENKUlT_T0_E_clISt17integral_constantIbLb0EES1D_EEDaS18_S19_EUlS18_E_NS1_11comp_targetILNS1_3genE5ELNS1_11target_archE942ELNS1_3gpuE9ELNS1_3repE0EEENS1_30default_config_static_selectorELNS0_4arch9wavefront6targetE1EEEvT1_
    .private_segment_fixed_size: 0
    .sgpr_count:     4
    .sgpr_spill_count: 0
    .symbol:         _ZN7rocprim17ROCPRIM_400000_NS6detail17trampoline_kernelINS0_14default_configENS1_25partition_config_selectorILNS1_17partition_subalgoE8EtNS0_10empty_typeEbEEZZNS1_14partition_implILS5_8ELb0ES3_jN6thrust23THRUST_200600_302600_NS6detail15normal_iteratorINSA_10device_ptrItEEEEPS6_PKS6_NS0_5tupleIJNSA_16discard_iteratorINSA_11use_defaultEEES6_EEENSJ_IJSG_SG_EEENS0_18inequality_wrapperINSA_8equal_toItEEEEPmJS6_EEE10hipError_tPvRmT3_T4_T5_T6_T7_T9_mT8_P12ihipStream_tbDpT10_ENKUlT_T0_E_clISt17integral_constantIbLb0EES1D_EEDaS18_S19_EUlS18_E_NS1_11comp_targetILNS1_3genE5ELNS1_11target_archE942ELNS1_3gpuE9ELNS1_3repE0EEENS1_30default_config_static_selectorELNS0_4arch9wavefront6targetE1EEEvT1_.kd
    .uniform_work_group_size: 1
    .uses_dynamic_stack: false
    .vgpr_count:     0
    .vgpr_spill_count: 0
    .wavefront_size: 64
  - .args:
      - .offset:         0
        .size:           120
        .value_kind:     by_value
    .group_segment_fixed_size: 0
    .kernarg_segment_align: 8
    .kernarg_segment_size: 120
    .language:       OpenCL C
    .language_version:
      - 2
      - 0
    .max_flat_workgroup_size: 256
    .name:           _ZN7rocprim17ROCPRIM_400000_NS6detail17trampoline_kernelINS0_14default_configENS1_25partition_config_selectorILNS1_17partition_subalgoE8EtNS0_10empty_typeEbEEZZNS1_14partition_implILS5_8ELb0ES3_jN6thrust23THRUST_200600_302600_NS6detail15normal_iteratorINSA_10device_ptrItEEEEPS6_PKS6_NS0_5tupleIJNSA_16discard_iteratorINSA_11use_defaultEEES6_EEENSJ_IJSG_SG_EEENS0_18inequality_wrapperINSA_8equal_toItEEEEPmJS6_EEE10hipError_tPvRmT3_T4_T5_T6_T7_T9_mT8_P12ihipStream_tbDpT10_ENKUlT_T0_E_clISt17integral_constantIbLb0EES1D_EEDaS18_S19_EUlS18_E_NS1_11comp_targetILNS1_3genE4ELNS1_11target_archE910ELNS1_3gpuE8ELNS1_3repE0EEENS1_30default_config_static_selectorELNS0_4arch9wavefront6targetE1EEEvT1_
    .private_segment_fixed_size: 0
    .sgpr_count:     4
    .sgpr_spill_count: 0
    .symbol:         _ZN7rocprim17ROCPRIM_400000_NS6detail17trampoline_kernelINS0_14default_configENS1_25partition_config_selectorILNS1_17partition_subalgoE8EtNS0_10empty_typeEbEEZZNS1_14partition_implILS5_8ELb0ES3_jN6thrust23THRUST_200600_302600_NS6detail15normal_iteratorINSA_10device_ptrItEEEEPS6_PKS6_NS0_5tupleIJNSA_16discard_iteratorINSA_11use_defaultEEES6_EEENSJ_IJSG_SG_EEENS0_18inequality_wrapperINSA_8equal_toItEEEEPmJS6_EEE10hipError_tPvRmT3_T4_T5_T6_T7_T9_mT8_P12ihipStream_tbDpT10_ENKUlT_T0_E_clISt17integral_constantIbLb0EES1D_EEDaS18_S19_EUlS18_E_NS1_11comp_targetILNS1_3genE4ELNS1_11target_archE910ELNS1_3gpuE8ELNS1_3repE0EEENS1_30default_config_static_selectorELNS0_4arch9wavefront6targetE1EEEvT1_.kd
    .uniform_work_group_size: 1
    .uses_dynamic_stack: false
    .vgpr_count:     0
    .vgpr_spill_count: 0
    .wavefront_size: 64
  - .args:
      - .offset:         0
        .size:           120
        .value_kind:     by_value
    .group_segment_fixed_size: 0
    .kernarg_segment_align: 8
    .kernarg_segment_size: 120
    .language:       OpenCL C
    .language_version:
      - 2
      - 0
    .max_flat_workgroup_size: 256
    .name:           _ZN7rocprim17ROCPRIM_400000_NS6detail17trampoline_kernelINS0_14default_configENS1_25partition_config_selectorILNS1_17partition_subalgoE8EtNS0_10empty_typeEbEEZZNS1_14partition_implILS5_8ELb0ES3_jN6thrust23THRUST_200600_302600_NS6detail15normal_iteratorINSA_10device_ptrItEEEEPS6_PKS6_NS0_5tupleIJNSA_16discard_iteratorINSA_11use_defaultEEES6_EEENSJ_IJSG_SG_EEENS0_18inequality_wrapperINSA_8equal_toItEEEEPmJS6_EEE10hipError_tPvRmT3_T4_T5_T6_T7_T9_mT8_P12ihipStream_tbDpT10_ENKUlT_T0_E_clISt17integral_constantIbLb0EES1D_EEDaS18_S19_EUlS18_E_NS1_11comp_targetILNS1_3genE3ELNS1_11target_archE908ELNS1_3gpuE7ELNS1_3repE0EEENS1_30default_config_static_selectorELNS0_4arch9wavefront6targetE1EEEvT1_
    .private_segment_fixed_size: 0
    .sgpr_count:     4
    .sgpr_spill_count: 0
    .symbol:         _ZN7rocprim17ROCPRIM_400000_NS6detail17trampoline_kernelINS0_14default_configENS1_25partition_config_selectorILNS1_17partition_subalgoE8EtNS0_10empty_typeEbEEZZNS1_14partition_implILS5_8ELb0ES3_jN6thrust23THRUST_200600_302600_NS6detail15normal_iteratorINSA_10device_ptrItEEEEPS6_PKS6_NS0_5tupleIJNSA_16discard_iteratorINSA_11use_defaultEEES6_EEENSJ_IJSG_SG_EEENS0_18inequality_wrapperINSA_8equal_toItEEEEPmJS6_EEE10hipError_tPvRmT3_T4_T5_T6_T7_T9_mT8_P12ihipStream_tbDpT10_ENKUlT_T0_E_clISt17integral_constantIbLb0EES1D_EEDaS18_S19_EUlS18_E_NS1_11comp_targetILNS1_3genE3ELNS1_11target_archE908ELNS1_3gpuE7ELNS1_3repE0EEENS1_30default_config_static_selectorELNS0_4arch9wavefront6targetE1EEEvT1_.kd
    .uniform_work_group_size: 1
    .uses_dynamic_stack: false
    .vgpr_count:     0
    .vgpr_spill_count: 0
    .wavefront_size: 64
  - .args:
      - .offset:         0
        .size:           120
        .value_kind:     by_value
    .group_segment_fixed_size: 6920
    .kernarg_segment_align: 8
    .kernarg_segment_size: 120
    .language:       OpenCL C
    .language_version:
      - 2
      - 0
    .max_flat_workgroup_size: 192
    .name:           _ZN7rocprim17ROCPRIM_400000_NS6detail17trampoline_kernelINS0_14default_configENS1_25partition_config_selectorILNS1_17partition_subalgoE8EtNS0_10empty_typeEbEEZZNS1_14partition_implILS5_8ELb0ES3_jN6thrust23THRUST_200600_302600_NS6detail15normal_iteratorINSA_10device_ptrItEEEEPS6_PKS6_NS0_5tupleIJNSA_16discard_iteratorINSA_11use_defaultEEES6_EEENSJ_IJSG_SG_EEENS0_18inequality_wrapperINSA_8equal_toItEEEEPmJS6_EEE10hipError_tPvRmT3_T4_T5_T6_T7_T9_mT8_P12ihipStream_tbDpT10_ENKUlT_T0_E_clISt17integral_constantIbLb0EES1D_EEDaS18_S19_EUlS18_E_NS1_11comp_targetILNS1_3genE2ELNS1_11target_archE906ELNS1_3gpuE6ELNS1_3repE0EEENS1_30default_config_static_selectorELNS0_4arch9wavefront6targetE1EEEvT1_
    .private_segment_fixed_size: 0
    .sgpr_count:     62
    .sgpr_spill_count: 0
    .symbol:         _ZN7rocprim17ROCPRIM_400000_NS6detail17trampoline_kernelINS0_14default_configENS1_25partition_config_selectorILNS1_17partition_subalgoE8EtNS0_10empty_typeEbEEZZNS1_14partition_implILS5_8ELb0ES3_jN6thrust23THRUST_200600_302600_NS6detail15normal_iteratorINSA_10device_ptrItEEEEPS6_PKS6_NS0_5tupleIJNSA_16discard_iteratorINSA_11use_defaultEEES6_EEENSJ_IJSG_SG_EEENS0_18inequality_wrapperINSA_8equal_toItEEEEPmJS6_EEE10hipError_tPvRmT3_T4_T5_T6_T7_T9_mT8_P12ihipStream_tbDpT10_ENKUlT_T0_E_clISt17integral_constantIbLb0EES1D_EEDaS18_S19_EUlS18_E_NS1_11comp_targetILNS1_3genE2ELNS1_11target_archE906ELNS1_3gpuE6ELNS1_3repE0EEENS1_30default_config_static_selectorELNS0_4arch9wavefront6targetE1EEEvT1_.kd
    .uniform_work_group_size: 1
    .uses_dynamic_stack: false
    .vgpr_count:     81
    .vgpr_spill_count: 0
    .wavefront_size: 64
  - .args:
      - .offset:         0
        .size:           120
        .value_kind:     by_value
    .group_segment_fixed_size: 0
    .kernarg_segment_align: 8
    .kernarg_segment_size: 120
    .language:       OpenCL C
    .language_version:
      - 2
      - 0
    .max_flat_workgroup_size: 256
    .name:           _ZN7rocprim17ROCPRIM_400000_NS6detail17trampoline_kernelINS0_14default_configENS1_25partition_config_selectorILNS1_17partition_subalgoE8EtNS0_10empty_typeEbEEZZNS1_14partition_implILS5_8ELb0ES3_jN6thrust23THRUST_200600_302600_NS6detail15normal_iteratorINSA_10device_ptrItEEEEPS6_PKS6_NS0_5tupleIJNSA_16discard_iteratorINSA_11use_defaultEEES6_EEENSJ_IJSG_SG_EEENS0_18inequality_wrapperINSA_8equal_toItEEEEPmJS6_EEE10hipError_tPvRmT3_T4_T5_T6_T7_T9_mT8_P12ihipStream_tbDpT10_ENKUlT_T0_E_clISt17integral_constantIbLb0EES1D_EEDaS18_S19_EUlS18_E_NS1_11comp_targetILNS1_3genE10ELNS1_11target_archE1200ELNS1_3gpuE4ELNS1_3repE0EEENS1_30default_config_static_selectorELNS0_4arch9wavefront6targetE1EEEvT1_
    .private_segment_fixed_size: 0
    .sgpr_count:     4
    .sgpr_spill_count: 0
    .symbol:         _ZN7rocprim17ROCPRIM_400000_NS6detail17trampoline_kernelINS0_14default_configENS1_25partition_config_selectorILNS1_17partition_subalgoE8EtNS0_10empty_typeEbEEZZNS1_14partition_implILS5_8ELb0ES3_jN6thrust23THRUST_200600_302600_NS6detail15normal_iteratorINSA_10device_ptrItEEEEPS6_PKS6_NS0_5tupleIJNSA_16discard_iteratorINSA_11use_defaultEEES6_EEENSJ_IJSG_SG_EEENS0_18inequality_wrapperINSA_8equal_toItEEEEPmJS6_EEE10hipError_tPvRmT3_T4_T5_T6_T7_T9_mT8_P12ihipStream_tbDpT10_ENKUlT_T0_E_clISt17integral_constantIbLb0EES1D_EEDaS18_S19_EUlS18_E_NS1_11comp_targetILNS1_3genE10ELNS1_11target_archE1200ELNS1_3gpuE4ELNS1_3repE0EEENS1_30default_config_static_selectorELNS0_4arch9wavefront6targetE1EEEvT1_.kd
    .uniform_work_group_size: 1
    .uses_dynamic_stack: false
    .vgpr_count:     0
    .vgpr_spill_count: 0
    .wavefront_size: 64
  - .args:
      - .offset:         0
        .size:           120
        .value_kind:     by_value
    .group_segment_fixed_size: 0
    .kernarg_segment_align: 8
    .kernarg_segment_size: 120
    .language:       OpenCL C
    .language_version:
      - 2
      - 0
    .max_flat_workgroup_size: 128
    .name:           _ZN7rocprim17ROCPRIM_400000_NS6detail17trampoline_kernelINS0_14default_configENS1_25partition_config_selectorILNS1_17partition_subalgoE8EtNS0_10empty_typeEbEEZZNS1_14partition_implILS5_8ELb0ES3_jN6thrust23THRUST_200600_302600_NS6detail15normal_iteratorINSA_10device_ptrItEEEEPS6_PKS6_NS0_5tupleIJNSA_16discard_iteratorINSA_11use_defaultEEES6_EEENSJ_IJSG_SG_EEENS0_18inequality_wrapperINSA_8equal_toItEEEEPmJS6_EEE10hipError_tPvRmT3_T4_T5_T6_T7_T9_mT8_P12ihipStream_tbDpT10_ENKUlT_T0_E_clISt17integral_constantIbLb0EES1D_EEDaS18_S19_EUlS18_E_NS1_11comp_targetILNS1_3genE9ELNS1_11target_archE1100ELNS1_3gpuE3ELNS1_3repE0EEENS1_30default_config_static_selectorELNS0_4arch9wavefront6targetE1EEEvT1_
    .private_segment_fixed_size: 0
    .sgpr_count:     4
    .sgpr_spill_count: 0
    .symbol:         _ZN7rocprim17ROCPRIM_400000_NS6detail17trampoline_kernelINS0_14default_configENS1_25partition_config_selectorILNS1_17partition_subalgoE8EtNS0_10empty_typeEbEEZZNS1_14partition_implILS5_8ELb0ES3_jN6thrust23THRUST_200600_302600_NS6detail15normal_iteratorINSA_10device_ptrItEEEEPS6_PKS6_NS0_5tupleIJNSA_16discard_iteratorINSA_11use_defaultEEES6_EEENSJ_IJSG_SG_EEENS0_18inequality_wrapperINSA_8equal_toItEEEEPmJS6_EEE10hipError_tPvRmT3_T4_T5_T6_T7_T9_mT8_P12ihipStream_tbDpT10_ENKUlT_T0_E_clISt17integral_constantIbLb0EES1D_EEDaS18_S19_EUlS18_E_NS1_11comp_targetILNS1_3genE9ELNS1_11target_archE1100ELNS1_3gpuE3ELNS1_3repE0EEENS1_30default_config_static_selectorELNS0_4arch9wavefront6targetE1EEEvT1_.kd
    .uniform_work_group_size: 1
    .uses_dynamic_stack: false
    .vgpr_count:     0
    .vgpr_spill_count: 0
    .wavefront_size: 64
  - .args:
      - .offset:         0
        .size:           120
        .value_kind:     by_value
    .group_segment_fixed_size: 0
    .kernarg_segment_align: 8
    .kernarg_segment_size: 120
    .language:       OpenCL C
    .language_version:
      - 2
      - 0
    .max_flat_workgroup_size: 384
    .name:           _ZN7rocprim17ROCPRIM_400000_NS6detail17trampoline_kernelINS0_14default_configENS1_25partition_config_selectorILNS1_17partition_subalgoE8EtNS0_10empty_typeEbEEZZNS1_14partition_implILS5_8ELb0ES3_jN6thrust23THRUST_200600_302600_NS6detail15normal_iteratorINSA_10device_ptrItEEEEPS6_PKS6_NS0_5tupleIJNSA_16discard_iteratorINSA_11use_defaultEEES6_EEENSJ_IJSG_SG_EEENS0_18inequality_wrapperINSA_8equal_toItEEEEPmJS6_EEE10hipError_tPvRmT3_T4_T5_T6_T7_T9_mT8_P12ihipStream_tbDpT10_ENKUlT_T0_E_clISt17integral_constantIbLb0EES1D_EEDaS18_S19_EUlS18_E_NS1_11comp_targetILNS1_3genE8ELNS1_11target_archE1030ELNS1_3gpuE2ELNS1_3repE0EEENS1_30default_config_static_selectorELNS0_4arch9wavefront6targetE1EEEvT1_
    .private_segment_fixed_size: 0
    .sgpr_count:     4
    .sgpr_spill_count: 0
    .symbol:         _ZN7rocprim17ROCPRIM_400000_NS6detail17trampoline_kernelINS0_14default_configENS1_25partition_config_selectorILNS1_17partition_subalgoE8EtNS0_10empty_typeEbEEZZNS1_14partition_implILS5_8ELb0ES3_jN6thrust23THRUST_200600_302600_NS6detail15normal_iteratorINSA_10device_ptrItEEEEPS6_PKS6_NS0_5tupleIJNSA_16discard_iteratorINSA_11use_defaultEEES6_EEENSJ_IJSG_SG_EEENS0_18inequality_wrapperINSA_8equal_toItEEEEPmJS6_EEE10hipError_tPvRmT3_T4_T5_T6_T7_T9_mT8_P12ihipStream_tbDpT10_ENKUlT_T0_E_clISt17integral_constantIbLb0EES1D_EEDaS18_S19_EUlS18_E_NS1_11comp_targetILNS1_3genE8ELNS1_11target_archE1030ELNS1_3gpuE2ELNS1_3repE0EEENS1_30default_config_static_selectorELNS0_4arch9wavefront6targetE1EEEvT1_.kd
    .uniform_work_group_size: 1
    .uses_dynamic_stack: false
    .vgpr_count:     0
    .vgpr_spill_count: 0
    .wavefront_size: 64
  - .args:
      - .offset:         0
        .size:           136
        .value_kind:     by_value
    .group_segment_fixed_size: 0
    .kernarg_segment_align: 8
    .kernarg_segment_size: 136
    .language:       OpenCL C
    .language_version:
      - 2
      - 0
    .max_flat_workgroup_size: 256
    .name:           _ZN7rocprim17ROCPRIM_400000_NS6detail17trampoline_kernelINS0_14default_configENS1_25partition_config_selectorILNS1_17partition_subalgoE8EtNS0_10empty_typeEbEEZZNS1_14partition_implILS5_8ELb0ES3_jN6thrust23THRUST_200600_302600_NS6detail15normal_iteratorINSA_10device_ptrItEEEEPS6_PKS6_NS0_5tupleIJNSA_16discard_iteratorINSA_11use_defaultEEES6_EEENSJ_IJSG_SG_EEENS0_18inequality_wrapperINSA_8equal_toItEEEEPmJS6_EEE10hipError_tPvRmT3_T4_T5_T6_T7_T9_mT8_P12ihipStream_tbDpT10_ENKUlT_T0_E_clISt17integral_constantIbLb1EES1D_EEDaS18_S19_EUlS18_E_NS1_11comp_targetILNS1_3genE0ELNS1_11target_archE4294967295ELNS1_3gpuE0ELNS1_3repE0EEENS1_30default_config_static_selectorELNS0_4arch9wavefront6targetE1EEEvT1_
    .private_segment_fixed_size: 0
    .sgpr_count:     4
    .sgpr_spill_count: 0
    .symbol:         _ZN7rocprim17ROCPRIM_400000_NS6detail17trampoline_kernelINS0_14default_configENS1_25partition_config_selectorILNS1_17partition_subalgoE8EtNS0_10empty_typeEbEEZZNS1_14partition_implILS5_8ELb0ES3_jN6thrust23THRUST_200600_302600_NS6detail15normal_iteratorINSA_10device_ptrItEEEEPS6_PKS6_NS0_5tupleIJNSA_16discard_iteratorINSA_11use_defaultEEES6_EEENSJ_IJSG_SG_EEENS0_18inequality_wrapperINSA_8equal_toItEEEEPmJS6_EEE10hipError_tPvRmT3_T4_T5_T6_T7_T9_mT8_P12ihipStream_tbDpT10_ENKUlT_T0_E_clISt17integral_constantIbLb1EES1D_EEDaS18_S19_EUlS18_E_NS1_11comp_targetILNS1_3genE0ELNS1_11target_archE4294967295ELNS1_3gpuE0ELNS1_3repE0EEENS1_30default_config_static_selectorELNS0_4arch9wavefront6targetE1EEEvT1_.kd
    .uniform_work_group_size: 1
    .uses_dynamic_stack: false
    .vgpr_count:     0
    .vgpr_spill_count: 0
    .wavefront_size: 64
  - .args:
      - .offset:         0
        .size:           136
        .value_kind:     by_value
    .group_segment_fixed_size: 0
    .kernarg_segment_align: 8
    .kernarg_segment_size: 136
    .language:       OpenCL C
    .language_version:
      - 2
      - 0
    .max_flat_workgroup_size: 512
    .name:           _ZN7rocprim17ROCPRIM_400000_NS6detail17trampoline_kernelINS0_14default_configENS1_25partition_config_selectorILNS1_17partition_subalgoE8EtNS0_10empty_typeEbEEZZNS1_14partition_implILS5_8ELb0ES3_jN6thrust23THRUST_200600_302600_NS6detail15normal_iteratorINSA_10device_ptrItEEEEPS6_PKS6_NS0_5tupleIJNSA_16discard_iteratorINSA_11use_defaultEEES6_EEENSJ_IJSG_SG_EEENS0_18inequality_wrapperINSA_8equal_toItEEEEPmJS6_EEE10hipError_tPvRmT3_T4_T5_T6_T7_T9_mT8_P12ihipStream_tbDpT10_ENKUlT_T0_E_clISt17integral_constantIbLb1EES1D_EEDaS18_S19_EUlS18_E_NS1_11comp_targetILNS1_3genE5ELNS1_11target_archE942ELNS1_3gpuE9ELNS1_3repE0EEENS1_30default_config_static_selectorELNS0_4arch9wavefront6targetE1EEEvT1_
    .private_segment_fixed_size: 0
    .sgpr_count:     4
    .sgpr_spill_count: 0
    .symbol:         _ZN7rocprim17ROCPRIM_400000_NS6detail17trampoline_kernelINS0_14default_configENS1_25partition_config_selectorILNS1_17partition_subalgoE8EtNS0_10empty_typeEbEEZZNS1_14partition_implILS5_8ELb0ES3_jN6thrust23THRUST_200600_302600_NS6detail15normal_iteratorINSA_10device_ptrItEEEEPS6_PKS6_NS0_5tupleIJNSA_16discard_iteratorINSA_11use_defaultEEES6_EEENSJ_IJSG_SG_EEENS0_18inequality_wrapperINSA_8equal_toItEEEEPmJS6_EEE10hipError_tPvRmT3_T4_T5_T6_T7_T9_mT8_P12ihipStream_tbDpT10_ENKUlT_T0_E_clISt17integral_constantIbLb1EES1D_EEDaS18_S19_EUlS18_E_NS1_11comp_targetILNS1_3genE5ELNS1_11target_archE942ELNS1_3gpuE9ELNS1_3repE0EEENS1_30default_config_static_selectorELNS0_4arch9wavefront6targetE1EEEvT1_.kd
    .uniform_work_group_size: 1
    .uses_dynamic_stack: false
    .vgpr_count:     0
    .vgpr_spill_count: 0
    .wavefront_size: 64
  - .args:
      - .offset:         0
        .size:           136
        .value_kind:     by_value
    .group_segment_fixed_size: 0
    .kernarg_segment_align: 8
    .kernarg_segment_size: 136
    .language:       OpenCL C
    .language_version:
      - 2
      - 0
    .max_flat_workgroup_size: 256
    .name:           _ZN7rocprim17ROCPRIM_400000_NS6detail17trampoline_kernelINS0_14default_configENS1_25partition_config_selectorILNS1_17partition_subalgoE8EtNS0_10empty_typeEbEEZZNS1_14partition_implILS5_8ELb0ES3_jN6thrust23THRUST_200600_302600_NS6detail15normal_iteratorINSA_10device_ptrItEEEEPS6_PKS6_NS0_5tupleIJNSA_16discard_iteratorINSA_11use_defaultEEES6_EEENSJ_IJSG_SG_EEENS0_18inequality_wrapperINSA_8equal_toItEEEEPmJS6_EEE10hipError_tPvRmT3_T4_T5_T6_T7_T9_mT8_P12ihipStream_tbDpT10_ENKUlT_T0_E_clISt17integral_constantIbLb1EES1D_EEDaS18_S19_EUlS18_E_NS1_11comp_targetILNS1_3genE4ELNS1_11target_archE910ELNS1_3gpuE8ELNS1_3repE0EEENS1_30default_config_static_selectorELNS0_4arch9wavefront6targetE1EEEvT1_
    .private_segment_fixed_size: 0
    .sgpr_count:     4
    .sgpr_spill_count: 0
    .symbol:         _ZN7rocprim17ROCPRIM_400000_NS6detail17trampoline_kernelINS0_14default_configENS1_25partition_config_selectorILNS1_17partition_subalgoE8EtNS0_10empty_typeEbEEZZNS1_14partition_implILS5_8ELb0ES3_jN6thrust23THRUST_200600_302600_NS6detail15normal_iteratorINSA_10device_ptrItEEEEPS6_PKS6_NS0_5tupleIJNSA_16discard_iteratorINSA_11use_defaultEEES6_EEENSJ_IJSG_SG_EEENS0_18inequality_wrapperINSA_8equal_toItEEEEPmJS6_EEE10hipError_tPvRmT3_T4_T5_T6_T7_T9_mT8_P12ihipStream_tbDpT10_ENKUlT_T0_E_clISt17integral_constantIbLb1EES1D_EEDaS18_S19_EUlS18_E_NS1_11comp_targetILNS1_3genE4ELNS1_11target_archE910ELNS1_3gpuE8ELNS1_3repE0EEENS1_30default_config_static_selectorELNS0_4arch9wavefront6targetE1EEEvT1_.kd
    .uniform_work_group_size: 1
    .uses_dynamic_stack: false
    .vgpr_count:     0
    .vgpr_spill_count: 0
    .wavefront_size: 64
  - .args:
      - .offset:         0
        .size:           136
        .value_kind:     by_value
    .group_segment_fixed_size: 0
    .kernarg_segment_align: 8
    .kernarg_segment_size: 136
    .language:       OpenCL C
    .language_version:
      - 2
      - 0
    .max_flat_workgroup_size: 256
    .name:           _ZN7rocprim17ROCPRIM_400000_NS6detail17trampoline_kernelINS0_14default_configENS1_25partition_config_selectorILNS1_17partition_subalgoE8EtNS0_10empty_typeEbEEZZNS1_14partition_implILS5_8ELb0ES3_jN6thrust23THRUST_200600_302600_NS6detail15normal_iteratorINSA_10device_ptrItEEEEPS6_PKS6_NS0_5tupleIJNSA_16discard_iteratorINSA_11use_defaultEEES6_EEENSJ_IJSG_SG_EEENS0_18inequality_wrapperINSA_8equal_toItEEEEPmJS6_EEE10hipError_tPvRmT3_T4_T5_T6_T7_T9_mT8_P12ihipStream_tbDpT10_ENKUlT_T0_E_clISt17integral_constantIbLb1EES1D_EEDaS18_S19_EUlS18_E_NS1_11comp_targetILNS1_3genE3ELNS1_11target_archE908ELNS1_3gpuE7ELNS1_3repE0EEENS1_30default_config_static_selectorELNS0_4arch9wavefront6targetE1EEEvT1_
    .private_segment_fixed_size: 0
    .sgpr_count:     4
    .sgpr_spill_count: 0
    .symbol:         _ZN7rocprim17ROCPRIM_400000_NS6detail17trampoline_kernelINS0_14default_configENS1_25partition_config_selectorILNS1_17partition_subalgoE8EtNS0_10empty_typeEbEEZZNS1_14partition_implILS5_8ELb0ES3_jN6thrust23THRUST_200600_302600_NS6detail15normal_iteratorINSA_10device_ptrItEEEEPS6_PKS6_NS0_5tupleIJNSA_16discard_iteratorINSA_11use_defaultEEES6_EEENSJ_IJSG_SG_EEENS0_18inequality_wrapperINSA_8equal_toItEEEEPmJS6_EEE10hipError_tPvRmT3_T4_T5_T6_T7_T9_mT8_P12ihipStream_tbDpT10_ENKUlT_T0_E_clISt17integral_constantIbLb1EES1D_EEDaS18_S19_EUlS18_E_NS1_11comp_targetILNS1_3genE3ELNS1_11target_archE908ELNS1_3gpuE7ELNS1_3repE0EEENS1_30default_config_static_selectorELNS0_4arch9wavefront6targetE1EEEvT1_.kd
    .uniform_work_group_size: 1
    .uses_dynamic_stack: false
    .vgpr_count:     0
    .vgpr_spill_count: 0
    .wavefront_size: 64
  - .args:
      - .offset:         0
        .size:           136
        .value_kind:     by_value
    .group_segment_fixed_size: 0
    .kernarg_segment_align: 8
    .kernarg_segment_size: 136
    .language:       OpenCL C
    .language_version:
      - 2
      - 0
    .max_flat_workgroup_size: 192
    .name:           _ZN7rocprim17ROCPRIM_400000_NS6detail17trampoline_kernelINS0_14default_configENS1_25partition_config_selectorILNS1_17partition_subalgoE8EtNS0_10empty_typeEbEEZZNS1_14partition_implILS5_8ELb0ES3_jN6thrust23THRUST_200600_302600_NS6detail15normal_iteratorINSA_10device_ptrItEEEEPS6_PKS6_NS0_5tupleIJNSA_16discard_iteratorINSA_11use_defaultEEES6_EEENSJ_IJSG_SG_EEENS0_18inequality_wrapperINSA_8equal_toItEEEEPmJS6_EEE10hipError_tPvRmT3_T4_T5_T6_T7_T9_mT8_P12ihipStream_tbDpT10_ENKUlT_T0_E_clISt17integral_constantIbLb1EES1D_EEDaS18_S19_EUlS18_E_NS1_11comp_targetILNS1_3genE2ELNS1_11target_archE906ELNS1_3gpuE6ELNS1_3repE0EEENS1_30default_config_static_selectorELNS0_4arch9wavefront6targetE1EEEvT1_
    .private_segment_fixed_size: 0
    .sgpr_count:     4
    .sgpr_spill_count: 0
    .symbol:         _ZN7rocprim17ROCPRIM_400000_NS6detail17trampoline_kernelINS0_14default_configENS1_25partition_config_selectorILNS1_17partition_subalgoE8EtNS0_10empty_typeEbEEZZNS1_14partition_implILS5_8ELb0ES3_jN6thrust23THRUST_200600_302600_NS6detail15normal_iteratorINSA_10device_ptrItEEEEPS6_PKS6_NS0_5tupleIJNSA_16discard_iteratorINSA_11use_defaultEEES6_EEENSJ_IJSG_SG_EEENS0_18inequality_wrapperINSA_8equal_toItEEEEPmJS6_EEE10hipError_tPvRmT3_T4_T5_T6_T7_T9_mT8_P12ihipStream_tbDpT10_ENKUlT_T0_E_clISt17integral_constantIbLb1EES1D_EEDaS18_S19_EUlS18_E_NS1_11comp_targetILNS1_3genE2ELNS1_11target_archE906ELNS1_3gpuE6ELNS1_3repE0EEENS1_30default_config_static_selectorELNS0_4arch9wavefront6targetE1EEEvT1_.kd
    .uniform_work_group_size: 1
    .uses_dynamic_stack: false
    .vgpr_count:     0
    .vgpr_spill_count: 0
    .wavefront_size: 64
  - .args:
      - .offset:         0
        .size:           136
        .value_kind:     by_value
    .group_segment_fixed_size: 0
    .kernarg_segment_align: 8
    .kernarg_segment_size: 136
    .language:       OpenCL C
    .language_version:
      - 2
      - 0
    .max_flat_workgroup_size: 256
    .name:           _ZN7rocprim17ROCPRIM_400000_NS6detail17trampoline_kernelINS0_14default_configENS1_25partition_config_selectorILNS1_17partition_subalgoE8EtNS0_10empty_typeEbEEZZNS1_14partition_implILS5_8ELb0ES3_jN6thrust23THRUST_200600_302600_NS6detail15normal_iteratorINSA_10device_ptrItEEEEPS6_PKS6_NS0_5tupleIJNSA_16discard_iteratorINSA_11use_defaultEEES6_EEENSJ_IJSG_SG_EEENS0_18inequality_wrapperINSA_8equal_toItEEEEPmJS6_EEE10hipError_tPvRmT3_T4_T5_T6_T7_T9_mT8_P12ihipStream_tbDpT10_ENKUlT_T0_E_clISt17integral_constantIbLb1EES1D_EEDaS18_S19_EUlS18_E_NS1_11comp_targetILNS1_3genE10ELNS1_11target_archE1200ELNS1_3gpuE4ELNS1_3repE0EEENS1_30default_config_static_selectorELNS0_4arch9wavefront6targetE1EEEvT1_
    .private_segment_fixed_size: 0
    .sgpr_count:     4
    .sgpr_spill_count: 0
    .symbol:         _ZN7rocprim17ROCPRIM_400000_NS6detail17trampoline_kernelINS0_14default_configENS1_25partition_config_selectorILNS1_17partition_subalgoE8EtNS0_10empty_typeEbEEZZNS1_14partition_implILS5_8ELb0ES3_jN6thrust23THRUST_200600_302600_NS6detail15normal_iteratorINSA_10device_ptrItEEEEPS6_PKS6_NS0_5tupleIJNSA_16discard_iteratorINSA_11use_defaultEEES6_EEENSJ_IJSG_SG_EEENS0_18inequality_wrapperINSA_8equal_toItEEEEPmJS6_EEE10hipError_tPvRmT3_T4_T5_T6_T7_T9_mT8_P12ihipStream_tbDpT10_ENKUlT_T0_E_clISt17integral_constantIbLb1EES1D_EEDaS18_S19_EUlS18_E_NS1_11comp_targetILNS1_3genE10ELNS1_11target_archE1200ELNS1_3gpuE4ELNS1_3repE0EEENS1_30default_config_static_selectorELNS0_4arch9wavefront6targetE1EEEvT1_.kd
    .uniform_work_group_size: 1
    .uses_dynamic_stack: false
    .vgpr_count:     0
    .vgpr_spill_count: 0
    .wavefront_size: 64
  - .args:
      - .offset:         0
        .size:           136
        .value_kind:     by_value
    .group_segment_fixed_size: 0
    .kernarg_segment_align: 8
    .kernarg_segment_size: 136
    .language:       OpenCL C
    .language_version:
      - 2
      - 0
    .max_flat_workgroup_size: 128
    .name:           _ZN7rocprim17ROCPRIM_400000_NS6detail17trampoline_kernelINS0_14default_configENS1_25partition_config_selectorILNS1_17partition_subalgoE8EtNS0_10empty_typeEbEEZZNS1_14partition_implILS5_8ELb0ES3_jN6thrust23THRUST_200600_302600_NS6detail15normal_iteratorINSA_10device_ptrItEEEEPS6_PKS6_NS0_5tupleIJNSA_16discard_iteratorINSA_11use_defaultEEES6_EEENSJ_IJSG_SG_EEENS0_18inequality_wrapperINSA_8equal_toItEEEEPmJS6_EEE10hipError_tPvRmT3_T4_T5_T6_T7_T9_mT8_P12ihipStream_tbDpT10_ENKUlT_T0_E_clISt17integral_constantIbLb1EES1D_EEDaS18_S19_EUlS18_E_NS1_11comp_targetILNS1_3genE9ELNS1_11target_archE1100ELNS1_3gpuE3ELNS1_3repE0EEENS1_30default_config_static_selectorELNS0_4arch9wavefront6targetE1EEEvT1_
    .private_segment_fixed_size: 0
    .sgpr_count:     4
    .sgpr_spill_count: 0
    .symbol:         _ZN7rocprim17ROCPRIM_400000_NS6detail17trampoline_kernelINS0_14default_configENS1_25partition_config_selectorILNS1_17partition_subalgoE8EtNS0_10empty_typeEbEEZZNS1_14partition_implILS5_8ELb0ES3_jN6thrust23THRUST_200600_302600_NS6detail15normal_iteratorINSA_10device_ptrItEEEEPS6_PKS6_NS0_5tupleIJNSA_16discard_iteratorINSA_11use_defaultEEES6_EEENSJ_IJSG_SG_EEENS0_18inequality_wrapperINSA_8equal_toItEEEEPmJS6_EEE10hipError_tPvRmT3_T4_T5_T6_T7_T9_mT8_P12ihipStream_tbDpT10_ENKUlT_T0_E_clISt17integral_constantIbLb1EES1D_EEDaS18_S19_EUlS18_E_NS1_11comp_targetILNS1_3genE9ELNS1_11target_archE1100ELNS1_3gpuE3ELNS1_3repE0EEENS1_30default_config_static_selectorELNS0_4arch9wavefront6targetE1EEEvT1_.kd
    .uniform_work_group_size: 1
    .uses_dynamic_stack: false
    .vgpr_count:     0
    .vgpr_spill_count: 0
    .wavefront_size: 64
  - .args:
      - .offset:         0
        .size:           136
        .value_kind:     by_value
    .group_segment_fixed_size: 0
    .kernarg_segment_align: 8
    .kernarg_segment_size: 136
    .language:       OpenCL C
    .language_version:
      - 2
      - 0
    .max_flat_workgroup_size: 384
    .name:           _ZN7rocprim17ROCPRIM_400000_NS6detail17trampoline_kernelINS0_14default_configENS1_25partition_config_selectorILNS1_17partition_subalgoE8EtNS0_10empty_typeEbEEZZNS1_14partition_implILS5_8ELb0ES3_jN6thrust23THRUST_200600_302600_NS6detail15normal_iteratorINSA_10device_ptrItEEEEPS6_PKS6_NS0_5tupleIJNSA_16discard_iteratorINSA_11use_defaultEEES6_EEENSJ_IJSG_SG_EEENS0_18inequality_wrapperINSA_8equal_toItEEEEPmJS6_EEE10hipError_tPvRmT3_T4_T5_T6_T7_T9_mT8_P12ihipStream_tbDpT10_ENKUlT_T0_E_clISt17integral_constantIbLb1EES1D_EEDaS18_S19_EUlS18_E_NS1_11comp_targetILNS1_3genE8ELNS1_11target_archE1030ELNS1_3gpuE2ELNS1_3repE0EEENS1_30default_config_static_selectorELNS0_4arch9wavefront6targetE1EEEvT1_
    .private_segment_fixed_size: 0
    .sgpr_count:     4
    .sgpr_spill_count: 0
    .symbol:         _ZN7rocprim17ROCPRIM_400000_NS6detail17trampoline_kernelINS0_14default_configENS1_25partition_config_selectorILNS1_17partition_subalgoE8EtNS0_10empty_typeEbEEZZNS1_14partition_implILS5_8ELb0ES3_jN6thrust23THRUST_200600_302600_NS6detail15normal_iteratorINSA_10device_ptrItEEEEPS6_PKS6_NS0_5tupleIJNSA_16discard_iteratorINSA_11use_defaultEEES6_EEENSJ_IJSG_SG_EEENS0_18inequality_wrapperINSA_8equal_toItEEEEPmJS6_EEE10hipError_tPvRmT3_T4_T5_T6_T7_T9_mT8_P12ihipStream_tbDpT10_ENKUlT_T0_E_clISt17integral_constantIbLb1EES1D_EEDaS18_S19_EUlS18_E_NS1_11comp_targetILNS1_3genE8ELNS1_11target_archE1030ELNS1_3gpuE2ELNS1_3repE0EEENS1_30default_config_static_selectorELNS0_4arch9wavefront6targetE1EEEvT1_.kd
    .uniform_work_group_size: 1
    .uses_dynamic_stack: false
    .vgpr_count:     0
    .vgpr_spill_count: 0
    .wavefront_size: 64
  - .args:
      - .offset:         0
        .size:           120
        .value_kind:     by_value
    .group_segment_fixed_size: 0
    .kernarg_segment_align: 8
    .kernarg_segment_size: 120
    .language:       OpenCL C
    .language_version:
      - 2
      - 0
    .max_flat_workgroup_size: 256
    .name:           _ZN7rocprim17ROCPRIM_400000_NS6detail17trampoline_kernelINS0_14default_configENS1_25partition_config_selectorILNS1_17partition_subalgoE8EtNS0_10empty_typeEbEEZZNS1_14partition_implILS5_8ELb0ES3_jN6thrust23THRUST_200600_302600_NS6detail15normal_iteratorINSA_10device_ptrItEEEEPS6_PKS6_NS0_5tupleIJNSA_16discard_iteratorINSA_11use_defaultEEES6_EEENSJ_IJSG_SG_EEENS0_18inequality_wrapperINSA_8equal_toItEEEEPmJS6_EEE10hipError_tPvRmT3_T4_T5_T6_T7_T9_mT8_P12ihipStream_tbDpT10_ENKUlT_T0_E_clISt17integral_constantIbLb1EES1C_IbLb0EEEEDaS18_S19_EUlS18_E_NS1_11comp_targetILNS1_3genE0ELNS1_11target_archE4294967295ELNS1_3gpuE0ELNS1_3repE0EEENS1_30default_config_static_selectorELNS0_4arch9wavefront6targetE1EEEvT1_
    .private_segment_fixed_size: 0
    .sgpr_count:     4
    .sgpr_spill_count: 0
    .symbol:         _ZN7rocprim17ROCPRIM_400000_NS6detail17trampoline_kernelINS0_14default_configENS1_25partition_config_selectorILNS1_17partition_subalgoE8EtNS0_10empty_typeEbEEZZNS1_14partition_implILS5_8ELb0ES3_jN6thrust23THRUST_200600_302600_NS6detail15normal_iteratorINSA_10device_ptrItEEEEPS6_PKS6_NS0_5tupleIJNSA_16discard_iteratorINSA_11use_defaultEEES6_EEENSJ_IJSG_SG_EEENS0_18inequality_wrapperINSA_8equal_toItEEEEPmJS6_EEE10hipError_tPvRmT3_T4_T5_T6_T7_T9_mT8_P12ihipStream_tbDpT10_ENKUlT_T0_E_clISt17integral_constantIbLb1EES1C_IbLb0EEEEDaS18_S19_EUlS18_E_NS1_11comp_targetILNS1_3genE0ELNS1_11target_archE4294967295ELNS1_3gpuE0ELNS1_3repE0EEENS1_30default_config_static_selectorELNS0_4arch9wavefront6targetE1EEEvT1_.kd
    .uniform_work_group_size: 1
    .uses_dynamic_stack: false
    .vgpr_count:     0
    .vgpr_spill_count: 0
    .wavefront_size: 64
  - .args:
      - .offset:         0
        .size:           120
        .value_kind:     by_value
    .group_segment_fixed_size: 0
    .kernarg_segment_align: 8
    .kernarg_segment_size: 120
    .language:       OpenCL C
    .language_version:
      - 2
      - 0
    .max_flat_workgroup_size: 512
    .name:           _ZN7rocprim17ROCPRIM_400000_NS6detail17trampoline_kernelINS0_14default_configENS1_25partition_config_selectorILNS1_17partition_subalgoE8EtNS0_10empty_typeEbEEZZNS1_14partition_implILS5_8ELb0ES3_jN6thrust23THRUST_200600_302600_NS6detail15normal_iteratorINSA_10device_ptrItEEEEPS6_PKS6_NS0_5tupleIJNSA_16discard_iteratorINSA_11use_defaultEEES6_EEENSJ_IJSG_SG_EEENS0_18inequality_wrapperINSA_8equal_toItEEEEPmJS6_EEE10hipError_tPvRmT3_T4_T5_T6_T7_T9_mT8_P12ihipStream_tbDpT10_ENKUlT_T0_E_clISt17integral_constantIbLb1EES1C_IbLb0EEEEDaS18_S19_EUlS18_E_NS1_11comp_targetILNS1_3genE5ELNS1_11target_archE942ELNS1_3gpuE9ELNS1_3repE0EEENS1_30default_config_static_selectorELNS0_4arch9wavefront6targetE1EEEvT1_
    .private_segment_fixed_size: 0
    .sgpr_count:     4
    .sgpr_spill_count: 0
    .symbol:         _ZN7rocprim17ROCPRIM_400000_NS6detail17trampoline_kernelINS0_14default_configENS1_25partition_config_selectorILNS1_17partition_subalgoE8EtNS0_10empty_typeEbEEZZNS1_14partition_implILS5_8ELb0ES3_jN6thrust23THRUST_200600_302600_NS6detail15normal_iteratorINSA_10device_ptrItEEEEPS6_PKS6_NS0_5tupleIJNSA_16discard_iteratorINSA_11use_defaultEEES6_EEENSJ_IJSG_SG_EEENS0_18inequality_wrapperINSA_8equal_toItEEEEPmJS6_EEE10hipError_tPvRmT3_T4_T5_T6_T7_T9_mT8_P12ihipStream_tbDpT10_ENKUlT_T0_E_clISt17integral_constantIbLb1EES1C_IbLb0EEEEDaS18_S19_EUlS18_E_NS1_11comp_targetILNS1_3genE5ELNS1_11target_archE942ELNS1_3gpuE9ELNS1_3repE0EEENS1_30default_config_static_selectorELNS0_4arch9wavefront6targetE1EEEvT1_.kd
    .uniform_work_group_size: 1
    .uses_dynamic_stack: false
    .vgpr_count:     0
    .vgpr_spill_count: 0
    .wavefront_size: 64
  - .args:
      - .offset:         0
        .size:           120
        .value_kind:     by_value
    .group_segment_fixed_size: 0
    .kernarg_segment_align: 8
    .kernarg_segment_size: 120
    .language:       OpenCL C
    .language_version:
      - 2
      - 0
    .max_flat_workgroup_size: 256
    .name:           _ZN7rocprim17ROCPRIM_400000_NS6detail17trampoline_kernelINS0_14default_configENS1_25partition_config_selectorILNS1_17partition_subalgoE8EtNS0_10empty_typeEbEEZZNS1_14partition_implILS5_8ELb0ES3_jN6thrust23THRUST_200600_302600_NS6detail15normal_iteratorINSA_10device_ptrItEEEEPS6_PKS6_NS0_5tupleIJNSA_16discard_iteratorINSA_11use_defaultEEES6_EEENSJ_IJSG_SG_EEENS0_18inequality_wrapperINSA_8equal_toItEEEEPmJS6_EEE10hipError_tPvRmT3_T4_T5_T6_T7_T9_mT8_P12ihipStream_tbDpT10_ENKUlT_T0_E_clISt17integral_constantIbLb1EES1C_IbLb0EEEEDaS18_S19_EUlS18_E_NS1_11comp_targetILNS1_3genE4ELNS1_11target_archE910ELNS1_3gpuE8ELNS1_3repE0EEENS1_30default_config_static_selectorELNS0_4arch9wavefront6targetE1EEEvT1_
    .private_segment_fixed_size: 0
    .sgpr_count:     4
    .sgpr_spill_count: 0
    .symbol:         _ZN7rocprim17ROCPRIM_400000_NS6detail17trampoline_kernelINS0_14default_configENS1_25partition_config_selectorILNS1_17partition_subalgoE8EtNS0_10empty_typeEbEEZZNS1_14partition_implILS5_8ELb0ES3_jN6thrust23THRUST_200600_302600_NS6detail15normal_iteratorINSA_10device_ptrItEEEEPS6_PKS6_NS0_5tupleIJNSA_16discard_iteratorINSA_11use_defaultEEES6_EEENSJ_IJSG_SG_EEENS0_18inequality_wrapperINSA_8equal_toItEEEEPmJS6_EEE10hipError_tPvRmT3_T4_T5_T6_T7_T9_mT8_P12ihipStream_tbDpT10_ENKUlT_T0_E_clISt17integral_constantIbLb1EES1C_IbLb0EEEEDaS18_S19_EUlS18_E_NS1_11comp_targetILNS1_3genE4ELNS1_11target_archE910ELNS1_3gpuE8ELNS1_3repE0EEENS1_30default_config_static_selectorELNS0_4arch9wavefront6targetE1EEEvT1_.kd
    .uniform_work_group_size: 1
    .uses_dynamic_stack: false
    .vgpr_count:     0
    .vgpr_spill_count: 0
    .wavefront_size: 64
  - .args:
      - .offset:         0
        .size:           120
        .value_kind:     by_value
    .group_segment_fixed_size: 0
    .kernarg_segment_align: 8
    .kernarg_segment_size: 120
    .language:       OpenCL C
    .language_version:
      - 2
      - 0
    .max_flat_workgroup_size: 256
    .name:           _ZN7rocprim17ROCPRIM_400000_NS6detail17trampoline_kernelINS0_14default_configENS1_25partition_config_selectorILNS1_17partition_subalgoE8EtNS0_10empty_typeEbEEZZNS1_14partition_implILS5_8ELb0ES3_jN6thrust23THRUST_200600_302600_NS6detail15normal_iteratorINSA_10device_ptrItEEEEPS6_PKS6_NS0_5tupleIJNSA_16discard_iteratorINSA_11use_defaultEEES6_EEENSJ_IJSG_SG_EEENS0_18inequality_wrapperINSA_8equal_toItEEEEPmJS6_EEE10hipError_tPvRmT3_T4_T5_T6_T7_T9_mT8_P12ihipStream_tbDpT10_ENKUlT_T0_E_clISt17integral_constantIbLb1EES1C_IbLb0EEEEDaS18_S19_EUlS18_E_NS1_11comp_targetILNS1_3genE3ELNS1_11target_archE908ELNS1_3gpuE7ELNS1_3repE0EEENS1_30default_config_static_selectorELNS0_4arch9wavefront6targetE1EEEvT1_
    .private_segment_fixed_size: 0
    .sgpr_count:     4
    .sgpr_spill_count: 0
    .symbol:         _ZN7rocprim17ROCPRIM_400000_NS6detail17trampoline_kernelINS0_14default_configENS1_25partition_config_selectorILNS1_17partition_subalgoE8EtNS0_10empty_typeEbEEZZNS1_14partition_implILS5_8ELb0ES3_jN6thrust23THRUST_200600_302600_NS6detail15normal_iteratorINSA_10device_ptrItEEEEPS6_PKS6_NS0_5tupleIJNSA_16discard_iteratorINSA_11use_defaultEEES6_EEENSJ_IJSG_SG_EEENS0_18inequality_wrapperINSA_8equal_toItEEEEPmJS6_EEE10hipError_tPvRmT3_T4_T5_T6_T7_T9_mT8_P12ihipStream_tbDpT10_ENKUlT_T0_E_clISt17integral_constantIbLb1EES1C_IbLb0EEEEDaS18_S19_EUlS18_E_NS1_11comp_targetILNS1_3genE3ELNS1_11target_archE908ELNS1_3gpuE7ELNS1_3repE0EEENS1_30default_config_static_selectorELNS0_4arch9wavefront6targetE1EEEvT1_.kd
    .uniform_work_group_size: 1
    .uses_dynamic_stack: false
    .vgpr_count:     0
    .vgpr_spill_count: 0
    .wavefront_size: 64
  - .args:
      - .offset:         0
        .size:           120
        .value_kind:     by_value
    .group_segment_fixed_size: 0
    .kernarg_segment_align: 8
    .kernarg_segment_size: 120
    .language:       OpenCL C
    .language_version:
      - 2
      - 0
    .max_flat_workgroup_size: 192
    .name:           _ZN7rocprim17ROCPRIM_400000_NS6detail17trampoline_kernelINS0_14default_configENS1_25partition_config_selectorILNS1_17partition_subalgoE8EtNS0_10empty_typeEbEEZZNS1_14partition_implILS5_8ELb0ES3_jN6thrust23THRUST_200600_302600_NS6detail15normal_iteratorINSA_10device_ptrItEEEEPS6_PKS6_NS0_5tupleIJNSA_16discard_iteratorINSA_11use_defaultEEES6_EEENSJ_IJSG_SG_EEENS0_18inequality_wrapperINSA_8equal_toItEEEEPmJS6_EEE10hipError_tPvRmT3_T4_T5_T6_T7_T9_mT8_P12ihipStream_tbDpT10_ENKUlT_T0_E_clISt17integral_constantIbLb1EES1C_IbLb0EEEEDaS18_S19_EUlS18_E_NS1_11comp_targetILNS1_3genE2ELNS1_11target_archE906ELNS1_3gpuE6ELNS1_3repE0EEENS1_30default_config_static_selectorELNS0_4arch9wavefront6targetE1EEEvT1_
    .private_segment_fixed_size: 0
    .sgpr_count:     4
    .sgpr_spill_count: 0
    .symbol:         _ZN7rocprim17ROCPRIM_400000_NS6detail17trampoline_kernelINS0_14default_configENS1_25partition_config_selectorILNS1_17partition_subalgoE8EtNS0_10empty_typeEbEEZZNS1_14partition_implILS5_8ELb0ES3_jN6thrust23THRUST_200600_302600_NS6detail15normal_iteratorINSA_10device_ptrItEEEEPS6_PKS6_NS0_5tupleIJNSA_16discard_iteratorINSA_11use_defaultEEES6_EEENSJ_IJSG_SG_EEENS0_18inequality_wrapperINSA_8equal_toItEEEEPmJS6_EEE10hipError_tPvRmT3_T4_T5_T6_T7_T9_mT8_P12ihipStream_tbDpT10_ENKUlT_T0_E_clISt17integral_constantIbLb1EES1C_IbLb0EEEEDaS18_S19_EUlS18_E_NS1_11comp_targetILNS1_3genE2ELNS1_11target_archE906ELNS1_3gpuE6ELNS1_3repE0EEENS1_30default_config_static_selectorELNS0_4arch9wavefront6targetE1EEEvT1_.kd
    .uniform_work_group_size: 1
    .uses_dynamic_stack: false
    .vgpr_count:     0
    .vgpr_spill_count: 0
    .wavefront_size: 64
  - .args:
      - .offset:         0
        .size:           120
        .value_kind:     by_value
    .group_segment_fixed_size: 0
    .kernarg_segment_align: 8
    .kernarg_segment_size: 120
    .language:       OpenCL C
    .language_version:
      - 2
      - 0
    .max_flat_workgroup_size: 256
    .name:           _ZN7rocprim17ROCPRIM_400000_NS6detail17trampoline_kernelINS0_14default_configENS1_25partition_config_selectorILNS1_17partition_subalgoE8EtNS0_10empty_typeEbEEZZNS1_14partition_implILS5_8ELb0ES3_jN6thrust23THRUST_200600_302600_NS6detail15normal_iteratorINSA_10device_ptrItEEEEPS6_PKS6_NS0_5tupleIJNSA_16discard_iteratorINSA_11use_defaultEEES6_EEENSJ_IJSG_SG_EEENS0_18inequality_wrapperINSA_8equal_toItEEEEPmJS6_EEE10hipError_tPvRmT3_T4_T5_T6_T7_T9_mT8_P12ihipStream_tbDpT10_ENKUlT_T0_E_clISt17integral_constantIbLb1EES1C_IbLb0EEEEDaS18_S19_EUlS18_E_NS1_11comp_targetILNS1_3genE10ELNS1_11target_archE1200ELNS1_3gpuE4ELNS1_3repE0EEENS1_30default_config_static_selectorELNS0_4arch9wavefront6targetE1EEEvT1_
    .private_segment_fixed_size: 0
    .sgpr_count:     4
    .sgpr_spill_count: 0
    .symbol:         _ZN7rocprim17ROCPRIM_400000_NS6detail17trampoline_kernelINS0_14default_configENS1_25partition_config_selectorILNS1_17partition_subalgoE8EtNS0_10empty_typeEbEEZZNS1_14partition_implILS5_8ELb0ES3_jN6thrust23THRUST_200600_302600_NS6detail15normal_iteratorINSA_10device_ptrItEEEEPS6_PKS6_NS0_5tupleIJNSA_16discard_iteratorINSA_11use_defaultEEES6_EEENSJ_IJSG_SG_EEENS0_18inequality_wrapperINSA_8equal_toItEEEEPmJS6_EEE10hipError_tPvRmT3_T4_T5_T6_T7_T9_mT8_P12ihipStream_tbDpT10_ENKUlT_T0_E_clISt17integral_constantIbLb1EES1C_IbLb0EEEEDaS18_S19_EUlS18_E_NS1_11comp_targetILNS1_3genE10ELNS1_11target_archE1200ELNS1_3gpuE4ELNS1_3repE0EEENS1_30default_config_static_selectorELNS0_4arch9wavefront6targetE1EEEvT1_.kd
    .uniform_work_group_size: 1
    .uses_dynamic_stack: false
    .vgpr_count:     0
    .vgpr_spill_count: 0
    .wavefront_size: 64
  - .args:
      - .offset:         0
        .size:           120
        .value_kind:     by_value
    .group_segment_fixed_size: 0
    .kernarg_segment_align: 8
    .kernarg_segment_size: 120
    .language:       OpenCL C
    .language_version:
      - 2
      - 0
    .max_flat_workgroup_size: 128
    .name:           _ZN7rocprim17ROCPRIM_400000_NS6detail17trampoline_kernelINS0_14default_configENS1_25partition_config_selectorILNS1_17partition_subalgoE8EtNS0_10empty_typeEbEEZZNS1_14partition_implILS5_8ELb0ES3_jN6thrust23THRUST_200600_302600_NS6detail15normal_iteratorINSA_10device_ptrItEEEEPS6_PKS6_NS0_5tupleIJNSA_16discard_iteratorINSA_11use_defaultEEES6_EEENSJ_IJSG_SG_EEENS0_18inequality_wrapperINSA_8equal_toItEEEEPmJS6_EEE10hipError_tPvRmT3_T4_T5_T6_T7_T9_mT8_P12ihipStream_tbDpT10_ENKUlT_T0_E_clISt17integral_constantIbLb1EES1C_IbLb0EEEEDaS18_S19_EUlS18_E_NS1_11comp_targetILNS1_3genE9ELNS1_11target_archE1100ELNS1_3gpuE3ELNS1_3repE0EEENS1_30default_config_static_selectorELNS0_4arch9wavefront6targetE1EEEvT1_
    .private_segment_fixed_size: 0
    .sgpr_count:     4
    .sgpr_spill_count: 0
    .symbol:         _ZN7rocprim17ROCPRIM_400000_NS6detail17trampoline_kernelINS0_14default_configENS1_25partition_config_selectorILNS1_17partition_subalgoE8EtNS0_10empty_typeEbEEZZNS1_14partition_implILS5_8ELb0ES3_jN6thrust23THRUST_200600_302600_NS6detail15normal_iteratorINSA_10device_ptrItEEEEPS6_PKS6_NS0_5tupleIJNSA_16discard_iteratorINSA_11use_defaultEEES6_EEENSJ_IJSG_SG_EEENS0_18inequality_wrapperINSA_8equal_toItEEEEPmJS6_EEE10hipError_tPvRmT3_T4_T5_T6_T7_T9_mT8_P12ihipStream_tbDpT10_ENKUlT_T0_E_clISt17integral_constantIbLb1EES1C_IbLb0EEEEDaS18_S19_EUlS18_E_NS1_11comp_targetILNS1_3genE9ELNS1_11target_archE1100ELNS1_3gpuE3ELNS1_3repE0EEENS1_30default_config_static_selectorELNS0_4arch9wavefront6targetE1EEEvT1_.kd
    .uniform_work_group_size: 1
    .uses_dynamic_stack: false
    .vgpr_count:     0
    .vgpr_spill_count: 0
    .wavefront_size: 64
  - .args:
      - .offset:         0
        .size:           120
        .value_kind:     by_value
    .group_segment_fixed_size: 0
    .kernarg_segment_align: 8
    .kernarg_segment_size: 120
    .language:       OpenCL C
    .language_version:
      - 2
      - 0
    .max_flat_workgroup_size: 384
    .name:           _ZN7rocprim17ROCPRIM_400000_NS6detail17trampoline_kernelINS0_14default_configENS1_25partition_config_selectorILNS1_17partition_subalgoE8EtNS0_10empty_typeEbEEZZNS1_14partition_implILS5_8ELb0ES3_jN6thrust23THRUST_200600_302600_NS6detail15normal_iteratorINSA_10device_ptrItEEEEPS6_PKS6_NS0_5tupleIJNSA_16discard_iteratorINSA_11use_defaultEEES6_EEENSJ_IJSG_SG_EEENS0_18inequality_wrapperINSA_8equal_toItEEEEPmJS6_EEE10hipError_tPvRmT3_T4_T5_T6_T7_T9_mT8_P12ihipStream_tbDpT10_ENKUlT_T0_E_clISt17integral_constantIbLb1EES1C_IbLb0EEEEDaS18_S19_EUlS18_E_NS1_11comp_targetILNS1_3genE8ELNS1_11target_archE1030ELNS1_3gpuE2ELNS1_3repE0EEENS1_30default_config_static_selectorELNS0_4arch9wavefront6targetE1EEEvT1_
    .private_segment_fixed_size: 0
    .sgpr_count:     4
    .sgpr_spill_count: 0
    .symbol:         _ZN7rocprim17ROCPRIM_400000_NS6detail17trampoline_kernelINS0_14default_configENS1_25partition_config_selectorILNS1_17partition_subalgoE8EtNS0_10empty_typeEbEEZZNS1_14partition_implILS5_8ELb0ES3_jN6thrust23THRUST_200600_302600_NS6detail15normal_iteratorINSA_10device_ptrItEEEEPS6_PKS6_NS0_5tupleIJNSA_16discard_iteratorINSA_11use_defaultEEES6_EEENSJ_IJSG_SG_EEENS0_18inequality_wrapperINSA_8equal_toItEEEEPmJS6_EEE10hipError_tPvRmT3_T4_T5_T6_T7_T9_mT8_P12ihipStream_tbDpT10_ENKUlT_T0_E_clISt17integral_constantIbLb1EES1C_IbLb0EEEEDaS18_S19_EUlS18_E_NS1_11comp_targetILNS1_3genE8ELNS1_11target_archE1030ELNS1_3gpuE2ELNS1_3repE0EEENS1_30default_config_static_selectorELNS0_4arch9wavefront6targetE1EEEvT1_.kd
    .uniform_work_group_size: 1
    .uses_dynamic_stack: false
    .vgpr_count:     0
    .vgpr_spill_count: 0
    .wavefront_size: 64
  - .args:
      - .offset:         0
        .size:           136
        .value_kind:     by_value
    .group_segment_fixed_size: 0
    .kernarg_segment_align: 8
    .kernarg_segment_size: 136
    .language:       OpenCL C
    .language_version:
      - 2
      - 0
    .max_flat_workgroup_size: 256
    .name:           _ZN7rocprim17ROCPRIM_400000_NS6detail17trampoline_kernelINS0_14default_configENS1_25partition_config_selectorILNS1_17partition_subalgoE8EtNS0_10empty_typeEbEEZZNS1_14partition_implILS5_8ELb0ES3_jN6thrust23THRUST_200600_302600_NS6detail15normal_iteratorINSA_10device_ptrItEEEEPS6_PKS6_NS0_5tupleIJNSA_16discard_iteratorINSA_11use_defaultEEES6_EEENSJ_IJSG_SG_EEENS0_18inequality_wrapperINSA_8equal_toItEEEEPmJS6_EEE10hipError_tPvRmT3_T4_T5_T6_T7_T9_mT8_P12ihipStream_tbDpT10_ENKUlT_T0_E_clISt17integral_constantIbLb0EES1C_IbLb1EEEEDaS18_S19_EUlS18_E_NS1_11comp_targetILNS1_3genE0ELNS1_11target_archE4294967295ELNS1_3gpuE0ELNS1_3repE0EEENS1_30default_config_static_selectorELNS0_4arch9wavefront6targetE1EEEvT1_
    .private_segment_fixed_size: 0
    .sgpr_count:     4
    .sgpr_spill_count: 0
    .symbol:         _ZN7rocprim17ROCPRIM_400000_NS6detail17trampoline_kernelINS0_14default_configENS1_25partition_config_selectorILNS1_17partition_subalgoE8EtNS0_10empty_typeEbEEZZNS1_14partition_implILS5_8ELb0ES3_jN6thrust23THRUST_200600_302600_NS6detail15normal_iteratorINSA_10device_ptrItEEEEPS6_PKS6_NS0_5tupleIJNSA_16discard_iteratorINSA_11use_defaultEEES6_EEENSJ_IJSG_SG_EEENS0_18inequality_wrapperINSA_8equal_toItEEEEPmJS6_EEE10hipError_tPvRmT3_T4_T5_T6_T7_T9_mT8_P12ihipStream_tbDpT10_ENKUlT_T0_E_clISt17integral_constantIbLb0EES1C_IbLb1EEEEDaS18_S19_EUlS18_E_NS1_11comp_targetILNS1_3genE0ELNS1_11target_archE4294967295ELNS1_3gpuE0ELNS1_3repE0EEENS1_30default_config_static_selectorELNS0_4arch9wavefront6targetE1EEEvT1_.kd
    .uniform_work_group_size: 1
    .uses_dynamic_stack: false
    .vgpr_count:     0
    .vgpr_spill_count: 0
    .wavefront_size: 64
  - .args:
      - .offset:         0
        .size:           136
        .value_kind:     by_value
    .group_segment_fixed_size: 0
    .kernarg_segment_align: 8
    .kernarg_segment_size: 136
    .language:       OpenCL C
    .language_version:
      - 2
      - 0
    .max_flat_workgroup_size: 512
    .name:           _ZN7rocprim17ROCPRIM_400000_NS6detail17trampoline_kernelINS0_14default_configENS1_25partition_config_selectorILNS1_17partition_subalgoE8EtNS0_10empty_typeEbEEZZNS1_14partition_implILS5_8ELb0ES3_jN6thrust23THRUST_200600_302600_NS6detail15normal_iteratorINSA_10device_ptrItEEEEPS6_PKS6_NS0_5tupleIJNSA_16discard_iteratorINSA_11use_defaultEEES6_EEENSJ_IJSG_SG_EEENS0_18inequality_wrapperINSA_8equal_toItEEEEPmJS6_EEE10hipError_tPvRmT3_T4_T5_T6_T7_T9_mT8_P12ihipStream_tbDpT10_ENKUlT_T0_E_clISt17integral_constantIbLb0EES1C_IbLb1EEEEDaS18_S19_EUlS18_E_NS1_11comp_targetILNS1_3genE5ELNS1_11target_archE942ELNS1_3gpuE9ELNS1_3repE0EEENS1_30default_config_static_selectorELNS0_4arch9wavefront6targetE1EEEvT1_
    .private_segment_fixed_size: 0
    .sgpr_count:     4
    .sgpr_spill_count: 0
    .symbol:         _ZN7rocprim17ROCPRIM_400000_NS6detail17trampoline_kernelINS0_14default_configENS1_25partition_config_selectorILNS1_17partition_subalgoE8EtNS0_10empty_typeEbEEZZNS1_14partition_implILS5_8ELb0ES3_jN6thrust23THRUST_200600_302600_NS6detail15normal_iteratorINSA_10device_ptrItEEEEPS6_PKS6_NS0_5tupleIJNSA_16discard_iteratorINSA_11use_defaultEEES6_EEENSJ_IJSG_SG_EEENS0_18inequality_wrapperINSA_8equal_toItEEEEPmJS6_EEE10hipError_tPvRmT3_T4_T5_T6_T7_T9_mT8_P12ihipStream_tbDpT10_ENKUlT_T0_E_clISt17integral_constantIbLb0EES1C_IbLb1EEEEDaS18_S19_EUlS18_E_NS1_11comp_targetILNS1_3genE5ELNS1_11target_archE942ELNS1_3gpuE9ELNS1_3repE0EEENS1_30default_config_static_selectorELNS0_4arch9wavefront6targetE1EEEvT1_.kd
    .uniform_work_group_size: 1
    .uses_dynamic_stack: false
    .vgpr_count:     0
    .vgpr_spill_count: 0
    .wavefront_size: 64
  - .args:
      - .offset:         0
        .size:           136
        .value_kind:     by_value
    .group_segment_fixed_size: 0
    .kernarg_segment_align: 8
    .kernarg_segment_size: 136
    .language:       OpenCL C
    .language_version:
      - 2
      - 0
    .max_flat_workgroup_size: 256
    .name:           _ZN7rocprim17ROCPRIM_400000_NS6detail17trampoline_kernelINS0_14default_configENS1_25partition_config_selectorILNS1_17partition_subalgoE8EtNS0_10empty_typeEbEEZZNS1_14partition_implILS5_8ELb0ES3_jN6thrust23THRUST_200600_302600_NS6detail15normal_iteratorINSA_10device_ptrItEEEEPS6_PKS6_NS0_5tupleIJNSA_16discard_iteratorINSA_11use_defaultEEES6_EEENSJ_IJSG_SG_EEENS0_18inequality_wrapperINSA_8equal_toItEEEEPmJS6_EEE10hipError_tPvRmT3_T4_T5_T6_T7_T9_mT8_P12ihipStream_tbDpT10_ENKUlT_T0_E_clISt17integral_constantIbLb0EES1C_IbLb1EEEEDaS18_S19_EUlS18_E_NS1_11comp_targetILNS1_3genE4ELNS1_11target_archE910ELNS1_3gpuE8ELNS1_3repE0EEENS1_30default_config_static_selectorELNS0_4arch9wavefront6targetE1EEEvT1_
    .private_segment_fixed_size: 0
    .sgpr_count:     4
    .sgpr_spill_count: 0
    .symbol:         _ZN7rocprim17ROCPRIM_400000_NS6detail17trampoline_kernelINS0_14default_configENS1_25partition_config_selectorILNS1_17partition_subalgoE8EtNS0_10empty_typeEbEEZZNS1_14partition_implILS5_8ELb0ES3_jN6thrust23THRUST_200600_302600_NS6detail15normal_iteratorINSA_10device_ptrItEEEEPS6_PKS6_NS0_5tupleIJNSA_16discard_iteratorINSA_11use_defaultEEES6_EEENSJ_IJSG_SG_EEENS0_18inequality_wrapperINSA_8equal_toItEEEEPmJS6_EEE10hipError_tPvRmT3_T4_T5_T6_T7_T9_mT8_P12ihipStream_tbDpT10_ENKUlT_T0_E_clISt17integral_constantIbLb0EES1C_IbLb1EEEEDaS18_S19_EUlS18_E_NS1_11comp_targetILNS1_3genE4ELNS1_11target_archE910ELNS1_3gpuE8ELNS1_3repE0EEENS1_30default_config_static_selectorELNS0_4arch9wavefront6targetE1EEEvT1_.kd
    .uniform_work_group_size: 1
    .uses_dynamic_stack: false
    .vgpr_count:     0
    .vgpr_spill_count: 0
    .wavefront_size: 64
  - .args:
      - .offset:         0
        .size:           136
        .value_kind:     by_value
    .group_segment_fixed_size: 0
    .kernarg_segment_align: 8
    .kernarg_segment_size: 136
    .language:       OpenCL C
    .language_version:
      - 2
      - 0
    .max_flat_workgroup_size: 256
    .name:           _ZN7rocprim17ROCPRIM_400000_NS6detail17trampoline_kernelINS0_14default_configENS1_25partition_config_selectorILNS1_17partition_subalgoE8EtNS0_10empty_typeEbEEZZNS1_14partition_implILS5_8ELb0ES3_jN6thrust23THRUST_200600_302600_NS6detail15normal_iteratorINSA_10device_ptrItEEEEPS6_PKS6_NS0_5tupleIJNSA_16discard_iteratorINSA_11use_defaultEEES6_EEENSJ_IJSG_SG_EEENS0_18inequality_wrapperINSA_8equal_toItEEEEPmJS6_EEE10hipError_tPvRmT3_T4_T5_T6_T7_T9_mT8_P12ihipStream_tbDpT10_ENKUlT_T0_E_clISt17integral_constantIbLb0EES1C_IbLb1EEEEDaS18_S19_EUlS18_E_NS1_11comp_targetILNS1_3genE3ELNS1_11target_archE908ELNS1_3gpuE7ELNS1_3repE0EEENS1_30default_config_static_selectorELNS0_4arch9wavefront6targetE1EEEvT1_
    .private_segment_fixed_size: 0
    .sgpr_count:     4
    .sgpr_spill_count: 0
    .symbol:         _ZN7rocprim17ROCPRIM_400000_NS6detail17trampoline_kernelINS0_14default_configENS1_25partition_config_selectorILNS1_17partition_subalgoE8EtNS0_10empty_typeEbEEZZNS1_14partition_implILS5_8ELb0ES3_jN6thrust23THRUST_200600_302600_NS6detail15normal_iteratorINSA_10device_ptrItEEEEPS6_PKS6_NS0_5tupleIJNSA_16discard_iteratorINSA_11use_defaultEEES6_EEENSJ_IJSG_SG_EEENS0_18inequality_wrapperINSA_8equal_toItEEEEPmJS6_EEE10hipError_tPvRmT3_T4_T5_T6_T7_T9_mT8_P12ihipStream_tbDpT10_ENKUlT_T0_E_clISt17integral_constantIbLb0EES1C_IbLb1EEEEDaS18_S19_EUlS18_E_NS1_11comp_targetILNS1_3genE3ELNS1_11target_archE908ELNS1_3gpuE7ELNS1_3repE0EEENS1_30default_config_static_selectorELNS0_4arch9wavefront6targetE1EEEvT1_.kd
    .uniform_work_group_size: 1
    .uses_dynamic_stack: false
    .vgpr_count:     0
    .vgpr_spill_count: 0
    .wavefront_size: 64
  - .args:
      - .offset:         0
        .size:           136
        .value_kind:     by_value
    .group_segment_fixed_size: 6920
    .kernarg_segment_align: 8
    .kernarg_segment_size: 136
    .language:       OpenCL C
    .language_version:
      - 2
      - 0
    .max_flat_workgroup_size: 192
    .name:           _ZN7rocprim17ROCPRIM_400000_NS6detail17trampoline_kernelINS0_14default_configENS1_25partition_config_selectorILNS1_17partition_subalgoE8EtNS0_10empty_typeEbEEZZNS1_14partition_implILS5_8ELb0ES3_jN6thrust23THRUST_200600_302600_NS6detail15normal_iteratorINSA_10device_ptrItEEEEPS6_PKS6_NS0_5tupleIJNSA_16discard_iteratorINSA_11use_defaultEEES6_EEENSJ_IJSG_SG_EEENS0_18inequality_wrapperINSA_8equal_toItEEEEPmJS6_EEE10hipError_tPvRmT3_T4_T5_T6_T7_T9_mT8_P12ihipStream_tbDpT10_ENKUlT_T0_E_clISt17integral_constantIbLb0EES1C_IbLb1EEEEDaS18_S19_EUlS18_E_NS1_11comp_targetILNS1_3genE2ELNS1_11target_archE906ELNS1_3gpuE6ELNS1_3repE0EEENS1_30default_config_static_selectorELNS0_4arch9wavefront6targetE1EEEvT1_
    .private_segment_fixed_size: 0
    .sgpr_count:     61
    .sgpr_spill_count: 0
    .symbol:         _ZN7rocprim17ROCPRIM_400000_NS6detail17trampoline_kernelINS0_14default_configENS1_25partition_config_selectorILNS1_17partition_subalgoE8EtNS0_10empty_typeEbEEZZNS1_14partition_implILS5_8ELb0ES3_jN6thrust23THRUST_200600_302600_NS6detail15normal_iteratorINSA_10device_ptrItEEEEPS6_PKS6_NS0_5tupleIJNSA_16discard_iteratorINSA_11use_defaultEEES6_EEENSJ_IJSG_SG_EEENS0_18inequality_wrapperINSA_8equal_toItEEEEPmJS6_EEE10hipError_tPvRmT3_T4_T5_T6_T7_T9_mT8_P12ihipStream_tbDpT10_ENKUlT_T0_E_clISt17integral_constantIbLb0EES1C_IbLb1EEEEDaS18_S19_EUlS18_E_NS1_11comp_targetILNS1_3genE2ELNS1_11target_archE906ELNS1_3gpuE6ELNS1_3repE0EEENS1_30default_config_static_selectorELNS0_4arch9wavefront6targetE1EEEvT1_.kd
    .uniform_work_group_size: 1
    .uses_dynamic_stack: false
    .vgpr_count:     83
    .vgpr_spill_count: 0
    .wavefront_size: 64
  - .args:
      - .offset:         0
        .size:           136
        .value_kind:     by_value
    .group_segment_fixed_size: 0
    .kernarg_segment_align: 8
    .kernarg_segment_size: 136
    .language:       OpenCL C
    .language_version:
      - 2
      - 0
    .max_flat_workgroup_size: 256
    .name:           _ZN7rocprim17ROCPRIM_400000_NS6detail17trampoline_kernelINS0_14default_configENS1_25partition_config_selectorILNS1_17partition_subalgoE8EtNS0_10empty_typeEbEEZZNS1_14partition_implILS5_8ELb0ES3_jN6thrust23THRUST_200600_302600_NS6detail15normal_iteratorINSA_10device_ptrItEEEEPS6_PKS6_NS0_5tupleIJNSA_16discard_iteratorINSA_11use_defaultEEES6_EEENSJ_IJSG_SG_EEENS0_18inequality_wrapperINSA_8equal_toItEEEEPmJS6_EEE10hipError_tPvRmT3_T4_T5_T6_T7_T9_mT8_P12ihipStream_tbDpT10_ENKUlT_T0_E_clISt17integral_constantIbLb0EES1C_IbLb1EEEEDaS18_S19_EUlS18_E_NS1_11comp_targetILNS1_3genE10ELNS1_11target_archE1200ELNS1_3gpuE4ELNS1_3repE0EEENS1_30default_config_static_selectorELNS0_4arch9wavefront6targetE1EEEvT1_
    .private_segment_fixed_size: 0
    .sgpr_count:     4
    .sgpr_spill_count: 0
    .symbol:         _ZN7rocprim17ROCPRIM_400000_NS6detail17trampoline_kernelINS0_14default_configENS1_25partition_config_selectorILNS1_17partition_subalgoE8EtNS0_10empty_typeEbEEZZNS1_14partition_implILS5_8ELb0ES3_jN6thrust23THRUST_200600_302600_NS6detail15normal_iteratorINSA_10device_ptrItEEEEPS6_PKS6_NS0_5tupleIJNSA_16discard_iteratorINSA_11use_defaultEEES6_EEENSJ_IJSG_SG_EEENS0_18inequality_wrapperINSA_8equal_toItEEEEPmJS6_EEE10hipError_tPvRmT3_T4_T5_T6_T7_T9_mT8_P12ihipStream_tbDpT10_ENKUlT_T0_E_clISt17integral_constantIbLb0EES1C_IbLb1EEEEDaS18_S19_EUlS18_E_NS1_11comp_targetILNS1_3genE10ELNS1_11target_archE1200ELNS1_3gpuE4ELNS1_3repE0EEENS1_30default_config_static_selectorELNS0_4arch9wavefront6targetE1EEEvT1_.kd
    .uniform_work_group_size: 1
    .uses_dynamic_stack: false
    .vgpr_count:     0
    .vgpr_spill_count: 0
    .wavefront_size: 64
  - .args:
      - .offset:         0
        .size:           136
        .value_kind:     by_value
    .group_segment_fixed_size: 0
    .kernarg_segment_align: 8
    .kernarg_segment_size: 136
    .language:       OpenCL C
    .language_version:
      - 2
      - 0
    .max_flat_workgroup_size: 128
    .name:           _ZN7rocprim17ROCPRIM_400000_NS6detail17trampoline_kernelINS0_14default_configENS1_25partition_config_selectorILNS1_17partition_subalgoE8EtNS0_10empty_typeEbEEZZNS1_14partition_implILS5_8ELb0ES3_jN6thrust23THRUST_200600_302600_NS6detail15normal_iteratorINSA_10device_ptrItEEEEPS6_PKS6_NS0_5tupleIJNSA_16discard_iteratorINSA_11use_defaultEEES6_EEENSJ_IJSG_SG_EEENS0_18inequality_wrapperINSA_8equal_toItEEEEPmJS6_EEE10hipError_tPvRmT3_T4_T5_T6_T7_T9_mT8_P12ihipStream_tbDpT10_ENKUlT_T0_E_clISt17integral_constantIbLb0EES1C_IbLb1EEEEDaS18_S19_EUlS18_E_NS1_11comp_targetILNS1_3genE9ELNS1_11target_archE1100ELNS1_3gpuE3ELNS1_3repE0EEENS1_30default_config_static_selectorELNS0_4arch9wavefront6targetE1EEEvT1_
    .private_segment_fixed_size: 0
    .sgpr_count:     4
    .sgpr_spill_count: 0
    .symbol:         _ZN7rocprim17ROCPRIM_400000_NS6detail17trampoline_kernelINS0_14default_configENS1_25partition_config_selectorILNS1_17partition_subalgoE8EtNS0_10empty_typeEbEEZZNS1_14partition_implILS5_8ELb0ES3_jN6thrust23THRUST_200600_302600_NS6detail15normal_iteratorINSA_10device_ptrItEEEEPS6_PKS6_NS0_5tupleIJNSA_16discard_iteratorINSA_11use_defaultEEES6_EEENSJ_IJSG_SG_EEENS0_18inequality_wrapperINSA_8equal_toItEEEEPmJS6_EEE10hipError_tPvRmT3_T4_T5_T6_T7_T9_mT8_P12ihipStream_tbDpT10_ENKUlT_T0_E_clISt17integral_constantIbLb0EES1C_IbLb1EEEEDaS18_S19_EUlS18_E_NS1_11comp_targetILNS1_3genE9ELNS1_11target_archE1100ELNS1_3gpuE3ELNS1_3repE0EEENS1_30default_config_static_selectorELNS0_4arch9wavefront6targetE1EEEvT1_.kd
    .uniform_work_group_size: 1
    .uses_dynamic_stack: false
    .vgpr_count:     0
    .vgpr_spill_count: 0
    .wavefront_size: 64
  - .args:
      - .offset:         0
        .size:           136
        .value_kind:     by_value
    .group_segment_fixed_size: 0
    .kernarg_segment_align: 8
    .kernarg_segment_size: 136
    .language:       OpenCL C
    .language_version:
      - 2
      - 0
    .max_flat_workgroup_size: 384
    .name:           _ZN7rocprim17ROCPRIM_400000_NS6detail17trampoline_kernelINS0_14default_configENS1_25partition_config_selectorILNS1_17partition_subalgoE8EtNS0_10empty_typeEbEEZZNS1_14partition_implILS5_8ELb0ES3_jN6thrust23THRUST_200600_302600_NS6detail15normal_iteratorINSA_10device_ptrItEEEEPS6_PKS6_NS0_5tupleIJNSA_16discard_iteratorINSA_11use_defaultEEES6_EEENSJ_IJSG_SG_EEENS0_18inequality_wrapperINSA_8equal_toItEEEEPmJS6_EEE10hipError_tPvRmT3_T4_T5_T6_T7_T9_mT8_P12ihipStream_tbDpT10_ENKUlT_T0_E_clISt17integral_constantIbLb0EES1C_IbLb1EEEEDaS18_S19_EUlS18_E_NS1_11comp_targetILNS1_3genE8ELNS1_11target_archE1030ELNS1_3gpuE2ELNS1_3repE0EEENS1_30default_config_static_selectorELNS0_4arch9wavefront6targetE1EEEvT1_
    .private_segment_fixed_size: 0
    .sgpr_count:     4
    .sgpr_spill_count: 0
    .symbol:         _ZN7rocprim17ROCPRIM_400000_NS6detail17trampoline_kernelINS0_14default_configENS1_25partition_config_selectorILNS1_17partition_subalgoE8EtNS0_10empty_typeEbEEZZNS1_14partition_implILS5_8ELb0ES3_jN6thrust23THRUST_200600_302600_NS6detail15normal_iteratorINSA_10device_ptrItEEEEPS6_PKS6_NS0_5tupleIJNSA_16discard_iteratorINSA_11use_defaultEEES6_EEENSJ_IJSG_SG_EEENS0_18inequality_wrapperINSA_8equal_toItEEEEPmJS6_EEE10hipError_tPvRmT3_T4_T5_T6_T7_T9_mT8_P12ihipStream_tbDpT10_ENKUlT_T0_E_clISt17integral_constantIbLb0EES1C_IbLb1EEEEDaS18_S19_EUlS18_E_NS1_11comp_targetILNS1_3genE8ELNS1_11target_archE1030ELNS1_3gpuE2ELNS1_3repE0EEENS1_30default_config_static_selectorELNS0_4arch9wavefront6targetE1EEEvT1_.kd
    .uniform_work_group_size: 1
    .uses_dynamic_stack: false
    .vgpr_count:     0
    .vgpr_spill_count: 0
    .wavefront_size: 64
  - .args:
      - .offset:         0
        .size:           120
        .value_kind:     by_value
    .group_segment_fixed_size: 0
    .kernarg_segment_align: 8
    .kernarg_segment_size: 120
    .language:       OpenCL C
    .language_version:
      - 2
      - 0
    .max_flat_workgroup_size: 512
    .name:           _ZN7rocprim17ROCPRIM_400000_NS6detail17trampoline_kernelINS0_14default_configENS1_25partition_config_selectorILNS1_17partition_subalgoE8ExNS0_10empty_typeEbEEZZNS1_14partition_implILS5_8ELb0ES3_jN6thrust23THRUST_200600_302600_NS6detail15normal_iteratorINSA_10device_ptrIxEEEEPS6_PKS6_NS0_5tupleIJNSA_16discard_iteratorINSA_11use_defaultEEES6_EEENSJ_IJSG_SG_EEENS0_18inequality_wrapperINSA_8equal_toIxEEEEPmJS6_EEE10hipError_tPvRmT3_T4_T5_T6_T7_T9_mT8_P12ihipStream_tbDpT10_ENKUlT_T0_E_clISt17integral_constantIbLb0EES1D_EEDaS18_S19_EUlS18_E_NS1_11comp_targetILNS1_3genE0ELNS1_11target_archE4294967295ELNS1_3gpuE0ELNS1_3repE0EEENS1_30default_config_static_selectorELNS0_4arch9wavefront6targetE1EEEvT1_
    .private_segment_fixed_size: 0
    .sgpr_count:     4
    .sgpr_spill_count: 0
    .symbol:         _ZN7rocprim17ROCPRIM_400000_NS6detail17trampoline_kernelINS0_14default_configENS1_25partition_config_selectorILNS1_17partition_subalgoE8ExNS0_10empty_typeEbEEZZNS1_14partition_implILS5_8ELb0ES3_jN6thrust23THRUST_200600_302600_NS6detail15normal_iteratorINSA_10device_ptrIxEEEEPS6_PKS6_NS0_5tupleIJNSA_16discard_iteratorINSA_11use_defaultEEES6_EEENSJ_IJSG_SG_EEENS0_18inequality_wrapperINSA_8equal_toIxEEEEPmJS6_EEE10hipError_tPvRmT3_T4_T5_T6_T7_T9_mT8_P12ihipStream_tbDpT10_ENKUlT_T0_E_clISt17integral_constantIbLb0EES1D_EEDaS18_S19_EUlS18_E_NS1_11comp_targetILNS1_3genE0ELNS1_11target_archE4294967295ELNS1_3gpuE0ELNS1_3repE0EEENS1_30default_config_static_selectorELNS0_4arch9wavefront6targetE1EEEvT1_.kd
    .uniform_work_group_size: 1
    .uses_dynamic_stack: false
    .vgpr_count:     0
    .vgpr_spill_count: 0
    .wavefront_size: 64
  - .args:
      - .offset:         0
        .size:           120
        .value_kind:     by_value
    .group_segment_fixed_size: 0
    .kernarg_segment_align: 8
    .kernarg_segment_size: 120
    .language:       OpenCL C
    .language_version:
      - 2
      - 0
    .max_flat_workgroup_size: 512
    .name:           _ZN7rocprim17ROCPRIM_400000_NS6detail17trampoline_kernelINS0_14default_configENS1_25partition_config_selectorILNS1_17partition_subalgoE8ExNS0_10empty_typeEbEEZZNS1_14partition_implILS5_8ELb0ES3_jN6thrust23THRUST_200600_302600_NS6detail15normal_iteratorINSA_10device_ptrIxEEEEPS6_PKS6_NS0_5tupleIJNSA_16discard_iteratorINSA_11use_defaultEEES6_EEENSJ_IJSG_SG_EEENS0_18inequality_wrapperINSA_8equal_toIxEEEEPmJS6_EEE10hipError_tPvRmT3_T4_T5_T6_T7_T9_mT8_P12ihipStream_tbDpT10_ENKUlT_T0_E_clISt17integral_constantIbLb0EES1D_EEDaS18_S19_EUlS18_E_NS1_11comp_targetILNS1_3genE5ELNS1_11target_archE942ELNS1_3gpuE9ELNS1_3repE0EEENS1_30default_config_static_selectorELNS0_4arch9wavefront6targetE1EEEvT1_
    .private_segment_fixed_size: 0
    .sgpr_count:     4
    .sgpr_spill_count: 0
    .symbol:         _ZN7rocprim17ROCPRIM_400000_NS6detail17trampoline_kernelINS0_14default_configENS1_25partition_config_selectorILNS1_17partition_subalgoE8ExNS0_10empty_typeEbEEZZNS1_14partition_implILS5_8ELb0ES3_jN6thrust23THRUST_200600_302600_NS6detail15normal_iteratorINSA_10device_ptrIxEEEEPS6_PKS6_NS0_5tupleIJNSA_16discard_iteratorINSA_11use_defaultEEES6_EEENSJ_IJSG_SG_EEENS0_18inequality_wrapperINSA_8equal_toIxEEEEPmJS6_EEE10hipError_tPvRmT3_T4_T5_T6_T7_T9_mT8_P12ihipStream_tbDpT10_ENKUlT_T0_E_clISt17integral_constantIbLb0EES1D_EEDaS18_S19_EUlS18_E_NS1_11comp_targetILNS1_3genE5ELNS1_11target_archE942ELNS1_3gpuE9ELNS1_3repE0EEENS1_30default_config_static_selectorELNS0_4arch9wavefront6targetE1EEEvT1_.kd
    .uniform_work_group_size: 1
    .uses_dynamic_stack: false
    .vgpr_count:     0
    .vgpr_spill_count: 0
    .wavefront_size: 64
  - .args:
      - .offset:         0
        .size:           120
        .value_kind:     by_value
    .group_segment_fixed_size: 0
    .kernarg_segment_align: 8
    .kernarg_segment_size: 120
    .language:       OpenCL C
    .language_version:
      - 2
      - 0
    .max_flat_workgroup_size: 256
    .name:           _ZN7rocprim17ROCPRIM_400000_NS6detail17trampoline_kernelINS0_14default_configENS1_25partition_config_selectorILNS1_17partition_subalgoE8ExNS0_10empty_typeEbEEZZNS1_14partition_implILS5_8ELb0ES3_jN6thrust23THRUST_200600_302600_NS6detail15normal_iteratorINSA_10device_ptrIxEEEEPS6_PKS6_NS0_5tupleIJNSA_16discard_iteratorINSA_11use_defaultEEES6_EEENSJ_IJSG_SG_EEENS0_18inequality_wrapperINSA_8equal_toIxEEEEPmJS6_EEE10hipError_tPvRmT3_T4_T5_T6_T7_T9_mT8_P12ihipStream_tbDpT10_ENKUlT_T0_E_clISt17integral_constantIbLb0EES1D_EEDaS18_S19_EUlS18_E_NS1_11comp_targetILNS1_3genE4ELNS1_11target_archE910ELNS1_3gpuE8ELNS1_3repE0EEENS1_30default_config_static_selectorELNS0_4arch9wavefront6targetE1EEEvT1_
    .private_segment_fixed_size: 0
    .sgpr_count:     4
    .sgpr_spill_count: 0
    .symbol:         _ZN7rocprim17ROCPRIM_400000_NS6detail17trampoline_kernelINS0_14default_configENS1_25partition_config_selectorILNS1_17partition_subalgoE8ExNS0_10empty_typeEbEEZZNS1_14partition_implILS5_8ELb0ES3_jN6thrust23THRUST_200600_302600_NS6detail15normal_iteratorINSA_10device_ptrIxEEEEPS6_PKS6_NS0_5tupleIJNSA_16discard_iteratorINSA_11use_defaultEEES6_EEENSJ_IJSG_SG_EEENS0_18inequality_wrapperINSA_8equal_toIxEEEEPmJS6_EEE10hipError_tPvRmT3_T4_T5_T6_T7_T9_mT8_P12ihipStream_tbDpT10_ENKUlT_T0_E_clISt17integral_constantIbLb0EES1D_EEDaS18_S19_EUlS18_E_NS1_11comp_targetILNS1_3genE4ELNS1_11target_archE910ELNS1_3gpuE8ELNS1_3repE0EEENS1_30default_config_static_selectorELNS0_4arch9wavefront6targetE1EEEvT1_.kd
    .uniform_work_group_size: 1
    .uses_dynamic_stack: false
    .vgpr_count:     0
    .vgpr_spill_count: 0
    .wavefront_size: 64
  - .args:
      - .offset:         0
        .size:           120
        .value_kind:     by_value
    .group_segment_fixed_size: 0
    .kernarg_segment_align: 8
    .kernarg_segment_size: 120
    .language:       OpenCL C
    .language_version:
      - 2
      - 0
    .max_flat_workgroup_size: 512
    .name:           _ZN7rocprim17ROCPRIM_400000_NS6detail17trampoline_kernelINS0_14default_configENS1_25partition_config_selectorILNS1_17partition_subalgoE8ExNS0_10empty_typeEbEEZZNS1_14partition_implILS5_8ELb0ES3_jN6thrust23THRUST_200600_302600_NS6detail15normal_iteratorINSA_10device_ptrIxEEEEPS6_PKS6_NS0_5tupleIJNSA_16discard_iteratorINSA_11use_defaultEEES6_EEENSJ_IJSG_SG_EEENS0_18inequality_wrapperINSA_8equal_toIxEEEEPmJS6_EEE10hipError_tPvRmT3_T4_T5_T6_T7_T9_mT8_P12ihipStream_tbDpT10_ENKUlT_T0_E_clISt17integral_constantIbLb0EES1D_EEDaS18_S19_EUlS18_E_NS1_11comp_targetILNS1_3genE3ELNS1_11target_archE908ELNS1_3gpuE7ELNS1_3repE0EEENS1_30default_config_static_selectorELNS0_4arch9wavefront6targetE1EEEvT1_
    .private_segment_fixed_size: 0
    .sgpr_count:     4
    .sgpr_spill_count: 0
    .symbol:         _ZN7rocprim17ROCPRIM_400000_NS6detail17trampoline_kernelINS0_14default_configENS1_25partition_config_selectorILNS1_17partition_subalgoE8ExNS0_10empty_typeEbEEZZNS1_14partition_implILS5_8ELb0ES3_jN6thrust23THRUST_200600_302600_NS6detail15normal_iteratorINSA_10device_ptrIxEEEEPS6_PKS6_NS0_5tupleIJNSA_16discard_iteratorINSA_11use_defaultEEES6_EEENSJ_IJSG_SG_EEENS0_18inequality_wrapperINSA_8equal_toIxEEEEPmJS6_EEE10hipError_tPvRmT3_T4_T5_T6_T7_T9_mT8_P12ihipStream_tbDpT10_ENKUlT_T0_E_clISt17integral_constantIbLb0EES1D_EEDaS18_S19_EUlS18_E_NS1_11comp_targetILNS1_3genE3ELNS1_11target_archE908ELNS1_3gpuE7ELNS1_3repE0EEENS1_30default_config_static_selectorELNS0_4arch9wavefront6targetE1EEEvT1_.kd
    .uniform_work_group_size: 1
    .uses_dynamic_stack: false
    .vgpr_count:     0
    .vgpr_spill_count: 0
    .wavefront_size: 64
  - .args:
      - .offset:         0
        .size:           120
        .value_kind:     by_value
    .group_segment_fixed_size: 14344
    .kernarg_segment_align: 8
    .kernarg_segment_size: 120
    .language:       OpenCL C
    .language_version:
      - 2
      - 0
    .max_flat_workgroup_size: 256
    .name:           _ZN7rocprim17ROCPRIM_400000_NS6detail17trampoline_kernelINS0_14default_configENS1_25partition_config_selectorILNS1_17partition_subalgoE8ExNS0_10empty_typeEbEEZZNS1_14partition_implILS5_8ELb0ES3_jN6thrust23THRUST_200600_302600_NS6detail15normal_iteratorINSA_10device_ptrIxEEEEPS6_PKS6_NS0_5tupleIJNSA_16discard_iteratorINSA_11use_defaultEEES6_EEENSJ_IJSG_SG_EEENS0_18inequality_wrapperINSA_8equal_toIxEEEEPmJS6_EEE10hipError_tPvRmT3_T4_T5_T6_T7_T9_mT8_P12ihipStream_tbDpT10_ENKUlT_T0_E_clISt17integral_constantIbLb0EES1D_EEDaS18_S19_EUlS18_E_NS1_11comp_targetILNS1_3genE2ELNS1_11target_archE906ELNS1_3gpuE6ELNS1_3repE0EEENS1_30default_config_static_selectorELNS0_4arch9wavefront6targetE1EEEvT1_
    .private_segment_fixed_size: 0
    .sgpr_count:     40
    .sgpr_spill_count: 0
    .symbol:         _ZN7rocprim17ROCPRIM_400000_NS6detail17trampoline_kernelINS0_14default_configENS1_25partition_config_selectorILNS1_17partition_subalgoE8ExNS0_10empty_typeEbEEZZNS1_14partition_implILS5_8ELb0ES3_jN6thrust23THRUST_200600_302600_NS6detail15normal_iteratorINSA_10device_ptrIxEEEEPS6_PKS6_NS0_5tupleIJNSA_16discard_iteratorINSA_11use_defaultEEES6_EEENSJ_IJSG_SG_EEENS0_18inequality_wrapperINSA_8equal_toIxEEEEPmJS6_EEE10hipError_tPvRmT3_T4_T5_T6_T7_T9_mT8_P12ihipStream_tbDpT10_ENKUlT_T0_E_clISt17integral_constantIbLb0EES1D_EEDaS18_S19_EUlS18_E_NS1_11comp_targetILNS1_3genE2ELNS1_11target_archE906ELNS1_3gpuE6ELNS1_3repE0EEENS1_30default_config_static_selectorELNS0_4arch9wavefront6targetE1EEEvT1_.kd
    .uniform_work_group_size: 1
    .uses_dynamic_stack: false
    .vgpr_count:     57
    .vgpr_spill_count: 0
    .wavefront_size: 64
  - .args:
      - .offset:         0
        .size:           120
        .value_kind:     by_value
    .group_segment_fixed_size: 0
    .kernarg_segment_align: 8
    .kernarg_segment_size: 120
    .language:       OpenCL C
    .language_version:
      - 2
      - 0
    .max_flat_workgroup_size: 384
    .name:           _ZN7rocprim17ROCPRIM_400000_NS6detail17trampoline_kernelINS0_14default_configENS1_25partition_config_selectorILNS1_17partition_subalgoE8ExNS0_10empty_typeEbEEZZNS1_14partition_implILS5_8ELb0ES3_jN6thrust23THRUST_200600_302600_NS6detail15normal_iteratorINSA_10device_ptrIxEEEEPS6_PKS6_NS0_5tupleIJNSA_16discard_iteratorINSA_11use_defaultEEES6_EEENSJ_IJSG_SG_EEENS0_18inequality_wrapperINSA_8equal_toIxEEEEPmJS6_EEE10hipError_tPvRmT3_T4_T5_T6_T7_T9_mT8_P12ihipStream_tbDpT10_ENKUlT_T0_E_clISt17integral_constantIbLb0EES1D_EEDaS18_S19_EUlS18_E_NS1_11comp_targetILNS1_3genE10ELNS1_11target_archE1200ELNS1_3gpuE4ELNS1_3repE0EEENS1_30default_config_static_selectorELNS0_4arch9wavefront6targetE1EEEvT1_
    .private_segment_fixed_size: 0
    .sgpr_count:     4
    .sgpr_spill_count: 0
    .symbol:         _ZN7rocprim17ROCPRIM_400000_NS6detail17trampoline_kernelINS0_14default_configENS1_25partition_config_selectorILNS1_17partition_subalgoE8ExNS0_10empty_typeEbEEZZNS1_14partition_implILS5_8ELb0ES3_jN6thrust23THRUST_200600_302600_NS6detail15normal_iteratorINSA_10device_ptrIxEEEEPS6_PKS6_NS0_5tupleIJNSA_16discard_iteratorINSA_11use_defaultEEES6_EEENSJ_IJSG_SG_EEENS0_18inequality_wrapperINSA_8equal_toIxEEEEPmJS6_EEE10hipError_tPvRmT3_T4_T5_T6_T7_T9_mT8_P12ihipStream_tbDpT10_ENKUlT_T0_E_clISt17integral_constantIbLb0EES1D_EEDaS18_S19_EUlS18_E_NS1_11comp_targetILNS1_3genE10ELNS1_11target_archE1200ELNS1_3gpuE4ELNS1_3repE0EEENS1_30default_config_static_selectorELNS0_4arch9wavefront6targetE1EEEvT1_.kd
    .uniform_work_group_size: 1
    .uses_dynamic_stack: false
    .vgpr_count:     0
    .vgpr_spill_count: 0
    .wavefront_size: 64
  - .args:
      - .offset:         0
        .size:           120
        .value_kind:     by_value
    .group_segment_fixed_size: 0
    .kernarg_segment_align: 8
    .kernarg_segment_size: 120
    .language:       OpenCL C
    .language_version:
      - 2
      - 0
    .max_flat_workgroup_size: 512
    .name:           _ZN7rocprim17ROCPRIM_400000_NS6detail17trampoline_kernelINS0_14default_configENS1_25partition_config_selectorILNS1_17partition_subalgoE8ExNS0_10empty_typeEbEEZZNS1_14partition_implILS5_8ELb0ES3_jN6thrust23THRUST_200600_302600_NS6detail15normal_iteratorINSA_10device_ptrIxEEEEPS6_PKS6_NS0_5tupleIJNSA_16discard_iteratorINSA_11use_defaultEEES6_EEENSJ_IJSG_SG_EEENS0_18inequality_wrapperINSA_8equal_toIxEEEEPmJS6_EEE10hipError_tPvRmT3_T4_T5_T6_T7_T9_mT8_P12ihipStream_tbDpT10_ENKUlT_T0_E_clISt17integral_constantIbLb0EES1D_EEDaS18_S19_EUlS18_E_NS1_11comp_targetILNS1_3genE9ELNS1_11target_archE1100ELNS1_3gpuE3ELNS1_3repE0EEENS1_30default_config_static_selectorELNS0_4arch9wavefront6targetE1EEEvT1_
    .private_segment_fixed_size: 0
    .sgpr_count:     4
    .sgpr_spill_count: 0
    .symbol:         _ZN7rocprim17ROCPRIM_400000_NS6detail17trampoline_kernelINS0_14default_configENS1_25partition_config_selectorILNS1_17partition_subalgoE8ExNS0_10empty_typeEbEEZZNS1_14partition_implILS5_8ELb0ES3_jN6thrust23THRUST_200600_302600_NS6detail15normal_iteratorINSA_10device_ptrIxEEEEPS6_PKS6_NS0_5tupleIJNSA_16discard_iteratorINSA_11use_defaultEEES6_EEENSJ_IJSG_SG_EEENS0_18inequality_wrapperINSA_8equal_toIxEEEEPmJS6_EEE10hipError_tPvRmT3_T4_T5_T6_T7_T9_mT8_P12ihipStream_tbDpT10_ENKUlT_T0_E_clISt17integral_constantIbLb0EES1D_EEDaS18_S19_EUlS18_E_NS1_11comp_targetILNS1_3genE9ELNS1_11target_archE1100ELNS1_3gpuE3ELNS1_3repE0EEENS1_30default_config_static_selectorELNS0_4arch9wavefront6targetE1EEEvT1_.kd
    .uniform_work_group_size: 1
    .uses_dynamic_stack: false
    .vgpr_count:     0
    .vgpr_spill_count: 0
    .wavefront_size: 64
  - .args:
      - .offset:         0
        .size:           120
        .value_kind:     by_value
    .group_segment_fixed_size: 0
    .kernarg_segment_align: 8
    .kernarg_segment_size: 120
    .language:       OpenCL C
    .language_version:
      - 2
      - 0
    .max_flat_workgroup_size: 512
    .name:           _ZN7rocprim17ROCPRIM_400000_NS6detail17trampoline_kernelINS0_14default_configENS1_25partition_config_selectorILNS1_17partition_subalgoE8ExNS0_10empty_typeEbEEZZNS1_14partition_implILS5_8ELb0ES3_jN6thrust23THRUST_200600_302600_NS6detail15normal_iteratorINSA_10device_ptrIxEEEEPS6_PKS6_NS0_5tupleIJNSA_16discard_iteratorINSA_11use_defaultEEES6_EEENSJ_IJSG_SG_EEENS0_18inequality_wrapperINSA_8equal_toIxEEEEPmJS6_EEE10hipError_tPvRmT3_T4_T5_T6_T7_T9_mT8_P12ihipStream_tbDpT10_ENKUlT_T0_E_clISt17integral_constantIbLb0EES1D_EEDaS18_S19_EUlS18_E_NS1_11comp_targetILNS1_3genE8ELNS1_11target_archE1030ELNS1_3gpuE2ELNS1_3repE0EEENS1_30default_config_static_selectorELNS0_4arch9wavefront6targetE1EEEvT1_
    .private_segment_fixed_size: 0
    .sgpr_count:     4
    .sgpr_spill_count: 0
    .symbol:         _ZN7rocprim17ROCPRIM_400000_NS6detail17trampoline_kernelINS0_14default_configENS1_25partition_config_selectorILNS1_17partition_subalgoE8ExNS0_10empty_typeEbEEZZNS1_14partition_implILS5_8ELb0ES3_jN6thrust23THRUST_200600_302600_NS6detail15normal_iteratorINSA_10device_ptrIxEEEEPS6_PKS6_NS0_5tupleIJNSA_16discard_iteratorINSA_11use_defaultEEES6_EEENSJ_IJSG_SG_EEENS0_18inequality_wrapperINSA_8equal_toIxEEEEPmJS6_EEE10hipError_tPvRmT3_T4_T5_T6_T7_T9_mT8_P12ihipStream_tbDpT10_ENKUlT_T0_E_clISt17integral_constantIbLb0EES1D_EEDaS18_S19_EUlS18_E_NS1_11comp_targetILNS1_3genE8ELNS1_11target_archE1030ELNS1_3gpuE2ELNS1_3repE0EEENS1_30default_config_static_selectorELNS0_4arch9wavefront6targetE1EEEvT1_.kd
    .uniform_work_group_size: 1
    .uses_dynamic_stack: false
    .vgpr_count:     0
    .vgpr_spill_count: 0
    .wavefront_size: 64
  - .args:
      - .offset:         0
        .size:           136
        .value_kind:     by_value
    .group_segment_fixed_size: 0
    .kernarg_segment_align: 8
    .kernarg_segment_size: 136
    .language:       OpenCL C
    .language_version:
      - 2
      - 0
    .max_flat_workgroup_size: 512
    .name:           _ZN7rocprim17ROCPRIM_400000_NS6detail17trampoline_kernelINS0_14default_configENS1_25partition_config_selectorILNS1_17partition_subalgoE8ExNS0_10empty_typeEbEEZZNS1_14partition_implILS5_8ELb0ES3_jN6thrust23THRUST_200600_302600_NS6detail15normal_iteratorINSA_10device_ptrIxEEEEPS6_PKS6_NS0_5tupleIJNSA_16discard_iteratorINSA_11use_defaultEEES6_EEENSJ_IJSG_SG_EEENS0_18inequality_wrapperINSA_8equal_toIxEEEEPmJS6_EEE10hipError_tPvRmT3_T4_T5_T6_T7_T9_mT8_P12ihipStream_tbDpT10_ENKUlT_T0_E_clISt17integral_constantIbLb1EES1D_EEDaS18_S19_EUlS18_E_NS1_11comp_targetILNS1_3genE0ELNS1_11target_archE4294967295ELNS1_3gpuE0ELNS1_3repE0EEENS1_30default_config_static_selectorELNS0_4arch9wavefront6targetE1EEEvT1_
    .private_segment_fixed_size: 0
    .sgpr_count:     4
    .sgpr_spill_count: 0
    .symbol:         _ZN7rocprim17ROCPRIM_400000_NS6detail17trampoline_kernelINS0_14default_configENS1_25partition_config_selectorILNS1_17partition_subalgoE8ExNS0_10empty_typeEbEEZZNS1_14partition_implILS5_8ELb0ES3_jN6thrust23THRUST_200600_302600_NS6detail15normal_iteratorINSA_10device_ptrIxEEEEPS6_PKS6_NS0_5tupleIJNSA_16discard_iteratorINSA_11use_defaultEEES6_EEENSJ_IJSG_SG_EEENS0_18inequality_wrapperINSA_8equal_toIxEEEEPmJS6_EEE10hipError_tPvRmT3_T4_T5_T6_T7_T9_mT8_P12ihipStream_tbDpT10_ENKUlT_T0_E_clISt17integral_constantIbLb1EES1D_EEDaS18_S19_EUlS18_E_NS1_11comp_targetILNS1_3genE0ELNS1_11target_archE4294967295ELNS1_3gpuE0ELNS1_3repE0EEENS1_30default_config_static_selectorELNS0_4arch9wavefront6targetE1EEEvT1_.kd
    .uniform_work_group_size: 1
    .uses_dynamic_stack: false
    .vgpr_count:     0
    .vgpr_spill_count: 0
    .wavefront_size: 64
  - .args:
      - .offset:         0
        .size:           136
        .value_kind:     by_value
    .group_segment_fixed_size: 0
    .kernarg_segment_align: 8
    .kernarg_segment_size: 136
    .language:       OpenCL C
    .language_version:
      - 2
      - 0
    .max_flat_workgroup_size: 512
    .name:           _ZN7rocprim17ROCPRIM_400000_NS6detail17trampoline_kernelINS0_14default_configENS1_25partition_config_selectorILNS1_17partition_subalgoE8ExNS0_10empty_typeEbEEZZNS1_14partition_implILS5_8ELb0ES3_jN6thrust23THRUST_200600_302600_NS6detail15normal_iteratorINSA_10device_ptrIxEEEEPS6_PKS6_NS0_5tupleIJNSA_16discard_iteratorINSA_11use_defaultEEES6_EEENSJ_IJSG_SG_EEENS0_18inequality_wrapperINSA_8equal_toIxEEEEPmJS6_EEE10hipError_tPvRmT3_T4_T5_T6_T7_T9_mT8_P12ihipStream_tbDpT10_ENKUlT_T0_E_clISt17integral_constantIbLb1EES1D_EEDaS18_S19_EUlS18_E_NS1_11comp_targetILNS1_3genE5ELNS1_11target_archE942ELNS1_3gpuE9ELNS1_3repE0EEENS1_30default_config_static_selectorELNS0_4arch9wavefront6targetE1EEEvT1_
    .private_segment_fixed_size: 0
    .sgpr_count:     4
    .sgpr_spill_count: 0
    .symbol:         _ZN7rocprim17ROCPRIM_400000_NS6detail17trampoline_kernelINS0_14default_configENS1_25partition_config_selectorILNS1_17partition_subalgoE8ExNS0_10empty_typeEbEEZZNS1_14partition_implILS5_8ELb0ES3_jN6thrust23THRUST_200600_302600_NS6detail15normal_iteratorINSA_10device_ptrIxEEEEPS6_PKS6_NS0_5tupleIJNSA_16discard_iteratorINSA_11use_defaultEEES6_EEENSJ_IJSG_SG_EEENS0_18inequality_wrapperINSA_8equal_toIxEEEEPmJS6_EEE10hipError_tPvRmT3_T4_T5_T6_T7_T9_mT8_P12ihipStream_tbDpT10_ENKUlT_T0_E_clISt17integral_constantIbLb1EES1D_EEDaS18_S19_EUlS18_E_NS1_11comp_targetILNS1_3genE5ELNS1_11target_archE942ELNS1_3gpuE9ELNS1_3repE0EEENS1_30default_config_static_selectorELNS0_4arch9wavefront6targetE1EEEvT1_.kd
    .uniform_work_group_size: 1
    .uses_dynamic_stack: false
    .vgpr_count:     0
    .vgpr_spill_count: 0
    .wavefront_size: 64
  - .args:
      - .offset:         0
        .size:           136
        .value_kind:     by_value
    .group_segment_fixed_size: 0
    .kernarg_segment_align: 8
    .kernarg_segment_size: 136
    .language:       OpenCL C
    .language_version:
      - 2
      - 0
    .max_flat_workgroup_size: 256
    .name:           _ZN7rocprim17ROCPRIM_400000_NS6detail17trampoline_kernelINS0_14default_configENS1_25partition_config_selectorILNS1_17partition_subalgoE8ExNS0_10empty_typeEbEEZZNS1_14partition_implILS5_8ELb0ES3_jN6thrust23THRUST_200600_302600_NS6detail15normal_iteratorINSA_10device_ptrIxEEEEPS6_PKS6_NS0_5tupleIJNSA_16discard_iteratorINSA_11use_defaultEEES6_EEENSJ_IJSG_SG_EEENS0_18inequality_wrapperINSA_8equal_toIxEEEEPmJS6_EEE10hipError_tPvRmT3_T4_T5_T6_T7_T9_mT8_P12ihipStream_tbDpT10_ENKUlT_T0_E_clISt17integral_constantIbLb1EES1D_EEDaS18_S19_EUlS18_E_NS1_11comp_targetILNS1_3genE4ELNS1_11target_archE910ELNS1_3gpuE8ELNS1_3repE0EEENS1_30default_config_static_selectorELNS0_4arch9wavefront6targetE1EEEvT1_
    .private_segment_fixed_size: 0
    .sgpr_count:     4
    .sgpr_spill_count: 0
    .symbol:         _ZN7rocprim17ROCPRIM_400000_NS6detail17trampoline_kernelINS0_14default_configENS1_25partition_config_selectorILNS1_17partition_subalgoE8ExNS0_10empty_typeEbEEZZNS1_14partition_implILS5_8ELb0ES3_jN6thrust23THRUST_200600_302600_NS6detail15normal_iteratorINSA_10device_ptrIxEEEEPS6_PKS6_NS0_5tupleIJNSA_16discard_iteratorINSA_11use_defaultEEES6_EEENSJ_IJSG_SG_EEENS0_18inequality_wrapperINSA_8equal_toIxEEEEPmJS6_EEE10hipError_tPvRmT3_T4_T5_T6_T7_T9_mT8_P12ihipStream_tbDpT10_ENKUlT_T0_E_clISt17integral_constantIbLb1EES1D_EEDaS18_S19_EUlS18_E_NS1_11comp_targetILNS1_3genE4ELNS1_11target_archE910ELNS1_3gpuE8ELNS1_3repE0EEENS1_30default_config_static_selectorELNS0_4arch9wavefront6targetE1EEEvT1_.kd
    .uniform_work_group_size: 1
    .uses_dynamic_stack: false
    .vgpr_count:     0
    .vgpr_spill_count: 0
    .wavefront_size: 64
  - .args:
      - .offset:         0
        .size:           136
        .value_kind:     by_value
    .group_segment_fixed_size: 0
    .kernarg_segment_align: 8
    .kernarg_segment_size: 136
    .language:       OpenCL C
    .language_version:
      - 2
      - 0
    .max_flat_workgroup_size: 512
    .name:           _ZN7rocprim17ROCPRIM_400000_NS6detail17trampoline_kernelINS0_14default_configENS1_25partition_config_selectorILNS1_17partition_subalgoE8ExNS0_10empty_typeEbEEZZNS1_14partition_implILS5_8ELb0ES3_jN6thrust23THRUST_200600_302600_NS6detail15normal_iteratorINSA_10device_ptrIxEEEEPS6_PKS6_NS0_5tupleIJNSA_16discard_iteratorINSA_11use_defaultEEES6_EEENSJ_IJSG_SG_EEENS0_18inequality_wrapperINSA_8equal_toIxEEEEPmJS6_EEE10hipError_tPvRmT3_T4_T5_T6_T7_T9_mT8_P12ihipStream_tbDpT10_ENKUlT_T0_E_clISt17integral_constantIbLb1EES1D_EEDaS18_S19_EUlS18_E_NS1_11comp_targetILNS1_3genE3ELNS1_11target_archE908ELNS1_3gpuE7ELNS1_3repE0EEENS1_30default_config_static_selectorELNS0_4arch9wavefront6targetE1EEEvT1_
    .private_segment_fixed_size: 0
    .sgpr_count:     4
    .sgpr_spill_count: 0
    .symbol:         _ZN7rocprim17ROCPRIM_400000_NS6detail17trampoline_kernelINS0_14default_configENS1_25partition_config_selectorILNS1_17partition_subalgoE8ExNS0_10empty_typeEbEEZZNS1_14partition_implILS5_8ELb0ES3_jN6thrust23THRUST_200600_302600_NS6detail15normal_iteratorINSA_10device_ptrIxEEEEPS6_PKS6_NS0_5tupleIJNSA_16discard_iteratorINSA_11use_defaultEEES6_EEENSJ_IJSG_SG_EEENS0_18inequality_wrapperINSA_8equal_toIxEEEEPmJS6_EEE10hipError_tPvRmT3_T4_T5_T6_T7_T9_mT8_P12ihipStream_tbDpT10_ENKUlT_T0_E_clISt17integral_constantIbLb1EES1D_EEDaS18_S19_EUlS18_E_NS1_11comp_targetILNS1_3genE3ELNS1_11target_archE908ELNS1_3gpuE7ELNS1_3repE0EEENS1_30default_config_static_selectorELNS0_4arch9wavefront6targetE1EEEvT1_.kd
    .uniform_work_group_size: 1
    .uses_dynamic_stack: false
    .vgpr_count:     0
    .vgpr_spill_count: 0
    .wavefront_size: 64
  - .args:
      - .offset:         0
        .size:           136
        .value_kind:     by_value
    .group_segment_fixed_size: 0
    .kernarg_segment_align: 8
    .kernarg_segment_size: 136
    .language:       OpenCL C
    .language_version:
      - 2
      - 0
    .max_flat_workgroup_size: 256
    .name:           _ZN7rocprim17ROCPRIM_400000_NS6detail17trampoline_kernelINS0_14default_configENS1_25partition_config_selectorILNS1_17partition_subalgoE8ExNS0_10empty_typeEbEEZZNS1_14partition_implILS5_8ELb0ES3_jN6thrust23THRUST_200600_302600_NS6detail15normal_iteratorINSA_10device_ptrIxEEEEPS6_PKS6_NS0_5tupleIJNSA_16discard_iteratorINSA_11use_defaultEEES6_EEENSJ_IJSG_SG_EEENS0_18inequality_wrapperINSA_8equal_toIxEEEEPmJS6_EEE10hipError_tPvRmT3_T4_T5_T6_T7_T9_mT8_P12ihipStream_tbDpT10_ENKUlT_T0_E_clISt17integral_constantIbLb1EES1D_EEDaS18_S19_EUlS18_E_NS1_11comp_targetILNS1_3genE2ELNS1_11target_archE906ELNS1_3gpuE6ELNS1_3repE0EEENS1_30default_config_static_selectorELNS0_4arch9wavefront6targetE1EEEvT1_
    .private_segment_fixed_size: 0
    .sgpr_count:     4
    .sgpr_spill_count: 0
    .symbol:         _ZN7rocprim17ROCPRIM_400000_NS6detail17trampoline_kernelINS0_14default_configENS1_25partition_config_selectorILNS1_17partition_subalgoE8ExNS0_10empty_typeEbEEZZNS1_14partition_implILS5_8ELb0ES3_jN6thrust23THRUST_200600_302600_NS6detail15normal_iteratorINSA_10device_ptrIxEEEEPS6_PKS6_NS0_5tupleIJNSA_16discard_iteratorINSA_11use_defaultEEES6_EEENSJ_IJSG_SG_EEENS0_18inequality_wrapperINSA_8equal_toIxEEEEPmJS6_EEE10hipError_tPvRmT3_T4_T5_T6_T7_T9_mT8_P12ihipStream_tbDpT10_ENKUlT_T0_E_clISt17integral_constantIbLb1EES1D_EEDaS18_S19_EUlS18_E_NS1_11comp_targetILNS1_3genE2ELNS1_11target_archE906ELNS1_3gpuE6ELNS1_3repE0EEENS1_30default_config_static_selectorELNS0_4arch9wavefront6targetE1EEEvT1_.kd
    .uniform_work_group_size: 1
    .uses_dynamic_stack: false
    .vgpr_count:     0
    .vgpr_spill_count: 0
    .wavefront_size: 64
  - .args:
      - .offset:         0
        .size:           136
        .value_kind:     by_value
    .group_segment_fixed_size: 0
    .kernarg_segment_align: 8
    .kernarg_segment_size: 136
    .language:       OpenCL C
    .language_version:
      - 2
      - 0
    .max_flat_workgroup_size: 384
    .name:           _ZN7rocprim17ROCPRIM_400000_NS6detail17trampoline_kernelINS0_14default_configENS1_25partition_config_selectorILNS1_17partition_subalgoE8ExNS0_10empty_typeEbEEZZNS1_14partition_implILS5_8ELb0ES3_jN6thrust23THRUST_200600_302600_NS6detail15normal_iteratorINSA_10device_ptrIxEEEEPS6_PKS6_NS0_5tupleIJNSA_16discard_iteratorINSA_11use_defaultEEES6_EEENSJ_IJSG_SG_EEENS0_18inequality_wrapperINSA_8equal_toIxEEEEPmJS6_EEE10hipError_tPvRmT3_T4_T5_T6_T7_T9_mT8_P12ihipStream_tbDpT10_ENKUlT_T0_E_clISt17integral_constantIbLb1EES1D_EEDaS18_S19_EUlS18_E_NS1_11comp_targetILNS1_3genE10ELNS1_11target_archE1200ELNS1_3gpuE4ELNS1_3repE0EEENS1_30default_config_static_selectorELNS0_4arch9wavefront6targetE1EEEvT1_
    .private_segment_fixed_size: 0
    .sgpr_count:     4
    .sgpr_spill_count: 0
    .symbol:         _ZN7rocprim17ROCPRIM_400000_NS6detail17trampoline_kernelINS0_14default_configENS1_25partition_config_selectorILNS1_17partition_subalgoE8ExNS0_10empty_typeEbEEZZNS1_14partition_implILS5_8ELb0ES3_jN6thrust23THRUST_200600_302600_NS6detail15normal_iteratorINSA_10device_ptrIxEEEEPS6_PKS6_NS0_5tupleIJNSA_16discard_iteratorINSA_11use_defaultEEES6_EEENSJ_IJSG_SG_EEENS0_18inequality_wrapperINSA_8equal_toIxEEEEPmJS6_EEE10hipError_tPvRmT3_T4_T5_T6_T7_T9_mT8_P12ihipStream_tbDpT10_ENKUlT_T0_E_clISt17integral_constantIbLb1EES1D_EEDaS18_S19_EUlS18_E_NS1_11comp_targetILNS1_3genE10ELNS1_11target_archE1200ELNS1_3gpuE4ELNS1_3repE0EEENS1_30default_config_static_selectorELNS0_4arch9wavefront6targetE1EEEvT1_.kd
    .uniform_work_group_size: 1
    .uses_dynamic_stack: false
    .vgpr_count:     0
    .vgpr_spill_count: 0
    .wavefront_size: 64
  - .args:
      - .offset:         0
        .size:           136
        .value_kind:     by_value
    .group_segment_fixed_size: 0
    .kernarg_segment_align: 8
    .kernarg_segment_size: 136
    .language:       OpenCL C
    .language_version:
      - 2
      - 0
    .max_flat_workgroup_size: 512
    .name:           _ZN7rocprim17ROCPRIM_400000_NS6detail17trampoline_kernelINS0_14default_configENS1_25partition_config_selectorILNS1_17partition_subalgoE8ExNS0_10empty_typeEbEEZZNS1_14partition_implILS5_8ELb0ES3_jN6thrust23THRUST_200600_302600_NS6detail15normal_iteratorINSA_10device_ptrIxEEEEPS6_PKS6_NS0_5tupleIJNSA_16discard_iteratorINSA_11use_defaultEEES6_EEENSJ_IJSG_SG_EEENS0_18inequality_wrapperINSA_8equal_toIxEEEEPmJS6_EEE10hipError_tPvRmT3_T4_T5_T6_T7_T9_mT8_P12ihipStream_tbDpT10_ENKUlT_T0_E_clISt17integral_constantIbLb1EES1D_EEDaS18_S19_EUlS18_E_NS1_11comp_targetILNS1_3genE9ELNS1_11target_archE1100ELNS1_3gpuE3ELNS1_3repE0EEENS1_30default_config_static_selectorELNS0_4arch9wavefront6targetE1EEEvT1_
    .private_segment_fixed_size: 0
    .sgpr_count:     4
    .sgpr_spill_count: 0
    .symbol:         _ZN7rocprim17ROCPRIM_400000_NS6detail17trampoline_kernelINS0_14default_configENS1_25partition_config_selectorILNS1_17partition_subalgoE8ExNS0_10empty_typeEbEEZZNS1_14partition_implILS5_8ELb0ES3_jN6thrust23THRUST_200600_302600_NS6detail15normal_iteratorINSA_10device_ptrIxEEEEPS6_PKS6_NS0_5tupleIJNSA_16discard_iteratorINSA_11use_defaultEEES6_EEENSJ_IJSG_SG_EEENS0_18inequality_wrapperINSA_8equal_toIxEEEEPmJS6_EEE10hipError_tPvRmT3_T4_T5_T6_T7_T9_mT8_P12ihipStream_tbDpT10_ENKUlT_T0_E_clISt17integral_constantIbLb1EES1D_EEDaS18_S19_EUlS18_E_NS1_11comp_targetILNS1_3genE9ELNS1_11target_archE1100ELNS1_3gpuE3ELNS1_3repE0EEENS1_30default_config_static_selectorELNS0_4arch9wavefront6targetE1EEEvT1_.kd
    .uniform_work_group_size: 1
    .uses_dynamic_stack: false
    .vgpr_count:     0
    .vgpr_spill_count: 0
    .wavefront_size: 64
  - .args:
      - .offset:         0
        .size:           136
        .value_kind:     by_value
    .group_segment_fixed_size: 0
    .kernarg_segment_align: 8
    .kernarg_segment_size: 136
    .language:       OpenCL C
    .language_version:
      - 2
      - 0
    .max_flat_workgroup_size: 512
    .name:           _ZN7rocprim17ROCPRIM_400000_NS6detail17trampoline_kernelINS0_14default_configENS1_25partition_config_selectorILNS1_17partition_subalgoE8ExNS0_10empty_typeEbEEZZNS1_14partition_implILS5_8ELb0ES3_jN6thrust23THRUST_200600_302600_NS6detail15normal_iteratorINSA_10device_ptrIxEEEEPS6_PKS6_NS0_5tupleIJNSA_16discard_iteratorINSA_11use_defaultEEES6_EEENSJ_IJSG_SG_EEENS0_18inequality_wrapperINSA_8equal_toIxEEEEPmJS6_EEE10hipError_tPvRmT3_T4_T5_T6_T7_T9_mT8_P12ihipStream_tbDpT10_ENKUlT_T0_E_clISt17integral_constantIbLb1EES1D_EEDaS18_S19_EUlS18_E_NS1_11comp_targetILNS1_3genE8ELNS1_11target_archE1030ELNS1_3gpuE2ELNS1_3repE0EEENS1_30default_config_static_selectorELNS0_4arch9wavefront6targetE1EEEvT1_
    .private_segment_fixed_size: 0
    .sgpr_count:     4
    .sgpr_spill_count: 0
    .symbol:         _ZN7rocprim17ROCPRIM_400000_NS6detail17trampoline_kernelINS0_14default_configENS1_25partition_config_selectorILNS1_17partition_subalgoE8ExNS0_10empty_typeEbEEZZNS1_14partition_implILS5_8ELb0ES3_jN6thrust23THRUST_200600_302600_NS6detail15normal_iteratorINSA_10device_ptrIxEEEEPS6_PKS6_NS0_5tupleIJNSA_16discard_iteratorINSA_11use_defaultEEES6_EEENSJ_IJSG_SG_EEENS0_18inequality_wrapperINSA_8equal_toIxEEEEPmJS6_EEE10hipError_tPvRmT3_T4_T5_T6_T7_T9_mT8_P12ihipStream_tbDpT10_ENKUlT_T0_E_clISt17integral_constantIbLb1EES1D_EEDaS18_S19_EUlS18_E_NS1_11comp_targetILNS1_3genE8ELNS1_11target_archE1030ELNS1_3gpuE2ELNS1_3repE0EEENS1_30default_config_static_selectorELNS0_4arch9wavefront6targetE1EEEvT1_.kd
    .uniform_work_group_size: 1
    .uses_dynamic_stack: false
    .vgpr_count:     0
    .vgpr_spill_count: 0
    .wavefront_size: 64
  - .args:
      - .offset:         0
        .size:           120
        .value_kind:     by_value
    .group_segment_fixed_size: 0
    .kernarg_segment_align: 8
    .kernarg_segment_size: 120
    .language:       OpenCL C
    .language_version:
      - 2
      - 0
    .max_flat_workgroup_size: 512
    .name:           _ZN7rocprim17ROCPRIM_400000_NS6detail17trampoline_kernelINS0_14default_configENS1_25partition_config_selectorILNS1_17partition_subalgoE8ExNS0_10empty_typeEbEEZZNS1_14partition_implILS5_8ELb0ES3_jN6thrust23THRUST_200600_302600_NS6detail15normal_iteratorINSA_10device_ptrIxEEEEPS6_PKS6_NS0_5tupleIJNSA_16discard_iteratorINSA_11use_defaultEEES6_EEENSJ_IJSG_SG_EEENS0_18inequality_wrapperINSA_8equal_toIxEEEEPmJS6_EEE10hipError_tPvRmT3_T4_T5_T6_T7_T9_mT8_P12ihipStream_tbDpT10_ENKUlT_T0_E_clISt17integral_constantIbLb1EES1C_IbLb0EEEEDaS18_S19_EUlS18_E_NS1_11comp_targetILNS1_3genE0ELNS1_11target_archE4294967295ELNS1_3gpuE0ELNS1_3repE0EEENS1_30default_config_static_selectorELNS0_4arch9wavefront6targetE1EEEvT1_
    .private_segment_fixed_size: 0
    .sgpr_count:     4
    .sgpr_spill_count: 0
    .symbol:         _ZN7rocprim17ROCPRIM_400000_NS6detail17trampoline_kernelINS0_14default_configENS1_25partition_config_selectorILNS1_17partition_subalgoE8ExNS0_10empty_typeEbEEZZNS1_14partition_implILS5_8ELb0ES3_jN6thrust23THRUST_200600_302600_NS6detail15normal_iteratorINSA_10device_ptrIxEEEEPS6_PKS6_NS0_5tupleIJNSA_16discard_iteratorINSA_11use_defaultEEES6_EEENSJ_IJSG_SG_EEENS0_18inequality_wrapperINSA_8equal_toIxEEEEPmJS6_EEE10hipError_tPvRmT3_T4_T5_T6_T7_T9_mT8_P12ihipStream_tbDpT10_ENKUlT_T0_E_clISt17integral_constantIbLb1EES1C_IbLb0EEEEDaS18_S19_EUlS18_E_NS1_11comp_targetILNS1_3genE0ELNS1_11target_archE4294967295ELNS1_3gpuE0ELNS1_3repE0EEENS1_30default_config_static_selectorELNS0_4arch9wavefront6targetE1EEEvT1_.kd
    .uniform_work_group_size: 1
    .uses_dynamic_stack: false
    .vgpr_count:     0
    .vgpr_spill_count: 0
    .wavefront_size: 64
  - .args:
      - .offset:         0
        .size:           120
        .value_kind:     by_value
    .group_segment_fixed_size: 0
    .kernarg_segment_align: 8
    .kernarg_segment_size: 120
    .language:       OpenCL C
    .language_version:
      - 2
      - 0
    .max_flat_workgroup_size: 512
    .name:           _ZN7rocprim17ROCPRIM_400000_NS6detail17trampoline_kernelINS0_14default_configENS1_25partition_config_selectorILNS1_17partition_subalgoE8ExNS0_10empty_typeEbEEZZNS1_14partition_implILS5_8ELb0ES3_jN6thrust23THRUST_200600_302600_NS6detail15normal_iteratorINSA_10device_ptrIxEEEEPS6_PKS6_NS0_5tupleIJNSA_16discard_iteratorINSA_11use_defaultEEES6_EEENSJ_IJSG_SG_EEENS0_18inequality_wrapperINSA_8equal_toIxEEEEPmJS6_EEE10hipError_tPvRmT3_T4_T5_T6_T7_T9_mT8_P12ihipStream_tbDpT10_ENKUlT_T0_E_clISt17integral_constantIbLb1EES1C_IbLb0EEEEDaS18_S19_EUlS18_E_NS1_11comp_targetILNS1_3genE5ELNS1_11target_archE942ELNS1_3gpuE9ELNS1_3repE0EEENS1_30default_config_static_selectorELNS0_4arch9wavefront6targetE1EEEvT1_
    .private_segment_fixed_size: 0
    .sgpr_count:     4
    .sgpr_spill_count: 0
    .symbol:         _ZN7rocprim17ROCPRIM_400000_NS6detail17trampoline_kernelINS0_14default_configENS1_25partition_config_selectorILNS1_17partition_subalgoE8ExNS0_10empty_typeEbEEZZNS1_14partition_implILS5_8ELb0ES3_jN6thrust23THRUST_200600_302600_NS6detail15normal_iteratorINSA_10device_ptrIxEEEEPS6_PKS6_NS0_5tupleIJNSA_16discard_iteratorINSA_11use_defaultEEES6_EEENSJ_IJSG_SG_EEENS0_18inequality_wrapperINSA_8equal_toIxEEEEPmJS6_EEE10hipError_tPvRmT3_T4_T5_T6_T7_T9_mT8_P12ihipStream_tbDpT10_ENKUlT_T0_E_clISt17integral_constantIbLb1EES1C_IbLb0EEEEDaS18_S19_EUlS18_E_NS1_11comp_targetILNS1_3genE5ELNS1_11target_archE942ELNS1_3gpuE9ELNS1_3repE0EEENS1_30default_config_static_selectorELNS0_4arch9wavefront6targetE1EEEvT1_.kd
    .uniform_work_group_size: 1
    .uses_dynamic_stack: false
    .vgpr_count:     0
    .vgpr_spill_count: 0
    .wavefront_size: 64
  - .args:
      - .offset:         0
        .size:           120
        .value_kind:     by_value
    .group_segment_fixed_size: 0
    .kernarg_segment_align: 8
    .kernarg_segment_size: 120
    .language:       OpenCL C
    .language_version:
      - 2
      - 0
    .max_flat_workgroup_size: 256
    .name:           _ZN7rocprim17ROCPRIM_400000_NS6detail17trampoline_kernelINS0_14default_configENS1_25partition_config_selectorILNS1_17partition_subalgoE8ExNS0_10empty_typeEbEEZZNS1_14partition_implILS5_8ELb0ES3_jN6thrust23THRUST_200600_302600_NS6detail15normal_iteratorINSA_10device_ptrIxEEEEPS6_PKS6_NS0_5tupleIJNSA_16discard_iteratorINSA_11use_defaultEEES6_EEENSJ_IJSG_SG_EEENS0_18inequality_wrapperINSA_8equal_toIxEEEEPmJS6_EEE10hipError_tPvRmT3_T4_T5_T6_T7_T9_mT8_P12ihipStream_tbDpT10_ENKUlT_T0_E_clISt17integral_constantIbLb1EES1C_IbLb0EEEEDaS18_S19_EUlS18_E_NS1_11comp_targetILNS1_3genE4ELNS1_11target_archE910ELNS1_3gpuE8ELNS1_3repE0EEENS1_30default_config_static_selectorELNS0_4arch9wavefront6targetE1EEEvT1_
    .private_segment_fixed_size: 0
    .sgpr_count:     4
    .sgpr_spill_count: 0
    .symbol:         _ZN7rocprim17ROCPRIM_400000_NS6detail17trampoline_kernelINS0_14default_configENS1_25partition_config_selectorILNS1_17partition_subalgoE8ExNS0_10empty_typeEbEEZZNS1_14partition_implILS5_8ELb0ES3_jN6thrust23THRUST_200600_302600_NS6detail15normal_iteratorINSA_10device_ptrIxEEEEPS6_PKS6_NS0_5tupleIJNSA_16discard_iteratorINSA_11use_defaultEEES6_EEENSJ_IJSG_SG_EEENS0_18inequality_wrapperINSA_8equal_toIxEEEEPmJS6_EEE10hipError_tPvRmT3_T4_T5_T6_T7_T9_mT8_P12ihipStream_tbDpT10_ENKUlT_T0_E_clISt17integral_constantIbLb1EES1C_IbLb0EEEEDaS18_S19_EUlS18_E_NS1_11comp_targetILNS1_3genE4ELNS1_11target_archE910ELNS1_3gpuE8ELNS1_3repE0EEENS1_30default_config_static_selectorELNS0_4arch9wavefront6targetE1EEEvT1_.kd
    .uniform_work_group_size: 1
    .uses_dynamic_stack: false
    .vgpr_count:     0
    .vgpr_spill_count: 0
    .wavefront_size: 64
  - .args:
      - .offset:         0
        .size:           120
        .value_kind:     by_value
    .group_segment_fixed_size: 0
    .kernarg_segment_align: 8
    .kernarg_segment_size: 120
    .language:       OpenCL C
    .language_version:
      - 2
      - 0
    .max_flat_workgroup_size: 512
    .name:           _ZN7rocprim17ROCPRIM_400000_NS6detail17trampoline_kernelINS0_14default_configENS1_25partition_config_selectorILNS1_17partition_subalgoE8ExNS0_10empty_typeEbEEZZNS1_14partition_implILS5_8ELb0ES3_jN6thrust23THRUST_200600_302600_NS6detail15normal_iteratorINSA_10device_ptrIxEEEEPS6_PKS6_NS0_5tupleIJNSA_16discard_iteratorINSA_11use_defaultEEES6_EEENSJ_IJSG_SG_EEENS0_18inequality_wrapperINSA_8equal_toIxEEEEPmJS6_EEE10hipError_tPvRmT3_T4_T5_T6_T7_T9_mT8_P12ihipStream_tbDpT10_ENKUlT_T0_E_clISt17integral_constantIbLb1EES1C_IbLb0EEEEDaS18_S19_EUlS18_E_NS1_11comp_targetILNS1_3genE3ELNS1_11target_archE908ELNS1_3gpuE7ELNS1_3repE0EEENS1_30default_config_static_selectorELNS0_4arch9wavefront6targetE1EEEvT1_
    .private_segment_fixed_size: 0
    .sgpr_count:     4
    .sgpr_spill_count: 0
    .symbol:         _ZN7rocprim17ROCPRIM_400000_NS6detail17trampoline_kernelINS0_14default_configENS1_25partition_config_selectorILNS1_17partition_subalgoE8ExNS0_10empty_typeEbEEZZNS1_14partition_implILS5_8ELb0ES3_jN6thrust23THRUST_200600_302600_NS6detail15normal_iteratorINSA_10device_ptrIxEEEEPS6_PKS6_NS0_5tupleIJNSA_16discard_iteratorINSA_11use_defaultEEES6_EEENSJ_IJSG_SG_EEENS0_18inequality_wrapperINSA_8equal_toIxEEEEPmJS6_EEE10hipError_tPvRmT3_T4_T5_T6_T7_T9_mT8_P12ihipStream_tbDpT10_ENKUlT_T0_E_clISt17integral_constantIbLb1EES1C_IbLb0EEEEDaS18_S19_EUlS18_E_NS1_11comp_targetILNS1_3genE3ELNS1_11target_archE908ELNS1_3gpuE7ELNS1_3repE0EEENS1_30default_config_static_selectorELNS0_4arch9wavefront6targetE1EEEvT1_.kd
    .uniform_work_group_size: 1
    .uses_dynamic_stack: false
    .vgpr_count:     0
    .vgpr_spill_count: 0
    .wavefront_size: 64
  - .args:
      - .offset:         0
        .size:           120
        .value_kind:     by_value
    .group_segment_fixed_size: 0
    .kernarg_segment_align: 8
    .kernarg_segment_size: 120
    .language:       OpenCL C
    .language_version:
      - 2
      - 0
    .max_flat_workgroup_size: 256
    .name:           _ZN7rocprim17ROCPRIM_400000_NS6detail17trampoline_kernelINS0_14default_configENS1_25partition_config_selectorILNS1_17partition_subalgoE8ExNS0_10empty_typeEbEEZZNS1_14partition_implILS5_8ELb0ES3_jN6thrust23THRUST_200600_302600_NS6detail15normal_iteratorINSA_10device_ptrIxEEEEPS6_PKS6_NS0_5tupleIJNSA_16discard_iteratorINSA_11use_defaultEEES6_EEENSJ_IJSG_SG_EEENS0_18inequality_wrapperINSA_8equal_toIxEEEEPmJS6_EEE10hipError_tPvRmT3_T4_T5_T6_T7_T9_mT8_P12ihipStream_tbDpT10_ENKUlT_T0_E_clISt17integral_constantIbLb1EES1C_IbLb0EEEEDaS18_S19_EUlS18_E_NS1_11comp_targetILNS1_3genE2ELNS1_11target_archE906ELNS1_3gpuE6ELNS1_3repE0EEENS1_30default_config_static_selectorELNS0_4arch9wavefront6targetE1EEEvT1_
    .private_segment_fixed_size: 0
    .sgpr_count:     4
    .sgpr_spill_count: 0
    .symbol:         _ZN7rocprim17ROCPRIM_400000_NS6detail17trampoline_kernelINS0_14default_configENS1_25partition_config_selectorILNS1_17partition_subalgoE8ExNS0_10empty_typeEbEEZZNS1_14partition_implILS5_8ELb0ES3_jN6thrust23THRUST_200600_302600_NS6detail15normal_iteratorINSA_10device_ptrIxEEEEPS6_PKS6_NS0_5tupleIJNSA_16discard_iteratorINSA_11use_defaultEEES6_EEENSJ_IJSG_SG_EEENS0_18inequality_wrapperINSA_8equal_toIxEEEEPmJS6_EEE10hipError_tPvRmT3_T4_T5_T6_T7_T9_mT8_P12ihipStream_tbDpT10_ENKUlT_T0_E_clISt17integral_constantIbLb1EES1C_IbLb0EEEEDaS18_S19_EUlS18_E_NS1_11comp_targetILNS1_3genE2ELNS1_11target_archE906ELNS1_3gpuE6ELNS1_3repE0EEENS1_30default_config_static_selectorELNS0_4arch9wavefront6targetE1EEEvT1_.kd
    .uniform_work_group_size: 1
    .uses_dynamic_stack: false
    .vgpr_count:     0
    .vgpr_spill_count: 0
    .wavefront_size: 64
  - .args:
      - .offset:         0
        .size:           120
        .value_kind:     by_value
    .group_segment_fixed_size: 0
    .kernarg_segment_align: 8
    .kernarg_segment_size: 120
    .language:       OpenCL C
    .language_version:
      - 2
      - 0
    .max_flat_workgroup_size: 384
    .name:           _ZN7rocprim17ROCPRIM_400000_NS6detail17trampoline_kernelINS0_14default_configENS1_25partition_config_selectorILNS1_17partition_subalgoE8ExNS0_10empty_typeEbEEZZNS1_14partition_implILS5_8ELb0ES3_jN6thrust23THRUST_200600_302600_NS6detail15normal_iteratorINSA_10device_ptrIxEEEEPS6_PKS6_NS0_5tupleIJNSA_16discard_iteratorINSA_11use_defaultEEES6_EEENSJ_IJSG_SG_EEENS0_18inequality_wrapperINSA_8equal_toIxEEEEPmJS6_EEE10hipError_tPvRmT3_T4_T5_T6_T7_T9_mT8_P12ihipStream_tbDpT10_ENKUlT_T0_E_clISt17integral_constantIbLb1EES1C_IbLb0EEEEDaS18_S19_EUlS18_E_NS1_11comp_targetILNS1_3genE10ELNS1_11target_archE1200ELNS1_3gpuE4ELNS1_3repE0EEENS1_30default_config_static_selectorELNS0_4arch9wavefront6targetE1EEEvT1_
    .private_segment_fixed_size: 0
    .sgpr_count:     4
    .sgpr_spill_count: 0
    .symbol:         _ZN7rocprim17ROCPRIM_400000_NS6detail17trampoline_kernelINS0_14default_configENS1_25partition_config_selectorILNS1_17partition_subalgoE8ExNS0_10empty_typeEbEEZZNS1_14partition_implILS5_8ELb0ES3_jN6thrust23THRUST_200600_302600_NS6detail15normal_iteratorINSA_10device_ptrIxEEEEPS6_PKS6_NS0_5tupleIJNSA_16discard_iteratorINSA_11use_defaultEEES6_EEENSJ_IJSG_SG_EEENS0_18inequality_wrapperINSA_8equal_toIxEEEEPmJS6_EEE10hipError_tPvRmT3_T4_T5_T6_T7_T9_mT8_P12ihipStream_tbDpT10_ENKUlT_T0_E_clISt17integral_constantIbLb1EES1C_IbLb0EEEEDaS18_S19_EUlS18_E_NS1_11comp_targetILNS1_3genE10ELNS1_11target_archE1200ELNS1_3gpuE4ELNS1_3repE0EEENS1_30default_config_static_selectorELNS0_4arch9wavefront6targetE1EEEvT1_.kd
    .uniform_work_group_size: 1
    .uses_dynamic_stack: false
    .vgpr_count:     0
    .vgpr_spill_count: 0
    .wavefront_size: 64
  - .args:
      - .offset:         0
        .size:           120
        .value_kind:     by_value
    .group_segment_fixed_size: 0
    .kernarg_segment_align: 8
    .kernarg_segment_size: 120
    .language:       OpenCL C
    .language_version:
      - 2
      - 0
    .max_flat_workgroup_size: 512
    .name:           _ZN7rocprim17ROCPRIM_400000_NS6detail17trampoline_kernelINS0_14default_configENS1_25partition_config_selectorILNS1_17partition_subalgoE8ExNS0_10empty_typeEbEEZZNS1_14partition_implILS5_8ELb0ES3_jN6thrust23THRUST_200600_302600_NS6detail15normal_iteratorINSA_10device_ptrIxEEEEPS6_PKS6_NS0_5tupleIJNSA_16discard_iteratorINSA_11use_defaultEEES6_EEENSJ_IJSG_SG_EEENS0_18inequality_wrapperINSA_8equal_toIxEEEEPmJS6_EEE10hipError_tPvRmT3_T4_T5_T6_T7_T9_mT8_P12ihipStream_tbDpT10_ENKUlT_T0_E_clISt17integral_constantIbLb1EES1C_IbLb0EEEEDaS18_S19_EUlS18_E_NS1_11comp_targetILNS1_3genE9ELNS1_11target_archE1100ELNS1_3gpuE3ELNS1_3repE0EEENS1_30default_config_static_selectorELNS0_4arch9wavefront6targetE1EEEvT1_
    .private_segment_fixed_size: 0
    .sgpr_count:     4
    .sgpr_spill_count: 0
    .symbol:         _ZN7rocprim17ROCPRIM_400000_NS6detail17trampoline_kernelINS0_14default_configENS1_25partition_config_selectorILNS1_17partition_subalgoE8ExNS0_10empty_typeEbEEZZNS1_14partition_implILS5_8ELb0ES3_jN6thrust23THRUST_200600_302600_NS6detail15normal_iteratorINSA_10device_ptrIxEEEEPS6_PKS6_NS0_5tupleIJNSA_16discard_iteratorINSA_11use_defaultEEES6_EEENSJ_IJSG_SG_EEENS0_18inequality_wrapperINSA_8equal_toIxEEEEPmJS6_EEE10hipError_tPvRmT3_T4_T5_T6_T7_T9_mT8_P12ihipStream_tbDpT10_ENKUlT_T0_E_clISt17integral_constantIbLb1EES1C_IbLb0EEEEDaS18_S19_EUlS18_E_NS1_11comp_targetILNS1_3genE9ELNS1_11target_archE1100ELNS1_3gpuE3ELNS1_3repE0EEENS1_30default_config_static_selectorELNS0_4arch9wavefront6targetE1EEEvT1_.kd
    .uniform_work_group_size: 1
    .uses_dynamic_stack: false
    .vgpr_count:     0
    .vgpr_spill_count: 0
    .wavefront_size: 64
  - .args:
      - .offset:         0
        .size:           120
        .value_kind:     by_value
    .group_segment_fixed_size: 0
    .kernarg_segment_align: 8
    .kernarg_segment_size: 120
    .language:       OpenCL C
    .language_version:
      - 2
      - 0
    .max_flat_workgroup_size: 512
    .name:           _ZN7rocprim17ROCPRIM_400000_NS6detail17trampoline_kernelINS0_14default_configENS1_25partition_config_selectorILNS1_17partition_subalgoE8ExNS0_10empty_typeEbEEZZNS1_14partition_implILS5_8ELb0ES3_jN6thrust23THRUST_200600_302600_NS6detail15normal_iteratorINSA_10device_ptrIxEEEEPS6_PKS6_NS0_5tupleIJNSA_16discard_iteratorINSA_11use_defaultEEES6_EEENSJ_IJSG_SG_EEENS0_18inequality_wrapperINSA_8equal_toIxEEEEPmJS6_EEE10hipError_tPvRmT3_T4_T5_T6_T7_T9_mT8_P12ihipStream_tbDpT10_ENKUlT_T0_E_clISt17integral_constantIbLb1EES1C_IbLb0EEEEDaS18_S19_EUlS18_E_NS1_11comp_targetILNS1_3genE8ELNS1_11target_archE1030ELNS1_3gpuE2ELNS1_3repE0EEENS1_30default_config_static_selectorELNS0_4arch9wavefront6targetE1EEEvT1_
    .private_segment_fixed_size: 0
    .sgpr_count:     4
    .sgpr_spill_count: 0
    .symbol:         _ZN7rocprim17ROCPRIM_400000_NS6detail17trampoline_kernelINS0_14default_configENS1_25partition_config_selectorILNS1_17partition_subalgoE8ExNS0_10empty_typeEbEEZZNS1_14partition_implILS5_8ELb0ES3_jN6thrust23THRUST_200600_302600_NS6detail15normal_iteratorINSA_10device_ptrIxEEEEPS6_PKS6_NS0_5tupleIJNSA_16discard_iteratorINSA_11use_defaultEEES6_EEENSJ_IJSG_SG_EEENS0_18inequality_wrapperINSA_8equal_toIxEEEEPmJS6_EEE10hipError_tPvRmT3_T4_T5_T6_T7_T9_mT8_P12ihipStream_tbDpT10_ENKUlT_T0_E_clISt17integral_constantIbLb1EES1C_IbLb0EEEEDaS18_S19_EUlS18_E_NS1_11comp_targetILNS1_3genE8ELNS1_11target_archE1030ELNS1_3gpuE2ELNS1_3repE0EEENS1_30default_config_static_selectorELNS0_4arch9wavefront6targetE1EEEvT1_.kd
    .uniform_work_group_size: 1
    .uses_dynamic_stack: false
    .vgpr_count:     0
    .vgpr_spill_count: 0
    .wavefront_size: 64
  - .args:
      - .offset:         0
        .size:           136
        .value_kind:     by_value
    .group_segment_fixed_size: 0
    .kernarg_segment_align: 8
    .kernarg_segment_size: 136
    .language:       OpenCL C
    .language_version:
      - 2
      - 0
    .max_flat_workgroup_size: 512
    .name:           _ZN7rocprim17ROCPRIM_400000_NS6detail17trampoline_kernelINS0_14default_configENS1_25partition_config_selectorILNS1_17partition_subalgoE8ExNS0_10empty_typeEbEEZZNS1_14partition_implILS5_8ELb0ES3_jN6thrust23THRUST_200600_302600_NS6detail15normal_iteratorINSA_10device_ptrIxEEEEPS6_PKS6_NS0_5tupleIJNSA_16discard_iteratorINSA_11use_defaultEEES6_EEENSJ_IJSG_SG_EEENS0_18inequality_wrapperINSA_8equal_toIxEEEEPmJS6_EEE10hipError_tPvRmT3_T4_T5_T6_T7_T9_mT8_P12ihipStream_tbDpT10_ENKUlT_T0_E_clISt17integral_constantIbLb0EES1C_IbLb1EEEEDaS18_S19_EUlS18_E_NS1_11comp_targetILNS1_3genE0ELNS1_11target_archE4294967295ELNS1_3gpuE0ELNS1_3repE0EEENS1_30default_config_static_selectorELNS0_4arch9wavefront6targetE1EEEvT1_
    .private_segment_fixed_size: 0
    .sgpr_count:     4
    .sgpr_spill_count: 0
    .symbol:         _ZN7rocprim17ROCPRIM_400000_NS6detail17trampoline_kernelINS0_14default_configENS1_25partition_config_selectorILNS1_17partition_subalgoE8ExNS0_10empty_typeEbEEZZNS1_14partition_implILS5_8ELb0ES3_jN6thrust23THRUST_200600_302600_NS6detail15normal_iteratorINSA_10device_ptrIxEEEEPS6_PKS6_NS0_5tupleIJNSA_16discard_iteratorINSA_11use_defaultEEES6_EEENSJ_IJSG_SG_EEENS0_18inequality_wrapperINSA_8equal_toIxEEEEPmJS6_EEE10hipError_tPvRmT3_T4_T5_T6_T7_T9_mT8_P12ihipStream_tbDpT10_ENKUlT_T0_E_clISt17integral_constantIbLb0EES1C_IbLb1EEEEDaS18_S19_EUlS18_E_NS1_11comp_targetILNS1_3genE0ELNS1_11target_archE4294967295ELNS1_3gpuE0ELNS1_3repE0EEENS1_30default_config_static_selectorELNS0_4arch9wavefront6targetE1EEEvT1_.kd
    .uniform_work_group_size: 1
    .uses_dynamic_stack: false
    .vgpr_count:     0
    .vgpr_spill_count: 0
    .wavefront_size: 64
  - .args:
      - .offset:         0
        .size:           136
        .value_kind:     by_value
    .group_segment_fixed_size: 0
    .kernarg_segment_align: 8
    .kernarg_segment_size: 136
    .language:       OpenCL C
    .language_version:
      - 2
      - 0
    .max_flat_workgroup_size: 512
    .name:           _ZN7rocprim17ROCPRIM_400000_NS6detail17trampoline_kernelINS0_14default_configENS1_25partition_config_selectorILNS1_17partition_subalgoE8ExNS0_10empty_typeEbEEZZNS1_14partition_implILS5_8ELb0ES3_jN6thrust23THRUST_200600_302600_NS6detail15normal_iteratorINSA_10device_ptrIxEEEEPS6_PKS6_NS0_5tupleIJNSA_16discard_iteratorINSA_11use_defaultEEES6_EEENSJ_IJSG_SG_EEENS0_18inequality_wrapperINSA_8equal_toIxEEEEPmJS6_EEE10hipError_tPvRmT3_T4_T5_T6_T7_T9_mT8_P12ihipStream_tbDpT10_ENKUlT_T0_E_clISt17integral_constantIbLb0EES1C_IbLb1EEEEDaS18_S19_EUlS18_E_NS1_11comp_targetILNS1_3genE5ELNS1_11target_archE942ELNS1_3gpuE9ELNS1_3repE0EEENS1_30default_config_static_selectorELNS0_4arch9wavefront6targetE1EEEvT1_
    .private_segment_fixed_size: 0
    .sgpr_count:     4
    .sgpr_spill_count: 0
    .symbol:         _ZN7rocprim17ROCPRIM_400000_NS6detail17trampoline_kernelINS0_14default_configENS1_25partition_config_selectorILNS1_17partition_subalgoE8ExNS0_10empty_typeEbEEZZNS1_14partition_implILS5_8ELb0ES3_jN6thrust23THRUST_200600_302600_NS6detail15normal_iteratorINSA_10device_ptrIxEEEEPS6_PKS6_NS0_5tupleIJNSA_16discard_iteratorINSA_11use_defaultEEES6_EEENSJ_IJSG_SG_EEENS0_18inequality_wrapperINSA_8equal_toIxEEEEPmJS6_EEE10hipError_tPvRmT3_T4_T5_T6_T7_T9_mT8_P12ihipStream_tbDpT10_ENKUlT_T0_E_clISt17integral_constantIbLb0EES1C_IbLb1EEEEDaS18_S19_EUlS18_E_NS1_11comp_targetILNS1_3genE5ELNS1_11target_archE942ELNS1_3gpuE9ELNS1_3repE0EEENS1_30default_config_static_selectorELNS0_4arch9wavefront6targetE1EEEvT1_.kd
    .uniform_work_group_size: 1
    .uses_dynamic_stack: false
    .vgpr_count:     0
    .vgpr_spill_count: 0
    .wavefront_size: 64
  - .args:
      - .offset:         0
        .size:           136
        .value_kind:     by_value
    .group_segment_fixed_size: 0
    .kernarg_segment_align: 8
    .kernarg_segment_size: 136
    .language:       OpenCL C
    .language_version:
      - 2
      - 0
    .max_flat_workgroup_size: 256
    .name:           _ZN7rocprim17ROCPRIM_400000_NS6detail17trampoline_kernelINS0_14default_configENS1_25partition_config_selectorILNS1_17partition_subalgoE8ExNS0_10empty_typeEbEEZZNS1_14partition_implILS5_8ELb0ES3_jN6thrust23THRUST_200600_302600_NS6detail15normal_iteratorINSA_10device_ptrIxEEEEPS6_PKS6_NS0_5tupleIJNSA_16discard_iteratorINSA_11use_defaultEEES6_EEENSJ_IJSG_SG_EEENS0_18inequality_wrapperINSA_8equal_toIxEEEEPmJS6_EEE10hipError_tPvRmT3_T4_T5_T6_T7_T9_mT8_P12ihipStream_tbDpT10_ENKUlT_T0_E_clISt17integral_constantIbLb0EES1C_IbLb1EEEEDaS18_S19_EUlS18_E_NS1_11comp_targetILNS1_3genE4ELNS1_11target_archE910ELNS1_3gpuE8ELNS1_3repE0EEENS1_30default_config_static_selectorELNS0_4arch9wavefront6targetE1EEEvT1_
    .private_segment_fixed_size: 0
    .sgpr_count:     4
    .sgpr_spill_count: 0
    .symbol:         _ZN7rocprim17ROCPRIM_400000_NS6detail17trampoline_kernelINS0_14default_configENS1_25partition_config_selectorILNS1_17partition_subalgoE8ExNS0_10empty_typeEbEEZZNS1_14partition_implILS5_8ELb0ES3_jN6thrust23THRUST_200600_302600_NS6detail15normal_iteratorINSA_10device_ptrIxEEEEPS6_PKS6_NS0_5tupleIJNSA_16discard_iteratorINSA_11use_defaultEEES6_EEENSJ_IJSG_SG_EEENS0_18inequality_wrapperINSA_8equal_toIxEEEEPmJS6_EEE10hipError_tPvRmT3_T4_T5_T6_T7_T9_mT8_P12ihipStream_tbDpT10_ENKUlT_T0_E_clISt17integral_constantIbLb0EES1C_IbLb1EEEEDaS18_S19_EUlS18_E_NS1_11comp_targetILNS1_3genE4ELNS1_11target_archE910ELNS1_3gpuE8ELNS1_3repE0EEENS1_30default_config_static_selectorELNS0_4arch9wavefront6targetE1EEEvT1_.kd
    .uniform_work_group_size: 1
    .uses_dynamic_stack: false
    .vgpr_count:     0
    .vgpr_spill_count: 0
    .wavefront_size: 64
  - .args:
      - .offset:         0
        .size:           136
        .value_kind:     by_value
    .group_segment_fixed_size: 0
    .kernarg_segment_align: 8
    .kernarg_segment_size: 136
    .language:       OpenCL C
    .language_version:
      - 2
      - 0
    .max_flat_workgroup_size: 512
    .name:           _ZN7rocprim17ROCPRIM_400000_NS6detail17trampoline_kernelINS0_14default_configENS1_25partition_config_selectorILNS1_17partition_subalgoE8ExNS0_10empty_typeEbEEZZNS1_14partition_implILS5_8ELb0ES3_jN6thrust23THRUST_200600_302600_NS6detail15normal_iteratorINSA_10device_ptrIxEEEEPS6_PKS6_NS0_5tupleIJNSA_16discard_iteratorINSA_11use_defaultEEES6_EEENSJ_IJSG_SG_EEENS0_18inequality_wrapperINSA_8equal_toIxEEEEPmJS6_EEE10hipError_tPvRmT3_T4_T5_T6_T7_T9_mT8_P12ihipStream_tbDpT10_ENKUlT_T0_E_clISt17integral_constantIbLb0EES1C_IbLb1EEEEDaS18_S19_EUlS18_E_NS1_11comp_targetILNS1_3genE3ELNS1_11target_archE908ELNS1_3gpuE7ELNS1_3repE0EEENS1_30default_config_static_selectorELNS0_4arch9wavefront6targetE1EEEvT1_
    .private_segment_fixed_size: 0
    .sgpr_count:     4
    .sgpr_spill_count: 0
    .symbol:         _ZN7rocprim17ROCPRIM_400000_NS6detail17trampoline_kernelINS0_14default_configENS1_25partition_config_selectorILNS1_17partition_subalgoE8ExNS0_10empty_typeEbEEZZNS1_14partition_implILS5_8ELb0ES3_jN6thrust23THRUST_200600_302600_NS6detail15normal_iteratorINSA_10device_ptrIxEEEEPS6_PKS6_NS0_5tupleIJNSA_16discard_iteratorINSA_11use_defaultEEES6_EEENSJ_IJSG_SG_EEENS0_18inequality_wrapperINSA_8equal_toIxEEEEPmJS6_EEE10hipError_tPvRmT3_T4_T5_T6_T7_T9_mT8_P12ihipStream_tbDpT10_ENKUlT_T0_E_clISt17integral_constantIbLb0EES1C_IbLb1EEEEDaS18_S19_EUlS18_E_NS1_11comp_targetILNS1_3genE3ELNS1_11target_archE908ELNS1_3gpuE7ELNS1_3repE0EEENS1_30default_config_static_selectorELNS0_4arch9wavefront6targetE1EEEvT1_.kd
    .uniform_work_group_size: 1
    .uses_dynamic_stack: false
    .vgpr_count:     0
    .vgpr_spill_count: 0
    .wavefront_size: 64
  - .args:
      - .offset:         0
        .size:           136
        .value_kind:     by_value
    .group_segment_fixed_size: 14344
    .kernarg_segment_align: 8
    .kernarg_segment_size: 136
    .language:       OpenCL C
    .language_version:
      - 2
      - 0
    .max_flat_workgroup_size: 256
    .name:           _ZN7rocprim17ROCPRIM_400000_NS6detail17trampoline_kernelINS0_14default_configENS1_25partition_config_selectorILNS1_17partition_subalgoE8ExNS0_10empty_typeEbEEZZNS1_14partition_implILS5_8ELb0ES3_jN6thrust23THRUST_200600_302600_NS6detail15normal_iteratorINSA_10device_ptrIxEEEEPS6_PKS6_NS0_5tupleIJNSA_16discard_iteratorINSA_11use_defaultEEES6_EEENSJ_IJSG_SG_EEENS0_18inequality_wrapperINSA_8equal_toIxEEEEPmJS6_EEE10hipError_tPvRmT3_T4_T5_T6_T7_T9_mT8_P12ihipStream_tbDpT10_ENKUlT_T0_E_clISt17integral_constantIbLb0EES1C_IbLb1EEEEDaS18_S19_EUlS18_E_NS1_11comp_targetILNS1_3genE2ELNS1_11target_archE906ELNS1_3gpuE6ELNS1_3repE0EEENS1_30default_config_static_selectorELNS0_4arch9wavefront6targetE1EEEvT1_
    .private_segment_fixed_size: 0
    .sgpr_count:     39
    .sgpr_spill_count: 0
    .symbol:         _ZN7rocprim17ROCPRIM_400000_NS6detail17trampoline_kernelINS0_14default_configENS1_25partition_config_selectorILNS1_17partition_subalgoE8ExNS0_10empty_typeEbEEZZNS1_14partition_implILS5_8ELb0ES3_jN6thrust23THRUST_200600_302600_NS6detail15normal_iteratorINSA_10device_ptrIxEEEEPS6_PKS6_NS0_5tupleIJNSA_16discard_iteratorINSA_11use_defaultEEES6_EEENSJ_IJSG_SG_EEENS0_18inequality_wrapperINSA_8equal_toIxEEEEPmJS6_EEE10hipError_tPvRmT3_T4_T5_T6_T7_T9_mT8_P12ihipStream_tbDpT10_ENKUlT_T0_E_clISt17integral_constantIbLb0EES1C_IbLb1EEEEDaS18_S19_EUlS18_E_NS1_11comp_targetILNS1_3genE2ELNS1_11target_archE906ELNS1_3gpuE6ELNS1_3repE0EEENS1_30default_config_static_selectorELNS0_4arch9wavefront6targetE1EEEvT1_.kd
    .uniform_work_group_size: 1
    .uses_dynamic_stack: false
    .vgpr_count:     59
    .vgpr_spill_count: 0
    .wavefront_size: 64
  - .args:
      - .offset:         0
        .size:           136
        .value_kind:     by_value
    .group_segment_fixed_size: 0
    .kernarg_segment_align: 8
    .kernarg_segment_size: 136
    .language:       OpenCL C
    .language_version:
      - 2
      - 0
    .max_flat_workgroup_size: 384
    .name:           _ZN7rocprim17ROCPRIM_400000_NS6detail17trampoline_kernelINS0_14default_configENS1_25partition_config_selectorILNS1_17partition_subalgoE8ExNS0_10empty_typeEbEEZZNS1_14partition_implILS5_8ELb0ES3_jN6thrust23THRUST_200600_302600_NS6detail15normal_iteratorINSA_10device_ptrIxEEEEPS6_PKS6_NS0_5tupleIJNSA_16discard_iteratorINSA_11use_defaultEEES6_EEENSJ_IJSG_SG_EEENS0_18inequality_wrapperINSA_8equal_toIxEEEEPmJS6_EEE10hipError_tPvRmT3_T4_T5_T6_T7_T9_mT8_P12ihipStream_tbDpT10_ENKUlT_T0_E_clISt17integral_constantIbLb0EES1C_IbLb1EEEEDaS18_S19_EUlS18_E_NS1_11comp_targetILNS1_3genE10ELNS1_11target_archE1200ELNS1_3gpuE4ELNS1_3repE0EEENS1_30default_config_static_selectorELNS0_4arch9wavefront6targetE1EEEvT1_
    .private_segment_fixed_size: 0
    .sgpr_count:     4
    .sgpr_spill_count: 0
    .symbol:         _ZN7rocprim17ROCPRIM_400000_NS6detail17trampoline_kernelINS0_14default_configENS1_25partition_config_selectorILNS1_17partition_subalgoE8ExNS0_10empty_typeEbEEZZNS1_14partition_implILS5_8ELb0ES3_jN6thrust23THRUST_200600_302600_NS6detail15normal_iteratorINSA_10device_ptrIxEEEEPS6_PKS6_NS0_5tupleIJNSA_16discard_iteratorINSA_11use_defaultEEES6_EEENSJ_IJSG_SG_EEENS0_18inequality_wrapperINSA_8equal_toIxEEEEPmJS6_EEE10hipError_tPvRmT3_T4_T5_T6_T7_T9_mT8_P12ihipStream_tbDpT10_ENKUlT_T0_E_clISt17integral_constantIbLb0EES1C_IbLb1EEEEDaS18_S19_EUlS18_E_NS1_11comp_targetILNS1_3genE10ELNS1_11target_archE1200ELNS1_3gpuE4ELNS1_3repE0EEENS1_30default_config_static_selectorELNS0_4arch9wavefront6targetE1EEEvT1_.kd
    .uniform_work_group_size: 1
    .uses_dynamic_stack: false
    .vgpr_count:     0
    .vgpr_spill_count: 0
    .wavefront_size: 64
  - .args:
      - .offset:         0
        .size:           136
        .value_kind:     by_value
    .group_segment_fixed_size: 0
    .kernarg_segment_align: 8
    .kernarg_segment_size: 136
    .language:       OpenCL C
    .language_version:
      - 2
      - 0
    .max_flat_workgroup_size: 512
    .name:           _ZN7rocprim17ROCPRIM_400000_NS6detail17trampoline_kernelINS0_14default_configENS1_25partition_config_selectorILNS1_17partition_subalgoE8ExNS0_10empty_typeEbEEZZNS1_14partition_implILS5_8ELb0ES3_jN6thrust23THRUST_200600_302600_NS6detail15normal_iteratorINSA_10device_ptrIxEEEEPS6_PKS6_NS0_5tupleIJNSA_16discard_iteratorINSA_11use_defaultEEES6_EEENSJ_IJSG_SG_EEENS0_18inequality_wrapperINSA_8equal_toIxEEEEPmJS6_EEE10hipError_tPvRmT3_T4_T5_T6_T7_T9_mT8_P12ihipStream_tbDpT10_ENKUlT_T0_E_clISt17integral_constantIbLb0EES1C_IbLb1EEEEDaS18_S19_EUlS18_E_NS1_11comp_targetILNS1_3genE9ELNS1_11target_archE1100ELNS1_3gpuE3ELNS1_3repE0EEENS1_30default_config_static_selectorELNS0_4arch9wavefront6targetE1EEEvT1_
    .private_segment_fixed_size: 0
    .sgpr_count:     4
    .sgpr_spill_count: 0
    .symbol:         _ZN7rocprim17ROCPRIM_400000_NS6detail17trampoline_kernelINS0_14default_configENS1_25partition_config_selectorILNS1_17partition_subalgoE8ExNS0_10empty_typeEbEEZZNS1_14partition_implILS5_8ELb0ES3_jN6thrust23THRUST_200600_302600_NS6detail15normal_iteratorINSA_10device_ptrIxEEEEPS6_PKS6_NS0_5tupleIJNSA_16discard_iteratorINSA_11use_defaultEEES6_EEENSJ_IJSG_SG_EEENS0_18inequality_wrapperINSA_8equal_toIxEEEEPmJS6_EEE10hipError_tPvRmT3_T4_T5_T6_T7_T9_mT8_P12ihipStream_tbDpT10_ENKUlT_T0_E_clISt17integral_constantIbLb0EES1C_IbLb1EEEEDaS18_S19_EUlS18_E_NS1_11comp_targetILNS1_3genE9ELNS1_11target_archE1100ELNS1_3gpuE3ELNS1_3repE0EEENS1_30default_config_static_selectorELNS0_4arch9wavefront6targetE1EEEvT1_.kd
    .uniform_work_group_size: 1
    .uses_dynamic_stack: false
    .vgpr_count:     0
    .vgpr_spill_count: 0
    .wavefront_size: 64
  - .args:
      - .offset:         0
        .size:           136
        .value_kind:     by_value
    .group_segment_fixed_size: 0
    .kernarg_segment_align: 8
    .kernarg_segment_size: 136
    .language:       OpenCL C
    .language_version:
      - 2
      - 0
    .max_flat_workgroup_size: 512
    .name:           _ZN7rocprim17ROCPRIM_400000_NS6detail17trampoline_kernelINS0_14default_configENS1_25partition_config_selectorILNS1_17partition_subalgoE8ExNS0_10empty_typeEbEEZZNS1_14partition_implILS5_8ELb0ES3_jN6thrust23THRUST_200600_302600_NS6detail15normal_iteratorINSA_10device_ptrIxEEEEPS6_PKS6_NS0_5tupleIJNSA_16discard_iteratorINSA_11use_defaultEEES6_EEENSJ_IJSG_SG_EEENS0_18inequality_wrapperINSA_8equal_toIxEEEEPmJS6_EEE10hipError_tPvRmT3_T4_T5_T6_T7_T9_mT8_P12ihipStream_tbDpT10_ENKUlT_T0_E_clISt17integral_constantIbLb0EES1C_IbLb1EEEEDaS18_S19_EUlS18_E_NS1_11comp_targetILNS1_3genE8ELNS1_11target_archE1030ELNS1_3gpuE2ELNS1_3repE0EEENS1_30default_config_static_selectorELNS0_4arch9wavefront6targetE1EEEvT1_
    .private_segment_fixed_size: 0
    .sgpr_count:     4
    .sgpr_spill_count: 0
    .symbol:         _ZN7rocprim17ROCPRIM_400000_NS6detail17trampoline_kernelINS0_14default_configENS1_25partition_config_selectorILNS1_17partition_subalgoE8ExNS0_10empty_typeEbEEZZNS1_14partition_implILS5_8ELb0ES3_jN6thrust23THRUST_200600_302600_NS6detail15normal_iteratorINSA_10device_ptrIxEEEEPS6_PKS6_NS0_5tupleIJNSA_16discard_iteratorINSA_11use_defaultEEES6_EEENSJ_IJSG_SG_EEENS0_18inequality_wrapperINSA_8equal_toIxEEEEPmJS6_EEE10hipError_tPvRmT3_T4_T5_T6_T7_T9_mT8_P12ihipStream_tbDpT10_ENKUlT_T0_E_clISt17integral_constantIbLb0EES1C_IbLb1EEEEDaS18_S19_EUlS18_E_NS1_11comp_targetILNS1_3genE8ELNS1_11target_archE1030ELNS1_3gpuE2ELNS1_3repE0EEENS1_30default_config_static_selectorELNS0_4arch9wavefront6targetE1EEEvT1_.kd
    .uniform_work_group_size: 1
    .uses_dynamic_stack: false
    .vgpr_count:     0
    .vgpr_spill_count: 0
    .wavefront_size: 64
  - .args:
      - .offset:         0
        .size:           120
        .value_kind:     by_value
    .group_segment_fixed_size: 0
    .kernarg_segment_align: 8
    .kernarg_segment_size: 120
    .language:       OpenCL C
    .language_version:
      - 2
      - 0
    .max_flat_workgroup_size: 512
    .name:           _ZN7rocprim17ROCPRIM_400000_NS6detail17trampoline_kernelINS0_14default_configENS1_25partition_config_selectorILNS1_17partition_subalgoE8EiNS0_10empty_typeEbEEZZNS1_14partition_implILS5_8ELb0ES3_jN6thrust23THRUST_200600_302600_NS6detail15normal_iteratorINSA_10device_ptrIiEEEEPS6_PKS6_NS0_5tupleIJNSA_16discard_iteratorINSA_11use_defaultEEES6_EEENSJ_IJSG_SG_EEENS0_18inequality_wrapperINSA_8equal_toIiEEEEPmJS6_EEE10hipError_tPvRmT3_T4_T5_T6_T7_T9_mT8_P12ihipStream_tbDpT10_ENKUlT_T0_E_clISt17integral_constantIbLb0EES1D_EEDaS18_S19_EUlS18_E_NS1_11comp_targetILNS1_3genE0ELNS1_11target_archE4294967295ELNS1_3gpuE0ELNS1_3repE0EEENS1_30default_config_static_selectorELNS0_4arch9wavefront6targetE1EEEvT1_
    .private_segment_fixed_size: 0
    .sgpr_count:     4
    .sgpr_spill_count: 0
    .symbol:         _ZN7rocprim17ROCPRIM_400000_NS6detail17trampoline_kernelINS0_14default_configENS1_25partition_config_selectorILNS1_17partition_subalgoE8EiNS0_10empty_typeEbEEZZNS1_14partition_implILS5_8ELb0ES3_jN6thrust23THRUST_200600_302600_NS6detail15normal_iteratorINSA_10device_ptrIiEEEEPS6_PKS6_NS0_5tupleIJNSA_16discard_iteratorINSA_11use_defaultEEES6_EEENSJ_IJSG_SG_EEENS0_18inequality_wrapperINSA_8equal_toIiEEEEPmJS6_EEE10hipError_tPvRmT3_T4_T5_T6_T7_T9_mT8_P12ihipStream_tbDpT10_ENKUlT_T0_E_clISt17integral_constantIbLb0EES1D_EEDaS18_S19_EUlS18_E_NS1_11comp_targetILNS1_3genE0ELNS1_11target_archE4294967295ELNS1_3gpuE0ELNS1_3repE0EEENS1_30default_config_static_selectorELNS0_4arch9wavefront6targetE1EEEvT1_.kd
    .uniform_work_group_size: 1
    .uses_dynamic_stack: false
    .vgpr_count:     0
    .vgpr_spill_count: 0
    .wavefront_size: 64
  - .args:
      - .offset:         0
        .size:           120
        .value_kind:     by_value
    .group_segment_fixed_size: 0
    .kernarg_segment_align: 8
    .kernarg_segment_size: 120
    .language:       OpenCL C
    .language_version:
      - 2
      - 0
    .max_flat_workgroup_size: 512
    .name:           _ZN7rocprim17ROCPRIM_400000_NS6detail17trampoline_kernelINS0_14default_configENS1_25partition_config_selectorILNS1_17partition_subalgoE8EiNS0_10empty_typeEbEEZZNS1_14partition_implILS5_8ELb0ES3_jN6thrust23THRUST_200600_302600_NS6detail15normal_iteratorINSA_10device_ptrIiEEEEPS6_PKS6_NS0_5tupleIJNSA_16discard_iteratorINSA_11use_defaultEEES6_EEENSJ_IJSG_SG_EEENS0_18inequality_wrapperINSA_8equal_toIiEEEEPmJS6_EEE10hipError_tPvRmT3_T4_T5_T6_T7_T9_mT8_P12ihipStream_tbDpT10_ENKUlT_T0_E_clISt17integral_constantIbLb0EES1D_EEDaS18_S19_EUlS18_E_NS1_11comp_targetILNS1_3genE5ELNS1_11target_archE942ELNS1_3gpuE9ELNS1_3repE0EEENS1_30default_config_static_selectorELNS0_4arch9wavefront6targetE1EEEvT1_
    .private_segment_fixed_size: 0
    .sgpr_count:     4
    .sgpr_spill_count: 0
    .symbol:         _ZN7rocprim17ROCPRIM_400000_NS6detail17trampoline_kernelINS0_14default_configENS1_25partition_config_selectorILNS1_17partition_subalgoE8EiNS0_10empty_typeEbEEZZNS1_14partition_implILS5_8ELb0ES3_jN6thrust23THRUST_200600_302600_NS6detail15normal_iteratorINSA_10device_ptrIiEEEEPS6_PKS6_NS0_5tupleIJNSA_16discard_iteratorINSA_11use_defaultEEES6_EEENSJ_IJSG_SG_EEENS0_18inequality_wrapperINSA_8equal_toIiEEEEPmJS6_EEE10hipError_tPvRmT3_T4_T5_T6_T7_T9_mT8_P12ihipStream_tbDpT10_ENKUlT_T0_E_clISt17integral_constantIbLb0EES1D_EEDaS18_S19_EUlS18_E_NS1_11comp_targetILNS1_3genE5ELNS1_11target_archE942ELNS1_3gpuE9ELNS1_3repE0EEENS1_30default_config_static_selectorELNS0_4arch9wavefront6targetE1EEEvT1_.kd
    .uniform_work_group_size: 1
    .uses_dynamic_stack: false
    .vgpr_count:     0
    .vgpr_spill_count: 0
    .wavefront_size: 64
  - .args:
      - .offset:         0
        .size:           120
        .value_kind:     by_value
    .group_segment_fixed_size: 0
    .kernarg_segment_align: 8
    .kernarg_segment_size: 120
    .language:       OpenCL C
    .language_version:
      - 2
      - 0
    .max_flat_workgroup_size: 256
    .name:           _ZN7rocprim17ROCPRIM_400000_NS6detail17trampoline_kernelINS0_14default_configENS1_25partition_config_selectorILNS1_17partition_subalgoE8EiNS0_10empty_typeEbEEZZNS1_14partition_implILS5_8ELb0ES3_jN6thrust23THRUST_200600_302600_NS6detail15normal_iteratorINSA_10device_ptrIiEEEEPS6_PKS6_NS0_5tupleIJNSA_16discard_iteratorINSA_11use_defaultEEES6_EEENSJ_IJSG_SG_EEENS0_18inequality_wrapperINSA_8equal_toIiEEEEPmJS6_EEE10hipError_tPvRmT3_T4_T5_T6_T7_T9_mT8_P12ihipStream_tbDpT10_ENKUlT_T0_E_clISt17integral_constantIbLb0EES1D_EEDaS18_S19_EUlS18_E_NS1_11comp_targetILNS1_3genE4ELNS1_11target_archE910ELNS1_3gpuE8ELNS1_3repE0EEENS1_30default_config_static_selectorELNS0_4arch9wavefront6targetE1EEEvT1_
    .private_segment_fixed_size: 0
    .sgpr_count:     4
    .sgpr_spill_count: 0
    .symbol:         _ZN7rocprim17ROCPRIM_400000_NS6detail17trampoline_kernelINS0_14default_configENS1_25partition_config_selectorILNS1_17partition_subalgoE8EiNS0_10empty_typeEbEEZZNS1_14partition_implILS5_8ELb0ES3_jN6thrust23THRUST_200600_302600_NS6detail15normal_iteratorINSA_10device_ptrIiEEEEPS6_PKS6_NS0_5tupleIJNSA_16discard_iteratorINSA_11use_defaultEEES6_EEENSJ_IJSG_SG_EEENS0_18inequality_wrapperINSA_8equal_toIiEEEEPmJS6_EEE10hipError_tPvRmT3_T4_T5_T6_T7_T9_mT8_P12ihipStream_tbDpT10_ENKUlT_T0_E_clISt17integral_constantIbLb0EES1D_EEDaS18_S19_EUlS18_E_NS1_11comp_targetILNS1_3genE4ELNS1_11target_archE910ELNS1_3gpuE8ELNS1_3repE0EEENS1_30default_config_static_selectorELNS0_4arch9wavefront6targetE1EEEvT1_.kd
    .uniform_work_group_size: 1
    .uses_dynamic_stack: false
    .vgpr_count:     0
    .vgpr_spill_count: 0
    .wavefront_size: 64
  - .args:
      - .offset:         0
        .size:           120
        .value_kind:     by_value
    .group_segment_fixed_size: 0
    .kernarg_segment_align: 8
    .kernarg_segment_size: 120
    .language:       OpenCL C
    .language_version:
      - 2
      - 0
    .max_flat_workgroup_size: 512
    .name:           _ZN7rocprim17ROCPRIM_400000_NS6detail17trampoline_kernelINS0_14default_configENS1_25partition_config_selectorILNS1_17partition_subalgoE8EiNS0_10empty_typeEbEEZZNS1_14partition_implILS5_8ELb0ES3_jN6thrust23THRUST_200600_302600_NS6detail15normal_iteratorINSA_10device_ptrIiEEEEPS6_PKS6_NS0_5tupleIJNSA_16discard_iteratorINSA_11use_defaultEEES6_EEENSJ_IJSG_SG_EEENS0_18inequality_wrapperINSA_8equal_toIiEEEEPmJS6_EEE10hipError_tPvRmT3_T4_T5_T6_T7_T9_mT8_P12ihipStream_tbDpT10_ENKUlT_T0_E_clISt17integral_constantIbLb0EES1D_EEDaS18_S19_EUlS18_E_NS1_11comp_targetILNS1_3genE3ELNS1_11target_archE908ELNS1_3gpuE7ELNS1_3repE0EEENS1_30default_config_static_selectorELNS0_4arch9wavefront6targetE1EEEvT1_
    .private_segment_fixed_size: 0
    .sgpr_count:     4
    .sgpr_spill_count: 0
    .symbol:         _ZN7rocprim17ROCPRIM_400000_NS6detail17trampoline_kernelINS0_14default_configENS1_25partition_config_selectorILNS1_17partition_subalgoE8EiNS0_10empty_typeEbEEZZNS1_14partition_implILS5_8ELb0ES3_jN6thrust23THRUST_200600_302600_NS6detail15normal_iteratorINSA_10device_ptrIiEEEEPS6_PKS6_NS0_5tupleIJNSA_16discard_iteratorINSA_11use_defaultEEES6_EEENSJ_IJSG_SG_EEENS0_18inequality_wrapperINSA_8equal_toIiEEEEPmJS6_EEE10hipError_tPvRmT3_T4_T5_T6_T7_T9_mT8_P12ihipStream_tbDpT10_ENKUlT_T0_E_clISt17integral_constantIbLb0EES1D_EEDaS18_S19_EUlS18_E_NS1_11comp_targetILNS1_3genE3ELNS1_11target_archE908ELNS1_3gpuE7ELNS1_3repE0EEENS1_30default_config_static_selectorELNS0_4arch9wavefront6targetE1EEEvT1_.kd
    .uniform_work_group_size: 1
    .uses_dynamic_stack: false
    .vgpr_count:     0
    .vgpr_spill_count: 0
    .wavefront_size: 64
  - .args:
      - .offset:         0
        .size:           120
        .value_kind:     by_value
    .group_segment_fixed_size: 16904
    .kernarg_segment_align: 8
    .kernarg_segment_size: 120
    .language:       OpenCL C
    .language_version:
      - 2
      - 0
    .max_flat_workgroup_size: 256
    .name:           _ZN7rocprim17ROCPRIM_400000_NS6detail17trampoline_kernelINS0_14default_configENS1_25partition_config_selectorILNS1_17partition_subalgoE8EiNS0_10empty_typeEbEEZZNS1_14partition_implILS5_8ELb0ES3_jN6thrust23THRUST_200600_302600_NS6detail15normal_iteratorINSA_10device_ptrIiEEEEPS6_PKS6_NS0_5tupleIJNSA_16discard_iteratorINSA_11use_defaultEEES6_EEENSJ_IJSG_SG_EEENS0_18inequality_wrapperINSA_8equal_toIiEEEEPmJS6_EEE10hipError_tPvRmT3_T4_T5_T6_T7_T9_mT8_P12ihipStream_tbDpT10_ENKUlT_T0_E_clISt17integral_constantIbLb0EES1D_EEDaS18_S19_EUlS18_E_NS1_11comp_targetILNS1_3genE2ELNS1_11target_archE906ELNS1_3gpuE6ELNS1_3repE0EEENS1_30default_config_static_selectorELNS0_4arch9wavefront6targetE1EEEvT1_
    .private_segment_fixed_size: 0
    .sgpr_count:     58
    .sgpr_spill_count: 0
    .symbol:         _ZN7rocprim17ROCPRIM_400000_NS6detail17trampoline_kernelINS0_14default_configENS1_25partition_config_selectorILNS1_17partition_subalgoE8EiNS0_10empty_typeEbEEZZNS1_14partition_implILS5_8ELb0ES3_jN6thrust23THRUST_200600_302600_NS6detail15normal_iteratorINSA_10device_ptrIiEEEEPS6_PKS6_NS0_5tupleIJNSA_16discard_iteratorINSA_11use_defaultEEES6_EEENSJ_IJSG_SG_EEENS0_18inequality_wrapperINSA_8equal_toIiEEEEPmJS6_EEE10hipError_tPvRmT3_T4_T5_T6_T7_T9_mT8_P12ihipStream_tbDpT10_ENKUlT_T0_E_clISt17integral_constantIbLb0EES1D_EEDaS18_S19_EUlS18_E_NS1_11comp_targetILNS1_3genE2ELNS1_11target_archE906ELNS1_3gpuE6ELNS1_3repE0EEENS1_30default_config_static_selectorELNS0_4arch9wavefront6targetE1EEEvT1_.kd
    .uniform_work_group_size: 1
    .uses_dynamic_stack: false
    .vgpr_count:     75
    .vgpr_spill_count: 0
    .wavefront_size: 64
  - .args:
      - .offset:         0
        .size:           120
        .value_kind:     by_value
    .group_segment_fixed_size: 0
    .kernarg_segment_align: 8
    .kernarg_segment_size: 120
    .language:       OpenCL C
    .language_version:
      - 2
      - 0
    .max_flat_workgroup_size: 384
    .name:           _ZN7rocprim17ROCPRIM_400000_NS6detail17trampoline_kernelINS0_14default_configENS1_25partition_config_selectorILNS1_17partition_subalgoE8EiNS0_10empty_typeEbEEZZNS1_14partition_implILS5_8ELb0ES3_jN6thrust23THRUST_200600_302600_NS6detail15normal_iteratorINSA_10device_ptrIiEEEEPS6_PKS6_NS0_5tupleIJNSA_16discard_iteratorINSA_11use_defaultEEES6_EEENSJ_IJSG_SG_EEENS0_18inequality_wrapperINSA_8equal_toIiEEEEPmJS6_EEE10hipError_tPvRmT3_T4_T5_T6_T7_T9_mT8_P12ihipStream_tbDpT10_ENKUlT_T0_E_clISt17integral_constantIbLb0EES1D_EEDaS18_S19_EUlS18_E_NS1_11comp_targetILNS1_3genE10ELNS1_11target_archE1200ELNS1_3gpuE4ELNS1_3repE0EEENS1_30default_config_static_selectorELNS0_4arch9wavefront6targetE1EEEvT1_
    .private_segment_fixed_size: 0
    .sgpr_count:     4
    .sgpr_spill_count: 0
    .symbol:         _ZN7rocprim17ROCPRIM_400000_NS6detail17trampoline_kernelINS0_14default_configENS1_25partition_config_selectorILNS1_17partition_subalgoE8EiNS0_10empty_typeEbEEZZNS1_14partition_implILS5_8ELb0ES3_jN6thrust23THRUST_200600_302600_NS6detail15normal_iteratorINSA_10device_ptrIiEEEEPS6_PKS6_NS0_5tupleIJNSA_16discard_iteratorINSA_11use_defaultEEES6_EEENSJ_IJSG_SG_EEENS0_18inequality_wrapperINSA_8equal_toIiEEEEPmJS6_EEE10hipError_tPvRmT3_T4_T5_T6_T7_T9_mT8_P12ihipStream_tbDpT10_ENKUlT_T0_E_clISt17integral_constantIbLb0EES1D_EEDaS18_S19_EUlS18_E_NS1_11comp_targetILNS1_3genE10ELNS1_11target_archE1200ELNS1_3gpuE4ELNS1_3repE0EEENS1_30default_config_static_selectorELNS0_4arch9wavefront6targetE1EEEvT1_.kd
    .uniform_work_group_size: 1
    .uses_dynamic_stack: false
    .vgpr_count:     0
    .vgpr_spill_count: 0
    .wavefront_size: 64
  - .args:
      - .offset:         0
        .size:           120
        .value_kind:     by_value
    .group_segment_fixed_size: 0
    .kernarg_segment_align: 8
    .kernarg_segment_size: 120
    .language:       OpenCL C
    .language_version:
      - 2
      - 0
    .max_flat_workgroup_size: 384
    .name:           _ZN7rocprim17ROCPRIM_400000_NS6detail17trampoline_kernelINS0_14default_configENS1_25partition_config_selectorILNS1_17partition_subalgoE8EiNS0_10empty_typeEbEEZZNS1_14partition_implILS5_8ELb0ES3_jN6thrust23THRUST_200600_302600_NS6detail15normal_iteratorINSA_10device_ptrIiEEEEPS6_PKS6_NS0_5tupleIJNSA_16discard_iteratorINSA_11use_defaultEEES6_EEENSJ_IJSG_SG_EEENS0_18inequality_wrapperINSA_8equal_toIiEEEEPmJS6_EEE10hipError_tPvRmT3_T4_T5_T6_T7_T9_mT8_P12ihipStream_tbDpT10_ENKUlT_T0_E_clISt17integral_constantIbLb0EES1D_EEDaS18_S19_EUlS18_E_NS1_11comp_targetILNS1_3genE9ELNS1_11target_archE1100ELNS1_3gpuE3ELNS1_3repE0EEENS1_30default_config_static_selectorELNS0_4arch9wavefront6targetE1EEEvT1_
    .private_segment_fixed_size: 0
    .sgpr_count:     4
    .sgpr_spill_count: 0
    .symbol:         _ZN7rocprim17ROCPRIM_400000_NS6detail17trampoline_kernelINS0_14default_configENS1_25partition_config_selectorILNS1_17partition_subalgoE8EiNS0_10empty_typeEbEEZZNS1_14partition_implILS5_8ELb0ES3_jN6thrust23THRUST_200600_302600_NS6detail15normal_iteratorINSA_10device_ptrIiEEEEPS6_PKS6_NS0_5tupleIJNSA_16discard_iteratorINSA_11use_defaultEEES6_EEENSJ_IJSG_SG_EEENS0_18inequality_wrapperINSA_8equal_toIiEEEEPmJS6_EEE10hipError_tPvRmT3_T4_T5_T6_T7_T9_mT8_P12ihipStream_tbDpT10_ENKUlT_T0_E_clISt17integral_constantIbLb0EES1D_EEDaS18_S19_EUlS18_E_NS1_11comp_targetILNS1_3genE9ELNS1_11target_archE1100ELNS1_3gpuE3ELNS1_3repE0EEENS1_30default_config_static_selectorELNS0_4arch9wavefront6targetE1EEEvT1_.kd
    .uniform_work_group_size: 1
    .uses_dynamic_stack: false
    .vgpr_count:     0
    .vgpr_spill_count: 0
    .wavefront_size: 64
  - .args:
      - .offset:         0
        .size:           120
        .value_kind:     by_value
    .group_segment_fixed_size: 0
    .kernarg_segment_align: 8
    .kernarg_segment_size: 120
    .language:       OpenCL C
    .language_version:
      - 2
      - 0
    .max_flat_workgroup_size: 512
    .name:           _ZN7rocprim17ROCPRIM_400000_NS6detail17trampoline_kernelINS0_14default_configENS1_25partition_config_selectorILNS1_17partition_subalgoE8EiNS0_10empty_typeEbEEZZNS1_14partition_implILS5_8ELb0ES3_jN6thrust23THRUST_200600_302600_NS6detail15normal_iteratorINSA_10device_ptrIiEEEEPS6_PKS6_NS0_5tupleIJNSA_16discard_iteratorINSA_11use_defaultEEES6_EEENSJ_IJSG_SG_EEENS0_18inequality_wrapperINSA_8equal_toIiEEEEPmJS6_EEE10hipError_tPvRmT3_T4_T5_T6_T7_T9_mT8_P12ihipStream_tbDpT10_ENKUlT_T0_E_clISt17integral_constantIbLb0EES1D_EEDaS18_S19_EUlS18_E_NS1_11comp_targetILNS1_3genE8ELNS1_11target_archE1030ELNS1_3gpuE2ELNS1_3repE0EEENS1_30default_config_static_selectorELNS0_4arch9wavefront6targetE1EEEvT1_
    .private_segment_fixed_size: 0
    .sgpr_count:     4
    .sgpr_spill_count: 0
    .symbol:         _ZN7rocprim17ROCPRIM_400000_NS6detail17trampoline_kernelINS0_14default_configENS1_25partition_config_selectorILNS1_17partition_subalgoE8EiNS0_10empty_typeEbEEZZNS1_14partition_implILS5_8ELb0ES3_jN6thrust23THRUST_200600_302600_NS6detail15normal_iteratorINSA_10device_ptrIiEEEEPS6_PKS6_NS0_5tupleIJNSA_16discard_iteratorINSA_11use_defaultEEES6_EEENSJ_IJSG_SG_EEENS0_18inequality_wrapperINSA_8equal_toIiEEEEPmJS6_EEE10hipError_tPvRmT3_T4_T5_T6_T7_T9_mT8_P12ihipStream_tbDpT10_ENKUlT_T0_E_clISt17integral_constantIbLb0EES1D_EEDaS18_S19_EUlS18_E_NS1_11comp_targetILNS1_3genE8ELNS1_11target_archE1030ELNS1_3gpuE2ELNS1_3repE0EEENS1_30default_config_static_selectorELNS0_4arch9wavefront6targetE1EEEvT1_.kd
    .uniform_work_group_size: 1
    .uses_dynamic_stack: false
    .vgpr_count:     0
    .vgpr_spill_count: 0
    .wavefront_size: 64
  - .args:
      - .offset:         0
        .size:           136
        .value_kind:     by_value
    .group_segment_fixed_size: 0
    .kernarg_segment_align: 8
    .kernarg_segment_size: 136
    .language:       OpenCL C
    .language_version:
      - 2
      - 0
    .max_flat_workgroup_size: 512
    .name:           _ZN7rocprim17ROCPRIM_400000_NS6detail17trampoline_kernelINS0_14default_configENS1_25partition_config_selectorILNS1_17partition_subalgoE8EiNS0_10empty_typeEbEEZZNS1_14partition_implILS5_8ELb0ES3_jN6thrust23THRUST_200600_302600_NS6detail15normal_iteratorINSA_10device_ptrIiEEEEPS6_PKS6_NS0_5tupleIJNSA_16discard_iteratorINSA_11use_defaultEEES6_EEENSJ_IJSG_SG_EEENS0_18inequality_wrapperINSA_8equal_toIiEEEEPmJS6_EEE10hipError_tPvRmT3_T4_T5_T6_T7_T9_mT8_P12ihipStream_tbDpT10_ENKUlT_T0_E_clISt17integral_constantIbLb1EES1D_EEDaS18_S19_EUlS18_E_NS1_11comp_targetILNS1_3genE0ELNS1_11target_archE4294967295ELNS1_3gpuE0ELNS1_3repE0EEENS1_30default_config_static_selectorELNS0_4arch9wavefront6targetE1EEEvT1_
    .private_segment_fixed_size: 0
    .sgpr_count:     4
    .sgpr_spill_count: 0
    .symbol:         _ZN7rocprim17ROCPRIM_400000_NS6detail17trampoline_kernelINS0_14default_configENS1_25partition_config_selectorILNS1_17partition_subalgoE8EiNS0_10empty_typeEbEEZZNS1_14partition_implILS5_8ELb0ES3_jN6thrust23THRUST_200600_302600_NS6detail15normal_iteratorINSA_10device_ptrIiEEEEPS6_PKS6_NS0_5tupleIJNSA_16discard_iteratorINSA_11use_defaultEEES6_EEENSJ_IJSG_SG_EEENS0_18inequality_wrapperINSA_8equal_toIiEEEEPmJS6_EEE10hipError_tPvRmT3_T4_T5_T6_T7_T9_mT8_P12ihipStream_tbDpT10_ENKUlT_T0_E_clISt17integral_constantIbLb1EES1D_EEDaS18_S19_EUlS18_E_NS1_11comp_targetILNS1_3genE0ELNS1_11target_archE4294967295ELNS1_3gpuE0ELNS1_3repE0EEENS1_30default_config_static_selectorELNS0_4arch9wavefront6targetE1EEEvT1_.kd
    .uniform_work_group_size: 1
    .uses_dynamic_stack: false
    .vgpr_count:     0
    .vgpr_spill_count: 0
    .wavefront_size: 64
  - .args:
      - .offset:         0
        .size:           136
        .value_kind:     by_value
    .group_segment_fixed_size: 0
    .kernarg_segment_align: 8
    .kernarg_segment_size: 136
    .language:       OpenCL C
    .language_version:
      - 2
      - 0
    .max_flat_workgroup_size: 512
    .name:           _ZN7rocprim17ROCPRIM_400000_NS6detail17trampoline_kernelINS0_14default_configENS1_25partition_config_selectorILNS1_17partition_subalgoE8EiNS0_10empty_typeEbEEZZNS1_14partition_implILS5_8ELb0ES3_jN6thrust23THRUST_200600_302600_NS6detail15normal_iteratorINSA_10device_ptrIiEEEEPS6_PKS6_NS0_5tupleIJNSA_16discard_iteratorINSA_11use_defaultEEES6_EEENSJ_IJSG_SG_EEENS0_18inequality_wrapperINSA_8equal_toIiEEEEPmJS6_EEE10hipError_tPvRmT3_T4_T5_T6_T7_T9_mT8_P12ihipStream_tbDpT10_ENKUlT_T0_E_clISt17integral_constantIbLb1EES1D_EEDaS18_S19_EUlS18_E_NS1_11comp_targetILNS1_3genE5ELNS1_11target_archE942ELNS1_3gpuE9ELNS1_3repE0EEENS1_30default_config_static_selectorELNS0_4arch9wavefront6targetE1EEEvT1_
    .private_segment_fixed_size: 0
    .sgpr_count:     4
    .sgpr_spill_count: 0
    .symbol:         _ZN7rocprim17ROCPRIM_400000_NS6detail17trampoline_kernelINS0_14default_configENS1_25partition_config_selectorILNS1_17partition_subalgoE8EiNS0_10empty_typeEbEEZZNS1_14partition_implILS5_8ELb0ES3_jN6thrust23THRUST_200600_302600_NS6detail15normal_iteratorINSA_10device_ptrIiEEEEPS6_PKS6_NS0_5tupleIJNSA_16discard_iteratorINSA_11use_defaultEEES6_EEENSJ_IJSG_SG_EEENS0_18inequality_wrapperINSA_8equal_toIiEEEEPmJS6_EEE10hipError_tPvRmT3_T4_T5_T6_T7_T9_mT8_P12ihipStream_tbDpT10_ENKUlT_T0_E_clISt17integral_constantIbLb1EES1D_EEDaS18_S19_EUlS18_E_NS1_11comp_targetILNS1_3genE5ELNS1_11target_archE942ELNS1_3gpuE9ELNS1_3repE0EEENS1_30default_config_static_selectorELNS0_4arch9wavefront6targetE1EEEvT1_.kd
    .uniform_work_group_size: 1
    .uses_dynamic_stack: false
    .vgpr_count:     0
    .vgpr_spill_count: 0
    .wavefront_size: 64
  - .args:
      - .offset:         0
        .size:           136
        .value_kind:     by_value
    .group_segment_fixed_size: 0
    .kernarg_segment_align: 8
    .kernarg_segment_size: 136
    .language:       OpenCL C
    .language_version:
      - 2
      - 0
    .max_flat_workgroup_size: 256
    .name:           _ZN7rocprim17ROCPRIM_400000_NS6detail17trampoline_kernelINS0_14default_configENS1_25partition_config_selectorILNS1_17partition_subalgoE8EiNS0_10empty_typeEbEEZZNS1_14partition_implILS5_8ELb0ES3_jN6thrust23THRUST_200600_302600_NS6detail15normal_iteratorINSA_10device_ptrIiEEEEPS6_PKS6_NS0_5tupleIJNSA_16discard_iteratorINSA_11use_defaultEEES6_EEENSJ_IJSG_SG_EEENS0_18inequality_wrapperINSA_8equal_toIiEEEEPmJS6_EEE10hipError_tPvRmT3_T4_T5_T6_T7_T9_mT8_P12ihipStream_tbDpT10_ENKUlT_T0_E_clISt17integral_constantIbLb1EES1D_EEDaS18_S19_EUlS18_E_NS1_11comp_targetILNS1_3genE4ELNS1_11target_archE910ELNS1_3gpuE8ELNS1_3repE0EEENS1_30default_config_static_selectorELNS0_4arch9wavefront6targetE1EEEvT1_
    .private_segment_fixed_size: 0
    .sgpr_count:     4
    .sgpr_spill_count: 0
    .symbol:         _ZN7rocprim17ROCPRIM_400000_NS6detail17trampoline_kernelINS0_14default_configENS1_25partition_config_selectorILNS1_17partition_subalgoE8EiNS0_10empty_typeEbEEZZNS1_14partition_implILS5_8ELb0ES3_jN6thrust23THRUST_200600_302600_NS6detail15normal_iteratorINSA_10device_ptrIiEEEEPS6_PKS6_NS0_5tupleIJNSA_16discard_iteratorINSA_11use_defaultEEES6_EEENSJ_IJSG_SG_EEENS0_18inequality_wrapperINSA_8equal_toIiEEEEPmJS6_EEE10hipError_tPvRmT3_T4_T5_T6_T7_T9_mT8_P12ihipStream_tbDpT10_ENKUlT_T0_E_clISt17integral_constantIbLb1EES1D_EEDaS18_S19_EUlS18_E_NS1_11comp_targetILNS1_3genE4ELNS1_11target_archE910ELNS1_3gpuE8ELNS1_3repE0EEENS1_30default_config_static_selectorELNS0_4arch9wavefront6targetE1EEEvT1_.kd
    .uniform_work_group_size: 1
    .uses_dynamic_stack: false
    .vgpr_count:     0
    .vgpr_spill_count: 0
    .wavefront_size: 64
  - .args:
      - .offset:         0
        .size:           136
        .value_kind:     by_value
    .group_segment_fixed_size: 0
    .kernarg_segment_align: 8
    .kernarg_segment_size: 136
    .language:       OpenCL C
    .language_version:
      - 2
      - 0
    .max_flat_workgroup_size: 512
    .name:           _ZN7rocprim17ROCPRIM_400000_NS6detail17trampoline_kernelINS0_14default_configENS1_25partition_config_selectorILNS1_17partition_subalgoE8EiNS0_10empty_typeEbEEZZNS1_14partition_implILS5_8ELb0ES3_jN6thrust23THRUST_200600_302600_NS6detail15normal_iteratorINSA_10device_ptrIiEEEEPS6_PKS6_NS0_5tupleIJNSA_16discard_iteratorINSA_11use_defaultEEES6_EEENSJ_IJSG_SG_EEENS0_18inequality_wrapperINSA_8equal_toIiEEEEPmJS6_EEE10hipError_tPvRmT3_T4_T5_T6_T7_T9_mT8_P12ihipStream_tbDpT10_ENKUlT_T0_E_clISt17integral_constantIbLb1EES1D_EEDaS18_S19_EUlS18_E_NS1_11comp_targetILNS1_3genE3ELNS1_11target_archE908ELNS1_3gpuE7ELNS1_3repE0EEENS1_30default_config_static_selectorELNS0_4arch9wavefront6targetE1EEEvT1_
    .private_segment_fixed_size: 0
    .sgpr_count:     4
    .sgpr_spill_count: 0
    .symbol:         _ZN7rocprim17ROCPRIM_400000_NS6detail17trampoline_kernelINS0_14default_configENS1_25partition_config_selectorILNS1_17partition_subalgoE8EiNS0_10empty_typeEbEEZZNS1_14partition_implILS5_8ELb0ES3_jN6thrust23THRUST_200600_302600_NS6detail15normal_iteratorINSA_10device_ptrIiEEEEPS6_PKS6_NS0_5tupleIJNSA_16discard_iteratorINSA_11use_defaultEEES6_EEENSJ_IJSG_SG_EEENS0_18inequality_wrapperINSA_8equal_toIiEEEEPmJS6_EEE10hipError_tPvRmT3_T4_T5_T6_T7_T9_mT8_P12ihipStream_tbDpT10_ENKUlT_T0_E_clISt17integral_constantIbLb1EES1D_EEDaS18_S19_EUlS18_E_NS1_11comp_targetILNS1_3genE3ELNS1_11target_archE908ELNS1_3gpuE7ELNS1_3repE0EEENS1_30default_config_static_selectorELNS0_4arch9wavefront6targetE1EEEvT1_.kd
    .uniform_work_group_size: 1
    .uses_dynamic_stack: false
    .vgpr_count:     0
    .vgpr_spill_count: 0
    .wavefront_size: 64
  - .args:
      - .offset:         0
        .size:           136
        .value_kind:     by_value
    .group_segment_fixed_size: 0
    .kernarg_segment_align: 8
    .kernarg_segment_size: 136
    .language:       OpenCL C
    .language_version:
      - 2
      - 0
    .max_flat_workgroup_size: 256
    .name:           _ZN7rocprim17ROCPRIM_400000_NS6detail17trampoline_kernelINS0_14default_configENS1_25partition_config_selectorILNS1_17partition_subalgoE8EiNS0_10empty_typeEbEEZZNS1_14partition_implILS5_8ELb0ES3_jN6thrust23THRUST_200600_302600_NS6detail15normal_iteratorINSA_10device_ptrIiEEEEPS6_PKS6_NS0_5tupleIJNSA_16discard_iteratorINSA_11use_defaultEEES6_EEENSJ_IJSG_SG_EEENS0_18inequality_wrapperINSA_8equal_toIiEEEEPmJS6_EEE10hipError_tPvRmT3_T4_T5_T6_T7_T9_mT8_P12ihipStream_tbDpT10_ENKUlT_T0_E_clISt17integral_constantIbLb1EES1D_EEDaS18_S19_EUlS18_E_NS1_11comp_targetILNS1_3genE2ELNS1_11target_archE906ELNS1_3gpuE6ELNS1_3repE0EEENS1_30default_config_static_selectorELNS0_4arch9wavefront6targetE1EEEvT1_
    .private_segment_fixed_size: 0
    .sgpr_count:     4
    .sgpr_spill_count: 0
    .symbol:         _ZN7rocprim17ROCPRIM_400000_NS6detail17trampoline_kernelINS0_14default_configENS1_25partition_config_selectorILNS1_17partition_subalgoE8EiNS0_10empty_typeEbEEZZNS1_14partition_implILS5_8ELb0ES3_jN6thrust23THRUST_200600_302600_NS6detail15normal_iteratorINSA_10device_ptrIiEEEEPS6_PKS6_NS0_5tupleIJNSA_16discard_iteratorINSA_11use_defaultEEES6_EEENSJ_IJSG_SG_EEENS0_18inequality_wrapperINSA_8equal_toIiEEEEPmJS6_EEE10hipError_tPvRmT3_T4_T5_T6_T7_T9_mT8_P12ihipStream_tbDpT10_ENKUlT_T0_E_clISt17integral_constantIbLb1EES1D_EEDaS18_S19_EUlS18_E_NS1_11comp_targetILNS1_3genE2ELNS1_11target_archE906ELNS1_3gpuE6ELNS1_3repE0EEENS1_30default_config_static_selectorELNS0_4arch9wavefront6targetE1EEEvT1_.kd
    .uniform_work_group_size: 1
    .uses_dynamic_stack: false
    .vgpr_count:     0
    .vgpr_spill_count: 0
    .wavefront_size: 64
  - .args:
      - .offset:         0
        .size:           136
        .value_kind:     by_value
    .group_segment_fixed_size: 0
    .kernarg_segment_align: 8
    .kernarg_segment_size: 136
    .language:       OpenCL C
    .language_version:
      - 2
      - 0
    .max_flat_workgroup_size: 384
    .name:           _ZN7rocprim17ROCPRIM_400000_NS6detail17trampoline_kernelINS0_14default_configENS1_25partition_config_selectorILNS1_17partition_subalgoE8EiNS0_10empty_typeEbEEZZNS1_14partition_implILS5_8ELb0ES3_jN6thrust23THRUST_200600_302600_NS6detail15normal_iteratorINSA_10device_ptrIiEEEEPS6_PKS6_NS0_5tupleIJNSA_16discard_iteratorINSA_11use_defaultEEES6_EEENSJ_IJSG_SG_EEENS0_18inequality_wrapperINSA_8equal_toIiEEEEPmJS6_EEE10hipError_tPvRmT3_T4_T5_T6_T7_T9_mT8_P12ihipStream_tbDpT10_ENKUlT_T0_E_clISt17integral_constantIbLb1EES1D_EEDaS18_S19_EUlS18_E_NS1_11comp_targetILNS1_3genE10ELNS1_11target_archE1200ELNS1_3gpuE4ELNS1_3repE0EEENS1_30default_config_static_selectorELNS0_4arch9wavefront6targetE1EEEvT1_
    .private_segment_fixed_size: 0
    .sgpr_count:     4
    .sgpr_spill_count: 0
    .symbol:         _ZN7rocprim17ROCPRIM_400000_NS6detail17trampoline_kernelINS0_14default_configENS1_25partition_config_selectorILNS1_17partition_subalgoE8EiNS0_10empty_typeEbEEZZNS1_14partition_implILS5_8ELb0ES3_jN6thrust23THRUST_200600_302600_NS6detail15normal_iteratorINSA_10device_ptrIiEEEEPS6_PKS6_NS0_5tupleIJNSA_16discard_iteratorINSA_11use_defaultEEES6_EEENSJ_IJSG_SG_EEENS0_18inequality_wrapperINSA_8equal_toIiEEEEPmJS6_EEE10hipError_tPvRmT3_T4_T5_T6_T7_T9_mT8_P12ihipStream_tbDpT10_ENKUlT_T0_E_clISt17integral_constantIbLb1EES1D_EEDaS18_S19_EUlS18_E_NS1_11comp_targetILNS1_3genE10ELNS1_11target_archE1200ELNS1_3gpuE4ELNS1_3repE0EEENS1_30default_config_static_selectorELNS0_4arch9wavefront6targetE1EEEvT1_.kd
    .uniform_work_group_size: 1
    .uses_dynamic_stack: false
    .vgpr_count:     0
    .vgpr_spill_count: 0
    .wavefront_size: 64
  - .args:
      - .offset:         0
        .size:           136
        .value_kind:     by_value
    .group_segment_fixed_size: 0
    .kernarg_segment_align: 8
    .kernarg_segment_size: 136
    .language:       OpenCL C
    .language_version:
      - 2
      - 0
    .max_flat_workgroup_size: 384
    .name:           _ZN7rocprim17ROCPRIM_400000_NS6detail17trampoline_kernelINS0_14default_configENS1_25partition_config_selectorILNS1_17partition_subalgoE8EiNS0_10empty_typeEbEEZZNS1_14partition_implILS5_8ELb0ES3_jN6thrust23THRUST_200600_302600_NS6detail15normal_iteratorINSA_10device_ptrIiEEEEPS6_PKS6_NS0_5tupleIJNSA_16discard_iteratorINSA_11use_defaultEEES6_EEENSJ_IJSG_SG_EEENS0_18inequality_wrapperINSA_8equal_toIiEEEEPmJS6_EEE10hipError_tPvRmT3_T4_T5_T6_T7_T9_mT8_P12ihipStream_tbDpT10_ENKUlT_T0_E_clISt17integral_constantIbLb1EES1D_EEDaS18_S19_EUlS18_E_NS1_11comp_targetILNS1_3genE9ELNS1_11target_archE1100ELNS1_3gpuE3ELNS1_3repE0EEENS1_30default_config_static_selectorELNS0_4arch9wavefront6targetE1EEEvT1_
    .private_segment_fixed_size: 0
    .sgpr_count:     4
    .sgpr_spill_count: 0
    .symbol:         _ZN7rocprim17ROCPRIM_400000_NS6detail17trampoline_kernelINS0_14default_configENS1_25partition_config_selectorILNS1_17partition_subalgoE8EiNS0_10empty_typeEbEEZZNS1_14partition_implILS5_8ELb0ES3_jN6thrust23THRUST_200600_302600_NS6detail15normal_iteratorINSA_10device_ptrIiEEEEPS6_PKS6_NS0_5tupleIJNSA_16discard_iteratorINSA_11use_defaultEEES6_EEENSJ_IJSG_SG_EEENS0_18inequality_wrapperINSA_8equal_toIiEEEEPmJS6_EEE10hipError_tPvRmT3_T4_T5_T6_T7_T9_mT8_P12ihipStream_tbDpT10_ENKUlT_T0_E_clISt17integral_constantIbLb1EES1D_EEDaS18_S19_EUlS18_E_NS1_11comp_targetILNS1_3genE9ELNS1_11target_archE1100ELNS1_3gpuE3ELNS1_3repE0EEENS1_30default_config_static_selectorELNS0_4arch9wavefront6targetE1EEEvT1_.kd
    .uniform_work_group_size: 1
    .uses_dynamic_stack: false
    .vgpr_count:     0
    .vgpr_spill_count: 0
    .wavefront_size: 64
  - .args:
      - .offset:         0
        .size:           136
        .value_kind:     by_value
    .group_segment_fixed_size: 0
    .kernarg_segment_align: 8
    .kernarg_segment_size: 136
    .language:       OpenCL C
    .language_version:
      - 2
      - 0
    .max_flat_workgroup_size: 512
    .name:           _ZN7rocprim17ROCPRIM_400000_NS6detail17trampoline_kernelINS0_14default_configENS1_25partition_config_selectorILNS1_17partition_subalgoE8EiNS0_10empty_typeEbEEZZNS1_14partition_implILS5_8ELb0ES3_jN6thrust23THRUST_200600_302600_NS6detail15normal_iteratorINSA_10device_ptrIiEEEEPS6_PKS6_NS0_5tupleIJNSA_16discard_iteratorINSA_11use_defaultEEES6_EEENSJ_IJSG_SG_EEENS0_18inequality_wrapperINSA_8equal_toIiEEEEPmJS6_EEE10hipError_tPvRmT3_T4_T5_T6_T7_T9_mT8_P12ihipStream_tbDpT10_ENKUlT_T0_E_clISt17integral_constantIbLb1EES1D_EEDaS18_S19_EUlS18_E_NS1_11comp_targetILNS1_3genE8ELNS1_11target_archE1030ELNS1_3gpuE2ELNS1_3repE0EEENS1_30default_config_static_selectorELNS0_4arch9wavefront6targetE1EEEvT1_
    .private_segment_fixed_size: 0
    .sgpr_count:     4
    .sgpr_spill_count: 0
    .symbol:         _ZN7rocprim17ROCPRIM_400000_NS6detail17trampoline_kernelINS0_14default_configENS1_25partition_config_selectorILNS1_17partition_subalgoE8EiNS0_10empty_typeEbEEZZNS1_14partition_implILS5_8ELb0ES3_jN6thrust23THRUST_200600_302600_NS6detail15normal_iteratorINSA_10device_ptrIiEEEEPS6_PKS6_NS0_5tupleIJNSA_16discard_iteratorINSA_11use_defaultEEES6_EEENSJ_IJSG_SG_EEENS0_18inequality_wrapperINSA_8equal_toIiEEEEPmJS6_EEE10hipError_tPvRmT3_T4_T5_T6_T7_T9_mT8_P12ihipStream_tbDpT10_ENKUlT_T0_E_clISt17integral_constantIbLb1EES1D_EEDaS18_S19_EUlS18_E_NS1_11comp_targetILNS1_3genE8ELNS1_11target_archE1030ELNS1_3gpuE2ELNS1_3repE0EEENS1_30default_config_static_selectorELNS0_4arch9wavefront6targetE1EEEvT1_.kd
    .uniform_work_group_size: 1
    .uses_dynamic_stack: false
    .vgpr_count:     0
    .vgpr_spill_count: 0
    .wavefront_size: 64
  - .args:
      - .offset:         0
        .size:           120
        .value_kind:     by_value
    .group_segment_fixed_size: 0
    .kernarg_segment_align: 8
    .kernarg_segment_size: 120
    .language:       OpenCL C
    .language_version:
      - 2
      - 0
    .max_flat_workgroup_size: 512
    .name:           _ZN7rocprim17ROCPRIM_400000_NS6detail17trampoline_kernelINS0_14default_configENS1_25partition_config_selectorILNS1_17partition_subalgoE8EiNS0_10empty_typeEbEEZZNS1_14partition_implILS5_8ELb0ES3_jN6thrust23THRUST_200600_302600_NS6detail15normal_iteratorINSA_10device_ptrIiEEEEPS6_PKS6_NS0_5tupleIJNSA_16discard_iteratorINSA_11use_defaultEEES6_EEENSJ_IJSG_SG_EEENS0_18inequality_wrapperINSA_8equal_toIiEEEEPmJS6_EEE10hipError_tPvRmT3_T4_T5_T6_T7_T9_mT8_P12ihipStream_tbDpT10_ENKUlT_T0_E_clISt17integral_constantIbLb1EES1C_IbLb0EEEEDaS18_S19_EUlS18_E_NS1_11comp_targetILNS1_3genE0ELNS1_11target_archE4294967295ELNS1_3gpuE0ELNS1_3repE0EEENS1_30default_config_static_selectorELNS0_4arch9wavefront6targetE1EEEvT1_
    .private_segment_fixed_size: 0
    .sgpr_count:     4
    .sgpr_spill_count: 0
    .symbol:         _ZN7rocprim17ROCPRIM_400000_NS6detail17trampoline_kernelINS0_14default_configENS1_25partition_config_selectorILNS1_17partition_subalgoE8EiNS0_10empty_typeEbEEZZNS1_14partition_implILS5_8ELb0ES3_jN6thrust23THRUST_200600_302600_NS6detail15normal_iteratorINSA_10device_ptrIiEEEEPS6_PKS6_NS0_5tupleIJNSA_16discard_iteratorINSA_11use_defaultEEES6_EEENSJ_IJSG_SG_EEENS0_18inequality_wrapperINSA_8equal_toIiEEEEPmJS6_EEE10hipError_tPvRmT3_T4_T5_T6_T7_T9_mT8_P12ihipStream_tbDpT10_ENKUlT_T0_E_clISt17integral_constantIbLb1EES1C_IbLb0EEEEDaS18_S19_EUlS18_E_NS1_11comp_targetILNS1_3genE0ELNS1_11target_archE4294967295ELNS1_3gpuE0ELNS1_3repE0EEENS1_30default_config_static_selectorELNS0_4arch9wavefront6targetE1EEEvT1_.kd
    .uniform_work_group_size: 1
    .uses_dynamic_stack: false
    .vgpr_count:     0
    .vgpr_spill_count: 0
    .wavefront_size: 64
  - .args:
      - .offset:         0
        .size:           120
        .value_kind:     by_value
    .group_segment_fixed_size: 0
    .kernarg_segment_align: 8
    .kernarg_segment_size: 120
    .language:       OpenCL C
    .language_version:
      - 2
      - 0
    .max_flat_workgroup_size: 512
    .name:           _ZN7rocprim17ROCPRIM_400000_NS6detail17trampoline_kernelINS0_14default_configENS1_25partition_config_selectorILNS1_17partition_subalgoE8EiNS0_10empty_typeEbEEZZNS1_14partition_implILS5_8ELb0ES3_jN6thrust23THRUST_200600_302600_NS6detail15normal_iteratorINSA_10device_ptrIiEEEEPS6_PKS6_NS0_5tupleIJNSA_16discard_iteratorINSA_11use_defaultEEES6_EEENSJ_IJSG_SG_EEENS0_18inequality_wrapperINSA_8equal_toIiEEEEPmJS6_EEE10hipError_tPvRmT3_T4_T5_T6_T7_T9_mT8_P12ihipStream_tbDpT10_ENKUlT_T0_E_clISt17integral_constantIbLb1EES1C_IbLb0EEEEDaS18_S19_EUlS18_E_NS1_11comp_targetILNS1_3genE5ELNS1_11target_archE942ELNS1_3gpuE9ELNS1_3repE0EEENS1_30default_config_static_selectorELNS0_4arch9wavefront6targetE1EEEvT1_
    .private_segment_fixed_size: 0
    .sgpr_count:     4
    .sgpr_spill_count: 0
    .symbol:         _ZN7rocprim17ROCPRIM_400000_NS6detail17trampoline_kernelINS0_14default_configENS1_25partition_config_selectorILNS1_17partition_subalgoE8EiNS0_10empty_typeEbEEZZNS1_14partition_implILS5_8ELb0ES3_jN6thrust23THRUST_200600_302600_NS6detail15normal_iteratorINSA_10device_ptrIiEEEEPS6_PKS6_NS0_5tupleIJNSA_16discard_iteratorINSA_11use_defaultEEES6_EEENSJ_IJSG_SG_EEENS0_18inequality_wrapperINSA_8equal_toIiEEEEPmJS6_EEE10hipError_tPvRmT3_T4_T5_T6_T7_T9_mT8_P12ihipStream_tbDpT10_ENKUlT_T0_E_clISt17integral_constantIbLb1EES1C_IbLb0EEEEDaS18_S19_EUlS18_E_NS1_11comp_targetILNS1_3genE5ELNS1_11target_archE942ELNS1_3gpuE9ELNS1_3repE0EEENS1_30default_config_static_selectorELNS0_4arch9wavefront6targetE1EEEvT1_.kd
    .uniform_work_group_size: 1
    .uses_dynamic_stack: false
    .vgpr_count:     0
    .vgpr_spill_count: 0
    .wavefront_size: 64
  - .args:
      - .offset:         0
        .size:           120
        .value_kind:     by_value
    .group_segment_fixed_size: 0
    .kernarg_segment_align: 8
    .kernarg_segment_size: 120
    .language:       OpenCL C
    .language_version:
      - 2
      - 0
    .max_flat_workgroup_size: 256
    .name:           _ZN7rocprim17ROCPRIM_400000_NS6detail17trampoline_kernelINS0_14default_configENS1_25partition_config_selectorILNS1_17partition_subalgoE8EiNS0_10empty_typeEbEEZZNS1_14partition_implILS5_8ELb0ES3_jN6thrust23THRUST_200600_302600_NS6detail15normal_iteratorINSA_10device_ptrIiEEEEPS6_PKS6_NS0_5tupleIJNSA_16discard_iteratorINSA_11use_defaultEEES6_EEENSJ_IJSG_SG_EEENS0_18inequality_wrapperINSA_8equal_toIiEEEEPmJS6_EEE10hipError_tPvRmT3_T4_T5_T6_T7_T9_mT8_P12ihipStream_tbDpT10_ENKUlT_T0_E_clISt17integral_constantIbLb1EES1C_IbLb0EEEEDaS18_S19_EUlS18_E_NS1_11comp_targetILNS1_3genE4ELNS1_11target_archE910ELNS1_3gpuE8ELNS1_3repE0EEENS1_30default_config_static_selectorELNS0_4arch9wavefront6targetE1EEEvT1_
    .private_segment_fixed_size: 0
    .sgpr_count:     4
    .sgpr_spill_count: 0
    .symbol:         _ZN7rocprim17ROCPRIM_400000_NS6detail17trampoline_kernelINS0_14default_configENS1_25partition_config_selectorILNS1_17partition_subalgoE8EiNS0_10empty_typeEbEEZZNS1_14partition_implILS5_8ELb0ES3_jN6thrust23THRUST_200600_302600_NS6detail15normal_iteratorINSA_10device_ptrIiEEEEPS6_PKS6_NS0_5tupleIJNSA_16discard_iteratorINSA_11use_defaultEEES6_EEENSJ_IJSG_SG_EEENS0_18inequality_wrapperINSA_8equal_toIiEEEEPmJS6_EEE10hipError_tPvRmT3_T4_T5_T6_T7_T9_mT8_P12ihipStream_tbDpT10_ENKUlT_T0_E_clISt17integral_constantIbLb1EES1C_IbLb0EEEEDaS18_S19_EUlS18_E_NS1_11comp_targetILNS1_3genE4ELNS1_11target_archE910ELNS1_3gpuE8ELNS1_3repE0EEENS1_30default_config_static_selectorELNS0_4arch9wavefront6targetE1EEEvT1_.kd
    .uniform_work_group_size: 1
    .uses_dynamic_stack: false
    .vgpr_count:     0
    .vgpr_spill_count: 0
    .wavefront_size: 64
  - .args:
      - .offset:         0
        .size:           120
        .value_kind:     by_value
    .group_segment_fixed_size: 0
    .kernarg_segment_align: 8
    .kernarg_segment_size: 120
    .language:       OpenCL C
    .language_version:
      - 2
      - 0
    .max_flat_workgroup_size: 512
    .name:           _ZN7rocprim17ROCPRIM_400000_NS6detail17trampoline_kernelINS0_14default_configENS1_25partition_config_selectorILNS1_17partition_subalgoE8EiNS0_10empty_typeEbEEZZNS1_14partition_implILS5_8ELb0ES3_jN6thrust23THRUST_200600_302600_NS6detail15normal_iteratorINSA_10device_ptrIiEEEEPS6_PKS6_NS0_5tupleIJNSA_16discard_iteratorINSA_11use_defaultEEES6_EEENSJ_IJSG_SG_EEENS0_18inequality_wrapperINSA_8equal_toIiEEEEPmJS6_EEE10hipError_tPvRmT3_T4_T5_T6_T7_T9_mT8_P12ihipStream_tbDpT10_ENKUlT_T0_E_clISt17integral_constantIbLb1EES1C_IbLb0EEEEDaS18_S19_EUlS18_E_NS1_11comp_targetILNS1_3genE3ELNS1_11target_archE908ELNS1_3gpuE7ELNS1_3repE0EEENS1_30default_config_static_selectorELNS0_4arch9wavefront6targetE1EEEvT1_
    .private_segment_fixed_size: 0
    .sgpr_count:     4
    .sgpr_spill_count: 0
    .symbol:         _ZN7rocprim17ROCPRIM_400000_NS6detail17trampoline_kernelINS0_14default_configENS1_25partition_config_selectorILNS1_17partition_subalgoE8EiNS0_10empty_typeEbEEZZNS1_14partition_implILS5_8ELb0ES3_jN6thrust23THRUST_200600_302600_NS6detail15normal_iteratorINSA_10device_ptrIiEEEEPS6_PKS6_NS0_5tupleIJNSA_16discard_iteratorINSA_11use_defaultEEES6_EEENSJ_IJSG_SG_EEENS0_18inequality_wrapperINSA_8equal_toIiEEEEPmJS6_EEE10hipError_tPvRmT3_T4_T5_T6_T7_T9_mT8_P12ihipStream_tbDpT10_ENKUlT_T0_E_clISt17integral_constantIbLb1EES1C_IbLb0EEEEDaS18_S19_EUlS18_E_NS1_11comp_targetILNS1_3genE3ELNS1_11target_archE908ELNS1_3gpuE7ELNS1_3repE0EEENS1_30default_config_static_selectorELNS0_4arch9wavefront6targetE1EEEvT1_.kd
    .uniform_work_group_size: 1
    .uses_dynamic_stack: false
    .vgpr_count:     0
    .vgpr_spill_count: 0
    .wavefront_size: 64
  - .args:
      - .offset:         0
        .size:           120
        .value_kind:     by_value
    .group_segment_fixed_size: 0
    .kernarg_segment_align: 8
    .kernarg_segment_size: 120
    .language:       OpenCL C
    .language_version:
      - 2
      - 0
    .max_flat_workgroup_size: 256
    .name:           _ZN7rocprim17ROCPRIM_400000_NS6detail17trampoline_kernelINS0_14default_configENS1_25partition_config_selectorILNS1_17partition_subalgoE8EiNS0_10empty_typeEbEEZZNS1_14partition_implILS5_8ELb0ES3_jN6thrust23THRUST_200600_302600_NS6detail15normal_iteratorINSA_10device_ptrIiEEEEPS6_PKS6_NS0_5tupleIJNSA_16discard_iteratorINSA_11use_defaultEEES6_EEENSJ_IJSG_SG_EEENS0_18inequality_wrapperINSA_8equal_toIiEEEEPmJS6_EEE10hipError_tPvRmT3_T4_T5_T6_T7_T9_mT8_P12ihipStream_tbDpT10_ENKUlT_T0_E_clISt17integral_constantIbLb1EES1C_IbLb0EEEEDaS18_S19_EUlS18_E_NS1_11comp_targetILNS1_3genE2ELNS1_11target_archE906ELNS1_3gpuE6ELNS1_3repE0EEENS1_30default_config_static_selectorELNS0_4arch9wavefront6targetE1EEEvT1_
    .private_segment_fixed_size: 0
    .sgpr_count:     4
    .sgpr_spill_count: 0
    .symbol:         _ZN7rocprim17ROCPRIM_400000_NS6detail17trampoline_kernelINS0_14default_configENS1_25partition_config_selectorILNS1_17partition_subalgoE8EiNS0_10empty_typeEbEEZZNS1_14partition_implILS5_8ELb0ES3_jN6thrust23THRUST_200600_302600_NS6detail15normal_iteratorINSA_10device_ptrIiEEEEPS6_PKS6_NS0_5tupleIJNSA_16discard_iteratorINSA_11use_defaultEEES6_EEENSJ_IJSG_SG_EEENS0_18inequality_wrapperINSA_8equal_toIiEEEEPmJS6_EEE10hipError_tPvRmT3_T4_T5_T6_T7_T9_mT8_P12ihipStream_tbDpT10_ENKUlT_T0_E_clISt17integral_constantIbLb1EES1C_IbLb0EEEEDaS18_S19_EUlS18_E_NS1_11comp_targetILNS1_3genE2ELNS1_11target_archE906ELNS1_3gpuE6ELNS1_3repE0EEENS1_30default_config_static_selectorELNS0_4arch9wavefront6targetE1EEEvT1_.kd
    .uniform_work_group_size: 1
    .uses_dynamic_stack: false
    .vgpr_count:     0
    .vgpr_spill_count: 0
    .wavefront_size: 64
  - .args:
      - .offset:         0
        .size:           120
        .value_kind:     by_value
    .group_segment_fixed_size: 0
    .kernarg_segment_align: 8
    .kernarg_segment_size: 120
    .language:       OpenCL C
    .language_version:
      - 2
      - 0
    .max_flat_workgroup_size: 384
    .name:           _ZN7rocprim17ROCPRIM_400000_NS6detail17trampoline_kernelINS0_14default_configENS1_25partition_config_selectorILNS1_17partition_subalgoE8EiNS0_10empty_typeEbEEZZNS1_14partition_implILS5_8ELb0ES3_jN6thrust23THRUST_200600_302600_NS6detail15normal_iteratorINSA_10device_ptrIiEEEEPS6_PKS6_NS0_5tupleIJNSA_16discard_iteratorINSA_11use_defaultEEES6_EEENSJ_IJSG_SG_EEENS0_18inequality_wrapperINSA_8equal_toIiEEEEPmJS6_EEE10hipError_tPvRmT3_T4_T5_T6_T7_T9_mT8_P12ihipStream_tbDpT10_ENKUlT_T0_E_clISt17integral_constantIbLb1EES1C_IbLb0EEEEDaS18_S19_EUlS18_E_NS1_11comp_targetILNS1_3genE10ELNS1_11target_archE1200ELNS1_3gpuE4ELNS1_3repE0EEENS1_30default_config_static_selectorELNS0_4arch9wavefront6targetE1EEEvT1_
    .private_segment_fixed_size: 0
    .sgpr_count:     4
    .sgpr_spill_count: 0
    .symbol:         _ZN7rocprim17ROCPRIM_400000_NS6detail17trampoline_kernelINS0_14default_configENS1_25partition_config_selectorILNS1_17partition_subalgoE8EiNS0_10empty_typeEbEEZZNS1_14partition_implILS5_8ELb0ES3_jN6thrust23THRUST_200600_302600_NS6detail15normal_iteratorINSA_10device_ptrIiEEEEPS6_PKS6_NS0_5tupleIJNSA_16discard_iteratorINSA_11use_defaultEEES6_EEENSJ_IJSG_SG_EEENS0_18inequality_wrapperINSA_8equal_toIiEEEEPmJS6_EEE10hipError_tPvRmT3_T4_T5_T6_T7_T9_mT8_P12ihipStream_tbDpT10_ENKUlT_T0_E_clISt17integral_constantIbLb1EES1C_IbLb0EEEEDaS18_S19_EUlS18_E_NS1_11comp_targetILNS1_3genE10ELNS1_11target_archE1200ELNS1_3gpuE4ELNS1_3repE0EEENS1_30default_config_static_selectorELNS0_4arch9wavefront6targetE1EEEvT1_.kd
    .uniform_work_group_size: 1
    .uses_dynamic_stack: false
    .vgpr_count:     0
    .vgpr_spill_count: 0
    .wavefront_size: 64
  - .args:
      - .offset:         0
        .size:           120
        .value_kind:     by_value
    .group_segment_fixed_size: 0
    .kernarg_segment_align: 8
    .kernarg_segment_size: 120
    .language:       OpenCL C
    .language_version:
      - 2
      - 0
    .max_flat_workgroup_size: 384
    .name:           _ZN7rocprim17ROCPRIM_400000_NS6detail17trampoline_kernelINS0_14default_configENS1_25partition_config_selectorILNS1_17partition_subalgoE8EiNS0_10empty_typeEbEEZZNS1_14partition_implILS5_8ELb0ES3_jN6thrust23THRUST_200600_302600_NS6detail15normal_iteratorINSA_10device_ptrIiEEEEPS6_PKS6_NS0_5tupleIJNSA_16discard_iteratorINSA_11use_defaultEEES6_EEENSJ_IJSG_SG_EEENS0_18inequality_wrapperINSA_8equal_toIiEEEEPmJS6_EEE10hipError_tPvRmT3_T4_T5_T6_T7_T9_mT8_P12ihipStream_tbDpT10_ENKUlT_T0_E_clISt17integral_constantIbLb1EES1C_IbLb0EEEEDaS18_S19_EUlS18_E_NS1_11comp_targetILNS1_3genE9ELNS1_11target_archE1100ELNS1_3gpuE3ELNS1_3repE0EEENS1_30default_config_static_selectorELNS0_4arch9wavefront6targetE1EEEvT1_
    .private_segment_fixed_size: 0
    .sgpr_count:     4
    .sgpr_spill_count: 0
    .symbol:         _ZN7rocprim17ROCPRIM_400000_NS6detail17trampoline_kernelINS0_14default_configENS1_25partition_config_selectorILNS1_17partition_subalgoE8EiNS0_10empty_typeEbEEZZNS1_14partition_implILS5_8ELb0ES3_jN6thrust23THRUST_200600_302600_NS6detail15normal_iteratorINSA_10device_ptrIiEEEEPS6_PKS6_NS0_5tupleIJNSA_16discard_iteratorINSA_11use_defaultEEES6_EEENSJ_IJSG_SG_EEENS0_18inequality_wrapperINSA_8equal_toIiEEEEPmJS6_EEE10hipError_tPvRmT3_T4_T5_T6_T7_T9_mT8_P12ihipStream_tbDpT10_ENKUlT_T0_E_clISt17integral_constantIbLb1EES1C_IbLb0EEEEDaS18_S19_EUlS18_E_NS1_11comp_targetILNS1_3genE9ELNS1_11target_archE1100ELNS1_3gpuE3ELNS1_3repE0EEENS1_30default_config_static_selectorELNS0_4arch9wavefront6targetE1EEEvT1_.kd
    .uniform_work_group_size: 1
    .uses_dynamic_stack: false
    .vgpr_count:     0
    .vgpr_spill_count: 0
    .wavefront_size: 64
  - .args:
      - .offset:         0
        .size:           120
        .value_kind:     by_value
    .group_segment_fixed_size: 0
    .kernarg_segment_align: 8
    .kernarg_segment_size: 120
    .language:       OpenCL C
    .language_version:
      - 2
      - 0
    .max_flat_workgroup_size: 512
    .name:           _ZN7rocprim17ROCPRIM_400000_NS6detail17trampoline_kernelINS0_14default_configENS1_25partition_config_selectorILNS1_17partition_subalgoE8EiNS0_10empty_typeEbEEZZNS1_14partition_implILS5_8ELb0ES3_jN6thrust23THRUST_200600_302600_NS6detail15normal_iteratorINSA_10device_ptrIiEEEEPS6_PKS6_NS0_5tupleIJNSA_16discard_iteratorINSA_11use_defaultEEES6_EEENSJ_IJSG_SG_EEENS0_18inequality_wrapperINSA_8equal_toIiEEEEPmJS6_EEE10hipError_tPvRmT3_T4_T5_T6_T7_T9_mT8_P12ihipStream_tbDpT10_ENKUlT_T0_E_clISt17integral_constantIbLb1EES1C_IbLb0EEEEDaS18_S19_EUlS18_E_NS1_11comp_targetILNS1_3genE8ELNS1_11target_archE1030ELNS1_3gpuE2ELNS1_3repE0EEENS1_30default_config_static_selectorELNS0_4arch9wavefront6targetE1EEEvT1_
    .private_segment_fixed_size: 0
    .sgpr_count:     4
    .sgpr_spill_count: 0
    .symbol:         _ZN7rocprim17ROCPRIM_400000_NS6detail17trampoline_kernelINS0_14default_configENS1_25partition_config_selectorILNS1_17partition_subalgoE8EiNS0_10empty_typeEbEEZZNS1_14partition_implILS5_8ELb0ES3_jN6thrust23THRUST_200600_302600_NS6detail15normal_iteratorINSA_10device_ptrIiEEEEPS6_PKS6_NS0_5tupleIJNSA_16discard_iteratorINSA_11use_defaultEEES6_EEENSJ_IJSG_SG_EEENS0_18inequality_wrapperINSA_8equal_toIiEEEEPmJS6_EEE10hipError_tPvRmT3_T4_T5_T6_T7_T9_mT8_P12ihipStream_tbDpT10_ENKUlT_T0_E_clISt17integral_constantIbLb1EES1C_IbLb0EEEEDaS18_S19_EUlS18_E_NS1_11comp_targetILNS1_3genE8ELNS1_11target_archE1030ELNS1_3gpuE2ELNS1_3repE0EEENS1_30default_config_static_selectorELNS0_4arch9wavefront6targetE1EEEvT1_.kd
    .uniform_work_group_size: 1
    .uses_dynamic_stack: false
    .vgpr_count:     0
    .vgpr_spill_count: 0
    .wavefront_size: 64
  - .args:
      - .offset:         0
        .size:           136
        .value_kind:     by_value
    .group_segment_fixed_size: 0
    .kernarg_segment_align: 8
    .kernarg_segment_size: 136
    .language:       OpenCL C
    .language_version:
      - 2
      - 0
    .max_flat_workgroup_size: 512
    .name:           _ZN7rocprim17ROCPRIM_400000_NS6detail17trampoline_kernelINS0_14default_configENS1_25partition_config_selectorILNS1_17partition_subalgoE8EiNS0_10empty_typeEbEEZZNS1_14partition_implILS5_8ELb0ES3_jN6thrust23THRUST_200600_302600_NS6detail15normal_iteratorINSA_10device_ptrIiEEEEPS6_PKS6_NS0_5tupleIJNSA_16discard_iteratorINSA_11use_defaultEEES6_EEENSJ_IJSG_SG_EEENS0_18inequality_wrapperINSA_8equal_toIiEEEEPmJS6_EEE10hipError_tPvRmT3_T4_T5_T6_T7_T9_mT8_P12ihipStream_tbDpT10_ENKUlT_T0_E_clISt17integral_constantIbLb0EES1C_IbLb1EEEEDaS18_S19_EUlS18_E_NS1_11comp_targetILNS1_3genE0ELNS1_11target_archE4294967295ELNS1_3gpuE0ELNS1_3repE0EEENS1_30default_config_static_selectorELNS0_4arch9wavefront6targetE1EEEvT1_
    .private_segment_fixed_size: 0
    .sgpr_count:     4
    .sgpr_spill_count: 0
    .symbol:         _ZN7rocprim17ROCPRIM_400000_NS6detail17trampoline_kernelINS0_14default_configENS1_25partition_config_selectorILNS1_17partition_subalgoE8EiNS0_10empty_typeEbEEZZNS1_14partition_implILS5_8ELb0ES3_jN6thrust23THRUST_200600_302600_NS6detail15normal_iteratorINSA_10device_ptrIiEEEEPS6_PKS6_NS0_5tupleIJNSA_16discard_iteratorINSA_11use_defaultEEES6_EEENSJ_IJSG_SG_EEENS0_18inequality_wrapperINSA_8equal_toIiEEEEPmJS6_EEE10hipError_tPvRmT3_T4_T5_T6_T7_T9_mT8_P12ihipStream_tbDpT10_ENKUlT_T0_E_clISt17integral_constantIbLb0EES1C_IbLb1EEEEDaS18_S19_EUlS18_E_NS1_11comp_targetILNS1_3genE0ELNS1_11target_archE4294967295ELNS1_3gpuE0ELNS1_3repE0EEENS1_30default_config_static_selectorELNS0_4arch9wavefront6targetE1EEEvT1_.kd
    .uniform_work_group_size: 1
    .uses_dynamic_stack: false
    .vgpr_count:     0
    .vgpr_spill_count: 0
    .wavefront_size: 64
  - .args:
      - .offset:         0
        .size:           136
        .value_kind:     by_value
    .group_segment_fixed_size: 0
    .kernarg_segment_align: 8
    .kernarg_segment_size: 136
    .language:       OpenCL C
    .language_version:
      - 2
      - 0
    .max_flat_workgroup_size: 512
    .name:           _ZN7rocprim17ROCPRIM_400000_NS6detail17trampoline_kernelINS0_14default_configENS1_25partition_config_selectorILNS1_17partition_subalgoE8EiNS0_10empty_typeEbEEZZNS1_14partition_implILS5_8ELb0ES3_jN6thrust23THRUST_200600_302600_NS6detail15normal_iteratorINSA_10device_ptrIiEEEEPS6_PKS6_NS0_5tupleIJNSA_16discard_iteratorINSA_11use_defaultEEES6_EEENSJ_IJSG_SG_EEENS0_18inequality_wrapperINSA_8equal_toIiEEEEPmJS6_EEE10hipError_tPvRmT3_T4_T5_T6_T7_T9_mT8_P12ihipStream_tbDpT10_ENKUlT_T0_E_clISt17integral_constantIbLb0EES1C_IbLb1EEEEDaS18_S19_EUlS18_E_NS1_11comp_targetILNS1_3genE5ELNS1_11target_archE942ELNS1_3gpuE9ELNS1_3repE0EEENS1_30default_config_static_selectorELNS0_4arch9wavefront6targetE1EEEvT1_
    .private_segment_fixed_size: 0
    .sgpr_count:     4
    .sgpr_spill_count: 0
    .symbol:         _ZN7rocprim17ROCPRIM_400000_NS6detail17trampoline_kernelINS0_14default_configENS1_25partition_config_selectorILNS1_17partition_subalgoE8EiNS0_10empty_typeEbEEZZNS1_14partition_implILS5_8ELb0ES3_jN6thrust23THRUST_200600_302600_NS6detail15normal_iteratorINSA_10device_ptrIiEEEEPS6_PKS6_NS0_5tupleIJNSA_16discard_iteratorINSA_11use_defaultEEES6_EEENSJ_IJSG_SG_EEENS0_18inequality_wrapperINSA_8equal_toIiEEEEPmJS6_EEE10hipError_tPvRmT3_T4_T5_T6_T7_T9_mT8_P12ihipStream_tbDpT10_ENKUlT_T0_E_clISt17integral_constantIbLb0EES1C_IbLb1EEEEDaS18_S19_EUlS18_E_NS1_11comp_targetILNS1_3genE5ELNS1_11target_archE942ELNS1_3gpuE9ELNS1_3repE0EEENS1_30default_config_static_selectorELNS0_4arch9wavefront6targetE1EEEvT1_.kd
    .uniform_work_group_size: 1
    .uses_dynamic_stack: false
    .vgpr_count:     0
    .vgpr_spill_count: 0
    .wavefront_size: 64
  - .args:
      - .offset:         0
        .size:           136
        .value_kind:     by_value
    .group_segment_fixed_size: 0
    .kernarg_segment_align: 8
    .kernarg_segment_size: 136
    .language:       OpenCL C
    .language_version:
      - 2
      - 0
    .max_flat_workgroup_size: 256
    .name:           _ZN7rocprim17ROCPRIM_400000_NS6detail17trampoline_kernelINS0_14default_configENS1_25partition_config_selectorILNS1_17partition_subalgoE8EiNS0_10empty_typeEbEEZZNS1_14partition_implILS5_8ELb0ES3_jN6thrust23THRUST_200600_302600_NS6detail15normal_iteratorINSA_10device_ptrIiEEEEPS6_PKS6_NS0_5tupleIJNSA_16discard_iteratorINSA_11use_defaultEEES6_EEENSJ_IJSG_SG_EEENS0_18inequality_wrapperINSA_8equal_toIiEEEEPmJS6_EEE10hipError_tPvRmT3_T4_T5_T6_T7_T9_mT8_P12ihipStream_tbDpT10_ENKUlT_T0_E_clISt17integral_constantIbLb0EES1C_IbLb1EEEEDaS18_S19_EUlS18_E_NS1_11comp_targetILNS1_3genE4ELNS1_11target_archE910ELNS1_3gpuE8ELNS1_3repE0EEENS1_30default_config_static_selectorELNS0_4arch9wavefront6targetE1EEEvT1_
    .private_segment_fixed_size: 0
    .sgpr_count:     4
    .sgpr_spill_count: 0
    .symbol:         _ZN7rocprim17ROCPRIM_400000_NS6detail17trampoline_kernelINS0_14default_configENS1_25partition_config_selectorILNS1_17partition_subalgoE8EiNS0_10empty_typeEbEEZZNS1_14partition_implILS5_8ELb0ES3_jN6thrust23THRUST_200600_302600_NS6detail15normal_iteratorINSA_10device_ptrIiEEEEPS6_PKS6_NS0_5tupleIJNSA_16discard_iteratorINSA_11use_defaultEEES6_EEENSJ_IJSG_SG_EEENS0_18inequality_wrapperINSA_8equal_toIiEEEEPmJS6_EEE10hipError_tPvRmT3_T4_T5_T6_T7_T9_mT8_P12ihipStream_tbDpT10_ENKUlT_T0_E_clISt17integral_constantIbLb0EES1C_IbLb1EEEEDaS18_S19_EUlS18_E_NS1_11comp_targetILNS1_3genE4ELNS1_11target_archE910ELNS1_3gpuE8ELNS1_3repE0EEENS1_30default_config_static_selectorELNS0_4arch9wavefront6targetE1EEEvT1_.kd
    .uniform_work_group_size: 1
    .uses_dynamic_stack: false
    .vgpr_count:     0
    .vgpr_spill_count: 0
    .wavefront_size: 64
  - .args:
      - .offset:         0
        .size:           136
        .value_kind:     by_value
    .group_segment_fixed_size: 0
    .kernarg_segment_align: 8
    .kernarg_segment_size: 136
    .language:       OpenCL C
    .language_version:
      - 2
      - 0
    .max_flat_workgroup_size: 512
    .name:           _ZN7rocprim17ROCPRIM_400000_NS6detail17trampoline_kernelINS0_14default_configENS1_25partition_config_selectorILNS1_17partition_subalgoE8EiNS0_10empty_typeEbEEZZNS1_14partition_implILS5_8ELb0ES3_jN6thrust23THRUST_200600_302600_NS6detail15normal_iteratorINSA_10device_ptrIiEEEEPS6_PKS6_NS0_5tupleIJNSA_16discard_iteratorINSA_11use_defaultEEES6_EEENSJ_IJSG_SG_EEENS0_18inequality_wrapperINSA_8equal_toIiEEEEPmJS6_EEE10hipError_tPvRmT3_T4_T5_T6_T7_T9_mT8_P12ihipStream_tbDpT10_ENKUlT_T0_E_clISt17integral_constantIbLb0EES1C_IbLb1EEEEDaS18_S19_EUlS18_E_NS1_11comp_targetILNS1_3genE3ELNS1_11target_archE908ELNS1_3gpuE7ELNS1_3repE0EEENS1_30default_config_static_selectorELNS0_4arch9wavefront6targetE1EEEvT1_
    .private_segment_fixed_size: 0
    .sgpr_count:     4
    .sgpr_spill_count: 0
    .symbol:         _ZN7rocprim17ROCPRIM_400000_NS6detail17trampoline_kernelINS0_14default_configENS1_25partition_config_selectorILNS1_17partition_subalgoE8EiNS0_10empty_typeEbEEZZNS1_14partition_implILS5_8ELb0ES3_jN6thrust23THRUST_200600_302600_NS6detail15normal_iteratorINSA_10device_ptrIiEEEEPS6_PKS6_NS0_5tupleIJNSA_16discard_iteratorINSA_11use_defaultEEES6_EEENSJ_IJSG_SG_EEENS0_18inequality_wrapperINSA_8equal_toIiEEEEPmJS6_EEE10hipError_tPvRmT3_T4_T5_T6_T7_T9_mT8_P12ihipStream_tbDpT10_ENKUlT_T0_E_clISt17integral_constantIbLb0EES1C_IbLb1EEEEDaS18_S19_EUlS18_E_NS1_11comp_targetILNS1_3genE3ELNS1_11target_archE908ELNS1_3gpuE7ELNS1_3repE0EEENS1_30default_config_static_selectorELNS0_4arch9wavefront6targetE1EEEvT1_.kd
    .uniform_work_group_size: 1
    .uses_dynamic_stack: false
    .vgpr_count:     0
    .vgpr_spill_count: 0
    .wavefront_size: 64
  - .args:
      - .offset:         0
        .size:           136
        .value_kind:     by_value
    .group_segment_fixed_size: 16904
    .kernarg_segment_align: 8
    .kernarg_segment_size: 136
    .language:       OpenCL C
    .language_version:
      - 2
      - 0
    .max_flat_workgroup_size: 256
    .name:           _ZN7rocprim17ROCPRIM_400000_NS6detail17trampoline_kernelINS0_14default_configENS1_25partition_config_selectorILNS1_17partition_subalgoE8EiNS0_10empty_typeEbEEZZNS1_14partition_implILS5_8ELb0ES3_jN6thrust23THRUST_200600_302600_NS6detail15normal_iteratorINSA_10device_ptrIiEEEEPS6_PKS6_NS0_5tupleIJNSA_16discard_iteratorINSA_11use_defaultEEES6_EEENSJ_IJSG_SG_EEENS0_18inequality_wrapperINSA_8equal_toIiEEEEPmJS6_EEE10hipError_tPvRmT3_T4_T5_T6_T7_T9_mT8_P12ihipStream_tbDpT10_ENKUlT_T0_E_clISt17integral_constantIbLb0EES1C_IbLb1EEEEDaS18_S19_EUlS18_E_NS1_11comp_targetILNS1_3genE2ELNS1_11target_archE906ELNS1_3gpuE6ELNS1_3repE0EEENS1_30default_config_static_selectorELNS0_4arch9wavefront6targetE1EEEvT1_
    .private_segment_fixed_size: 0
    .sgpr_count:     57
    .sgpr_spill_count: 0
    .symbol:         _ZN7rocprim17ROCPRIM_400000_NS6detail17trampoline_kernelINS0_14default_configENS1_25partition_config_selectorILNS1_17partition_subalgoE8EiNS0_10empty_typeEbEEZZNS1_14partition_implILS5_8ELb0ES3_jN6thrust23THRUST_200600_302600_NS6detail15normal_iteratorINSA_10device_ptrIiEEEEPS6_PKS6_NS0_5tupleIJNSA_16discard_iteratorINSA_11use_defaultEEES6_EEENSJ_IJSG_SG_EEENS0_18inequality_wrapperINSA_8equal_toIiEEEEPmJS6_EEE10hipError_tPvRmT3_T4_T5_T6_T7_T9_mT8_P12ihipStream_tbDpT10_ENKUlT_T0_E_clISt17integral_constantIbLb0EES1C_IbLb1EEEEDaS18_S19_EUlS18_E_NS1_11comp_targetILNS1_3genE2ELNS1_11target_archE906ELNS1_3gpuE6ELNS1_3repE0EEENS1_30default_config_static_selectorELNS0_4arch9wavefront6targetE1EEEvT1_.kd
    .uniform_work_group_size: 1
    .uses_dynamic_stack: false
    .vgpr_count:     77
    .vgpr_spill_count: 0
    .wavefront_size: 64
  - .args:
      - .offset:         0
        .size:           136
        .value_kind:     by_value
    .group_segment_fixed_size: 0
    .kernarg_segment_align: 8
    .kernarg_segment_size: 136
    .language:       OpenCL C
    .language_version:
      - 2
      - 0
    .max_flat_workgroup_size: 384
    .name:           _ZN7rocprim17ROCPRIM_400000_NS6detail17trampoline_kernelINS0_14default_configENS1_25partition_config_selectorILNS1_17partition_subalgoE8EiNS0_10empty_typeEbEEZZNS1_14partition_implILS5_8ELb0ES3_jN6thrust23THRUST_200600_302600_NS6detail15normal_iteratorINSA_10device_ptrIiEEEEPS6_PKS6_NS0_5tupleIJNSA_16discard_iteratorINSA_11use_defaultEEES6_EEENSJ_IJSG_SG_EEENS0_18inequality_wrapperINSA_8equal_toIiEEEEPmJS6_EEE10hipError_tPvRmT3_T4_T5_T6_T7_T9_mT8_P12ihipStream_tbDpT10_ENKUlT_T0_E_clISt17integral_constantIbLb0EES1C_IbLb1EEEEDaS18_S19_EUlS18_E_NS1_11comp_targetILNS1_3genE10ELNS1_11target_archE1200ELNS1_3gpuE4ELNS1_3repE0EEENS1_30default_config_static_selectorELNS0_4arch9wavefront6targetE1EEEvT1_
    .private_segment_fixed_size: 0
    .sgpr_count:     4
    .sgpr_spill_count: 0
    .symbol:         _ZN7rocprim17ROCPRIM_400000_NS6detail17trampoline_kernelINS0_14default_configENS1_25partition_config_selectorILNS1_17partition_subalgoE8EiNS0_10empty_typeEbEEZZNS1_14partition_implILS5_8ELb0ES3_jN6thrust23THRUST_200600_302600_NS6detail15normal_iteratorINSA_10device_ptrIiEEEEPS6_PKS6_NS0_5tupleIJNSA_16discard_iteratorINSA_11use_defaultEEES6_EEENSJ_IJSG_SG_EEENS0_18inequality_wrapperINSA_8equal_toIiEEEEPmJS6_EEE10hipError_tPvRmT3_T4_T5_T6_T7_T9_mT8_P12ihipStream_tbDpT10_ENKUlT_T0_E_clISt17integral_constantIbLb0EES1C_IbLb1EEEEDaS18_S19_EUlS18_E_NS1_11comp_targetILNS1_3genE10ELNS1_11target_archE1200ELNS1_3gpuE4ELNS1_3repE0EEENS1_30default_config_static_selectorELNS0_4arch9wavefront6targetE1EEEvT1_.kd
    .uniform_work_group_size: 1
    .uses_dynamic_stack: false
    .vgpr_count:     0
    .vgpr_spill_count: 0
    .wavefront_size: 64
  - .args:
      - .offset:         0
        .size:           136
        .value_kind:     by_value
    .group_segment_fixed_size: 0
    .kernarg_segment_align: 8
    .kernarg_segment_size: 136
    .language:       OpenCL C
    .language_version:
      - 2
      - 0
    .max_flat_workgroup_size: 384
    .name:           _ZN7rocprim17ROCPRIM_400000_NS6detail17trampoline_kernelINS0_14default_configENS1_25partition_config_selectorILNS1_17partition_subalgoE8EiNS0_10empty_typeEbEEZZNS1_14partition_implILS5_8ELb0ES3_jN6thrust23THRUST_200600_302600_NS6detail15normal_iteratorINSA_10device_ptrIiEEEEPS6_PKS6_NS0_5tupleIJNSA_16discard_iteratorINSA_11use_defaultEEES6_EEENSJ_IJSG_SG_EEENS0_18inequality_wrapperINSA_8equal_toIiEEEEPmJS6_EEE10hipError_tPvRmT3_T4_T5_T6_T7_T9_mT8_P12ihipStream_tbDpT10_ENKUlT_T0_E_clISt17integral_constantIbLb0EES1C_IbLb1EEEEDaS18_S19_EUlS18_E_NS1_11comp_targetILNS1_3genE9ELNS1_11target_archE1100ELNS1_3gpuE3ELNS1_3repE0EEENS1_30default_config_static_selectorELNS0_4arch9wavefront6targetE1EEEvT1_
    .private_segment_fixed_size: 0
    .sgpr_count:     4
    .sgpr_spill_count: 0
    .symbol:         _ZN7rocprim17ROCPRIM_400000_NS6detail17trampoline_kernelINS0_14default_configENS1_25partition_config_selectorILNS1_17partition_subalgoE8EiNS0_10empty_typeEbEEZZNS1_14partition_implILS5_8ELb0ES3_jN6thrust23THRUST_200600_302600_NS6detail15normal_iteratorINSA_10device_ptrIiEEEEPS6_PKS6_NS0_5tupleIJNSA_16discard_iteratorINSA_11use_defaultEEES6_EEENSJ_IJSG_SG_EEENS0_18inequality_wrapperINSA_8equal_toIiEEEEPmJS6_EEE10hipError_tPvRmT3_T4_T5_T6_T7_T9_mT8_P12ihipStream_tbDpT10_ENKUlT_T0_E_clISt17integral_constantIbLb0EES1C_IbLb1EEEEDaS18_S19_EUlS18_E_NS1_11comp_targetILNS1_3genE9ELNS1_11target_archE1100ELNS1_3gpuE3ELNS1_3repE0EEENS1_30default_config_static_selectorELNS0_4arch9wavefront6targetE1EEEvT1_.kd
    .uniform_work_group_size: 1
    .uses_dynamic_stack: false
    .vgpr_count:     0
    .vgpr_spill_count: 0
    .wavefront_size: 64
  - .args:
      - .offset:         0
        .size:           136
        .value_kind:     by_value
    .group_segment_fixed_size: 0
    .kernarg_segment_align: 8
    .kernarg_segment_size: 136
    .language:       OpenCL C
    .language_version:
      - 2
      - 0
    .max_flat_workgroup_size: 512
    .name:           _ZN7rocprim17ROCPRIM_400000_NS6detail17trampoline_kernelINS0_14default_configENS1_25partition_config_selectorILNS1_17partition_subalgoE8EiNS0_10empty_typeEbEEZZNS1_14partition_implILS5_8ELb0ES3_jN6thrust23THRUST_200600_302600_NS6detail15normal_iteratorINSA_10device_ptrIiEEEEPS6_PKS6_NS0_5tupleIJNSA_16discard_iteratorINSA_11use_defaultEEES6_EEENSJ_IJSG_SG_EEENS0_18inequality_wrapperINSA_8equal_toIiEEEEPmJS6_EEE10hipError_tPvRmT3_T4_T5_T6_T7_T9_mT8_P12ihipStream_tbDpT10_ENKUlT_T0_E_clISt17integral_constantIbLb0EES1C_IbLb1EEEEDaS18_S19_EUlS18_E_NS1_11comp_targetILNS1_3genE8ELNS1_11target_archE1030ELNS1_3gpuE2ELNS1_3repE0EEENS1_30default_config_static_selectorELNS0_4arch9wavefront6targetE1EEEvT1_
    .private_segment_fixed_size: 0
    .sgpr_count:     4
    .sgpr_spill_count: 0
    .symbol:         _ZN7rocprim17ROCPRIM_400000_NS6detail17trampoline_kernelINS0_14default_configENS1_25partition_config_selectorILNS1_17partition_subalgoE8EiNS0_10empty_typeEbEEZZNS1_14partition_implILS5_8ELb0ES3_jN6thrust23THRUST_200600_302600_NS6detail15normal_iteratorINSA_10device_ptrIiEEEEPS6_PKS6_NS0_5tupleIJNSA_16discard_iteratorINSA_11use_defaultEEES6_EEENSJ_IJSG_SG_EEENS0_18inequality_wrapperINSA_8equal_toIiEEEEPmJS6_EEE10hipError_tPvRmT3_T4_T5_T6_T7_T9_mT8_P12ihipStream_tbDpT10_ENKUlT_T0_E_clISt17integral_constantIbLb0EES1C_IbLb1EEEEDaS18_S19_EUlS18_E_NS1_11comp_targetILNS1_3genE8ELNS1_11target_archE1030ELNS1_3gpuE2ELNS1_3repE0EEENS1_30default_config_static_selectorELNS0_4arch9wavefront6targetE1EEEvT1_.kd
    .uniform_work_group_size: 1
    .uses_dynamic_stack: false
    .vgpr_count:     0
    .vgpr_spill_count: 0
    .wavefront_size: 64
  - .args:
      - .offset:         0
        .size:           120
        .value_kind:     by_value
    .group_segment_fixed_size: 0
    .kernarg_segment_align: 8
    .kernarg_segment_size: 120
    .language:       OpenCL C
    .language_version:
      - 2
      - 0
    .max_flat_workgroup_size: 256
    .name:           _ZN7rocprim17ROCPRIM_400000_NS6detail17trampoline_kernelINS0_14default_configENS1_25partition_config_selectorILNS1_17partition_subalgoE8EsNS0_10empty_typeEbEEZZNS1_14partition_implILS5_8ELb0ES3_jN6thrust23THRUST_200600_302600_NS6detail15normal_iteratorINSA_10device_ptrIsEEEEPS6_PKS6_NS0_5tupleIJNSA_16discard_iteratorINSA_11use_defaultEEES6_EEENSJ_IJSG_SG_EEENS0_18inequality_wrapperINSA_8equal_toIsEEEEPmJS6_EEE10hipError_tPvRmT3_T4_T5_T6_T7_T9_mT8_P12ihipStream_tbDpT10_ENKUlT_T0_E_clISt17integral_constantIbLb0EES1D_EEDaS18_S19_EUlS18_E_NS1_11comp_targetILNS1_3genE0ELNS1_11target_archE4294967295ELNS1_3gpuE0ELNS1_3repE0EEENS1_30default_config_static_selectorELNS0_4arch9wavefront6targetE1EEEvT1_
    .private_segment_fixed_size: 0
    .sgpr_count:     4
    .sgpr_spill_count: 0
    .symbol:         _ZN7rocprim17ROCPRIM_400000_NS6detail17trampoline_kernelINS0_14default_configENS1_25partition_config_selectorILNS1_17partition_subalgoE8EsNS0_10empty_typeEbEEZZNS1_14partition_implILS5_8ELb0ES3_jN6thrust23THRUST_200600_302600_NS6detail15normal_iteratorINSA_10device_ptrIsEEEEPS6_PKS6_NS0_5tupleIJNSA_16discard_iteratorINSA_11use_defaultEEES6_EEENSJ_IJSG_SG_EEENS0_18inequality_wrapperINSA_8equal_toIsEEEEPmJS6_EEE10hipError_tPvRmT3_T4_T5_T6_T7_T9_mT8_P12ihipStream_tbDpT10_ENKUlT_T0_E_clISt17integral_constantIbLb0EES1D_EEDaS18_S19_EUlS18_E_NS1_11comp_targetILNS1_3genE0ELNS1_11target_archE4294967295ELNS1_3gpuE0ELNS1_3repE0EEENS1_30default_config_static_selectorELNS0_4arch9wavefront6targetE1EEEvT1_.kd
    .uniform_work_group_size: 1
    .uses_dynamic_stack: false
    .vgpr_count:     0
    .vgpr_spill_count: 0
    .wavefront_size: 64
  - .args:
      - .offset:         0
        .size:           120
        .value_kind:     by_value
    .group_segment_fixed_size: 0
    .kernarg_segment_align: 8
    .kernarg_segment_size: 120
    .language:       OpenCL C
    .language_version:
      - 2
      - 0
    .max_flat_workgroup_size: 512
    .name:           _ZN7rocprim17ROCPRIM_400000_NS6detail17trampoline_kernelINS0_14default_configENS1_25partition_config_selectorILNS1_17partition_subalgoE8EsNS0_10empty_typeEbEEZZNS1_14partition_implILS5_8ELb0ES3_jN6thrust23THRUST_200600_302600_NS6detail15normal_iteratorINSA_10device_ptrIsEEEEPS6_PKS6_NS0_5tupleIJNSA_16discard_iteratorINSA_11use_defaultEEES6_EEENSJ_IJSG_SG_EEENS0_18inequality_wrapperINSA_8equal_toIsEEEEPmJS6_EEE10hipError_tPvRmT3_T4_T5_T6_T7_T9_mT8_P12ihipStream_tbDpT10_ENKUlT_T0_E_clISt17integral_constantIbLb0EES1D_EEDaS18_S19_EUlS18_E_NS1_11comp_targetILNS1_3genE5ELNS1_11target_archE942ELNS1_3gpuE9ELNS1_3repE0EEENS1_30default_config_static_selectorELNS0_4arch9wavefront6targetE1EEEvT1_
    .private_segment_fixed_size: 0
    .sgpr_count:     4
    .sgpr_spill_count: 0
    .symbol:         _ZN7rocprim17ROCPRIM_400000_NS6detail17trampoline_kernelINS0_14default_configENS1_25partition_config_selectorILNS1_17partition_subalgoE8EsNS0_10empty_typeEbEEZZNS1_14partition_implILS5_8ELb0ES3_jN6thrust23THRUST_200600_302600_NS6detail15normal_iteratorINSA_10device_ptrIsEEEEPS6_PKS6_NS0_5tupleIJNSA_16discard_iteratorINSA_11use_defaultEEES6_EEENSJ_IJSG_SG_EEENS0_18inequality_wrapperINSA_8equal_toIsEEEEPmJS6_EEE10hipError_tPvRmT3_T4_T5_T6_T7_T9_mT8_P12ihipStream_tbDpT10_ENKUlT_T0_E_clISt17integral_constantIbLb0EES1D_EEDaS18_S19_EUlS18_E_NS1_11comp_targetILNS1_3genE5ELNS1_11target_archE942ELNS1_3gpuE9ELNS1_3repE0EEENS1_30default_config_static_selectorELNS0_4arch9wavefront6targetE1EEEvT1_.kd
    .uniform_work_group_size: 1
    .uses_dynamic_stack: false
    .vgpr_count:     0
    .vgpr_spill_count: 0
    .wavefront_size: 64
  - .args:
      - .offset:         0
        .size:           120
        .value_kind:     by_value
    .group_segment_fixed_size: 0
    .kernarg_segment_align: 8
    .kernarg_segment_size: 120
    .language:       OpenCL C
    .language_version:
      - 2
      - 0
    .max_flat_workgroup_size: 256
    .name:           _ZN7rocprim17ROCPRIM_400000_NS6detail17trampoline_kernelINS0_14default_configENS1_25partition_config_selectorILNS1_17partition_subalgoE8EsNS0_10empty_typeEbEEZZNS1_14partition_implILS5_8ELb0ES3_jN6thrust23THRUST_200600_302600_NS6detail15normal_iteratorINSA_10device_ptrIsEEEEPS6_PKS6_NS0_5tupleIJNSA_16discard_iteratorINSA_11use_defaultEEES6_EEENSJ_IJSG_SG_EEENS0_18inequality_wrapperINSA_8equal_toIsEEEEPmJS6_EEE10hipError_tPvRmT3_T4_T5_T6_T7_T9_mT8_P12ihipStream_tbDpT10_ENKUlT_T0_E_clISt17integral_constantIbLb0EES1D_EEDaS18_S19_EUlS18_E_NS1_11comp_targetILNS1_3genE4ELNS1_11target_archE910ELNS1_3gpuE8ELNS1_3repE0EEENS1_30default_config_static_selectorELNS0_4arch9wavefront6targetE1EEEvT1_
    .private_segment_fixed_size: 0
    .sgpr_count:     4
    .sgpr_spill_count: 0
    .symbol:         _ZN7rocprim17ROCPRIM_400000_NS6detail17trampoline_kernelINS0_14default_configENS1_25partition_config_selectorILNS1_17partition_subalgoE8EsNS0_10empty_typeEbEEZZNS1_14partition_implILS5_8ELb0ES3_jN6thrust23THRUST_200600_302600_NS6detail15normal_iteratorINSA_10device_ptrIsEEEEPS6_PKS6_NS0_5tupleIJNSA_16discard_iteratorINSA_11use_defaultEEES6_EEENSJ_IJSG_SG_EEENS0_18inequality_wrapperINSA_8equal_toIsEEEEPmJS6_EEE10hipError_tPvRmT3_T4_T5_T6_T7_T9_mT8_P12ihipStream_tbDpT10_ENKUlT_T0_E_clISt17integral_constantIbLb0EES1D_EEDaS18_S19_EUlS18_E_NS1_11comp_targetILNS1_3genE4ELNS1_11target_archE910ELNS1_3gpuE8ELNS1_3repE0EEENS1_30default_config_static_selectorELNS0_4arch9wavefront6targetE1EEEvT1_.kd
    .uniform_work_group_size: 1
    .uses_dynamic_stack: false
    .vgpr_count:     0
    .vgpr_spill_count: 0
    .wavefront_size: 64
  - .args:
      - .offset:         0
        .size:           120
        .value_kind:     by_value
    .group_segment_fixed_size: 0
    .kernarg_segment_align: 8
    .kernarg_segment_size: 120
    .language:       OpenCL C
    .language_version:
      - 2
      - 0
    .max_flat_workgroup_size: 256
    .name:           _ZN7rocprim17ROCPRIM_400000_NS6detail17trampoline_kernelINS0_14default_configENS1_25partition_config_selectorILNS1_17partition_subalgoE8EsNS0_10empty_typeEbEEZZNS1_14partition_implILS5_8ELb0ES3_jN6thrust23THRUST_200600_302600_NS6detail15normal_iteratorINSA_10device_ptrIsEEEEPS6_PKS6_NS0_5tupleIJNSA_16discard_iteratorINSA_11use_defaultEEES6_EEENSJ_IJSG_SG_EEENS0_18inequality_wrapperINSA_8equal_toIsEEEEPmJS6_EEE10hipError_tPvRmT3_T4_T5_T6_T7_T9_mT8_P12ihipStream_tbDpT10_ENKUlT_T0_E_clISt17integral_constantIbLb0EES1D_EEDaS18_S19_EUlS18_E_NS1_11comp_targetILNS1_3genE3ELNS1_11target_archE908ELNS1_3gpuE7ELNS1_3repE0EEENS1_30default_config_static_selectorELNS0_4arch9wavefront6targetE1EEEvT1_
    .private_segment_fixed_size: 0
    .sgpr_count:     4
    .sgpr_spill_count: 0
    .symbol:         _ZN7rocprim17ROCPRIM_400000_NS6detail17trampoline_kernelINS0_14default_configENS1_25partition_config_selectorILNS1_17partition_subalgoE8EsNS0_10empty_typeEbEEZZNS1_14partition_implILS5_8ELb0ES3_jN6thrust23THRUST_200600_302600_NS6detail15normal_iteratorINSA_10device_ptrIsEEEEPS6_PKS6_NS0_5tupleIJNSA_16discard_iteratorINSA_11use_defaultEEES6_EEENSJ_IJSG_SG_EEENS0_18inequality_wrapperINSA_8equal_toIsEEEEPmJS6_EEE10hipError_tPvRmT3_T4_T5_T6_T7_T9_mT8_P12ihipStream_tbDpT10_ENKUlT_T0_E_clISt17integral_constantIbLb0EES1D_EEDaS18_S19_EUlS18_E_NS1_11comp_targetILNS1_3genE3ELNS1_11target_archE908ELNS1_3gpuE7ELNS1_3repE0EEENS1_30default_config_static_selectorELNS0_4arch9wavefront6targetE1EEEvT1_.kd
    .uniform_work_group_size: 1
    .uses_dynamic_stack: false
    .vgpr_count:     0
    .vgpr_spill_count: 0
    .wavefront_size: 64
  - .args:
      - .offset:         0
        .size:           120
        .value_kind:     by_value
    .group_segment_fixed_size: 6920
    .kernarg_segment_align: 8
    .kernarg_segment_size: 120
    .language:       OpenCL C
    .language_version:
      - 2
      - 0
    .max_flat_workgroup_size: 192
    .name:           _ZN7rocprim17ROCPRIM_400000_NS6detail17trampoline_kernelINS0_14default_configENS1_25partition_config_selectorILNS1_17partition_subalgoE8EsNS0_10empty_typeEbEEZZNS1_14partition_implILS5_8ELb0ES3_jN6thrust23THRUST_200600_302600_NS6detail15normal_iteratorINSA_10device_ptrIsEEEEPS6_PKS6_NS0_5tupleIJNSA_16discard_iteratorINSA_11use_defaultEEES6_EEENSJ_IJSG_SG_EEENS0_18inequality_wrapperINSA_8equal_toIsEEEEPmJS6_EEE10hipError_tPvRmT3_T4_T5_T6_T7_T9_mT8_P12ihipStream_tbDpT10_ENKUlT_T0_E_clISt17integral_constantIbLb0EES1D_EEDaS18_S19_EUlS18_E_NS1_11comp_targetILNS1_3genE2ELNS1_11target_archE906ELNS1_3gpuE6ELNS1_3repE0EEENS1_30default_config_static_selectorELNS0_4arch9wavefront6targetE1EEEvT1_
    .private_segment_fixed_size: 0
    .sgpr_count:     62
    .sgpr_spill_count: 0
    .symbol:         _ZN7rocprim17ROCPRIM_400000_NS6detail17trampoline_kernelINS0_14default_configENS1_25partition_config_selectorILNS1_17partition_subalgoE8EsNS0_10empty_typeEbEEZZNS1_14partition_implILS5_8ELb0ES3_jN6thrust23THRUST_200600_302600_NS6detail15normal_iteratorINSA_10device_ptrIsEEEEPS6_PKS6_NS0_5tupleIJNSA_16discard_iteratorINSA_11use_defaultEEES6_EEENSJ_IJSG_SG_EEENS0_18inequality_wrapperINSA_8equal_toIsEEEEPmJS6_EEE10hipError_tPvRmT3_T4_T5_T6_T7_T9_mT8_P12ihipStream_tbDpT10_ENKUlT_T0_E_clISt17integral_constantIbLb0EES1D_EEDaS18_S19_EUlS18_E_NS1_11comp_targetILNS1_3genE2ELNS1_11target_archE906ELNS1_3gpuE6ELNS1_3repE0EEENS1_30default_config_static_selectorELNS0_4arch9wavefront6targetE1EEEvT1_.kd
    .uniform_work_group_size: 1
    .uses_dynamic_stack: false
    .vgpr_count:     81
    .vgpr_spill_count: 0
    .wavefront_size: 64
  - .args:
      - .offset:         0
        .size:           120
        .value_kind:     by_value
    .group_segment_fixed_size: 0
    .kernarg_segment_align: 8
    .kernarg_segment_size: 120
    .language:       OpenCL C
    .language_version:
      - 2
      - 0
    .max_flat_workgroup_size: 256
    .name:           _ZN7rocprim17ROCPRIM_400000_NS6detail17trampoline_kernelINS0_14default_configENS1_25partition_config_selectorILNS1_17partition_subalgoE8EsNS0_10empty_typeEbEEZZNS1_14partition_implILS5_8ELb0ES3_jN6thrust23THRUST_200600_302600_NS6detail15normal_iteratorINSA_10device_ptrIsEEEEPS6_PKS6_NS0_5tupleIJNSA_16discard_iteratorINSA_11use_defaultEEES6_EEENSJ_IJSG_SG_EEENS0_18inequality_wrapperINSA_8equal_toIsEEEEPmJS6_EEE10hipError_tPvRmT3_T4_T5_T6_T7_T9_mT8_P12ihipStream_tbDpT10_ENKUlT_T0_E_clISt17integral_constantIbLb0EES1D_EEDaS18_S19_EUlS18_E_NS1_11comp_targetILNS1_3genE10ELNS1_11target_archE1200ELNS1_3gpuE4ELNS1_3repE0EEENS1_30default_config_static_selectorELNS0_4arch9wavefront6targetE1EEEvT1_
    .private_segment_fixed_size: 0
    .sgpr_count:     4
    .sgpr_spill_count: 0
    .symbol:         _ZN7rocprim17ROCPRIM_400000_NS6detail17trampoline_kernelINS0_14default_configENS1_25partition_config_selectorILNS1_17partition_subalgoE8EsNS0_10empty_typeEbEEZZNS1_14partition_implILS5_8ELb0ES3_jN6thrust23THRUST_200600_302600_NS6detail15normal_iteratorINSA_10device_ptrIsEEEEPS6_PKS6_NS0_5tupleIJNSA_16discard_iteratorINSA_11use_defaultEEES6_EEENSJ_IJSG_SG_EEENS0_18inequality_wrapperINSA_8equal_toIsEEEEPmJS6_EEE10hipError_tPvRmT3_T4_T5_T6_T7_T9_mT8_P12ihipStream_tbDpT10_ENKUlT_T0_E_clISt17integral_constantIbLb0EES1D_EEDaS18_S19_EUlS18_E_NS1_11comp_targetILNS1_3genE10ELNS1_11target_archE1200ELNS1_3gpuE4ELNS1_3repE0EEENS1_30default_config_static_selectorELNS0_4arch9wavefront6targetE1EEEvT1_.kd
    .uniform_work_group_size: 1
    .uses_dynamic_stack: false
    .vgpr_count:     0
    .vgpr_spill_count: 0
    .wavefront_size: 64
  - .args:
      - .offset:         0
        .size:           120
        .value_kind:     by_value
    .group_segment_fixed_size: 0
    .kernarg_segment_align: 8
    .kernarg_segment_size: 120
    .language:       OpenCL C
    .language_version:
      - 2
      - 0
    .max_flat_workgroup_size: 128
    .name:           _ZN7rocprim17ROCPRIM_400000_NS6detail17trampoline_kernelINS0_14default_configENS1_25partition_config_selectorILNS1_17partition_subalgoE8EsNS0_10empty_typeEbEEZZNS1_14partition_implILS5_8ELb0ES3_jN6thrust23THRUST_200600_302600_NS6detail15normal_iteratorINSA_10device_ptrIsEEEEPS6_PKS6_NS0_5tupleIJNSA_16discard_iteratorINSA_11use_defaultEEES6_EEENSJ_IJSG_SG_EEENS0_18inequality_wrapperINSA_8equal_toIsEEEEPmJS6_EEE10hipError_tPvRmT3_T4_T5_T6_T7_T9_mT8_P12ihipStream_tbDpT10_ENKUlT_T0_E_clISt17integral_constantIbLb0EES1D_EEDaS18_S19_EUlS18_E_NS1_11comp_targetILNS1_3genE9ELNS1_11target_archE1100ELNS1_3gpuE3ELNS1_3repE0EEENS1_30default_config_static_selectorELNS0_4arch9wavefront6targetE1EEEvT1_
    .private_segment_fixed_size: 0
    .sgpr_count:     4
    .sgpr_spill_count: 0
    .symbol:         _ZN7rocprim17ROCPRIM_400000_NS6detail17trampoline_kernelINS0_14default_configENS1_25partition_config_selectorILNS1_17partition_subalgoE8EsNS0_10empty_typeEbEEZZNS1_14partition_implILS5_8ELb0ES3_jN6thrust23THRUST_200600_302600_NS6detail15normal_iteratorINSA_10device_ptrIsEEEEPS6_PKS6_NS0_5tupleIJNSA_16discard_iteratorINSA_11use_defaultEEES6_EEENSJ_IJSG_SG_EEENS0_18inequality_wrapperINSA_8equal_toIsEEEEPmJS6_EEE10hipError_tPvRmT3_T4_T5_T6_T7_T9_mT8_P12ihipStream_tbDpT10_ENKUlT_T0_E_clISt17integral_constantIbLb0EES1D_EEDaS18_S19_EUlS18_E_NS1_11comp_targetILNS1_3genE9ELNS1_11target_archE1100ELNS1_3gpuE3ELNS1_3repE0EEENS1_30default_config_static_selectorELNS0_4arch9wavefront6targetE1EEEvT1_.kd
    .uniform_work_group_size: 1
    .uses_dynamic_stack: false
    .vgpr_count:     0
    .vgpr_spill_count: 0
    .wavefront_size: 64
  - .args:
      - .offset:         0
        .size:           120
        .value_kind:     by_value
    .group_segment_fixed_size: 0
    .kernarg_segment_align: 8
    .kernarg_segment_size: 120
    .language:       OpenCL C
    .language_version:
      - 2
      - 0
    .max_flat_workgroup_size: 384
    .name:           _ZN7rocprim17ROCPRIM_400000_NS6detail17trampoline_kernelINS0_14default_configENS1_25partition_config_selectorILNS1_17partition_subalgoE8EsNS0_10empty_typeEbEEZZNS1_14partition_implILS5_8ELb0ES3_jN6thrust23THRUST_200600_302600_NS6detail15normal_iteratorINSA_10device_ptrIsEEEEPS6_PKS6_NS0_5tupleIJNSA_16discard_iteratorINSA_11use_defaultEEES6_EEENSJ_IJSG_SG_EEENS0_18inequality_wrapperINSA_8equal_toIsEEEEPmJS6_EEE10hipError_tPvRmT3_T4_T5_T6_T7_T9_mT8_P12ihipStream_tbDpT10_ENKUlT_T0_E_clISt17integral_constantIbLb0EES1D_EEDaS18_S19_EUlS18_E_NS1_11comp_targetILNS1_3genE8ELNS1_11target_archE1030ELNS1_3gpuE2ELNS1_3repE0EEENS1_30default_config_static_selectorELNS0_4arch9wavefront6targetE1EEEvT1_
    .private_segment_fixed_size: 0
    .sgpr_count:     4
    .sgpr_spill_count: 0
    .symbol:         _ZN7rocprim17ROCPRIM_400000_NS6detail17trampoline_kernelINS0_14default_configENS1_25partition_config_selectorILNS1_17partition_subalgoE8EsNS0_10empty_typeEbEEZZNS1_14partition_implILS5_8ELb0ES3_jN6thrust23THRUST_200600_302600_NS6detail15normal_iteratorINSA_10device_ptrIsEEEEPS6_PKS6_NS0_5tupleIJNSA_16discard_iteratorINSA_11use_defaultEEES6_EEENSJ_IJSG_SG_EEENS0_18inequality_wrapperINSA_8equal_toIsEEEEPmJS6_EEE10hipError_tPvRmT3_T4_T5_T6_T7_T9_mT8_P12ihipStream_tbDpT10_ENKUlT_T0_E_clISt17integral_constantIbLb0EES1D_EEDaS18_S19_EUlS18_E_NS1_11comp_targetILNS1_3genE8ELNS1_11target_archE1030ELNS1_3gpuE2ELNS1_3repE0EEENS1_30default_config_static_selectorELNS0_4arch9wavefront6targetE1EEEvT1_.kd
    .uniform_work_group_size: 1
    .uses_dynamic_stack: false
    .vgpr_count:     0
    .vgpr_spill_count: 0
    .wavefront_size: 64
  - .args:
      - .offset:         0
        .size:           136
        .value_kind:     by_value
    .group_segment_fixed_size: 0
    .kernarg_segment_align: 8
    .kernarg_segment_size: 136
    .language:       OpenCL C
    .language_version:
      - 2
      - 0
    .max_flat_workgroup_size: 256
    .name:           _ZN7rocprim17ROCPRIM_400000_NS6detail17trampoline_kernelINS0_14default_configENS1_25partition_config_selectorILNS1_17partition_subalgoE8EsNS0_10empty_typeEbEEZZNS1_14partition_implILS5_8ELb0ES3_jN6thrust23THRUST_200600_302600_NS6detail15normal_iteratorINSA_10device_ptrIsEEEEPS6_PKS6_NS0_5tupleIJNSA_16discard_iteratorINSA_11use_defaultEEES6_EEENSJ_IJSG_SG_EEENS0_18inequality_wrapperINSA_8equal_toIsEEEEPmJS6_EEE10hipError_tPvRmT3_T4_T5_T6_T7_T9_mT8_P12ihipStream_tbDpT10_ENKUlT_T0_E_clISt17integral_constantIbLb1EES1D_EEDaS18_S19_EUlS18_E_NS1_11comp_targetILNS1_3genE0ELNS1_11target_archE4294967295ELNS1_3gpuE0ELNS1_3repE0EEENS1_30default_config_static_selectorELNS0_4arch9wavefront6targetE1EEEvT1_
    .private_segment_fixed_size: 0
    .sgpr_count:     4
    .sgpr_spill_count: 0
    .symbol:         _ZN7rocprim17ROCPRIM_400000_NS6detail17trampoline_kernelINS0_14default_configENS1_25partition_config_selectorILNS1_17partition_subalgoE8EsNS0_10empty_typeEbEEZZNS1_14partition_implILS5_8ELb0ES3_jN6thrust23THRUST_200600_302600_NS6detail15normal_iteratorINSA_10device_ptrIsEEEEPS6_PKS6_NS0_5tupleIJNSA_16discard_iteratorINSA_11use_defaultEEES6_EEENSJ_IJSG_SG_EEENS0_18inequality_wrapperINSA_8equal_toIsEEEEPmJS6_EEE10hipError_tPvRmT3_T4_T5_T6_T7_T9_mT8_P12ihipStream_tbDpT10_ENKUlT_T0_E_clISt17integral_constantIbLb1EES1D_EEDaS18_S19_EUlS18_E_NS1_11comp_targetILNS1_3genE0ELNS1_11target_archE4294967295ELNS1_3gpuE0ELNS1_3repE0EEENS1_30default_config_static_selectorELNS0_4arch9wavefront6targetE1EEEvT1_.kd
    .uniform_work_group_size: 1
    .uses_dynamic_stack: false
    .vgpr_count:     0
    .vgpr_spill_count: 0
    .wavefront_size: 64
  - .args:
      - .offset:         0
        .size:           136
        .value_kind:     by_value
    .group_segment_fixed_size: 0
    .kernarg_segment_align: 8
    .kernarg_segment_size: 136
    .language:       OpenCL C
    .language_version:
      - 2
      - 0
    .max_flat_workgroup_size: 512
    .name:           _ZN7rocprim17ROCPRIM_400000_NS6detail17trampoline_kernelINS0_14default_configENS1_25partition_config_selectorILNS1_17partition_subalgoE8EsNS0_10empty_typeEbEEZZNS1_14partition_implILS5_8ELb0ES3_jN6thrust23THRUST_200600_302600_NS6detail15normal_iteratorINSA_10device_ptrIsEEEEPS6_PKS6_NS0_5tupleIJNSA_16discard_iteratorINSA_11use_defaultEEES6_EEENSJ_IJSG_SG_EEENS0_18inequality_wrapperINSA_8equal_toIsEEEEPmJS6_EEE10hipError_tPvRmT3_T4_T5_T6_T7_T9_mT8_P12ihipStream_tbDpT10_ENKUlT_T0_E_clISt17integral_constantIbLb1EES1D_EEDaS18_S19_EUlS18_E_NS1_11comp_targetILNS1_3genE5ELNS1_11target_archE942ELNS1_3gpuE9ELNS1_3repE0EEENS1_30default_config_static_selectorELNS0_4arch9wavefront6targetE1EEEvT1_
    .private_segment_fixed_size: 0
    .sgpr_count:     4
    .sgpr_spill_count: 0
    .symbol:         _ZN7rocprim17ROCPRIM_400000_NS6detail17trampoline_kernelINS0_14default_configENS1_25partition_config_selectorILNS1_17partition_subalgoE8EsNS0_10empty_typeEbEEZZNS1_14partition_implILS5_8ELb0ES3_jN6thrust23THRUST_200600_302600_NS6detail15normal_iteratorINSA_10device_ptrIsEEEEPS6_PKS6_NS0_5tupleIJNSA_16discard_iteratorINSA_11use_defaultEEES6_EEENSJ_IJSG_SG_EEENS0_18inequality_wrapperINSA_8equal_toIsEEEEPmJS6_EEE10hipError_tPvRmT3_T4_T5_T6_T7_T9_mT8_P12ihipStream_tbDpT10_ENKUlT_T0_E_clISt17integral_constantIbLb1EES1D_EEDaS18_S19_EUlS18_E_NS1_11comp_targetILNS1_3genE5ELNS1_11target_archE942ELNS1_3gpuE9ELNS1_3repE0EEENS1_30default_config_static_selectorELNS0_4arch9wavefront6targetE1EEEvT1_.kd
    .uniform_work_group_size: 1
    .uses_dynamic_stack: false
    .vgpr_count:     0
    .vgpr_spill_count: 0
    .wavefront_size: 64
  - .args:
      - .offset:         0
        .size:           136
        .value_kind:     by_value
    .group_segment_fixed_size: 0
    .kernarg_segment_align: 8
    .kernarg_segment_size: 136
    .language:       OpenCL C
    .language_version:
      - 2
      - 0
    .max_flat_workgroup_size: 256
    .name:           _ZN7rocprim17ROCPRIM_400000_NS6detail17trampoline_kernelINS0_14default_configENS1_25partition_config_selectorILNS1_17partition_subalgoE8EsNS0_10empty_typeEbEEZZNS1_14partition_implILS5_8ELb0ES3_jN6thrust23THRUST_200600_302600_NS6detail15normal_iteratorINSA_10device_ptrIsEEEEPS6_PKS6_NS0_5tupleIJNSA_16discard_iteratorINSA_11use_defaultEEES6_EEENSJ_IJSG_SG_EEENS0_18inequality_wrapperINSA_8equal_toIsEEEEPmJS6_EEE10hipError_tPvRmT3_T4_T5_T6_T7_T9_mT8_P12ihipStream_tbDpT10_ENKUlT_T0_E_clISt17integral_constantIbLb1EES1D_EEDaS18_S19_EUlS18_E_NS1_11comp_targetILNS1_3genE4ELNS1_11target_archE910ELNS1_3gpuE8ELNS1_3repE0EEENS1_30default_config_static_selectorELNS0_4arch9wavefront6targetE1EEEvT1_
    .private_segment_fixed_size: 0
    .sgpr_count:     4
    .sgpr_spill_count: 0
    .symbol:         _ZN7rocprim17ROCPRIM_400000_NS6detail17trampoline_kernelINS0_14default_configENS1_25partition_config_selectorILNS1_17partition_subalgoE8EsNS0_10empty_typeEbEEZZNS1_14partition_implILS5_8ELb0ES3_jN6thrust23THRUST_200600_302600_NS6detail15normal_iteratorINSA_10device_ptrIsEEEEPS6_PKS6_NS0_5tupleIJNSA_16discard_iteratorINSA_11use_defaultEEES6_EEENSJ_IJSG_SG_EEENS0_18inequality_wrapperINSA_8equal_toIsEEEEPmJS6_EEE10hipError_tPvRmT3_T4_T5_T6_T7_T9_mT8_P12ihipStream_tbDpT10_ENKUlT_T0_E_clISt17integral_constantIbLb1EES1D_EEDaS18_S19_EUlS18_E_NS1_11comp_targetILNS1_3genE4ELNS1_11target_archE910ELNS1_3gpuE8ELNS1_3repE0EEENS1_30default_config_static_selectorELNS0_4arch9wavefront6targetE1EEEvT1_.kd
    .uniform_work_group_size: 1
    .uses_dynamic_stack: false
    .vgpr_count:     0
    .vgpr_spill_count: 0
    .wavefront_size: 64
  - .args:
      - .offset:         0
        .size:           136
        .value_kind:     by_value
    .group_segment_fixed_size: 0
    .kernarg_segment_align: 8
    .kernarg_segment_size: 136
    .language:       OpenCL C
    .language_version:
      - 2
      - 0
    .max_flat_workgroup_size: 256
    .name:           _ZN7rocprim17ROCPRIM_400000_NS6detail17trampoline_kernelINS0_14default_configENS1_25partition_config_selectorILNS1_17partition_subalgoE8EsNS0_10empty_typeEbEEZZNS1_14partition_implILS5_8ELb0ES3_jN6thrust23THRUST_200600_302600_NS6detail15normal_iteratorINSA_10device_ptrIsEEEEPS6_PKS6_NS0_5tupleIJNSA_16discard_iteratorINSA_11use_defaultEEES6_EEENSJ_IJSG_SG_EEENS0_18inequality_wrapperINSA_8equal_toIsEEEEPmJS6_EEE10hipError_tPvRmT3_T4_T5_T6_T7_T9_mT8_P12ihipStream_tbDpT10_ENKUlT_T0_E_clISt17integral_constantIbLb1EES1D_EEDaS18_S19_EUlS18_E_NS1_11comp_targetILNS1_3genE3ELNS1_11target_archE908ELNS1_3gpuE7ELNS1_3repE0EEENS1_30default_config_static_selectorELNS0_4arch9wavefront6targetE1EEEvT1_
    .private_segment_fixed_size: 0
    .sgpr_count:     4
    .sgpr_spill_count: 0
    .symbol:         _ZN7rocprim17ROCPRIM_400000_NS6detail17trampoline_kernelINS0_14default_configENS1_25partition_config_selectorILNS1_17partition_subalgoE8EsNS0_10empty_typeEbEEZZNS1_14partition_implILS5_8ELb0ES3_jN6thrust23THRUST_200600_302600_NS6detail15normal_iteratorINSA_10device_ptrIsEEEEPS6_PKS6_NS0_5tupleIJNSA_16discard_iteratorINSA_11use_defaultEEES6_EEENSJ_IJSG_SG_EEENS0_18inequality_wrapperINSA_8equal_toIsEEEEPmJS6_EEE10hipError_tPvRmT3_T4_T5_T6_T7_T9_mT8_P12ihipStream_tbDpT10_ENKUlT_T0_E_clISt17integral_constantIbLb1EES1D_EEDaS18_S19_EUlS18_E_NS1_11comp_targetILNS1_3genE3ELNS1_11target_archE908ELNS1_3gpuE7ELNS1_3repE0EEENS1_30default_config_static_selectorELNS0_4arch9wavefront6targetE1EEEvT1_.kd
    .uniform_work_group_size: 1
    .uses_dynamic_stack: false
    .vgpr_count:     0
    .vgpr_spill_count: 0
    .wavefront_size: 64
  - .args:
      - .offset:         0
        .size:           136
        .value_kind:     by_value
    .group_segment_fixed_size: 0
    .kernarg_segment_align: 8
    .kernarg_segment_size: 136
    .language:       OpenCL C
    .language_version:
      - 2
      - 0
    .max_flat_workgroup_size: 192
    .name:           _ZN7rocprim17ROCPRIM_400000_NS6detail17trampoline_kernelINS0_14default_configENS1_25partition_config_selectorILNS1_17partition_subalgoE8EsNS0_10empty_typeEbEEZZNS1_14partition_implILS5_8ELb0ES3_jN6thrust23THRUST_200600_302600_NS6detail15normal_iteratorINSA_10device_ptrIsEEEEPS6_PKS6_NS0_5tupleIJNSA_16discard_iteratorINSA_11use_defaultEEES6_EEENSJ_IJSG_SG_EEENS0_18inequality_wrapperINSA_8equal_toIsEEEEPmJS6_EEE10hipError_tPvRmT3_T4_T5_T6_T7_T9_mT8_P12ihipStream_tbDpT10_ENKUlT_T0_E_clISt17integral_constantIbLb1EES1D_EEDaS18_S19_EUlS18_E_NS1_11comp_targetILNS1_3genE2ELNS1_11target_archE906ELNS1_3gpuE6ELNS1_3repE0EEENS1_30default_config_static_selectorELNS0_4arch9wavefront6targetE1EEEvT1_
    .private_segment_fixed_size: 0
    .sgpr_count:     4
    .sgpr_spill_count: 0
    .symbol:         _ZN7rocprim17ROCPRIM_400000_NS6detail17trampoline_kernelINS0_14default_configENS1_25partition_config_selectorILNS1_17partition_subalgoE8EsNS0_10empty_typeEbEEZZNS1_14partition_implILS5_8ELb0ES3_jN6thrust23THRUST_200600_302600_NS6detail15normal_iteratorINSA_10device_ptrIsEEEEPS6_PKS6_NS0_5tupleIJNSA_16discard_iteratorINSA_11use_defaultEEES6_EEENSJ_IJSG_SG_EEENS0_18inequality_wrapperINSA_8equal_toIsEEEEPmJS6_EEE10hipError_tPvRmT3_T4_T5_T6_T7_T9_mT8_P12ihipStream_tbDpT10_ENKUlT_T0_E_clISt17integral_constantIbLb1EES1D_EEDaS18_S19_EUlS18_E_NS1_11comp_targetILNS1_3genE2ELNS1_11target_archE906ELNS1_3gpuE6ELNS1_3repE0EEENS1_30default_config_static_selectorELNS0_4arch9wavefront6targetE1EEEvT1_.kd
    .uniform_work_group_size: 1
    .uses_dynamic_stack: false
    .vgpr_count:     0
    .vgpr_spill_count: 0
    .wavefront_size: 64
  - .args:
      - .offset:         0
        .size:           136
        .value_kind:     by_value
    .group_segment_fixed_size: 0
    .kernarg_segment_align: 8
    .kernarg_segment_size: 136
    .language:       OpenCL C
    .language_version:
      - 2
      - 0
    .max_flat_workgroup_size: 256
    .name:           _ZN7rocprim17ROCPRIM_400000_NS6detail17trampoline_kernelINS0_14default_configENS1_25partition_config_selectorILNS1_17partition_subalgoE8EsNS0_10empty_typeEbEEZZNS1_14partition_implILS5_8ELb0ES3_jN6thrust23THRUST_200600_302600_NS6detail15normal_iteratorINSA_10device_ptrIsEEEEPS6_PKS6_NS0_5tupleIJNSA_16discard_iteratorINSA_11use_defaultEEES6_EEENSJ_IJSG_SG_EEENS0_18inequality_wrapperINSA_8equal_toIsEEEEPmJS6_EEE10hipError_tPvRmT3_T4_T5_T6_T7_T9_mT8_P12ihipStream_tbDpT10_ENKUlT_T0_E_clISt17integral_constantIbLb1EES1D_EEDaS18_S19_EUlS18_E_NS1_11comp_targetILNS1_3genE10ELNS1_11target_archE1200ELNS1_3gpuE4ELNS1_3repE0EEENS1_30default_config_static_selectorELNS0_4arch9wavefront6targetE1EEEvT1_
    .private_segment_fixed_size: 0
    .sgpr_count:     4
    .sgpr_spill_count: 0
    .symbol:         _ZN7rocprim17ROCPRIM_400000_NS6detail17trampoline_kernelINS0_14default_configENS1_25partition_config_selectorILNS1_17partition_subalgoE8EsNS0_10empty_typeEbEEZZNS1_14partition_implILS5_8ELb0ES3_jN6thrust23THRUST_200600_302600_NS6detail15normal_iteratorINSA_10device_ptrIsEEEEPS6_PKS6_NS0_5tupleIJNSA_16discard_iteratorINSA_11use_defaultEEES6_EEENSJ_IJSG_SG_EEENS0_18inequality_wrapperINSA_8equal_toIsEEEEPmJS6_EEE10hipError_tPvRmT3_T4_T5_T6_T7_T9_mT8_P12ihipStream_tbDpT10_ENKUlT_T0_E_clISt17integral_constantIbLb1EES1D_EEDaS18_S19_EUlS18_E_NS1_11comp_targetILNS1_3genE10ELNS1_11target_archE1200ELNS1_3gpuE4ELNS1_3repE0EEENS1_30default_config_static_selectorELNS0_4arch9wavefront6targetE1EEEvT1_.kd
    .uniform_work_group_size: 1
    .uses_dynamic_stack: false
    .vgpr_count:     0
    .vgpr_spill_count: 0
    .wavefront_size: 64
  - .args:
      - .offset:         0
        .size:           136
        .value_kind:     by_value
    .group_segment_fixed_size: 0
    .kernarg_segment_align: 8
    .kernarg_segment_size: 136
    .language:       OpenCL C
    .language_version:
      - 2
      - 0
    .max_flat_workgroup_size: 128
    .name:           _ZN7rocprim17ROCPRIM_400000_NS6detail17trampoline_kernelINS0_14default_configENS1_25partition_config_selectorILNS1_17partition_subalgoE8EsNS0_10empty_typeEbEEZZNS1_14partition_implILS5_8ELb0ES3_jN6thrust23THRUST_200600_302600_NS6detail15normal_iteratorINSA_10device_ptrIsEEEEPS6_PKS6_NS0_5tupleIJNSA_16discard_iteratorINSA_11use_defaultEEES6_EEENSJ_IJSG_SG_EEENS0_18inequality_wrapperINSA_8equal_toIsEEEEPmJS6_EEE10hipError_tPvRmT3_T4_T5_T6_T7_T9_mT8_P12ihipStream_tbDpT10_ENKUlT_T0_E_clISt17integral_constantIbLb1EES1D_EEDaS18_S19_EUlS18_E_NS1_11comp_targetILNS1_3genE9ELNS1_11target_archE1100ELNS1_3gpuE3ELNS1_3repE0EEENS1_30default_config_static_selectorELNS0_4arch9wavefront6targetE1EEEvT1_
    .private_segment_fixed_size: 0
    .sgpr_count:     4
    .sgpr_spill_count: 0
    .symbol:         _ZN7rocprim17ROCPRIM_400000_NS6detail17trampoline_kernelINS0_14default_configENS1_25partition_config_selectorILNS1_17partition_subalgoE8EsNS0_10empty_typeEbEEZZNS1_14partition_implILS5_8ELb0ES3_jN6thrust23THRUST_200600_302600_NS6detail15normal_iteratorINSA_10device_ptrIsEEEEPS6_PKS6_NS0_5tupleIJNSA_16discard_iteratorINSA_11use_defaultEEES6_EEENSJ_IJSG_SG_EEENS0_18inequality_wrapperINSA_8equal_toIsEEEEPmJS6_EEE10hipError_tPvRmT3_T4_T5_T6_T7_T9_mT8_P12ihipStream_tbDpT10_ENKUlT_T0_E_clISt17integral_constantIbLb1EES1D_EEDaS18_S19_EUlS18_E_NS1_11comp_targetILNS1_3genE9ELNS1_11target_archE1100ELNS1_3gpuE3ELNS1_3repE0EEENS1_30default_config_static_selectorELNS0_4arch9wavefront6targetE1EEEvT1_.kd
    .uniform_work_group_size: 1
    .uses_dynamic_stack: false
    .vgpr_count:     0
    .vgpr_spill_count: 0
    .wavefront_size: 64
  - .args:
      - .offset:         0
        .size:           136
        .value_kind:     by_value
    .group_segment_fixed_size: 0
    .kernarg_segment_align: 8
    .kernarg_segment_size: 136
    .language:       OpenCL C
    .language_version:
      - 2
      - 0
    .max_flat_workgroup_size: 384
    .name:           _ZN7rocprim17ROCPRIM_400000_NS6detail17trampoline_kernelINS0_14default_configENS1_25partition_config_selectorILNS1_17partition_subalgoE8EsNS0_10empty_typeEbEEZZNS1_14partition_implILS5_8ELb0ES3_jN6thrust23THRUST_200600_302600_NS6detail15normal_iteratorINSA_10device_ptrIsEEEEPS6_PKS6_NS0_5tupleIJNSA_16discard_iteratorINSA_11use_defaultEEES6_EEENSJ_IJSG_SG_EEENS0_18inequality_wrapperINSA_8equal_toIsEEEEPmJS6_EEE10hipError_tPvRmT3_T4_T5_T6_T7_T9_mT8_P12ihipStream_tbDpT10_ENKUlT_T0_E_clISt17integral_constantIbLb1EES1D_EEDaS18_S19_EUlS18_E_NS1_11comp_targetILNS1_3genE8ELNS1_11target_archE1030ELNS1_3gpuE2ELNS1_3repE0EEENS1_30default_config_static_selectorELNS0_4arch9wavefront6targetE1EEEvT1_
    .private_segment_fixed_size: 0
    .sgpr_count:     4
    .sgpr_spill_count: 0
    .symbol:         _ZN7rocprim17ROCPRIM_400000_NS6detail17trampoline_kernelINS0_14default_configENS1_25partition_config_selectorILNS1_17partition_subalgoE8EsNS0_10empty_typeEbEEZZNS1_14partition_implILS5_8ELb0ES3_jN6thrust23THRUST_200600_302600_NS6detail15normal_iteratorINSA_10device_ptrIsEEEEPS6_PKS6_NS0_5tupleIJNSA_16discard_iteratorINSA_11use_defaultEEES6_EEENSJ_IJSG_SG_EEENS0_18inequality_wrapperINSA_8equal_toIsEEEEPmJS6_EEE10hipError_tPvRmT3_T4_T5_T6_T7_T9_mT8_P12ihipStream_tbDpT10_ENKUlT_T0_E_clISt17integral_constantIbLb1EES1D_EEDaS18_S19_EUlS18_E_NS1_11comp_targetILNS1_3genE8ELNS1_11target_archE1030ELNS1_3gpuE2ELNS1_3repE0EEENS1_30default_config_static_selectorELNS0_4arch9wavefront6targetE1EEEvT1_.kd
    .uniform_work_group_size: 1
    .uses_dynamic_stack: false
    .vgpr_count:     0
    .vgpr_spill_count: 0
    .wavefront_size: 64
  - .args:
      - .offset:         0
        .size:           120
        .value_kind:     by_value
    .group_segment_fixed_size: 0
    .kernarg_segment_align: 8
    .kernarg_segment_size: 120
    .language:       OpenCL C
    .language_version:
      - 2
      - 0
    .max_flat_workgroup_size: 256
    .name:           _ZN7rocprim17ROCPRIM_400000_NS6detail17trampoline_kernelINS0_14default_configENS1_25partition_config_selectorILNS1_17partition_subalgoE8EsNS0_10empty_typeEbEEZZNS1_14partition_implILS5_8ELb0ES3_jN6thrust23THRUST_200600_302600_NS6detail15normal_iteratorINSA_10device_ptrIsEEEEPS6_PKS6_NS0_5tupleIJNSA_16discard_iteratorINSA_11use_defaultEEES6_EEENSJ_IJSG_SG_EEENS0_18inequality_wrapperINSA_8equal_toIsEEEEPmJS6_EEE10hipError_tPvRmT3_T4_T5_T6_T7_T9_mT8_P12ihipStream_tbDpT10_ENKUlT_T0_E_clISt17integral_constantIbLb1EES1C_IbLb0EEEEDaS18_S19_EUlS18_E_NS1_11comp_targetILNS1_3genE0ELNS1_11target_archE4294967295ELNS1_3gpuE0ELNS1_3repE0EEENS1_30default_config_static_selectorELNS0_4arch9wavefront6targetE1EEEvT1_
    .private_segment_fixed_size: 0
    .sgpr_count:     4
    .sgpr_spill_count: 0
    .symbol:         _ZN7rocprim17ROCPRIM_400000_NS6detail17trampoline_kernelINS0_14default_configENS1_25partition_config_selectorILNS1_17partition_subalgoE8EsNS0_10empty_typeEbEEZZNS1_14partition_implILS5_8ELb0ES3_jN6thrust23THRUST_200600_302600_NS6detail15normal_iteratorINSA_10device_ptrIsEEEEPS6_PKS6_NS0_5tupleIJNSA_16discard_iteratorINSA_11use_defaultEEES6_EEENSJ_IJSG_SG_EEENS0_18inequality_wrapperINSA_8equal_toIsEEEEPmJS6_EEE10hipError_tPvRmT3_T4_T5_T6_T7_T9_mT8_P12ihipStream_tbDpT10_ENKUlT_T0_E_clISt17integral_constantIbLb1EES1C_IbLb0EEEEDaS18_S19_EUlS18_E_NS1_11comp_targetILNS1_3genE0ELNS1_11target_archE4294967295ELNS1_3gpuE0ELNS1_3repE0EEENS1_30default_config_static_selectorELNS0_4arch9wavefront6targetE1EEEvT1_.kd
    .uniform_work_group_size: 1
    .uses_dynamic_stack: false
    .vgpr_count:     0
    .vgpr_spill_count: 0
    .wavefront_size: 64
  - .args:
      - .offset:         0
        .size:           120
        .value_kind:     by_value
    .group_segment_fixed_size: 0
    .kernarg_segment_align: 8
    .kernarg_segment_size: 120
    .language:       OpenCL C
    .language_version:
      - 2
      - 0
    .max_flat_workgroup_size: 512
    .name:           _ZN7rocprim17ROCPRIM_400000_NS6detail17trampoline_kernelINS0_14default_configENS1_25partition_config_selectorILNS1_17partition_subalgoE8EsNS0_10empty_typeEbEEZZNS1_14partition_implILS5_8ELb0ES3_jN6thrust23THRUST_200600_302600_NS6detail15normal_iteratorINSA_10device_ptrIsEEEEPS6_PKS6_NS0_5tupleIJNSA_16discard_iteratorINSA_11use_defaultEEES6_EEENSJ_IJSG_SG_EEENS0_18inequality_wrapperINSA_8equal_toIsEEEEPmJS6_EEE10hipError_tPvRmT3_T4_T5_T6_T7_T9_mT8_P12ihipStream_tbDpT10_ENKUlT_T0_E_clISt17integral_constantIbLb1EES1C_IbLb0EEEEDaS18_S19_EUlS18_E_NS1_11comp_targetILNS1_3genE5ELNS1_11target_archE942ELNS1_3gpuE9ELNS1_3repE0EEENS1_30default_config_static_selectorELNS0_4arch9wavefront6targetE1EEEvT1_
    .private_segment_fixed_size: 0
    .sgpr_count:     4
    .sgpr_spill_count: 0
    .symbol:         _ZN7rocprim17ROCPRIM_400000_NS6detail17trampoline_kernelINS0_14default_configENS1_25partition_config_selectorILNS1_17partition_subalgoE8EsNS0_10empty_typeEbEEZZNS1_14partition_implILS5_8ELb0ES3_jN6thrust23THRUST_200600_302600_NS6detail15normal_iteratorINSA_10device_ptrIsEEEEPS6_PKS6_NS0_5tupleIJNSA_16discard_iteratorINSA_11use_defaultEEES6_EEENSJ_IJSG_SG_EEENS0_18inequality_wrapperINSA_8equal_toIsEEEEPmJS6_EEE10hipError_tPvRmT3_T4_T5_T6_T7_T9_mT8_P12ihipStream_tbDpT10_ENKUlT_T0_E_clISt17integral_constantIbLb1EES1C_IbLb0EEEEDaS18_S19_EUlS18_E_NS1_11comp_targetILNS1_3genE5ELNS1_11target_archE942ELNS1_3gpuE9ELNS1_3repE0EEENS1_30default_config_static_selectorELNS0_4arch9wavefront6targetE1EEEvT1_.kd
    .uniform_work_group_size: 1
    .uses_dynamic_stack: false
    .vgpr_count:     0
    .vgpr_spill_count: 0
    .wavefront_size: 64
  - .args:
      - .offset:         0
        .size:           120
        .value_kind:     by_value
    .group_segment_fixed_size: 0
    .kernarg_segment_align: 8
    .kernarg_segment_size: 120
    .language:       OpenCL C
    .language_version:
      - 2
      - 0
    .max_flat_workgroup_size: 256
    .name:           _ZN7rocprim17ROCPRIM_400000_NS6detail17trampoline_kernelINS0_14default_configENS1_25partition_config_selectorILNS1_17partition_subalgoE8EsNS0_10empty_typeEbEEZZNS1_14partition_implILS5_8ELb0ES3_jN6thrust23THRUST_200600_302600_NS6detail15normal_iteratorINSA_10device_ptrIsEEEEPS6_PKS6_NS0_5tupleIJNSA_16discard_iteratorINSA_11use_defaultEEES6_EEENSJ_IJSG_SG_EEENS0_18inequality_wrapperINSA_8equal_toIsEEEEPmJS6_EEE10hipError_tPvRmT3_T4_T5_T6_T7_T9_mT8_P12ihipStream_tbDpT10_ENKUlT_T0_E_clISt17integral_constantIbLb1EES1C_IbLb0EEEEDaS18_S19_EUlS18_E_NS1_11comp_targetILNS1_3genE4ELNS1_11target_archE910ELNS1_3gpuE8ELNS1_3repE0EEENS1_30default_config_static_selectorELNS0_4arch9wavefront6targetE1EEEvT1_
    .private_segment_fixed_size: 0
    .sgpr_count:     4
    .sgpr_spill_count: 0
    .symbol:         _ZN7rocprim17ROCPRIM_400000_NS6detail17trampoline_kernelINS0_14default_configENS1_25partition_config_selectorILNS1_17partition_subalgoE8EsNS0_10empty_typeEbEEZZNS1_14partition_implILS5_8ELb0ES3_jN6thrust23THRUST_200600_302600_NS6detail15normal_iteratorINSA_10device_ptrIsEEEEPS6_PKS6_NS0_5tupleIJNSA_16discard_iteratorINSA_11use_defaultEEES6_EEENSJ_IJSG_SG_EEENS0_18inequality_wrapperINSA_8equal_toIsEEEEPmJS6_EEE10hipError_tPvRmT3_T4_T5_T6_T7_T9_mT8_P12ihipStream_tbDpT10_ENKUlT_T0_E_clISt17integral_constantIbLb1EES1C_IbLb0EEEEDaS18_S19_EUlS18_E_NS1_11comp_targetILNS1_3genE4ELNS1_11target_archE910ELNS1_3gpuE8ELNS1_3repE0EEENS1_30default_config_static_selectorELNS0_4arch9wavefront6targetE1EEEvT1_.kd
    .uniform_work_group_size: 1
    .uses_dynamic_stack: false
    .vgpr_count:     0
    .vgpr_spill_count: 0
    .wavefront_size: 64
  - .args:
      - .offset:         0
        .size:           120
        .value_kind:     by_value
    .group_segment_fixed_size: 0
    .kernarg_segment_align: 8
    .kernarg_segment_size: 120
    .language:       OpenCL C
    .language_version:
      - 2
      - 0
    .max_flat_workgroup_size: 256
    .name:           _ZN7rocprim17ROCPRIM_400000_NS6detail17trampoline_kernelINS0_14default_configENS1_25partition_config_selectorILNS1_17partition_subalgoE8EsNS0_10empty_typeEbEEZZNS1_14partition_implILS5_8ELb0ES3_jN6thrust23THRUST_200600_302600_NS6detail15normal_iteratorINSA_10device_ptrIsEEEEPS6_PKS6_NS0_5tupleIJNSA_16discard_iteratorINSA_11use_defaultEEES6_EEENSJ_IJSG_SG_EEENS0_18inequality_wrapperINSA_8equal_toIsEEEEPmJS6_EEE10hipError_tPvRmT3_T4_T5_T6_T7_T9_mT8_P12ihipStream_tbDpT10_ENKUlT_T0_E_clISt17integral_constantIbLb1EES1C_IbLb0EEEEDaS18_S19_EUlS18_E_NS1_11comp_targetILNS1_3genE3ELNS1_11target_archE908ELNS1_3gpuE7ELNS1_3repE0EEENS1_30default_config_static_selectorELNS0_4arch9wavefront6targetE1EEEvT1_
    .private_segment_fixed_size: 0
    .sgpr_count:     4
    .sgpr_spill_count: 0
    .symbol:         _ZN7rocprim17ROCPRIM_400000_NS6detail17trampoline_kernelINS0_14default_configENS1_25partition_config_selectorILNS1_17partition_subalgoE8EsNS0_10empty_typeEbEEZZNS1_14partition_implILS5_8ELb0ES3_jN6thrust23THRUST_200600_302600_NS6detail15normal_iteratorINSA_10device_ptrIsEEEEPS6_PKS6_NS0_5tupleIJNSA_16discard_iteratorINSA_11use_defaultEEES6_EEENSJ_IJSG_SG_EEENS0_18inequality_wrapperINSA_8equal_toIsEEEEPmJS6_EEE10hipError_tPvRmT3_T4_T5_T6_T7_T9_mT8_P12ihipStream_tbDpT10_ENKUlT_T0_E_clISt17integral_constantIbLb1EES1C_IbLb0EEEEDaS18_S19_EUlS18_E_NS1_11comp_targetILNS1_3genE3ELNS1_11target_archE908ELNS1_3gpuE7ELNS1_3repE0EEENS1_30default_config_static_selectorELNS0_4arch9wavefront6targetE1EEEvT1_.kd
    .uniform_work_group_size: 1
    .uses_dynamic_stack: false
    .vgpr_count:     0
    .vgpr_spill_count: 0
    .wavefront_size: 64
  - .args:
      - .offset:         0
        .size:           120
        .value_kind:     by_value
    .group_segment_fixed_size: 0
    .kernarg_segment_align: 8
    .kernarg_segment_size: 120
    .language:       OpenCL C
    .language_version:
      - 2
      - 0
    .max_flat_workgroup_size: 192
    .name:           _ZN7rocprim17ROCPRIM_400000_NS6detail17trampoline_kernelINS0_14default_configENS1_25partition_config_selectorILNS1_17partition_subalgoE8EsNS0_10empty_typeEbEEZZNS1_14partition_implILS5_8ELb0ES3_jN6thrust23THRUST_200600_302600_NS6detail15normal_iteratorINSA_10device_ptrIsEEEEPS6_PKS6_NS0_5tupleIJNSA_16discard_iteratorINSA_11use_defaultEEES6_EEENSJ_IJSG_SG_EEENS0_18inequality_wrapperINSA_8equal_toIsEEEEPmJS6_EEE10hipError_tPvRmT3_T4_T5_T6_T7_T9_mT8_P12ihipStream_tbDpT10_ENKUlT_T0_E_clISt17integral_constantIbLb1EES1C_IbLb0EEEEDaS18_S19_EUlS18_E_NS1_11comp_targetILNS1_3genE2ELNS1_11target_archE906ELNS1_3gpuE6ELNS1_3repE0EEENS1_30default_config_static_selectorELNS0_4arch9wavefront6targetE1EEEvT1_
    .private_segment_fixed_size: 0
    .sgpr_count:     4
    .sgpr_spill_count: 0
    .symbol:         _ZN7rocprim17ROCPRIM_400000_NS6detail17trampoline_kernelINS0_14default_configENS1_25partition_config_selectorILNS1_17partition_subalgoE8EsNS0_10empty_typeEbEEZZNS1_14partition_implILS5_8ELb0ES3_jN6thrust23THRUST_200600_302600_NS6detail15normal_iteratorINSA_10device_ptrIsEEEEPS6_PKS6_NS0_5tupleIJNSA_16discard_iteratorINSA_11use_defaultEEES6_EEENSJ_IJSG_SG_EEENS0_18inequality_wrapperINSA_8equal_toIsEEEEPmJS6_EEE10hipError_tPvRmT3_T4_T5_T6_T7_T9_mT8_P12ihipStream_tbDpT10_ENKUlT_T0_E_clISt17integral_constantIbLb1EES1C_IbLb0EEEEDaS18_S19_EUlS18_E_NS1_11comp_targetILNS1_3genE2ELNS1_11target_archE906ELNS1_3gpuE6ELNS1_3repE0EEENS1_30default_config_static_selectorELNS0_4arch9wavefront6targetE1EEEvT1_.kd
    .uniform_work_group_size: 1
    .uses_dynamic_stack: false
    .vgpr_count:     0
    .vgpr_spill_count: 0
    .wavefront_size: 64
  - .args:
      - .offset:         0
        .size:           120
        .value_kind:     by_value
    .group_segment_fixed_size: 0
    .kernarg_segment_align: 8
    .kernarg_segment_size: 120
    .language:       OpenCL C
    .language_version:
      - 2
      - 0
    .max_flat_workgroup_size: 256
    .name:           _ZN7rocprim17ROCPRIM_400000_NS6detail17trampoline_kernelINS0_14default_configENS1_25partition_config_selectorILNS1_17partition_subalgoE8EsNS0_10empty_typeEbEEZZNS1_14partition_implILS5_8ELb0ES3_jN6thrust23THRUST_200600_302600_NS6detail15normal_iteratorINSA_10device_ptrIsEEEEPS6_PKS6_NS0_5tupleIJNSA_16discard_iteratorINSA_11use_defaultEEES6_EEENSJ_IJSG_SG_EEENS0_18inequality_wrapperINSA_8equal_toIsEEEEPmJS6_EEE10hipError_tPvRmT3_T4_T5_T6_T7_T9_mT8_P12ihipStream_tbDpT10_ENKUlT_T0_E_clISt17integral_constantIbLb1EES1C_IbLb0EEEEDaS18_S19_EUlS18_E_NS1_11comp_targetILNS1_3genE10ELNS1_11target_archE1200ELNS1_3gpuE4ELNS1_3repE0EEENS1_30default_config_static_selectorELNS0_4arch9wavefront6targetE1EEEvT1_
    .private_segment_fixed_size: 0
    .sgpr_count:     4
    .sgpr_spill_count: 0
    .symbol:         _ZN7rocprim17ROCPRIM_400000_NS6detail17trampoline_kernelINS0_14default_configENS1_25partition_config_selectorILNS1_17partition_subalgoE8EsNS0_10empty_typeEbEEZZNS1_14partition_implILS5_8ELb0ES3_jN6thrust23THRUST_200600_302600_NS6detail15normal_iteratorINSA_10device_ptrIsEEEEPS6_PKS6_NS0_5tupleIJNSA_16discard_iteratorINSA_11use_defaultEEES6_EEENSJ_IJSG_SG_EEENS0_18inequality_wrapperINSA_8equal_toIsEEEEPmJS6_EEE10hipError_tPvRmT3_T4_T5_T6_T7_T9_mT8_P12ihipStream_tbDpT10_ENKUlT_T0_E_clISt17integral_constantIbLb1EES1C_IbLb0EEEEDaS18_S19_EUlS18_E_NS1_11comp_targetILNS1_3genE10ELNS1_11target_archE1200ELNS1_3gpuE4ELNS1_3repE0EEENS1_30default_config_static_selectorELNS0_4arch9wavefront6targetE1EEEvT1_.kd
    .uniform_work_group_size: 1
    .uses_dynamic_stack: false
    .vgpr_count:     0
    .vgpr_spill_count: 0
    .wavefront_size: 64
  - .args:
      - .offset:         0
        .size:           120
        .value_kind:     by_value
    .group_segment_fixed_size: 0
    .kernarg_segment_align: 8
    .kernarg_segment_size: 120
    .language:       OpenCL C
    .language_version:
      - 2
      - 0
    .max_flat_workgroup_size: 128
    .name:           _ZN7rocprim17ROCPRIM_400000_NS6detail17trampoline_kernelINS0_14default_configENS1_25partition_config_selectorILNS1_17partition_subalgoE8EsNS0_10empty_typeEbEEZZNS1_14partition_implILS5_8ELb0ES3_jN6thrust23THRUST_200600_302600_NS6detail15normal_iteratorINSA_10device_ptrIsEEEEPS6_PKS6_NS0_5tupleIJNSA_16discard_iteratorINSA_11use_defaultEEES6_EEENSJ_IJSG_SG_EEENS0_18inequality_wrapperINSA_8equal_toIsEEEEPmJS6_EEE10hipError_tPvRmT3_T4_T5_T6_T7_T9_mT8_P12ihipStream_tbDpT10_ENKUlT_T0_E_clISt17integral_constantIbLb1EES1C_IbLb0EEEEDaS18_S19_EUlS18_E_NS1_11comp_targetILNS1_3genE9ELNS1_11target_archE1100ELNS1_3gpuE3ELNS1_3repE0EEENS1_30default_config_static_selectorELNS0_4arch9wavefront6targetE1EEEvT1_
    .private_segment_fixed_size: 0
    .sgpr_count:     4
    .sgpr_spill_count: 0
    .symbol:         _ZN7rocprim17ROCPRIM_400000_NS6detail17trampoline_kernelINS0_14default_configENS1_25partition_config_selectorILNS1_17partition_subalgoE8EsNS0_10empty_typeEbEEZZNS1_14partition_implILS5_8ELb0ES3_jN6thrust23THRUST_200600_302600_NS6detail15normal_iteratorINSA_10device_ptrIsEEEEPS6_PKS6_NS0_5tupleIJNSA_16discard_iteratorINSA_11use_defaultEEES6_EEENSJ_IJSG_SG_EEENS0_18inequality_wrapperINSA_8equal_toIsEEEEPmJS6_EEE10hipError_tPvRmT3_T4_T5_T6_T7_T9_mT8_P12ihipStream_tbDpT10_ENKUlT_T0_E_clISt17integral_constantIbLb1EES1C_IbLb0EEEEDaS18_S19_EUlS18_E_NS1_11comp_targetILNS1_3genE9ELNS1_11target_archE1100ELNS1_3gpuE3ELNS1_3repE0EEENS1_30default_config_static_selectorELNS0_4arch9wavefront6targetE1EEEvT1_.kd
    .uniform_work_group_size: 1
    .uses_dynamic_stack: false
    .vgpr_count:     0
    .vgpr_spill_count: 0
    .wavefront_size: 64
  - .args:
      - .offset:         0
        .size:           120
        .value_kind:     by_value
    .group_segment_fixed_size: 0
    .kernarg_segment_align: 8
    .kernarg_segment_size: 120
    .language:       OpenCL C
    .language_version:
      - 2
      - 0
    .max_flat_workgroup_size: 384
    .name:           _ZN7rocprim17ROCPRIM_400000_NS6detail17trampoline_kernelINS0_14default_configENS1_25partition_config_selectorILNS1_17partition_subalgoE8EsNS0_10empty_typeEbEEZZNS1_14partition_implILS5_8ELb0ES3_jN6thrust23THRUST_200600_302600_NS6detail15normal_iteratorINSA_10device_ptrIsEEEEPS6_PKS6_NS0_5tupleIJNSA_16discard_iteratorINSA_11use_defaultEEES6_EEENSJ_IJSG_SG_EEENS0_18inequality_wrapperINSA_8equal_toIsEEEEPmJS6_EEE10hipError_tPvRmT3_T4_T5_T6_T7_T9_mT8_P12ihipStream_tbDpT10_ENKUlT_T0_E_clISt17integral_constantIbLb1EES1C_IbLb0EEEEDaS18_S19_EUlS18_E_NS1_11comp_targetILNS1_3genE8ELNS1_11target_archE1030ELNS1_3gpuE2ELNS1_3repE0EEENS1_30default_config_static_selectorELNS0_4arch9wavefront6targetE1EEEvT1_
    .private_segment_fixed_size: 0
    .sgpr_count:     4
    .sgpr_spill_count: 0
    .symbol:         _ZN7rocprim17ROCPRIM_400000_NS6detail17trampoline_kernelINS0_14default_configENS1_25partition_config_selectorILNS1_17partition_subalgoE8EsNS0_10empty_typeEbEEZZNS1_14partition_implILS5_8ELb0ES3_jN6thrust23THRUST_200600_302600_NS6detail15normal_iteratorINSA_10device_ptrIsEEEEPS6_PKS6_NS0_5tupleIJNSA_16discard_iteratorINSA_11use_defaultEEES6_EEENSJ_IJSG_SG_EEENS0_18inequality_wrapperINSA_8equal_toIsEEEEPmJS6_EEE10hipError_tPvRmT3_T4_T5_T6_T7_T9_mT8_P12ihipStream_tbDpT10_ENKUlT_T0_E_clISt17integral_constantIbLb1EES1C_IbLb0EEEEDaS18_S19_EUlS18_E_NS1_11comp_targetILNS1_3genE8ELNS1_11target_archE1030ELNS1_3gpuE2ELNS1_3repE0EEENS1_30default_config_static_selectorELNS0_4arch9wavefront6targetE1EEEvT1_.kd
    .uniform_work_group_size: 1
    .uses_dynamic_stack: false
    .vgpr_count:     0
    .vgpr_spill_count: 0
    .wavefront_size: 64
  - .args:
      - .offset:         0
        .size:           136
        .value_kind:     by_value
    .group_segment_fixed_size: 0
    .kernarg_segment_align: 8
    .kernarg_segment_size: 136
    .language:       OpenCL C
    .language_version:
      - 2
      - 0
    .max_flat_workgroup_size: 256
    .name:           _ZN7rocprim17ROCPRIM_400000_NS6detail17trampoline_kernelINS0_14default_configENS1_25partition_config_selectorILNS1_17partition_subalgoE8EsNS0_10empty_typeEbEEZZNS1_14partition_implILS5_8ELb0ES3_jN6thrust23THRUST_200600_302600_NS6detail15normal_iteratorINSA_10device_ptrIsEEEEPS6_PKS6_NS0_5tupleIJNSA_16discard_iteratorINSA_11use_defaultEEES6_EEENSJ_IJSG_SG_EEENS0_18inequality_wrapperINSA_8equal_toIsEEEEPmJS6_EEE10hipError_tPvRmT3_T4_T5_T6_T7_T9_mT8_P12ihipStream_tbDpT10_ENKUlT_T0_E_clISt17integral_constantIbLb0EES1C_IbLb1EEEEDaS18_S19_EUlS18_E_NS1_11comp_targetILNS1_3genE0ELNS1_11target_archE4294967295ELNS1_3gpuE0ELNS1_3repE0EEENS1_30default_config_static_selectorELNS0_4arch9wavefront6targetE1EEEvT1_
    .private_segment_fixed_size: 0
    .sgpr_count:     4
    .sgpr_spill_count: 0
    .symbol:         _ZN7rocprim17ROCPRIM_400000_NS6detail17trampoline_kernelINS0_14default_configENS1_25partition_config_selectorILNS1_17partition_subalgoE8EsNS0_10empty_typeEbEEZZNS1_14partition_implILS5_8ELb0ES3_jN6thrust23THRUST_200600_302600_NS6detail15normal_iteratorINSA_10device_ptrIsEEEEPS6_PKS6_NS0_5tupleIJNSA_16discard_iteratorINSA_11use_defaultEEES6_EEENSJ_IJSG_SG_EEENS0_18inequality_wrapperINSA_8equal_toIsEEEEPmJS6_EEE10hipError_tPvRmT3_T4_T5_T6_T7_T9_mT8_P12ihipStream_tbDpT10_ENKUlT_T0_E_clISt17integral_constantIbLb0EES1C_IbLb1EEEEDaS18_S19_EUlS18_E_NS1_11comp_targetILNS1_3genE0ELNS1_11target_archE4294967295ELNS1_3gpuE0ELNS1_3repE0EEENS1_30default_config_static_selectorELNS0_4arch9wavefront6targetE1EEEvT1_.kd
    .uniform_work_group_size: 1
    .uses_dynamic_stack: false
    .vgpr_count:     0
    .vgpr_spill_count: 0
    .wavefront_size: 64
  - .args:
      - .offset:         0
        .size:           136
        .value_kind:     by_value
    .group_segment_fixed_size: 0
    .kernarg_segment_align: 8
    .kernarg_segment_size: 136
    .language:       OpenCL C
    .language_version:
      - 2
      - 0
    .max_flat_workgroup_size: 512
    .name:           _ZN7rocprim17ROCPRIM_400000_NS6detail17trampoline_kernelINS0_14default_configENS1_25partition_config_selectorILNS1_17partition_subalgoE8EsNS0_10empty_typeEbEEZZNS1_14partition_implILS5_8ELb0ES3_jN6thrust23THRUST_200600_302600_NS6detail15normal_iteratorINSA_10device_ptrIsEEEEPS6_PKS6_NS0_5tupleIJNSA_16discard_iteratorINSA_11use_defaultEEES6_EEENSJ_IJSG_SG_EEENS0_18inequality_wrapperINSA_8equal_toIsEEEEPmJS6_EEE10hipError_tPvRmT3_T4_T5_T6_T7_T9_mT8_P12ihipStream_tbDpT10_ENKUlT_T0_E_clISt17integral_constantIbLb0EES1C_IbLb1EEEEDaS18_S19_EUlS18_E_NS1_11comp_targetILNS1_3genE5ELNS1_11target_archE942ELNS1_3gpuE9ELNS1_3repE0EEENS1_30default_config_static_selectorELNS0_4arch9wavefront6targetE1EEEvT1_
    .private_segment_fixed_size: 0
    .sgpr_count:     4
    .sgpr_spill_count: 0
    .symbol:         _ZN7rocprim17ROCPRIM_400000_NS6detail17trampoline_kernelINS0_14default_configENS1_25partition_config_selectorILNS1_17partition_subalgoE8EsNS0_10empty_typeEbEEZZNS1_14partition_implILS5_8ELb0ES3_jN6thrust23THRUST_200600_302600_NS6detail15normal_iteratorINSA_10device_ptrIsEEEEPS6_PKS6_NS0_5tupleIJNSA_16discard_iteratorINSA_11use_defaultEEES6_EEENSJ_IJSG_SG_EEENS0_18inequality_wrapperINSA_8equal_toIsEEEEPmJS6_EEE10hipError_tPvRmT3_T4_T5_T6_T7_T9_mT8_P12ihipStream_tbDpT10_ENKUlT_T0_E_clISt17integral_constantIbLb0EES1C_IbLb1EEEEDaS18_S19_EUlS18_E_NS1_11comp_targetILNS1_3genE5ELNS1_11target_archE942ELNS1_3gpuE9ELNS1_3repE0EEENS1_30default_config_static_selectorELNS0_4arch9wavefront6targetE1EEEvT1_.kd
    .uniform_work_group_size: 1
    .uses_dynamic_stack: false
    .vgpr_count:     0
    .vgpr_spill_count: 0
    .wavefront_size: 64
  - .args:
      - .offset:         0
        .size:           136
        .value_kind:     by_value
    .group_segment_fixed_size: 0
    .kernarg_segment_align: 8
    .kernarg_segment_size: 136
    .language:       OpenCL C
    .language_version:
      - 2
      - 0
    .max_flat_workgroup_size: 256
    .name:           _ZN7rocprim17ROCPRIM_400000_NS6detail17trampoline_kernelINS0_14default_configENS1_25partition_config_selectorILNS1_17partition_subalgoE8EsNS0_10empty_typeEbEEZZNS1_14partition_implILS5_8ELb0ES3_jN6thrust23THRUST_200600_302600_NS6detail15normal_iteratorINSA_10device_ptrIsEEEEPS6_PKS6_NS0_5tupleIJNSA_16discard_iteratorINSA_11use_defaultEEES6_EEENSJ_IJSG_SG_EEENS0_18inequality_wrapperINSA_8equal_toIsEEEEPmJS6_EEE10hipError_tPvRmT3_T4_T5_T6_T7_T9_mT8_P12ihipStream_tbDpT10_ENKUlT_T0_E_clISt17integral_constantIbLb0EES1C_IbLb1EEEEDaS18_S19_EUlS18_E_NS1_11comp_targetILNS1_3genE4ELNS1_11target_archE910ELNS1_3gpuE8ELNS1_3repE0EEENS1_30default_config_static_selectorELNS0_4arch9wavefront6targetE1EEEvT1_
    .private_segment_fixed_size: 0
    .sgpr_count:     4
    .sgpr_spill_count: 0
    .symbol:         _ZN7rocprim17ROCPRIM_400000_NS6detail17trampoline_kernelINS0_14default_configENS1_25partition_config_selectorILNS1_17partition_subalgoE8EsNS0_10empty_typeEbEEZZNS1_14partition_implILS5_8ELb0ES3_jN6thrust23THRUST_200600_302600_NS6detail15normal_iteratorINSA_10device_ptrIsEEEEPS6_PKS6_NS0_5tupleIJNSA_16discard_iteratorINSA_11use_defaultEEES6_EEENSJ_IJSG_SG_EEENS0_18inequality_wrapperINSA_8equal_toIsEEEEPmJS6_EEE10hipError_tPvRmT3_T4_T5_T6_T7_T9_mT8_P12ihipStream_tbDpT10_ENKUlT_T0_E_clISt17integral_constantIbLb0EES1C_IbLb1EEEEDaS18_S19_EUlS18_E_NS1_11comp_targetILNS1_3genE4ELNS1_11target_archE910ELNS1_3gpuE8ELNS1_3repE0EEENS1_30default_config_static_selectorELNS0_4arch9wavefront6targetE1EEEvT1_.kd
    .uniform_work_group_size: 1
    .uses_dynamic_stack: false
    .vgpr_count:     0
    .vgpr_spill_count: 0
    .wavefront_size: 64
  - .args:
      - .offset:         0
        .size:           136
        .value_kind:     by_value
    .group_segment_fixed_size: 0
    .kernarg_segment_align: 8
    .kernarg_segment_size: 136
    .language:       OpenCL C
    .language_version:
      - 2
      - 0
    .max_flat_workgroup_size: 256
    .name:           _ZN7rocprim17ROCPRIM_400000_NS6detail17trampoline_kernelINS0_14default_configENS1_25partition_config_selectorILNS1_17partition_subalgoE8EsNS0_10empty_typeEbEEZZNS1_14partition_implILS5_8ELb0ES3_jN6thrust23THRUST_200600_302600_NS6detail15normal_iteratorINSA_10device_ptrIsEEEEPS6_PKS6_NS0_5tupleIJNSA_16discard_iteratorINSA_11use_defaultEEES6_EEENSJ_IJSG_SG_EEENS0_18inequality_wrapperINSA_8equal_toIsEEEEPmJS6_EEE10hipError_tPvRmT3_T4_T5_T6_T7_T9_mT8_P12ihipStream_tbDpT10_ENKUlT_T0_E_clISt17integral_constantIbLb0EES1C_IbLb1EEEEDaS18_S19_EUlS18_E_NS1_11comp_targetILNS1_3genE3ELNS1_11target_archE908ELNS1_3gpuE7ELNS1_3repE0EEENS1_30default_config_static_selectorELNS0_4arch9wavefront6targetE1EEEvT1_
    .private_segment_fixed_size: 0
    .sgpr_count:     4
    .sgpr_spill_count: 0
    .symbol:         _ZN7rocprim17ROCPRIM_400000_NS6detail17trampoline_kernelINS0_14default_configENS1_25partition_config_selectorILNS1_17partition_subalgoE8EsNS0_10empty_typeEbEEZZNS1_14partition_implILS5_8ELb0ES3_jN6thrust23THRUST_200600_302600_NS6detail15normal_iteratorINSA_10device_ptrIsEEEEPS6_PKS6_NS0_5tupleIJNSA_16discard_iteratorINSA_11use_defaultEEES6_EEENSJ_IJSG_SG_EEENS0_18inequality_wrapperINSA_8equal_toIsEEEEPmJS6_EEE10hipError_tPvRmT3_T4_T5_T6_T7_T9_mT8_P12ihipStream_tbDpT10_ENKUlT_T0_E_clISt17integral_constantIbLb0EES1C_IbLb1EEEEDaS18_S19_EUlS18_E_NS1_11comp_targetILNS1_3genE3ELNS1_11target_archE908ELNS1_3gpuE7ELNS1_3repE0EEENS1_30default_config_static_selectorELNS0_4arch9wavefront6targetE1EEEvT1_.kd
    .uniform_work_group_size: 1
    .uses_dynamic_stack: false
    .vgpr_count:     0
    .vgpr_spill_count: 0
    .wavefront_size: 64
  - .args:
      - .offset:         0
        .size:           136
        .value_kind:     by_value
    .group_segment_fixed_size: 6920
    .kernarg_segment_align: 8
    .kernarg_segment_size: 136
    .language:       OpenCL C
    .language_version:
      - 2
      - 0
    .max_flat_workgroup_size: 192
    .name:           _ZN7rocprim17ROCPRIM_400000_NS6detail17trampoline_kernelINS0_14default_configENS1_25partition_config_selectorILNS1_17partition_subalgoE8EsNS0_10empty_typeEbEEZZNS1_14partition_implILS5_8ELb0ES3_jN6thrust23THRUST_200600_302600_NS6detail15normal_iteratorINSA_10device_ptrIsEEEEPS6_PKS6_NS0_5tupleIJNSA_16discard_iteratorINSA_11use_defaultEEES6_EEENSJ_IJSG_SG_EEENS0_18inequality_wrapperINSA_8equal_toIsEEEEPmJS6_EEE10hipError_tPvRmT3_T4_T5_T6_T7_T9_mT8_P12ihipStream_tbDpT10_ENKUlT_T0_E_clISt17integral_constantIbLb0EES1C_IbLb1EEEEDaS18_S19_EUlS18_E_NS1_11comp_targetILNS1_3genE2ELNS1_11target_archE906ELNS1_3gpuE6ELNS1_3repE0EEENS1_30default_config_static_selectorELNS0_4arch9wavefront6targetE1EEEvT1_
    .private_segment_fixed_size: 0
    .sgpr_count:     61
    .sgpr_spill_count: 0
    .symbol:         _ZN7rocprim17ROCPRIM_400000_NS6detail17trampoline_kernelINS0_14default_configENS1_25partition_config_selectorILNS1_17partition_subalgoE8EsNS0_10empty_typeEbEEZZNS1_14partition_implILS5_8ELb0ES3_jN6thrust23THRUST_200600_302600_NS6detail15normal_iteratorINSA_10device_ptrIsEEEEPS6_PKS6_NS0_5tupleIJNSA_16discard_iteratorINSA_11use_defaultEEES6_EEENSJ_IJSG_SG_EEENS0_18inequality_wrapperINSA_8equal_toIsEEEEPmJS6_EEE10hipError_tPvRmT3_T4_T5_T6_T7_T9_mT8_P12ihipStream_tbDpT10_ENKUlT_T0_E_clISt17integral_constantIbLb0EES1C_IbLb1EEEEDaS18_S19_EUlS18_E_NS1_11comp_targetILNS1_3genE2ELNS1_11target_archE906ELNS1_3gpuE6ELNS1_3repE0EEENS1_30default_config_static_selectorELNS0_4arch9wavefront6targetE1EEEvT1_.kd
    .uniform_work_group_size: 1
    .uses_dynamic_stack: false
    .vgpr_count:     83
    .vgpr_spill_count: 0
    .wavefront_size: 64
  - .args:
      - .offset:         0
        .size:           136
        .value_kind:     by_value
    .group_segment_fixed_size: 0
    .kernarg_segment_align: 8
    .kernarg_segment_size: 136
    .language:       OpenCL C
    .language_version:
      - 2
      - 0
    .max_flat_workgroup_size: 256
    .name:           _ZN7rocprim17ROCPRIM_400000_NS6detail17trampoline_kernelINS0_14default_configENS1_25partition_config_selectorILNS1_17partition_subalgoE8EsNS0_10empty_typeEbEEZZNS1_14partition_implILS5_8ELb0ES3_jN6thrust23THRUST_200600_302600_NS6detail15normal_iteratorINSA_10device_ptrIsEEEEPS6_PKS6_NS0_5tupleIJNSA_16discard_iteratorINSA_11use_defaultEEES6_EEENSJ_IJSG_SG_EEENS0_18inequality_wrapperINSA_8equal_toIsEEEEPmJS6_EEE10hipError_tPvRmT3_T4_T5_T6_T7_T9_mT8_P12ihipStream_tbDpT10_ENKUlT_T0_E_clISt17integral_constantIbLb0EES1C_IbLb1EEEEDaS18_S19_EUlS18_E_NS1_11comp_targetILNS1_3genE10ELNS1_11target_archE1200ELNS1_3gpuE4ELNS1_3repE0EEENS1_30default_config_static_selectorELNS0_4arch9wavefront6targetE1EEEvT1_
    .private_segment_fixed_size: 0
    .sgpr_count:     4
    .sgpr_spill_count: 0
    .symbol:         _ZN7rocprim17ROCPRIM_400000_NS6detail17trampoline_kernelINS0_14default_configENS1_25partition_config_selectorILNS1_17partition_subalgoE8EsNS0_10empty_typeEbEEZZNS1_14partition_implILS5_8ELb0ES3_jN6thrust23THRUST_200600_302600_NS6detail15normal_iteratorINSA_10device_ptrIsEEEEPS6_PKS6_NS0_5tupleIJNSA_16discard_iteratorINSA_11use_defaultEEES6_EEENSJ_IJSG_SG_EEENS0_18inequality_wrapperINSA_8equal_toIsEEEEPmJS6_EEE10hipError_tPvRmT3_T4_T5_T6_T7_T9_mT8_P12ihipStream_tbDpT10_ENKUlT_T0_E_clISt17integral_constantIbLb0EES1C_IbLb1EEEEDaS18_S19_EUlS18_E_NS1_11comp_targetILNS1_3genE10ELNS1_11target_archE1200ELNS1_3gpuE4ELNS1_3repE0EEENS1_30default_config_static_selectorELNS0_4arch9wavefront6targetE1EEEvT1_.kd
    .uniform_work_group_size: 1
    .uses_dynamic_stack: false
    .vgpr_count:     0
    .vgpr_spill_count: 0
    .wavefront_size: 64
  - .args:
      - .offset:         0
        .size:           136
        .value_kind:     by_value
    .group_segment_fixed_size: 0
    .kernarg_segment_align: 8
    .kernarg_segment_size: 136
    .language:       OpenCL C
    .language_version:
      - 2
      - 0
    .max_flat_workgroup_size: 128
    .name:           _ZN7rocprim17ROCPRIM_400000_NS6detail17trampoline_kernelINS0_14default_configENS1_25partition_config_selectorILNS1_17partition_subalgoE8EsNS0_10empty_typeEbEEZZNS1_14partition_implILS5_8ELb0ES3_jN6thrust23THRUST_200600_302600_NS6detail15normal_iteratorINSA_10device_ptrIsEEEEPS6_PKS6_NS0_5tupleIJNSA_16discard_iteratorINSA_11use_defaultEEES6_EEENSJ_IJSG_SG_EEENS0_18inequality_wrapperINSA_8equal_toIsEEEEPmJS6_EEE10hipError_tPvRmT3_T4_T5_T6_T7_T9_mT8_P12ihipStream_tbDpT10_ENKUlT_T0_E_clISt17integral_constantIbLb0EES1C_IbLb1EEEEDaS18_S19_EUlS18_E_NS1_11comp_targetILNS1_3genE9ELNS1_11target_archE1100ELNS1_3gpuE3ELNS1_3repE0EEENS1_30default_config_static_selectorELNS0_4arch9wavefront6targetE1EEEvT1_
    .private_segment_fixed_size: 0
    .sgpr_count:     4
    .sgpr_spill_count: 0
    .symbol:         _ZN7rocprim17ROCPRIM_400000_NS6detail17trampoline_kernelINS0_14default_configENS1_25partition_config_selectorILNS1_17partition_subalgoE8EsNS0_10empty_typeEbEEZZNS1_14partition_implILS5_8ELb0ES3_jN6thrust23THRUST_200600_302600_NS6detail15normal_iteratorINSA_10device_ptrIsEEEEPS6_PKS6_NS0_5tupleIJNSA_16discard_iteratorINSA_11use_defaultEEES6_EEENSJ_IJSG_SG_EEENS0_18inequality_wrapperINSA_8equal_toIsEEEEPmJS6_EEE10hipError_tPvRmT3_T4_T5_T6_T7_T9_mT8_P12ihipStream_tbDpT10_ENKUlT_T0_E_clISt17integral_constantIbLb0EES1C_IbLb1EEEEDaS18_S19_EUlS18_E_NS1_11comp_targetILNS1_3genE9ELNS1_11target_archE1100ELNS1_3gpuE3ELNS1_3repE0EEENS1_30default_config_static_selectorELNS0_4arch9wavefront6targetE1EEEvT1_.kd
    .uniform_work_group_size: 1
    .uses_dynamic_stack: false
    .vgpr_count:     0
    .vgpr_spill_count: 0
    .wavefront_size: 64
  - .args:
      - .offset:         0
        .size:           136
        .value_kind:     by_value
    .group_segment_fixed_size: 0
    .kernarg_segment_align: 8
    .kernarg_segment_size: 136
    .language:       OpenCL C
    .language_version:
      - 2
      - 0
    .max_flat_workgroup_size: 384
    .name:           _ZN7rocprim17ROCPRIM_400000_NS6detail17trampoline_kernelINS0_14default_configENS1_25partition_config_selectorILNS1_17partition_subalgoE8EsNS0_10empty_typeEbEEZZNS1_14partition_implILS5_8ELb0ES3_jN6thrust23THRUST_200600_302600_NS6detail15normal_iteratorINSA_10device_ptrIsEEEEPS6_PKS6_NS0_5tupleIJNSA_16discard_iteratorINSA_11use_defaultEEES6_EEENSJ_IJSG_SG_EEENS0_18inequality_wrapperINSA_8equal_toIsEEEEPmJS6_EEE10hipError_tPvRmT3_T4_T5_T6_T7_T9_mT8_P12ihipStream_tbDpT10_ENKUlT_T0_E_clISt17integral_constantIbLb0EES1C_IbLb1EEEEDaS18_S19_EUlS18_E_NS1_11comp_targetILNS1_3genE8ELNS1_11target_archE1030ELNS1_3gpuE2ELNS1_3repE0EEENS1_30default_config_static_selectorELNS0_4arch9wavefront6targetE1EEEvT1_
    .private_segment_fixed_size: 0
    .sgpr_count:     4
    .sgpr_spill_count: 0
    .symbol:         _ZN7rocprim17ROCPRIM_400000_NS6detail17trampoline_kernelINS0_14default_configENS1_25partition_config_selectorILNS1_17partition_subalgoE8EsNS0_10empty_typeEbEEZZNS1_14partition_implILS5_8ELb0ES3_jN6thrust23THRUST_200600_302600_NS6detail15normal_iteratorINSA_10device_ptrIsEEEEPS6_PKS6_NS0_5tupleIJNSA_16discard_iteratorINSA_11use_defaultEEES6_EEENSJ_IJSG_SG_EEENS0_18inequality_wrapperINSA_8equal_toIsEEEEPmJS6_EEE10hipError_tPvRmT3_T4_T5_T6_T7_T9_mT8_P12ihipStream_tbDpT10_ENKUlT_T0_E_clISt17integral_constantIbLb0EES1C_IbLb1EEEEDaS18_S19_EUlS18_E_NS1_11comp_targetILNS1_3genE8ELNS1_11target_archE1030ELNS1_3gpuE2ELNS1_3repE0EEENS1_30default_config_static_selectorELNS0_4arch9wavefront6targetE1EEEvT1_.kd
    .uniform_work_group_size: 1
    .uses_dynamic_stack: false
    .vgpr_count:     0
    .vgpr_spill_count: 0
    .wavefront_size: 64
  - .args:
      - .offset:         0
        .size:           64
        .value_kind:     by_value
    .group_segment_fixed_size: 0
    .kernarg_segment_align: 8
    .kernarg_segment_size: 64
    .language:       OpenCL C
    .language_version:
      - 2
      - 0
    .max_flat_workgroup_size: 256
    .name:           _ZN7rocprim17ROCPRIM_400000_NS6detail17trampoline_kernelINS0_14default_configENS1_22reduce_config_selectorIlEEZNS1_11reduce_implILb1ES3_PlS7_lN6thrust23THRUST_200600_302600_NS4plusIlEEEE10hipError_tPvRmT1_T2_T3_mT4_P12ihipStream_tbEUlT_E0_NS1_11comp_targetILNS1_3genE0ELNS1_11target_archE4294967295ELNS1_3gpuE0ELNS1_3repE0EEENS1_30default_config_static_selectorELNS0_4arch9wavefront6targetE1EEEvSF_
    .private_segment_fixed_size: 0
    .sgpr_count:     4
    .sgpr_spill_count: 0
    .symbol:         _ZN7rocprim17ROCPRIM_400000_NS6detail17trampoline_kernelINS0_14default_configENS1_22reduce_config_selectorIlEEZNS1_11reduce_implILb1ES3_PlS7_lN6thrust23THRUST_200600_302600_NS4plusIlEEEE10hipError_tPvRmT1_T2_T3_mT4_P12ihipStream_tbEUlT_E0_NS1_11comp_targetILNS1_3genE0ELNS1_11target_archE4294967295ELNS1_3gpuE0ELNS1_3repE0EEENS1_30default_config_static_selectorELNS0_4arch9wavefront6targetE1EEEvSF_.kd
    .uniform_work_group_size: 1
    .uses_dynamic_stack: false
    .vgpr_count:     0
    .vgpr_spill_count: 0
    .wavefront_size: 64
  - .args:
      - .offset:         0
        .size:           64
        .value_kind:     by_value
    .group_segment_fixed_size: 0
    .kernarg_segment_align: 8
    .kernarg_segment_size: 64
    .language:       OpenCL C
    .language_version:
      - 2
      - 0
    .max_flat_workgroup_size: 256
    .name:           _ZN7rocprim17ROCPRIM_400000_NS6detail17trampoline_kernelINS0_14default_configENS1_22reduce_config_selectorIlEEZNS1_11reduce_implILb1ES3_PlS7_lN6thrust23THRUST_200600_302600_NS4plusIlEEEE10hipError_tPvRmT1_T2_T3_mT4_P12ihipStream_tbEUlT_E0_NS1_11comp_targetILNS1_3genE5ELNS1_11target_archE942ELNS1_3gpuE9ELNS1_3repE0EEENS1_30default_config_static_selectorELNS0_4arch9wavefront6targetE1EEEvSF_
    .private_segment_fixed_size: 0
    .sgpr_count:     4
    .sgpr_spill_count: 0
    .symbol:         _ZN7rocprim17ROCPRIM_400000_NS6detail17trampoline_kernelINS0_14default_configENS1_22reduce_config_selectorIlEEZNS1_11reduce_implILb1ES3_PlS7_lN6thrust23THRUST_200600_302600_NS4plusIlEEEE10hipError_tPvRmT1_T2_T3_mT4_P12ihipStream_tbEUlT_E0_NS1_11comp_targetILNS1_3genE5ELNS1_11target_archE942ELNS1_3gpuE9ELNS1_3repE0EEENS1_30default_config_static_selectorELNS0_4arch9wavefront6targetE1EEEvSF_.kd
    .uniform_work_group_size: 1
    .uses_dynamic_stack: false
    .vgpr_count:     0
    .vgpr_spill_count: 0
    .wavefront_size: 64
  - .args:
      - .offset:         0
        .size:           64
        .value_kind:     by_value
    .group_segment_fixed_size: 0
    .kernarg_segment_align: 8
    .kernarg_segment_size: 64
    .language:       OpenCL C
    .language_version:
      - 2
      - 0
    .max_flat_workgroup_size: 256
    .name:           _ZN7rocprim17ROCPRIM_400000_NS6detail17trampoline_kernelINS0_14default_configENS1_22reduce_config_selectorIlEEZNS1_11reduce_implILb1ES3_PlS7_lN6thrust23THRUST_200600_302600_NS4plusIlEEEE10hipError_tPvRmT1_T2_T3_mT4_P12ihipStream_tbEUlT_E0_NS1_11comp_targetILNS1_3genE4ELNS1_11target_archE910ELNS1_3gpuE8ELNS1_3repE0EEENS1_30default_config_static_selectorELNS0_4arch9wavefront6targetE1EEEvSF_
    .private_segment_fixed_size: 0
    .sgpr_count:     4
    .sgpr_spill_count: 0
    .symbol:         _ZN7rocprim17ROCPRIM_400000_NS6detail17trampoline_kernelINS0_14default_configENS1_22reduce_config_selectorIlEEZNS1_11reduce_implILb1ES3_PlS7_lN6thrust23THRUST_200600_302600_NS4plusIlEEEE10hipError_tPvRmT1_T2_T3_mT4_P12ihipStream_tbEUlT_E0_NS1_11comp_targetILNS1_3genE4ELNS1_11target_archE910ELNS1_3gpuE8ELNS1_3repE0EEENS1_30default_config_static_selectorELNS0_4arch9wavefront6targetE1EEEvSF_.kd
    .uniform_work_group_size: 1
    .uses_dynamic_stack: false
    .vgpr_count:     0
    .vgpr_spill_count: 0
    .wavefront_size: 64
  - .args:
      - .offset:         0
        .size:           64
        .value_kind:     by_value
    .group_segment_fixed_size: 0
    .kernarg_segment_align: 8
    .kernarg_segment_size: 64
    .language:       OpenCL C
    .language_version:
      - 2
      - 0
    .max_flat_workgroup_size: 256
    .name:           _ZN7rocprim17ROCPRIM_400000_NS6detail17trampoline_kernelINS0_14default_configENS1_22reduce_config_selectorIlEEZNS1_11reduce_implILb1ES3_PlS7_lN6thrust23THRUST_200600_302600_NS4plusIlEEEE10hipError_tPvRmT1_T2_T3_mT4_P12ihipStream_tbEUlT_E0_NS1_11comp_targetILNS1_3genE3ELNS1_11target_archE908ELNS1_3gpuE7ELNS1_3repE0EEENS1_30default_config_static_selectorELNS0_4arch9wavefront6targetE1EEEvSF_
    .private_segment_fixed_size: 0
    .sgpr_count:     4
    .sgpr_spill_count: 0
    .symbol:         _ZN7rocprim17ROCPRIM_400000_NS6detail17trampoline_kernelINS0_14default_configENS1_22reduce_config_selectorIlEEZNS1_11reduce_implILb1ES3_PlS7_lN6thrust23THRUST_200600_302600_NS4plusIlEEEE10hipError_tPvRmT1_T2_T3_mT4_P12ihipStream_tbEUlT_E0_NS1_11comp_targetILNS1_3genE3ELNS1_11target_archE908ELNS1_3gpuE7ELNS1_3repE0EEENS1_30default_config_static_selectorELNS0_4arch9wavefront6targetE1EEEvSF_.kd
    .uniform_work_group_size: 1
    .uses_dynamic_stack: false
    .vgpr_count:     0
    .vgpr_spill_count: 0
    .wavefront_size: 64
  - .args:
      - .offset:         0
        .size:           64
        .value_kind:     by_value
    .group_segment_fixed_size: 64
    .kernarg_segment_align: 8
    .kernarg_segment_size: 64
    .language:       OpenCL C
    .language_version:
      - 2
      - 0
    .max_flat_workgroup_size: 256
    .name:           _ZN7rocprim17ROCPRIM_400000_NS6detail17trampoline_kernelINS0_14default_configENS1_22reduce_config_selectorIlEEZNS1_11reduce_implILb1ES3_PlS7_lN6thrust23THRUST_200600_302600_NS4plusIlEEEE10hipError_tPvRmT1_T2_T3_mT4_P12ihipStream_tbEUlT_E0_NS1_11comp_targetILNS1_3genE2ELNS1_11target_archE906ELNS1_3gpuE6ELNS1_3repE0EEENS1_30default_config_static_selectorELNS0_4arch9wavefront6targetE1EEEvSF_
    .private_segment_fixed_size: 0
    .sgpr_count:     24
    .sgpr_spill_count: 0
    .symbol:         _ZN7rocprim17ROCPRIM_400000_NS6detail17trampoline_kernelINS0_14default_configENS1_22reduce_config_selectorIlEEZNS1_11reduce_implILb1ES3_PlS7_lN6thrust23THRUST_200600_302600_NS4plusIlEEEE10hipError_tPvRmT1_T2_T3_mT4_P12ihipStream_tbEUlT_E0_NS1_11comp_targetILNS1_3genE2ELNS1_11target_archE906ELNS1_3gpuE6ELNS1_3repE0EEENS1_30default_config_static_selectorELNS0_4arch9wavefront6targetE1EEEvSF_.kd
    .uniform_work_group_size: 1
    .uses_dynamic_stack: false
    .vgpr_count:     11
    .vgpr_spill_count: 0
    .wavefront_size: 64
  - .args:
      - .offset:         0
        .size:           64
        .value_kind:     by_value
    .group_segment_fixed_size: 0
    .kernarg_segment_align: 8
    .kernarg_segment_size: 64
    .language:       OpenCL C
    .language_version:
      - 2
      - 0
    .max_flat_workgroup_size: 256
    .name:           _ZN7rocprim17ROCPRIM_400000_NS6detail17trampoline_kernelINS0_14default_configENS1_22reduce_config_selectorIlEEZNS1_11reduce_implILb1ES3_PlS7_lN6thrust23THRUST_200600_302600_NS4plusIlEEEE10hipError_tPvRmT1_T2_T3_mT4_P12ihipStream_tbEUlT_E0_NS1_11comp_targetILNS1_3genE10ELNS1_11target_archE1201ELNS1_3gpuE5ELNS1_3repE0EEENS1_30default_config_static_selectorELNS0_4arch9wavefront6targetE1EEEvSF_
    .private_segment_fixed_size: 0
    .sgpr_count:     4
    .sgpr_spill_count: 0
    .symbol:         _ZN7rocprim17ROCPRIM_400000_NS6detail17trampoline_kernelINS0_14default_configENS1_22reduce_config_selectorIlEEZNS1_11reduce_implILb1ES3_PlS7_lN6thrust23THRUST_200600_302600_NS4plusIlEEEE10hipError_tPvRmT1_T2_T3_mT4_P12ihipStream_tbEUlT_E0_NS1_11comp_targetILNS1_3genE10ELNS1_11target_archE1201ELNS1_3gpuE5ELNS1_3repE0EEENS1_30default_config_static_selectorELNS0_4arch9wavefront6targetE1EEEvSF_.kd
    .uniform_work_group_size: 1
    .uses_dynamic_stack: false
    .vgpr_count:     0
    .vgpr_spill_count: 0
    .wavefront_size: 64
  - .args:
      - .offset:         0
        .size:           64
        .value_kind:     by_value
    .group_segment_fixed_size: 0
    .kernarg_segment_align: 8
    .kernarg_segment_size: 64
    .language:       OpenCL C
    .language_version:
      - 2
      - 0
    .max_flat_workgroup_size: 256
    .name:           _ZN7rocprim17ROCPRIM_400000_NS6detail17trampoline_kernelINS0_14default_configENS1_22reduce_config_selectorIlEEZNS1_11reduce_implILb1ES3_PlS7_lN6thrust23THRUST_200600_302600_NS4plusIlEEEE10hipError_tPvRmT1_T2_T3_mT4_P12ihipStream_tbEUlT_E0_NS1_11comp_targetILNS1_3genE10ELNS1_11target_archE1200ELNS1_3gpuE4ELNS1_3repE0EEENS1_30default_config_static_selectorELNS0_4arch9wavefront6targetE1EEEvSF_
    .private_segment_fixed_size: 0
    .sgpr_count:     4
    .sgpr_spill_count: 0
    .symbol:         _ZN7rocprim17ROCPRIM_400000_NS6detail17trampoline_kernelINS0_14default_configENS1_22reduce_config_selectorIlEEZNS1_11reduce_implILb1ES3_PlS7_lN6thrust23THRUST_200600_302600_NS4plusIlEEEE10hipError_tPvRmT1_T2_T3_mT4_P12ihipStream_tbEUlT_E0_NS1_11comp_targetILNS1_3genE10ELNS1_11target_archE1200ELNS1_3gpuE4ELNS1_3repE0EEENS1_30default_config_static_selectorELNS0_4arch9wavefront6targetE1EEEvSF_.kd
    .uniform_work_group_size: 1
    .uses_dynamic_stack: false
    .vgpr_count:     0
    .vgpr_spill_count: 0
    .wavefront_size: 64
  - .args:
      - .offset:         0
        .size:           64
        .value_kind:     by_value
    .group_segment_fixed_size: 0
    .kernarg_segment_align: 8
    .kernarg_segment_size: 64
    .language:       OpenCL C
    .language_version:
      - 2
      - 0
    .max_flat_workgroup_size: 256
    .name:           _ZN7rocprim17ROCPRIM_400000_NS6detail17trampoline_kernelINS0_14default_configENS1_22reduce_config_selectorIlEEZNS1_11reduce_implILb1ES3_PlS7_lN6thrust23THRUST_200600_302600_NS4plusIlEEEE10hipError_tPvRmT1_T2_T3_mT4_P12ihipStream_tbEUlT_E0_NS1_11comp_targetILNS1_3genE9ELNS1_11target_archE1100ELNS1_3gpuE3ELNS1_3repE0EEENS1_30default_config_static_selectorELNS0_4arch9wavefront6targetE1EEEvSF_
    .private_segment_fixed_size: 0
    .sgpr_count:     4
    .sgpr_spill_count: 0
    .symbol:         _ZN7rocprim17ROCPRIM_400000_NS6detail17trampoline_kernelINS0_14default_configENS1_22reduce_config_selectorIlEEZNS1_11reduce_implILb1ES3_PlS7_lN6thrust23THRUST_200600_302600_NS4plusIlEEEE10hipError_tPvRmT1_T2_T3_mT4_P12ihipStream_tbEUlT_E0_NS1_11comp_targetILNS1_3genE9ELNS1_11target_archE1100ELNS1_3gpuE3ELNS1_3repE0EEENS1_30default_config_static_selectorELNS0_4arch9wavefront6targetE1EEEvSF_.kd
    .uniform_work_group_size: 1
    .uses_dynamic_stack: false
    .vgpr_count:     0
    .vgpr_spill_count: 0
    .wavefront_size: 64
  - .args:
      - .offset:         0
        .size:           64
        .value_kind:     by_value
    .group_segment_fixed_size: 0
    .kernarg_segment_align: 8
    .kernarg_segment_size: 64
    .language:       OpenCL C
    .language_version:
      - 2
      - 0
    .max_flat_workgroup_size: 256
    .name:           _ZN7rocprim17ROCPRIM_400000_NS6detail17trampoline_kernelINS0_14default_configENS1_22reduce_config_selectorIlEEZNS1_11reduce_implILb1ES3_PlS7_lN6thrust23THRUST_200600_302600_NS4plusIlEEEE10hipError_tPvRmT1_T2_T3_mT4_P12ihipStream_tbEUlT_E0_NS1_11comp_targetILNS1_3genE8ELNS1_11target_archE1030ELNS1_3gpuE2ELNS1_3repE0EEENS1_30default_config_static_selectorELNS0_4arch9wavefront6targetE1EEEvSF_
    .private_segment_fixed_size: 0
    .sgpr_count:     4
    .sgpr_spill_count: 0
    .symbol:         _ZN7rocprim17ROCPRIM_400000_NS6detail17trampoline_kernelINS0_14default_configENS1_22reduce_config_selectorIlEEZNS1_11reduce_implILb1ES3_PlS7_lN6thrust23THRUST_200600_302600_NS4plusIlEEEE10hipError_tPvRmT1_T2_T3_mT4_P12ihipStream_tbEUlT_E0_NS1_11comp_targetILNS1_3genE8ELNS1_11target_archE1030ELNS1_3gpuE2ELNS1_3repE0EEENS1_30default_config_static_selectorELNS0_4arch9wavefront6targetE1EEEvSF_.kd
    .uniform_work_group_size: 1
    .uses_dynamic_stack: false
    .vgpr_count:     0
    .vgpr_spill_count: 0
    .wavefront_size: 64
  - .args:
      - .offset:         0
        .size:           48
        .value_kind:     by_value
    .group_segment_fixed_size: 0
    .kernarg_segment_align: 8
    .kernarg_segment_size: 48
    .language:       OpenCL C
    .language_version:
      - 2
      - 0
    .max_flat_workgroup_size: 256
    .name:           _ZN7rocprim17ROCPRIM_400000_NS6detail17trampoline_kernelINS0_14default_configENS1_22reduce_config_selectorIlEEZNS1_11reduce_implILb1ES3_PlS7_lN6thrust23THRUST_200600_302600_NS4plusIlEEEE10hipError_tPvRmT1_T2_T3_mT4_P12ihipStream_tbEUlT_E1_NS1_11comp_targetILNS1_3genE0ELNS1_11target_archE4294967295ELNS1_3gpuE0ELNS1_3repE0EEENS1_30default_config_static_selectorELNS0_4arch9wavefront6targetE1EEEvSF_
    .private_segment_fixed_size: 0
    .sgpr_count:     4
    .sgpr_spill_count: 0
    .symbol:         _ZN7rocprim17ROCPRIM_400000_NS6detail17trampoline_kernelINS0_14default_configENS1_22reduce_config_selectorIlEEZNS1_11reduce_implILb1ES3_PlS7_lN6thrust23THRUST_200600_302600_NS4plusIlEEEE10hipError_tPvRmT1_T2_T3_mT4_P12ihipStream_tbEUlT_E1_NS1_11comp_targetILNS1_3genE0ELNS1_11target_archE4294967295ELNS1_3gpuE0ELNS1_3repE0EEENS1_30default_config_static_selectorELNS0_4arch9wavefront6targetE1EEEvSF_.kd
    .uniform_work_group_size: 1
    .uses_dynamic_stack: false
    .vgpr_count:     0
    .vgpr_spill_count: 0
    .wavefront_size: 64
  - .args:
      - .offset:         0
        .size:           48
        .value_kind:     by_value
    .group_segment_fixed_size: 0
    .kernarg_segment_align: 8
    .kernarg_segment_size: 48
    .language:       OpenCL C
    .language_version:
      - 2
      - 0
    .max_flat_workgroup_size: 256
    .name:           _ZN7rocprim17ROCPRIM_400000_NS6detail17trampoline_kernelINS0_14default_configENS1_22reduce_config_selectorIlEEZNS1_11reduce_implILb1ES3_PlS7_lN6thrust23THRUST_200600_302600_NS4plusIlEEEE10hipError_tPvRmT1_T2_T3_mT4_P12ihipStream_tbEUlT_E1_NS1_11comp_targetILNS1_3genE5ELNS1_11target_archE942ELNS1_3gpuE9ELNS1_3repE0EEENS1_30default_config_static_selectorELNS0_4arch9wavefront6targetE1EEEvSF_
    .private_segment_fixed_size: 0
    .sgpr_count:     4
    .sgpr_spill_count: 0
    .symbol:         _ZN7rocprim17ROCPRIM_400000_NS6detail17trampoline_kernelINS0_14default_configENS1_22reduce_config_selectorIlEEZNS1_11reduce_implILb1ES3_PlS7_lN6thrust23THRUST_200600_302600_NS4plusIlEEEE10hipError_tPvRmT1_T2_T3_mT4_P12ihipStream_tbEUlT_E1_NS1_11comp_targetILNS1_3genE5ELNS1_11target_archE942ELNS1_3gpuE9ELNS1_3repE0EEENS1_30default_config_static_selectorELNS0_4arch9wavefront6targetE1EEEvSF_.kd
    .uniform_work_group_size: 1
    .uses_dynamic_stack: false
    .vgpr_count:     0
    .vgpr_spill_count: 0
    .wavefront_size: 64
  - .args:
      - .offset:         0
        .size:           48
        .value_kind:     by_value
    .group_segment_fixed_size: 0
    .kernarg_segment_align: 8
    .kernarg_segment_size: 48
    .language:       OpenCL C
    .language_version:
      - 2
      - 0
    .max_flat_workgroup_size: 256
    .name:           _ZN7rocprim17ROCPRIM_400000_NS6detail17trampoline_kernelINS0_14default_configENS1_22reduce_config_selectorIlEEZNS1_11reduce_implILb1ES3_PlS7_lN6thrust23THRUST_200600_302600_NS4plusIlEEEE10hipError_tPvRmT1_T2_T3_mT4_P12ihipStream_tbEUlT_E1_NS1_11comp_targetILNS1_3genE4ELNS1_11target_archE910ELNS1_3gpuE8ELNS1_3repE0EEENS1_30default_config_static_selectorELNS0_4arch9wavefront6targetE1EEEvSF_
    .private_segment_fixed_size: 0
    .sgpr_count:     4
    .sgpr_spill_count: 0
    .symbol:         _ZN7rocprim17ROCPRIM_400000_NS6detail17trampoline_kernelINS0_14default_configENS1_22reduce_config_selectorIlEEZNS1_11reduce_implILb1ES3_PlS7_lN6thrust23THRUST_200600_302600_NS4plusIlEEEE10hipError_tPvRmT1_T2_T3_mT4_P12ihipStream_tbEUlT_E1_NS1_11comp_targetILNS1_3genE4ELNS1_11target_archE910ELNS1_3gpuE8ELNS1_3repE0EEENS1_30default_config_static_selectorELNS0_4arch9wavefront6targetE1EEEvSF_.kd
    .uniform_work_group_size: 1
    .uses_dynamic_stack: false
    .vgpr_count:     0
    .vgpr_spill_count: 0
    .wavefront_size: 64
  - .args:
      - .offset:         0
        .size:           48
        .value_kind:     by_value
    .group_segment_fixed_size: 0
    .kernarg_segment_align: 8
    .kernarg_segment_size: 48
    .language:       OpenCL C
    .language_version:
      - 2
      - 0
    .max_flat_workgroup_size: 256
    .name:           _ZN7rocprim17ROCPRIM_400000_NS6detail17trampoline_kernelINS0_14default_configENS1_22reduce_config_selectorIlEEZNS1_11reduce_implILb1ES3_PlS7_lN6thrust23THRUST_200600_302600_NS4plusIlEEEE10hipError_tPvRmT1_T2_T3_mT4_P12ihipStream_tbEUlT_E1_NS1_11comp_targetILNS1_3genE3ELNS1_11target_archE908ELNS1_3gpuE7ELNS1_3repE0EEENS1_30default_config_static_selectorELNS0_4arch9wavefront6targetE1EEEvSF_
    .private_segment_fixed_size: 0
    .sgpr_count:     4
    .sgpr_spill_count: 0
    .symbol:         _ZN7rocprim17ROCPRIM_400000_NS6detail17trampoline_kernelINS0_14default_configENS1_22reduce_config_selectorIlEEZNS1_11reduce_implILb1ES3_PlS7_lN6thrust23THRUST_200600_302600_NS4plusIlEEEE10hipError_tPvRmT1_T2_T3_mT4_P12ihipStream_tbEUlT_E1_NS1_11comp_targetILNS1_3genE3ELNS1_11target_archE908ELNS1_3gpuE7ELNS1_3repE0EEENS1_30default_config_static_selectorELNS0_4arch9wavefront6targetE1EEEvSF_.kd
    .uniform_work_group_size: 1
    .uses_dynamic_stack: false
    .vgpr_count:     0
    .vgpr_spill_count: 0
    .wavefront_size: 64
  - .args:
      - .offset:         0
        .size:           48
        .value_kind:     by_value
    .group_segment_fixed_size: 192
    .kernarg_segment_align: 8
    .kernarg_segment_size: 48
    .language:       OpenCL C
    .language_version:
      - 2
      - 0
    .max_flat_workgroup_size: 256
    .name:           _ZN7rocprim17ROCPRIM_400000_NS6detail17trampoline_kernelINS0_14default_configENS1_22reduce_config_selectorIlEEZNS1_11reduce_implILb1ES3_PlS7_lN6thrust23THRUST_200600_302600_NS4plusIlEEEE10hipError_tPvRmT1_T2_T3_mT4_P12ihipStream_tbEUlT_E1_NS1_11comp_targetILNS1_3genE2ELNS1_11target_archE906ELNS1_3gpuE6ELNS1_3repE0EEENS1_30default_config_static_selectorELNS0_4arch9wavefront6targetE1EEEvSF_
    .private_segment_fixed_size: 0
    .sgpr_count:     32
    .sgpr_spill_count: 0
    .symbol:         _ZN7rocprim17ROCPRIM_400000_NS6detail17trampoline_kernelINS0_14default_configENS1_22reduce_config_selectorIlEEZNS1_11reduce_implILb1ES3_PlS7_lN6thrust23THRUST_200600_302600_NS4plusIlEEEE10hipError_tPvRmT1_T2_T3_mT4_P12ihipStream_tbEUlT_E1_NS1_11comp_targetILNS1_3genE2ELNS1_11target_archE906ELNS1_3gpuE6ELNS1_3repE0EEENS1_30default_config_static_selectorELNS0_4arch9wavefront6targetE1EEEvSF_.kd
    .uniform_work_group_size: 1
    .uses_dynamic_stack: false
    .vgpr_count:     34
    .vgpr_spill_count: 0
    .wavefront_size: 64
  - .args:
      - .offset:         0
        .size:           48
        .value_kind:     by_value
    .group_segment_fixed_size: 0
    .kernarg_segment_align: 8
    .kernarg_segment_size: 48
    .language:       OpenCL C
    .language_version:
      - 2
      - 0
    .max_flat_workgroup_size: 256
    .name:           _ZN7rocprim17ROCPRIM_400000_NS6detail17trampoline_kernelINS0_14default_configENS1_22reduce_config_selectorIlEEZNS1_11reduce_implILb1ES3_PlS7_lN6thrust23THRUST_200600_302600_NS4plusIlEEEE10hipError_tPvRmT1_T2_T3_mT4_P12ihipStream_tbEUlT_E1_NS1_11comp_targetILNS1_3genE10ELNS1_11target_archE1201ELNS1_3gpuE5ELNS1_3repE0EEENS1_30default_config_static_selectorELNS0_4arch9wavefront6targetE1EEEvSF_
    .private_segment_fixed_size: 0
    .sgpr_count:     4
    .sgpr_spill_count: 0
    .symbol:         _ZN7rocprim17ROCPRIM_400000_NS6detail17trampoline_kernelINS0_14default_configENS1_22reduce_config_selectorIlEEZNS1_11reduce_implILb1ES3_PlS7_lN6thrust23THRUST_200600_302600_NS4plusIlEEEE10hipError_tPvRmT1_T2_T3_mT4_P12ihipStream_tbEUlT_E1_NS1_11comp_targetILNS1_3genE10ELNS1_11target_archE1201ELNS1_3gpuE5ELNS1_3repE0EEENS1_30default_config_static_selectorELNS0_4arch9wavefront6targetE1EEEvSF_.kd
    .uniform_work_group_size: 1
    .uses_dynamic_stack: false
    .vgpr_count:     0
    .vgpr_spill_count: 0
    .wavefront_size: 64
  - .args:
      - .offset:         0
        .size:           48
        .value_kind:     by_value
    .group_segment_fixed_size: 0
    .kernarg_segment_align: 8
    .kernarg_segment_size: 48
    .language:       OpenCL C
    .language_version:
      - 2
      - 0
    .max_flat_workgroup_size: 256
    .name:           _ZN7rocprim17ROCPRIM_400000_NS6detail17trampoline_kernelINS0_14default_configENS1_22reduce_config_selectorIlEEZNS1_11reduce_implILb1ES3_PlS7_lN6thrust23THRUST_200600_302600_NS4plusIlEEEE10hipError_tPvRmT1_T2_T3_mT4_P12ihipStream_tbEUlT_E1_NS1_11comp_targetILNS1_3genE10ELNS1_11target_archE1200ELNS1_3gpuE4ELNS1_3repE0EEENS1_30default_config_static_selectorELNS0_4arch9wavefront6targetE1EEEvSF_
    .private_segment_fixed_size: 0
    .sgpr_count:     4
    .sgpr_spill_count: 0
    .symbol:         _ZN7rocprim17ROCPRIM_400000_NS6detail17trampoline_kernelINS0_14default_configENS1_22reduce_config_selectorIlEEZNS1_11reduce_implILb1ES3_PlS7_lN6thrust23THRUST_200600_302600_NS4plusIlEEEE10hipError_tPvRmT1_T2_T3_mT4_P12ihipStream_tbEUlT_E1_NS1_11comp_targetILNS1_3genE10ELNS1_11target_archE1200ELNS1_3gpuE4ELNS1_3repE0EEENS1_30default_config_static_selectorELNS0_4arch9wavefront6targetE1EEEvSF_.kd
    .uniform_work_group_size: 1
    .uses_dynamic_stack: false
    .vgpr_count:     0
    .vgpr_spill_count: 0
    .wavefront_size: 64
  - .args:
      - .offset:         0
        .size:           48
        .value_kind:     by_value
    .group_segment_fixed_size: 0
    .kernarg_segment_align: 8
    .kernarg_segment_size: 48
    .language:       OpenCL C
    .language_version:
      - 2
      - 0
    .max_flat_workgroup_size: 256
    .name:           _ZN7rocprim17ROCPRIM_400000_NS6detail17trampoline_kernelINS0_14default_configENS1_22reduce_config_selectorIlEEZNS1_11reduce_implILb1ES3_PlS7_lN6thrust23THRUST_200600_302600_NS4plusIlEEEE10hipError_tPvRmT1_T2_T3_mT4_P12ihipStream_tbEUlT_E1_NS1_11comp_targetILNS1_3genE9ELNS1_11target_archE1100ELNS1_3gpuE3ELNS1_3repE0EEENS1_30default_config_static_selectorELNS0_4arch9wavefront6targetE1EEEvSF_
    .private_segment_fixed_size: 0
    .sgpr_count:     4
    .sgpr_spill_count: 0
    .symbol:         _ZN7rocprim17ROCPRIM_400000_NS6detail17trampoline_kernelINS0_14default_configENS1_22reduce_config_selectorIlEEZNS1_11reduce_implILb1ES3_PlS7_lN6thrust23THRUST_200600_302600_NS4plusIlEEEE10hipError_tPvRmT1_T2_T3_mT4_P12ihipStream_tbEUlT_E1_NS1_11comp_targetILNS1_3genE9ELNS1_11target_archE1100ELNS1_3gpuE3ELNS1_3repE0EEENS1_30default_config_static_selectorELNS0_4arch9wavefront6targetE1EEEvSF_.kd
    .uniform_work_group_size: 1
    .uses_dynamic_stack: false
    .vgpr_count:     0
    .vgpr_spill_count: 0
    .wavefront_size: 64
  - .args:
      - .offset:         0
        .size:           48
        .value_kind:     by_value
    .group_segment_fixed_size: 0
    .kernarg_segment_align: 8
    .kernarg_segment_size: 48
    .language:       OpenCL C
    .language_version:
      - 2
      - 0
    .max_flat_workgroup_size: 256
    .name:           _ZN7rocprim17ROCPRIM_400000_NS6detail17trampoline_kernelINS0_14default_configENS1_22reduce_config_selectorIlEEZNS1_11reduce_implILb1ES3_PlS7_lN6thrust23THRUST_200600_302600_NS4plusIlEEEE10hipError_tPvRmT1_T2_T3_mT4_P12ihipStream_tbEUlT_E1_NS1_11comp_targetILNS1_3genE8ELNS1_11target_archE1030ELNS1_3gpuE2ELNS1_3repE0EEENS1_30default_config_static_selectorELNS0_4arch9wavefront6targetE1EEEvSF_
    .private_segment_fixed_size: 0
    .sgpr_count:     4
    .sgpr_spill_count: 0
    .symbol:         _ZN7rocprim17ROCPRIM_400000_NS6detail17trampoline_kernelINS0_14default_configENS1_22reduce_config_selectorIlEEZNS1_11reduce_implILb1ES3_PlS7_lN6thrust23THRUST_200600_302600_NS4plusIlEEEE10hipError_tPvRmT1_T2_T3_mT4_P12ihipStream_tbEUlT_E1_NS1_11comp_targetILNS1_3genE8ELNS1_11target_archE1030ELNS1_3gpuE2ELNS1_3repE0EEENS1_30default_config_static_selectorELNS0_4arch9wavefront6targetE1EEEvSF_.kd
    .uniform_work_group_size: 1
    .uses_dynamic_stack: false
    .vgpr_count:     0
    .vgpr_spill_count: 0
    .wavefront_size: 64
  - .args:
      - .offset:         0
        .size:           80
        .value_kind:     by_value
    .group_segment_fixed_size: 0
    .kernarg_segment_align: 8
    .kernarg_segment_size: 80
    .language:       OpenCL C
    .language_version:
      - 2
      - 0
    .max_flat_workgroup_size: 256
    .name:           _ZN7rocprim17ROCPRIM_400000_NS6detail17trampoline_kernelINS0_14default_configENS1_22reduce_config_selectorIlEEZNS1_11reduce_implILb1ES3_N6thrust23THRUST_200600_302600_NS11hip_rocprim26transform_input_iterator_tIlNS8_12zip_iteratorINS8_5tupleINS8_6detail15normal_iteratorINS8_10device_ptrIdEEEESH_NS8_9null_typeESI_SI_SI_SI_SI_SI_SI_EEEENS9_21zip_adj_not_predicateINS8_8equal_toIdEEEEEEPllNS8_4plusIlEEEE10hipError_tPvRmT1_T2_T3_mT4_P12ihipStream_tbEUlT_E0_NS1_11comp_targetILNS1_3genE0ELNS1_11target_archE4294967295ELNS1_3gpuE0ELNS1_3repE0EEENS1_30default_config_static_selectorELNS0_4arch9wavefront6targetE1EEEvSW_
    .private_segment_fixed_size: 0
    .sgpr_count:     4
    .sgpr_spill_count: 0
    .symbol:         _ZN7rocprim17ROCPRIM_400000_NS6detail17trampoline_kernelINS0_14default_configENS1_22reduce_config_selectorIlEEZNS1_11reduce_implILb1ES3_N6thrust23THRUST_200600_302600_NS11hip_rocprim26transform_input_iterator_tIlNS8_12zip_iteratorINS8_5tupleINS8_6detail15normal_iteratorINS8_10device_ptrIdEEEESH_NS8_9null_typeESI_SI_SI_SI_SI_SI_SI_EEEENS9_21zip_adj_not_predicateINS8_8equal_toIdEEEEEEPllNS8_4plusIlEEEE10hipError_tPvRmT1_T2_T3_mT4_P12ihipStream_tbEUlT_E0_NS1_11comp_targetILNS1_3genE0ELNS1_11target_archE4294967295ELNS1_3gpuE0ELNS1_3repE0EEENS1_30default_config_static_selectorELNS0_4arch9wavefront6targetE1EEEvSW_.kd
    .uniform_work_group_size: 1
    .uses_dynamic_stack: false
    .vgpr_count:     0
    .vgpr_spill_count: 0
    .wavefront_size: 64
  - .args:
      - .offset:         0
        .size:           80
        .value_kind:     by_value
    .group_segment_fixed_size: 0
    .kernarg_segment_align: 8
    .kernarg_segment_size: 80
    .language:       OpenCL C
    .language_version:
      - 2
      - 0
    .max_flat_workgroup_size: 256
    .name:           _ZN7rocprim17ROCPRIM_400000_NS6detail17trampoline_kernelINS0_14default_configENS1_22reduce_config_selectorIlEEZNS1_11reduce_implILb1ES3_N6thrust23THRUST_200600_302600_NS11hip_rocprim26transform_input_iterator_tIlNS8_12zip_iteratorINS8_5tupleINS8_6detail15normal_iteratorINS8_10device_ptrIdEEEESH_NS8_9null_typeESI_SI_SI_SI_SI_SI_SI_EEEENS9_21zip_adj_not_predicateINS8_8equal_toIdEEEEEEPllNS8_4plusIlEEEE10hipError_tPvRmT1_T2_T3_mT4_P12ihipStream_tbEUlT_E0_NS1_11comp_targetILNS1_3genE5ELNS1_11target_archE942ELNS1_3gpuE9ELNS1_3repE0EEENS1_30default_config_static_selectorELNS0_4arch9wavefront6targetE1EEEvSW_
    .private_segment_fixed_size: 0
    .sgpr_count:     4
    .sgpr_spill_count: 0
    .symbol:         _ZN7rocprim17ROCPRIM_400000_NS6detail17trampoline_kernelINS0_14default_configENS1_22reduce_config_selectorIlEEZNS1_11reduce_implILb1ES3_N6thrust23THRUST_200600_302600_NS11hip_rocprim26transform_input_iterator_tIlNS8_12zip_iteratorINS8_5tupleINS8_6detail15normal_iteratorINS8_10device_ptrIdEEEESH_NS8_9null_typeESI_SI_SI_SI_SI_SI_SI_EEEENS9_21zip_adj_not_predicateINS8_8equal_toIdEEEEEEPllNS8_4plusIlEEEE10hipError_tPvRmT1_T2_T3_mT4_P12ihipStream_tbEUlT_E0_NS1_11comp_targetILNS1_3genE5ELNS1_11target_archE942ELNS1_3gpuE9ELNS1_3repE0EEENS1_30default_config_static_selectorELNS0_4arch9wavefront6targetE1EEEvSW_.kd
    .uniform_work_group_size: 1
    .uses_dynamic_stack: false
    .vgpr_count:     0
    .vgpr_spill_count: 0
    .wavefront_size: 64
  - .args:
      - .offset:         0
        .size:           80
        .value_kind:     by_value
    .group_segment_fixed_size: 0
    .kernarg_segment_align: 8
    .kernarg_segment_size: 80
    .language:       OpenCL C
    .language_version:
      - 2
      - 0
    .max_flat_workgroup_size: 256
    .name:           _ZN7rocprim17ROCPRIM_400000_NS6detail17trampoline_kernelINS0_14default_configENS1_22reduce_config_selectorIlEEZNS1_11reduce_implILb1ES3_N6thrust23THRUST_200600_302600_NS11hip_rocprim26transform_input_iterator_tIlNS8_12zip_iteratorINS8_5tupleINS8_6detail15normal_iteratorINS8_10device_ptrIdEEEESH_NS8_9null_typeESI_SI_SI_SI_SI_SI_SI_EEEENS9_21zip_adj_not_predicateINS8_8equal_toIdEEEEEEPllNS8_4plusIlEEEE10hipError_tPvRmT1_T2_T3_mT4_P12ihipStream_tbEUlT_E0_NS1_11comp_targetILNS1_3genE4ELNS1_11target_archE910ELNS1_3gpuE8ELNS1_3repE0EEENS1_30default_config_static_selectorELNS0_4arch9wavefront6targetE1EEEvSW_
    .private_segment_fixed_size: 0
    .sgpr_count:     4
    .sgpr_spill_count: 0
    .symbol:         _ZN7rocprim17ROCPRIM_400000_NS6detail17trampoline_kernelINS0_14default_configENS1_22reduce_config_selectorIlEEZNS1_11reduce_implILb1ES3_N6thrust23THRUST_200600_302600_NS11hip_rocprim26transform_input_iterator_tIlNS8_12zip_iteratorINS8_5tupleINS8_6detail15normal_iteratorINS8_10device_ptrIdEEEESH_NS8_9null_typeESI_SI_SI_SI_SI_SI_SI_EEEENS9_21zip_adj_not_predicateINS8_8equal_toIdEEEEEEPllNS8_4plusIlEEEE10hipError_tPvRmT1_T2_T3_mT4_P12ihipStream_tbEUlT_E0_NS1_11comp_targetILNS1_3genE4ELNS1_11target_archE910ELNS1_3gpuE8ELNS1_3repE0EEENS1_30default_config_static_selectorELNS0_4arch9wavefront6targetE1EEEvSW_.kd
    .uniform_work_group_size: 1
    .uses_dynamic_stack: false
    .vgpr_count:     0
    .vgpr_spill_count: 0
    .wavefront_size: 64
  - .args:
      - .offset:         0
        .size:           80
        .value_kind:     by_value
    .group_segment_fixed_size: 0
    .kernarg_segment_align: 8
    .kernarg_segment_size: 80
    .language:       OpenCL C
    .language_version:
      - 2
      - 0
    .max_flat_workgroup_size: 256
    .name:           _ZN7rocprim17ROCPRIM_400000_NS6detail17trampoline_kernelINS0_14default_configENS1_22reduce_config_selectorIlEEZNS1_11reduce_implILb1ES3_N6thrust23THRUST_200600_302600_NS11hip_rocprim26transform_input_iterator_tIlNS8_12zip_iteratorINS8_5tupleINS8_6detail15normal_iteratorINS8_10device_ptrIdEEEESH_NS8_9null_typeESI_SI_SI_SI_SI_SI_SI_EEEENS9_21zip_adj_not_predicateINS8_8equal_toIdEEEEEEPllNS8_4plusIlEEEE10hipError_tPvRmT1_T2_T3_mT4_P12ihipStream_tbEUlT_E0_NS1_11comp_targetILNS1_3genE3ELNS1_11target_archE908ELNS1_3gpuE7ELNS1_3repE0EEENS1_30default_config_static_selectorELNS0_4arch9wavefront6targetE1EEEvSW_
    .private_segment_fixed_size: 0
    .sgpr_count:     4
    .sgpr_spill_count: 0
    .symbol:         _ZN7rocprim17ROCPRIM_400000_NS6detail17trampoline_kernelINS0_14default_configENS1_22reduce_config_selectorIlEEZNS1_11reduce_implILb1ES3_N6thrust23THRUST_200600_302600_NS11hip_rocprim26transform_input_iterator_tIlNS8_12zip_iteratorINS8_5tupleINS8_6detail15normal_iteratorINS8_10device_ptrIdEEEESH_NS8_9null_typeESI_SI_SI_SI_SI_SI_SI_EEEENS9_21zip_adj_not_predicateINS8_8equal_toIdEEEEEEPllNS8_4plusIlEEEE10hipError_tPvRmT1_T2_T3_mT4_P12ihipStream_tbEUlT_E0_NS1_11comp_targetILNS1_3genE3ELNS1_11target_archE908ELNS1_3gpuE7ELNS1_3repE0EEENS1_30default_config_static_selectorELNS0_4arch9wavefront6targetE1EEEvSW_.kd
    .uniform_work_group_size: 1
    .uses_dynamic_stack: false
    .vgpr_count:     0
    .vgpr_spill_count: 0
    .wavefront_size: 64
  - .args:
      - .offset:         0
        .size:           80
        .value_kind:     by_value
    .group_segment_fixed_size: 64
    .kernarg_segment_align: 8
    .kernarg_segment_size: 80
    .language:       OpenCL C
    .language_version:
      - 2
      - 0
    .max_flat_workgroup_size: 256
    .name:           _ZN7rocprim17ROCPRIM_400000_NS6detail17trampoline_kernelINS0_14default_configENS1_22reduce_config_selectorIlEEZNS1_11reduce_implILb1ES3_N6thrust23THRUST_200600_302600_NS11hip_rocprim26transform_input_iterator_tIlNS8_12zip_iteratorINS8_5tupleINS8_6detail15normal_iteratorINS8_10device_ptrIdEEEESH_NS8_9null_typeESI_SI_SI_SI_SI_SI_SI_EEEENS9_21zip_adj_not_predicateINS8_8equal_toIdEEEEEEPllNS8_4plusIlEEEE10hipError_tPvRmT1_T2_T3_mT4_P12ihipStream_tbEUlT_E0_NS1_11comp_targetILNS1_3genE2ELNS1_11target_archE906ELNS1_3gpuE6ELNS1_3repE0EEENS1_30default_config_static_selectorELNS0_4arch9wavefront6targetE1EEEvSW_
    .private_segment_fixed_size: 0
    .sgpr_count:     26
    .sgpr_spill_count: 0
    .symbol:         _ZN7rocprim17ROCPRIM_400000_NS6detail17trampoline_kernelINS0_14default_configENS1_22reduce_config_selectorIlEEZNS1_11reduce_implILb1ES3_N6thrust23THRUST_200600_302600_NS11hip_rocprim26transform_input_iterator_tIlNS8_12zip_iteratorINS8_5tupleINS8_6detail15normal_iteratorINS8_10device_ptrIdEEEESH_NS8_9null_typeESI_SI_SI_SI_SI_SI_SI_EEEENS9_21zip_adj_not_predicateINS8_8equal_toIdEEEEEEPllNS8_4plusIlEEEE10hipError_tPvRmT1_T2_T3_mT4_P12ihipStream_tbEUlT_E0_NS1_11comp_targetILNS1_3genE2ELNS1_11target_archE906ELNS1_3gpuE6ELNS1_3repE0EEENS1_30default_config_static_selectorELNS0_4arch9wavefront6targetE1EEEvSW_.kd
    .uniform_work_group_size: 1
    .uses_dynamic_stack: false
    .vgpr_count:     15
    .vgpr_spill_count: 0
    .wavefront_size: 64
  - .args:
      - .offset:         0
        .size:           80
        .value_kind:     by_value
    .group_segment_fixed_size: 0
    .kernarg_segment_align: 8
    .kernarg_segment_size: 80
    .language:       OpenCL C
    .language_version:
      - 2
      - 0
    .max_flat_workgroup_size: 256
    .name:           _ZN7rocprim17ROCPRIM_400000_NS6detail17trampoline_kernelINS0_14default_configENS1_22reduce_config_selectorIlEEZNS1_11reduce_implILb1ES3_N6thrust23THRUST_200600_302600_NS11hip_rocprim26transform_input_iterator_tIlNS8_12zip_iteratorINS8_5tupleINS8_6detail15normal_iteratorINS8_10device_ptrIdEEEESH_NS8_9null_typeESI_SI_SI_SI_SI_SI_SI_EEEENS9_21zip_adj_not_predicateINS8_8equal_toIdEEEEEEPllNS8_4plusIlEEEE10hipError_tPvRmT1_T2_T3_mT4_P12ihipStream_tbEUlT_E0_NS1_11comp_targetILNS1_3genE10ELNS1_11target_archE1201ELNS1_3gpuE5ELNS1_3repE0EEENS1_30default_config_static_selectorELNS0_4arch9wavefront6targetE1EEEvSW_
    .private_segment_fixed_size: 0
    .sgpr_count:     4
    .sgpr_spill_count: 0
    .symbol:         _ZN7rocprim17ROCPRIM_400000_NS6detail17trampoline_kernelINS0_14default_configENS1_22reduce_config_selectorIlEEZNS1_11reduce_implILb1ES3_N6thrust23THRUST_200600_302600_NS11hip_rocprim26transform_input_iterator_tIlNS8_12zip_iteratorINS8_5tupleINS8_6detail15normal_iteratorINS8_10device_ptrIdEEEESH_NS8_9null_typeESI_SI_SI_SI_SI_SI_SI_EEEENS9_21zip_adj_not_predicateINS8_8equal_toIdEEEEEEPllNS8_4plusIlEEEE10hipError_tPvRmT1_T2_T3_mT4_P12ihipStream_tbEUlT_E0_NS1_11comp_targetILNS1_3genE10ELNS1_11target_archE1201ELNS1_3gpuE5ELNS1_3repE0EEENS1_30default_config_static_selectorELNS0_4arch9wavefront6targetE1EEEvSW_.kd
    .uniform_work_group_size: 1
    .uses_dynamic_stack: false
    .vgpr_count:     0
    .vgpr_spill_count: 0
    .wavefront_size: 64
  - .args:
      - .offset:         0
        .size:           80
        .value_kind:     by_value
    .group_segment_fixed_size: 0
    .kernarg_segment_align: 8
    .kernarg_segment_size: 80
    .language:       OpenCL C
    .language_version:
      - 2
      - 0
    .max_flat_workgroup_size: 256
    .name:           _ZN7rocprim17ROCPRIM_400000_NS6detail17trampoline_kernelINS0_14default_configENS1_22reduce_config_selectorIlEEZNS1_11reduce_implILb1ES3_N6thrust23THRUST_200600_302600_NS11hip_rocprim26transform_input_iterator_tIlNS8_12zip_iteratorINS8_5tupleINS8_6detail15normal_iteratorINS8_10device_ptrIdEEEESH_NS8_9null_typeESI_SI_SI_SI_SI_SI_SI_EEEENS9_21zip_adj_not_predicateINS8_8equal_toIdEEEEEEPllNS8_4plusIlEEEE10hipError_tPvRmT1_T2_T3_mT4_P12ihipStream_tbEUlT_E0_NS1_11comp_targetILNS1_3genE10ELNS1_11target_archE1200ELNS1_3gpuE4ELNS1_3repE0EEENS1_30default_config_static_selectorELNS0_4arch9wavefront6targetE1EEEvSW_
    .private_segment_fixed_size: 0
    .sgpr_count:     4
    .sgpr_spill_count: 0
    .symbol:         _ZN7rocprim17ROCPRIM_400000_NS6detail17trampoline_kernelINS0_14default_configENS1_22reduce_config_selectorIlEEZNS1_11reduce_implILb1ES3_N6thrust23THRUST_200600_302600_NS11hip_rocprim26transform_input_iterator_tIlNS8_12zip_iteratorINS8_5tupleINS8_6detail15normal_iteratorINS8_10device_ptrIdEEEESH_NS8_9null_typeESI_SI_SI_SI_SI_SI_SI_EEEENS9_21zip_adj_not_predicateINS8_8equal_toIdEEEEEEPllNS8_4plusIlEEEE10hipError_tPvRmT1_T2_T3_mT4_P12ihipStream_tbEUlT_E0_NS1_11comp_targetILNS1_3genE10ELNS1_11target_archE1200ELNS1_3gpuE4ELNS1_3repE0EEENS1_30default_config_static_selectorELNS0_4arch9wavefront6targetE1EEEvSW_.kd
    .uniform_work_group_size: 1
    .uses_dynamic_stack: false
    .vgpr_count:     0
    .vgpr_spill_count: 0
    .wavefront_size: 64
  - .args:
      - .offset:         0
        .size:           80
        .value_kind:     by_value
    .group_segment_fixed_size: 0
    .kernarg_segment_align: 8
    .kernarg_segment_size: 80
    .language:       OpenCL C
    .language_version:
      - 2
      - 0
    .max_flat_workgroup_size: 256
    .name:           _ZN7rocprim17ROCPRIM_400000_NS6detail17trampoline_kernelINS0_14default_configENS1_22reduce_config_selectorIlEEZNS1_11reduce_implILb1ES3_N6thrust23THRUST_200600_302600_NS11hip_rocprim26transform_input_iterator_tIlNS8_12zip_iteratorINS8_5tupleINS8_6detail15normal_iteratorINS8_10device_ptrIdEEEESH_NS8_9null_typeESI_SI_SI_SI_SI_SI_SI_EEEENS9_21zip_adj_not_predicateINS8_8equal_toIdEEEEEEPllNS8_4plusIlEEEE10hipError_tPvRmT1_T2_T3_mT4_P12ihipStream_tbEUlT_E0_NS1_11comp_targetILNS1_3genE9ELNS1_11target_archE1100ELNS1_3gpuE3ELNS1_3repE0EEENS1_30default_config_static_selectorELNS0_4arch9wavefront6targetE1EEEvSW_
    .private_segment_fixed_size: 0
    .sgpr_count:     4
    .sgpr_spill_count: 0
    .symbol:         _ZN7rocprim17ROCPRIM_400000_NS6detail17trampoline_kernelINS0_14default_configENS1_22reduce_config_selectorIlEEZNS1_11reduce_implILb1ES3_N6thrust23THRUST_200600_302600_NS11hip_rocprim26transform_input_iterator_tIlNS8_12zip_iteratorINS8_5tupleINS8_6detail15normal_iteratorINS8_10device_ptrIdEEEESH_NS8_9null_typeESI_SI_SI_SI_SI_SI_SI_EEEENS9_21zip_adj_not_predicateINS8_8equal_toIdEEEEEEPllNS8_4plusIlEEEE10hipError_tPvRmT1_T2_T3_mT4_P12ihipStream_tbEUlT_E0_NS1_11comp_targetILNS1_3genE9ELNS1_11target_archE1100ELNS1_3gpuE3ELNS1_3repE0EEENS1_30default_config_static_selectorELNS0_4arch9wavefront6targetE1EEEvSW_.kd
    .uniform_work_group_size: 1
    .uses_dynamic_stack: false
    .vgpr_count:     0
    .vgpr_spill_count: 0
    .wavefront_size: 64
  - .args:
      - .offset:         0
        .size:           80
        .value_kind:     by_value
    .group_segment_fixed_size: 0
    .kernarg_segment_align: 8
    .kernarg_segment_size: 80
    .language:       OpenCL C
    .language_version:
      - 2
      - 0
    .max_flat_workgroup_size: 256
    .name:           _ZN7rocprim17ROCPRIM_400000_NS6detail17trampoline_kernelINS0_14default_configENS1_22reduce_config_selectorIlEEZNS1_11reduce_implILb1ES3_N6thrust23THRUST_200600_302600_NS11hip_rocprim26transform_input_iterator_tIlNS8_12zip_iteratorINS8_5tupleINS8_6detail15normal_iteratorINS8_10device_ptrIdEEEESH_NS8_9null_typeESI_SI_SI_SI_SI_SI_SI_EEEENS9_21zip_adj_not_predicateINS8_8equal_toIdEEEEEEPllNS8_4plusIlEEEE10hipError_tPvRmT1_T2_T3_mT4_P12ihipStream_tbEUlT_E0_NS1_11comp_targetILNS1_3genE8ELNS1_11target_archE1030ELNS1_3gpuE2ELNS1_3repE0EEENS1_30default_config_static_selectorELNS0_4arch9wavefront6targetE1EEEvSW_
    .private_segment_fixed_size: 0
    .sgpr_count:     4
    .sgpr_spill_count: 0
    .symbol:         _ZN7rocprim17ROCPRIM_400000_NS6detail17trampoline_kernelINS0_14default_configENS1_22reduce_config_selectorIlEEZNS1_11reduce_implILb1ES3_N6thrust23THRUST_200600_302600_NS11hip_rocprim26transform_input_iterator_tIlNS8_12zip_iteratorINS8_5tupleINS8_6detail15normal_iteratorINS8_10device_ptrIdEEEESH_NS8_9null_typeESI_SI_SI_SI_SI_SI_SI_EEEENS9_21zip_adj_not_predicateINS8_8equal_toIdEEEEEEPllNS8_4plusIlEEEE10hipError_tPvRmT1_T2_T3_mT4_P12ihipStream_tbEUlT_E0_NS1_11comp_targetILNS1_3genE8ELNS1_11target_archE1030ELNS1_3gpuE2ELNS1_3repE0EEENS1_30default_config_static_selectorELNS0_4arch9wavefront6targetE1EEEvSW_.kd
    .uniform_work_group_size: 1
    .uses_dynamic_stack: false
    .vgpr_count:     0
    .vgpr_spill_count: 0
    .wavefront_size: 64
  - .args:
      - .offset:         0
        .size:           64
        .value_kind:     by_value
    .group_segment_fixed_size: 0
    .kernarg_segment_align: 8
    .kernarg_segment_size: 64
    .language:       OpenCL C
    .language_version:
      - 2
      - 0
    .max_flat_workgroup_size: 256
    .name:           _ZN7rocprim17ROCPRIM_400000_NS6detail17trampoline_kernelINS0_14default_configENS1_22reduce_config_selectorIlEEZNS1_11reduce_implILb1ES3_N6thrust23THRUST_200600_302600_NS11hip_rocprim26transform_input_iterator_tIlNS8_12zip_iteratorINS8_5tupleINS8_6detail15normal_iteratorINS8_10device_ptrIdEEEESH_NS8_9null_typeESI_SI_SI_SI_SI_SI_SI_EEEENS9_21zip_adj_not_predicateINS8_8equal_toIdEEEEEEPllNS8_4plusIlEEEE10hipError_tPvRmT1_T2_T3_mT4_P12ihipStream_tbEUlT_E1_NS1_11comp_targetILNS1_3genE0ELNS1_11target_archE4294967295ELNS1_3gpuE0ELNS1_3repE0EEENS1_30default_config_static_selectorELNS0_4arch9wavefront6targetE1EEEvSW_
    .private_segment_fixed_size: 0
    .sgpr_count:     4
    .sgpr_spill_count: 0
    .symbol:         _ZN7rocprim17ROCPRIM_400000_NS6detail17trampoline_kernelINS0_14default_configENS1_22reduce_config_selectorIlEEZNS1_11reduce_implILb1ES3_N6thrust23THRUST_200600_302600_NS11hip_rocprim26transform_input_iterator_tIlNS8_12zip_iteratorINS8_5tupleINS8_6detail15normal_iteratorINS8_10device_ptrIdEEEESH_NS8_9null_typeESI_SI_SI_SI_SI_SI_SI_EEEENS9_21zip_adj_not_predicateINS8_8equal_toIdEEEEEEPllNS8_4plusIlEEEE10hipError_tPvRmT1_T2_T3_mT4_P12ihipStream_tbEUlT_E1_NS1_11comp_targetILNS1_3genE0ELNS1_11target_archE4294967295ELNS1_3gpuE0ELNS1_3repE0EEENS1_30default_config_static_selectorELNS0_4arch9wavefront6targetE1EEEvSW_.kd
    .uniform_work_group_size: 1
    .uses_dynamic_stack: false
    .vgpr_count:     0
    .vgpr_spill_count: 0
    .wavefront_size: 64
  - .args:
      - .offset:         0
        .size:           64
        .value_kind:     by_value
    .group_segment_fixed_size: 0
    .kernarg_segment_align: 8
    .kernarg_segment_size: 64
    .language:       OpenCL C
    .language_version:
      - 2
      - 0
    .max_flat_workgroup_size: 256
    .name:           _ZN7rocprim17ROCPRIM_400000_NS6detail17trampoline_kernelINS0_14default_configENS1_22reduce_config_selectorIlEEZNS1_11reduce_implILb1ES3_N6thrust23THRUST_200600_302600_NS11hip_rocprim26transform_input_iterator_tIlNS8_12zip_iteratorINS8_5tupleINS8_6detail15normal_iteratorINS8_10device_ptrIdEEEESH_NS8_9null_typeESI_SI_SI_SI_SI_SI_SI_EEEENS9_21zip_adj_not_predicateINS8_8equal_toIdEEEEEEPllNS8_4plusIlEEEE10hipError_tPvRmT1_T2_T3_mT4_P12ihipStream_tbEUlT_E1_NS1_11comp_targetILNS1_3genE5ELNS1_11target_archE942ELNS1_3gpuE9ELNS1_3repE0EEENS1_30default_config_static_selectorELNS0_4arch9wavefront6targetE1EEEvSW_
    .private_segment_fixed_size: 0
    .sgpr_count:     4
    .sgpr_spill_count: 0
    .symbol:         _ZN7rocprim17ROCPRIM_400000_NS6detail17trampoline_kernelINS0_14default_configENS1_22reduce_config_selectorIlEEZNS1_11reduce_implILb1ES3_N6thrust23THRUST_200600_302600_NS11hip_rocprim26transform_input_iterator_tIlNS8_12zip_iteratorINS8_5tupleINS8_6detail15normal_iteratorINS8_10device_ptrIdEEEESH_NS8_9null_typeESI_SI_SI_SI_SI_SI_SI_EEEENS9_21zip_adj_not_predicateINS8_8equal_toIdEEEEEEPllNS8_4plusIlEEEE10hipError_tPvRmT1_T2_T3_mT4_P12ihipStream_tbEUlT_E1_NS1_11comp_targetILNS1_3genE5ELNS1_11target_archE942ELNS1_3gpuE9ELNS1_3repE0EEENS1_30default_config_static_selectorELNS0_4arch9wavefront6targetE1EEEvSW_.kd
    .uniform_work_group_size: 1
    .uses_dynamic_stack: false
    .vgpr_count:     0
    .vgpr_spill_count: 0
    .wavefront_size: 64
  - .args:
      - .offset:         0
        .size:           64
        .value_kind:     by_value
    .group_segment_fixed_size: 0
    .kernarg_segment_align: 8
    .kernarg_segment_size: 64
    .language:       OpenCL C
    .language_version:
      - 2
      - 0
    .max_flat_workgroup_size: 256
    .name:           _ZN7rocprim17ROCPRIM_400000_NS6detail17trampoline_kernelINS0_14default_configENS1_22reduce_config_selectorIlEEZNS1_11reduce_implILb1ES3_N6thrust23THRUST_200600_302600_NS11hip_rocprim26transform_input_iterator_tIlNS8_12zip_iteratorINS8_5tupleINS8_6detail15normal_iteratorINS8_10device_ptrIdEEEESH_NS8_9null_typeESI_SI_SI_SI_SI_SI_SI_EEEENS9_21zip_adj_not_predicateINS8_8equal_toIdEEEEEEPllNS8_4plusIlEEEE10hipError_tPvRmT1_T2_T3_mT4_P12ihipStream_tbEUlT_E1_NS1_11comp_targetILNS1_3genE4ELNS1_11target_archE910ELNS1_3gpuE8ELNS1_3repE0EEENS1_30default_config_static_selectorELNS0_4arch9wavefront6targetE1EEEvSW_
    .private_segment_fixed_size: 0
    .sgpr_count:     4
    .sgpr_spill_count: 0
    .symbol:         _ZN7rocprim17ROCPRIM_400000_NS6detail17trampoline_kernelINS0_14default_configENS1_22reduce_config_selectorIlEEZNS1_11reduce_implILb1ES3_N6thrust23THRUST_200600_302600_NS11hip_rocprim26transform_input_iterator_tIlNS8_12zip_iteratorINS8_5tupleINS8_6detail15normal_iteratorINS8_10device_ptrIdEEEESH_NS8_9null_typeESI_SI_SI_SI_SI_SI_SI_EEEENS9_21zip_adj_not_predicateINS8_8equal_toIdEEEEEEPllNS8_4plusIlEEEE10hipError_tPvRmT1_T2_T3_mT4_P12ihipStream_tbEUlT_E1_NS1_11comp_targetILNS1_3genE4ELNS1_11target_archE910ELNS1_3gpuE8ELNS1_3repE0EEENS1_30default_config_static_selectorELNS0_4arch9wavefront6targetE1EEEvSW_.kd
    .uniform_work_group_size: 1
    .uses_dynamic_stack: false
    .vgpr_count:     0
    .vgpr_spill_count: 0
    .wavefront_size: 64
  - .args:
      - .offset:         0
        .size:           64
        .value_kind:     by_value
    .group_segment_fixed_size: 0
    .kernarg_segment_align: 8
    .kernarg_segment_size: 64
    .language:       OpenCL C
    .language_version:
      - 2
      - 0
    .max_flat_workgroup_size: 256
    .name:           _ZN7rocprim17ROCPRIM_400000_NS6detail17trampoline_kernelINS0_14default_configENS1_22reduce_config_selectorIlEEZNS1_11reduce_implILb1ES3_N6thrust23THRUST_200600_302600_NS11hip_rocprim26transform_input_iterator_tIlNS8_12zip_iteratorINS8_5tupleINS8_6detail15normal_iteratorINS8_10device_ptrIdEEEESH_NS8_9null_typeESI_SI_SI_SI_SI_SI_SI_EEEENS9_21zip_adj_not_predicateINS8_8equal_toIdEEEEEEPllNS8_4plusIlEEEE10hipError_tPvRmT1_T2_T3_mT4_P12ihipStream_tbEUlT_E1_NS1_11comp_targetILNS1_3genE3ELNS1_11target_archE908ELNS1_3gpuE7ELNS1_3repE0EEENS1_30default_config_static_selectorELNS0_4arch9wavefront6targetE1EEEvSW_
    .private_segment_fixed_size: 0
    .sgpr_count:     4
    .sgpr_spill_count: 0
    .symbol:         _ZN7rocprim17ROCPRIM_400000_NS6detail17trampoline_kernelINS0_14default_configENS1_22reduce_config_selectorIlEEZNS1_11reduce_implILb1ES3_N6thrust23THRUST_200600_302600_NS11hip_rocprim26transform_input_iterator_tIlNS8_12zip_iteratorINS8_5tupleINS8_6detail15normal_iteratorINS8_10device_ptrIdEEEESH_NS8_9null_typeESI_SI_SI_SI_SI_SI_SI_EEEENS9_21zip_adj_not_predicateINS8_8equal_toIdEEEEEEPllNS8_4plusIlEEEE10hipError_tPvRmT1_T2_T3_mT4_P12ihipStream_tbEUlT_E1_NS1_11comp_targetILNS1_3genE3ELNS1_11target_archE908ELNS1_3gpuE7ELNS1_3repE0EEENS1_30default_config_static_selectorELNS0_4arch9wavefront6targetE1EEEvSW_.kd
    .uniform_work_group_size: 1
    .uses_dynamic_stack: false
    .vgpr_count:     0
    .vgpr_spill_count: 0
    .wavefront_size: 64
  - .args:
      - .offset:         0
        .size:           64
        .value_kind:     by_value
    .group_segment_fixed_size: 192
    .kernarg_segment_align: 8
    .kernarg_segment_size: 64
    .language:       OpenCL C
    .language_version:
      - 2
      - 0
    .max_flat_workgroup_size: 256
    .name:           _ZN7rocprim17ROCPRIM_400000_NS6detail17trampoline_kernelINS0_14default_configENS1_22reduce_config_selectorIlEEZNS1_11reduce_implILb1ES3_N6thrust23THRUST_200600_302600_NS11hip_rocprim26transform_input_iterator_tIlNS8_12zip_iteratorINS8_5tupleINS8_6detail15normal_iteratorINS8_10device_ptrIdEEEESH_NS8_9null_typeESI_SI_SI_SI_SI_SI_SI_EEEENS9_21zip_adj_not_predicateINS8_8equal_toIdEEEEEEPllNS8_4plusIlEEEE10hipError_tPvRmT1_T2_T3_mT4_P12ihipStream_tbEUlT_E1_NS1_11comp_targetILNS1_3genE2ELNS1_11target_archE906ELNS1_3gpuE6ELNS1_3repE0EEENS1_30default_config_static_selectorELNS0_4arch9wavefront6targetE1EEEvSW_
    .private_segment_fixed_size: 0
    .sgpr_count:     42
    .sgpr_spill_count: 0
    .symbol:         _ZN7rocprim17ROCPRIM_400000_NS6detail17trampoline_kernelINS0_14default_configENS1_22reduce_config_selectorIlEEZNS1_11reduce_implILb1ES3_N6thrust23THRUST_200600_302600_NS11hip_rocprim26transform_input_iterator_tIlNS8_12zip_iteratorINS8_5tupleINS8_6detail15normal_iteratorINS8_10device_ptrIdEEEESH_NS8_9null_typeESI_SI_SI_SI_SI_SI_SI_EEEENS9_21zip_adj_not_predicateINS8_8equal_toIdEEEEEEPllNS8_4plusIlEEEE10hipError_tPvRmT1_T2_T3_mT4_P12ihipStream_tbEUlT_E1_NS1_11comp_targetILNS1_3genE2ELNS1_11target_archE906ELNS1_3gpuE6ELNS1_3repE0EEENS1_30default_config_static_selectorELNS0_4arch9wavefront6targetE1EEEvSW_.kd
    .uniform_work_group_size: 1
    .uses_dynamic_stack: false
    .vgpr_count:     36
    .vgpr_spill_count: 0
    .wavefront_size: 64
  - .args:
      - .offset:         0
        .size:           64
        .value_kind:     by_value
    .group_segment_fixed_size: 0
    .kernarg_segment_align: 8
    .kernarg_segment_size: 64
    .language:       OpenCL C
    .language_version:
      - 2
      - 0
    .max_flat_workgroup_size: 256
    .name:           _ZN7rocprim17ROCPRIM_400000_NS6detail17trampoline_kernelINS0_14default_configENS1_22reduce_config_selectorIlEEZNS1_11reduce_implILb1ES3_N6thrust23THRUST_200600_302600_NS11hip_rocprim26transform_input_iterator_tIlNS8_12zip_iteratorINS8_5tupleINS8_6detail15normal_iteratorINS8_10device_ptrIdEEEESH_NS8_9null_typeESI_SI_SI_SI_SI_SI_SI_EEEENS9_21zip_adj_not_predicateINS8_8equal_toIdEEEEEEPllNS8_4plusIlEEEE10hipError_tPvRmT1_T2_T3_mT4_P12ihipStream_tbEUlT_E1_NS1_11comp_targetILNS1_3genE10ELNS1_11target_archE1201ELNS1_3gpuE5ELNS1_3repE0EEENS1_30default_config_static_selectorELNS0_4arch9wavefront6targetE1EEEvSW_
    .private_segment_fixed_size: 0
    .sgpr_count:     4
    .sgpr_spill_count: 0
    .symbol:         _ZN7rocprim17ROCPRIM_400000_NS6detail17trampoline_kernelINS0_14default_configENS1_22reduce_config_selectorIlEEZNS1_11reduce_implILb1ES3_N6thrust23THRUST_200600_302600_NS11hip_rocprim26transform_input_iterator_tIlNS8_12zip_iteratorINS8_5tupleINS8_6detail15normal_iteratorINS8_10device_ptrIdEEEESH_NS8_9null_typeESI_SI_SI_SI_SI_SI_SI_EEEENS9_21zip_adj_not_predicateINS8_8equal_toIdEEEEEEPllNS8_4plusIlEEEE10hipError_tPvRmT1_T2_T3_mT4_P12ihipStream_tbEUlT_E1_NS1_11comp_targetILNS1_3genE10ELNS1_11target_archE1201ELNS1_3gpuE5ELNS1_3repE0EEENS1_30default_config_static_selectorELNS0_4arch9wavefront6targetE1EEEvSW_.kd
    .uniform_work_group_size: 1
    .uses_dynamic_stack: false
    .vgpr_count:     0
    .vgpr_spill_count: 0
    .wavefront_size: 64
  - .args:
      - .offset:         0
        .size:           64
        .value_kind:     by_value
    .group_segment_fixed_size: 0
    .kernarg_segment_align: 8
    .kernarg_segment_size: 64
    .language:       OpenCL C
    .language_version:
      - 2
      - 0
    .max_flat_workgroup_size: 256
    .name:           _ZN7rocprim17ROCPRIM_400000_NS6detail17trampoline_kernelINS0_14default_configENS1_22reduce_config_selectorIlEEZNS1_11reduce_implILb1ES3_N6thrust23THRUST_200600_302600_NS11hip_rocprim26transform_input_iterator_tIlNS8_12zip_iteratorINS8_5tupleINS8_6detail15normal_iteratorINS8_10device_ptrIdEEEESH_NS8_9null_typeESI_SI_SI_SI_SI_SI_SI_EEEENS9_21zip_adj_not_predicateINS8_8equal_toIdEEEEEEPllNS8_4plusIlEEEE10hipError_tPvRmT1_T2_T3_mT4_P12ihipStream_tbEUlT_E1_NS1_11comp_targetILNS1_3genE10ELNS1_11target_archE1200ELNS1_3gpuE4ELNS1_3repE0EEENS1_30default_config_static_selectorELNS0_4arch9wavefront6targetE1EEEvSW_
    .private_segment_fixed_size: 0
    .sgpr_count:     4
    .sgpr_spill_count: 0
    .symbol:         _ZN7rocprim17ROCPRIM_400000_NS6detail17trampoline_kernelINS0_14default_configENS1_22reduce_config_selectorIlEEZNS1_11reduce_implILb1ES3_N6thrust23THRUST_200600_302600_NS11hip_rocprim26transform_input_iterator_tIlNS8_12zip_iteratorINS8_5tupleINS8_6detail15normal_iteratorINS8_10device_ptrIdEEEESH_NS8_9null_typeESI_SI_SI_SI_SI_SI_SI_EEEENS9_21zip_adj_not_predicateINS8_8equal_toIdEEEEEEPllNS8_4plusIlEEEE10hipError_tPvRmT1_T2_T3_mT4_P12ihipStream_tbEUlT_E1_NS1_11comp_targetILNS1_3genE10ELNS1_11target_archE1200ELNS1_3gpuE4ELNS1_3repE0EEENS1_30default_config_static_selectorELNS0_4arch9wavefront6targetE1EEEvSW_.kd
    .uniform_work_group_size: 1
    .uses_dynamic_stack: false
    .vgpr_count:     0
    .vgpr_spill_count: 0
    .wavefront_size: 64
  - .args:
      - .offset:         0
        .size:           64
        .value_kind:     by_value
    .group_segment_fixed_size: 0
    .kernarg_segment_align: 8
    .kernarg_segment_size: 64
    .language:       OpenCL C
    .language_version:
      - 2
      - 0
    .max_flat_workgroup_size: 256
    .name:           _ZN7rocprim17ROCPRIM_400000_NS6detail17trampoline_kernelINS0_14default_configENS1_22reduce_config_selectorIlEEZNS1_11reduce_implILb1ES3_N6thrust23THRUST_200600_302600_NS11hip_rocprim26transform_input_iterator_tIlNS8_12zip_iteratorINS8_5tupleINS8_6detail15normal_iteratorINS8_10device_ptrIdEEEESH_NS8_9null_typeESI_SI_SI_SI_SI_SI_SI_EEEENS9_21zip_adj_not_predicateINS8_8equal_toIdEEEEEEPllNS8_4plusIlEEEE10hipError_tPvRmT1_T2_T3_mT4_P12ihipStream_tbEUlT_E1_NS1_11comp_targetILNS1_3genE9ELNS1_11target_archE1100ELNS1_3gpuE3ELNS1_3repE0EEENS1_30default_config_static_selectorELNS0_4arch9wavefront6targetE1EEEvSW_
    .private_segment_fixed_size: 0
    .sgpr_count:     4
    .sgpr_spill_count: 0
    .symbol:         _ZN7rocprim17ROCPRIM_400000_NS6detail17trampoline_kernelINS0_14default_configENS1_22reduce_config_selectorIlEEZNS1_11reduce_implILb1ES3_N6thrust23THRUST_200600_302600_NS11hip_rocprim26transform_input_iterator_tIlNS8_12zip_iteratorINS8_5tupleINS8_6detail15normal_iteratorINS8_10device_ptrIdEEEESH_NS8_9null_typeESI_SI_SI_SI_SI_SI_SI_EEEENS9_21zip_adj_not_predicateINS8_8equal_toIdEEEEEEPllNS8_4plusIlEEEE10hipError_tPvRmT1_T2_T3_mT4_P12ihipStream_tbEUlT_E1_NS1_11comp_targetILNS1_3genE9ELNS1_11target_archE1100ELNS1_3gpuE3ELNS1_3repE0EEENS1_30default_config_static_selectorELNS0_4arch9wavefront6targetE1EEEvSW_.kd
    .uniform_work_group_size: 1
    .uses_dynamic_stack: false
    .vgpr_count:     0
    .vgpr_spill_count: 0
    .wavefront_size: 64
  - .args:
      - .offset:         0
        .size:           64
        .value_kind:     by_value
    .group_segment_fixed_size: 0
    .kernarg_segment_align: 8
    .kernarg_segment_size: 64
    .language:       OpenCL C
    .language_version:
      - 2
      - 0
    .max_flat_workgroup_size: 256
    .name:           _ZN7rocprim17ROCPRIM_400000_NS6detail17trampoline_kernelINS0_14default_configENS1_22reduce_config_selectorIlEEZNS1_11reduce_implILb1ES3_N6thrust23THRUST_200600_302600_NS11hip_rocprim26transform_input_iterator_tIlNS8_12zip_iteratorINS8_5tupleINS8_6detail15normal_iteratorINS8_10device_ptrIdEEEESH_NS8_9null_typeESI_SI_SI_SI_SI_SI_SI_EEEENS9_21zip_adj_not_predicateINS8_8equal_toIdEEEEEEPllNS8_4plusIlEEEE10hipError_tPvRmT1_T2_T3_mT4_P12ihipStream_tbEUlT_E1_NS1_11comp_targetILNS1_3genE8ELNS1_11target_archE1030ELNS1_3gpuE2ELNS1_3repE0EEENS1_30default_config_static_selectorELNS0_4arch9wavefront6targetE1EEEvSW_
    .private_segment_fixed_size: 0
    .sgpr_count:     4
    .sgpr_spill_count: 0
    .symbol:         _ZN7rocprim17ROCPRIM_400000_NS6detail17trampoline_kernelINS0_14default_configENS1_22reduce_config_selectorIlEEZNS1_11reduce_implILb1ES3_N6thrust23THRUST_200600_302600_NS11hip_rocprim26transform_input_iterator_tIlNS8_12zip_iteratorINS8_5tupleINS8_6detail15normal_iteratorINS8_10device_ptrIdEEEESH_NS8_9null_typeESI_SI_SI_SI_SI_SI_SI_EEEENS9_21zip_adj_not_predicateINS8_8equal_toIdEEEEEEPllNS8_4plusIlEEEE10hipError_tPvRmT1_T2_T3_mT4_P12ihipStream_tbEUlT_E1_NS1_11comp_targetILNS1_3genE8ELNS1_11target_archE1030ELNS1_3gpuE2ELNS1_3repE0EEENS1_30default_config_static_selectorELNS0_4arch9wavefront6targetE1EEEvSW_.kd
    .uniform_work_group_size: 1
    .uses_dynamic_stack: false
    .vgpr_count:     0
    .vgpr_spill_count: 0
    .wavefront_size: 64
  - .args:
      - .offset:         0
        .size:           80
        .value_kind:     by_value
    .group_segment_fixed_size: 0
    .kernarg_segment_align: 8
    .kernarg_segment_size: 80
    .language:       OpenCL C
    .language_version:
      - 2
      - 0
    .max_flat_workgroup_size: 256
    .name:           _ZN7rocprim17ROCPRIM_400000_NS6detail17trampoline_kernelINS0_14default_configENS1_22reduce_config_selectorIlEEZNS1_11reduce_implILb1ES3_N6thrust23THRUST_200600_302600_NS11hip_rocprim26transform_input_iterator_tIlNS8_12zip_iteratorINS8_5tupleINS8_6detail15normal_iteratorINS8_10device_ptrIdEEEESH_NS8_9null_typeESI_SI_SI_SI_SI_SI_SI_EEEENS9_21zip_adj_not_predicateI22is_equal_div_10_uniqueIdEEEEEPllNS8_4plusIlEEEE10hipError_tPvRmT1_T2_T3_mT4_P12ihipStream_tbEUlT_E0_NS1_11comp_targetILNS1_3genE0ELNS1_11target_archE4294967295ELNS1_3gpuE0ELNS1_3repE0EEENS1_30default_config_static_selectorELNS0_4arch9wavefront6targetE1EEEvSW_
    .private_segment_fixed_size: 0
    .sgpr_count:     4
    .sgpr_spill_count: 0
    .symbol:         _ZN7rocprim17ROCPRIM_400000_NS6detail17trampoline_kernelINS0_14default_configENS1_22reduce_config_selectorIlEEZNS1_11reduce_implILb1ES3_N6thrust23THRUST_200600_302600_NS11hip_rocprim26transform_input_iterator_tIlNS8_12zip_iteratorINS8_5tupleINS8_6detail15normal_iteratorINS8_10device_ptrIdEEEESH_NS8_9null_typeESI_SI_SI_SI_SI_SI_SI_EEEENS9_21zip_adj_not_predicateI22is_equal_div_10_uniqueIdEEEEEPllNS8_4plusIlEEEE10hipError_tPvRmT1_T2_T3_mT4_P12ihipStream_tbEUlT_E0_NS1_11comp_targetILNS1_3genE0ELNS1_11target_archE4294967295ELNS1_3gpuE0ELNS1_3repE0EEENS1_30default_config_static_selectorELNS0_4arch9wavefront6targetE1EEEvSW_.kd
    .uniform_work_group_size: 1
    .uses_dynamic_stack: false
    .vgpr_count:     0
    .vgpr_spill_count: 0
    .wavefront_size: 64
  - .args:
      - .offset:         0
        .size:           80
        .value_kind:     by_value
    .group_segment_fixed_size: 0
    .kernarg_segment_align: 8
    .kernarg_segment_size: 80
    .language:       OpenCL C
    .language_version:
      - 2
      - 0
    .max_flat_workgroup_size: 256
    .name:           _ZN7rocprim17ROCPRIM_400000_NS6detail17trampoline_kernelINS0_14default_configENS1_22reduce_config_selectorIlEEZNS1_11reduce_implILb1ES3_N6thrust23THRUST_200600_302600_NS11hip_rocprim26transform_input_iterator_tIlNS8_12zip_iteratorINS8_5tupleINS8_6detail15normal_iteratorINS8_10device_ptrIdEEEESH_NS8_9null_typeESI_SI_SI_SI_SI_SI_SI_EEEENS9_21zip_adj_not_predicateI22is_equal_div_10_uniqueIdEEEEEPllNS8_4plusIlEEEE10hipError_tPvRmT1_T2_T3_mT4_P12ihipStream_tbEUlT_E0_NS1_11comp_targetILNS1_3genE5ELNS1_11target_archE942ELNS1_3gpuE9ELNS1_3repE0EEENS1_30default_config_static_selectorELNS0_4arch9wavefront6targetE1EEEvSW_
    .private_segment_fixed_size: 0
    .sgpr_count:     4
    .sgpr_spill_count: 0
    .symbol:         _ZN7rocprim17ROCPRIM_400000_NS6detail17trampoline_kernelINS0_14default_configENS1_22reduce_config_selectorIlEEZNS1_11reduce_implILb1ES3_N6thrust23THRUST_200600_302600_NS11hip_rocprim26transform_input_iterator_tIlNS8_12zip_iteratorINS8_5tupleINS8_6detail15normal_iteratorINS8_10device_ptrIdEEEESH_NS8_9null_typeESI_SI_SI_SI_SI_SI_SI_EEEENS9_21zip_adj_not_predicateI22is_equal_div_10_uniqueIdEEEEEPllNS8_4plusIlEEEE10hipError_tPvRmT1_T2_T3_mT4_P12ihipStream_tbEUlT_E0_NS1_11comp_targetILNS1_3genE5ELNS1_11target_archE942ELNS1_3gpuE9ELNS1_3repE0EEENS1_30default_config_static_selectorELNS0_4arch9wavefront6targetE1EEEvSW_.kd
    .uniform_work_group_size: 1
    .uses_dynamic_stack: false
    .vgpr_count:     0
    .vgpr_spill_count: 0
    .wavefront_size: 64
  - .args:
      - .offset:         0
        .size:           80
        .value_kind:     by_value
    .group_segment_fixed_size: 0
    .kernarg_segment_align: 8
    .kernarg_segment_size: 80
    .language:       OpenCL C
    .language_version:
      - 2
      - 0
    .max_flat_workgroup_size: 256
    .name:           _ZN7rocprim17ROCPRIM_400000_NS6detail17trampoline_kernelINS0_14default_configENS1_22reduce_config_selectorIlEEZNS1_11reduce_implILb1ES3_N6thrust23THRUST_200600_302600_NS11hip_rocprim26transform_input_iterator_tIlNS8_12zip_iteratorINS8_5tupleINS8_6detail15normal_iteratorINS8_10device_ptrIdEEEESH_NS8_9null_typeESI_SI_SI_SI_SI_SI_SI_EEEENS9_21zip_adj_not_predicateI22is_equal_div_10_uniqueIdEEEEEPllNS8_4plusIlEEEE10hipError_tPvRmT1_T2_T3_mT4_P12ihipStream_tbEUlT_E0_NS1_11comp_targetILNS1_3genE4ELNS1_11target_archE910ELNS1_3gpuE8ELNS1_3repE0EEENS1_30default_config_static_selectorELNS0_4arch9wavefront6targetE1EEEvSW_
    .private_segment_fixed_size: 0
    .sgpr_count:     4
    .sgpr_spill_count: 0
    .symbol:         _ZN7rocprim17ROCPRIM_400000_NS6detail17trampoline_kernelINS0_14default_configENS1_22reduce_config_selectorIlEEZNS1_11reduce_implILb1ES3_N6thrust23THRUST_200600_302600_NS11hip_rocprim26transform_input_iterator_tIlNS8_12zip_iteratorINS8_5tupleINS8_6detail15normal_iteratorINS8_10device_ptrIdEEEESH_NS8_9null_typeESI_SI_SI_SI_SI_SI_SI_EEEENS9_21zip_adj_not_predicateI22is_equal_div_10_uniqueIdEEEEEPllNS8_4plusIlEEEE10hipError_tPvRmT1_T2_T3_mT4_P12ihipStream_tbEUlT_E0_NS1_11comp_targetILNS1_3genE4ELNS1_11target_archE910ELNS1_3gpuE8ELNS1_3repE0EEENS1_30default_config_static_selectorELNS0_4arch9wavefront6targetE1EEEvSW_.kd
    .uniform_work_group_size: 1
    .uses_dynamic_stack: false
    .vgpr_count:     0
    .vgpr_spill_count: 0
    .wavefront_size: 64
  - .args:
      - .offset:         0
        .size:           80
        .value_kind:     by_value
    .group_segment_fixed_size: 0
    .kernarg_segment_align: 8
    .kernarg_segment_size: 80
    .language:       OpenCL C
    .language_version:
      - 2
      - 0
    .max_flat_workgroup_size: 256
    .name:           _ZN7rocprim17ROCPRIM_400000_NS6detail17trampoline_kernelINS0_14default_configENS1_22reduce_config_selectorIlEEZNS1_11reduce_implILb1ES3_N6thrust23THRUST_200600_302600_NS11hip_rocprim26transform_input_iterator_tIlNS8_12zip_iteratorINS8_5tupleINS8_6detail15normal_iteratorINS8_10device_ptrIdEEEESH_NS8_9null_typeESI_SI_SI_SI_SI_SI_SI_EEEENS9_21zip_adj_not_predicateI22is_equal_div_10_uniqueIdEEEEEPllNS8_4plusIlEEEE10hipError_tPvRmT1_T2_T3_mT4_P12ihipStream_tbEUlT_E0_NS1_11comp_targetILNS1_3genE3ELNS1_11target_archE908ELNS1_3gpuE7ELNS1_3repE0EEENS1_30default_config_static_selectorELNS0_4arch9wavefront6targetE1EEEvSW_
    .private_segment_fixed_size: 0
    .sgpr_count:     4
    .sgpr_spill_count: 0
    .symbol:         _ZN7rocprim17ROCPRIM_400000_NS6detail17trampoline_kernelINS0_14default_configENS1_22reduce_config_selectorIlEEZNS1_11reduce_implILb1ES3_N6thrust23THRUST_200600_302600_NS11hip_rocprim26transform_input_iterator_tIlNS8_12zip_iteratorINS8_5tupleINS8_6detail15normal_iteratorINS8_10device_ptrIdEEEESH_NS8_9null_typeESI_SI_SI_SI_SI_SI_SI_EEEENS9_21zip_adj_not_predicateI22is_equal_div_10_uniqueIdEEEEEPllNS8_4plusIlEEEE10hipError_tPvRmT1_T2_T3_mT4_P12ihipStream_tbEUlT_E0_NS1_11comp_targetILNS1_3genE3ELNS1_11target_archE908ELNS1_3gpuE7ELNS1_3repE0EEENS1_30default_config_static_selectorELNS0_4arch9wavefront6targetE1EEEvSW_.kd
    .uniform_work_group_size: 1
    .uses_dynamic_stack: false
    .vgpr_count:     0
    .vgpr_spill_count: 0
    .wavefront_size: 64
  - .args:
      - .offset:         0
        .size:           80
        .value_kind:     by_value
    .group_segment_fixed_size: 64
    .kernarg_segment_align: 8
    .kernarg_segment_size: 80
    .language:       OpenCL C
    .language_version:
      - 2
      - 0
    .max_flat_workgroup_size: 256
    .name:           _ZN7rocprim17ROCPRIM_400000_NS6detail17trampoline_kernelINS0_14default_configENS1_22reduce_config_selectorIlEEZNS1_11reduce_implILb1ES3_N6thrust23THRUST_200600_302600_NS11hip_rocprim26transform_input_iterator_tIlNS8_12zip_iteratorINS8_5tupleINS8_6detail15normal_iteratorINS8_10device_ptrIdEEEESH_NS8_9null_typeESI_SI_SI_SI_SI_SI_SI_EEEENS9_21zip_adj_not_predicateI22is_equal_div_10_uniqueIdEEEEEPllNS8_4plusIlEEEE10hipError_tPvRmT1_T2_T3_mT4_P12ihipStream_tbEUlT_E0_NS1_11comp_targetILNS1_3genE2ELNS1_11target_archE906ELNS1_3gpuE6ELNS1_3repE0EEENS1_30default_config_static_selectorELNS0_4arch9wavefront6targetE1EEEvSW_
    .private_segment_fixed_size: 0
    .sgpr_count:     26
    .sgpr_spill_count: 0
    .symbol:         _ZN7rocprim17ROCPRIM_400000_NS6detail17trampoline_kernelINS0_14default_configENS1_22reduce_config_selectorIlEEZNS1_11reduce_implILb1ES3_N6thrust23THRUST_200600_302600_NS11hip_rocprim26transform_input_iterator_tIlNS8_12zip_iteratorINS8_5tupleINS8_6detail15normal_iteratorINS8_10device_ptrIdEEEESH_NS8_9null_typeESI_SI_SI_SI_SI_SI_SI_EEEENS9_21zip_adj_not_predicateI22is_equal_div_10_uniqueIdEEEEEPllNS8_4plusIlEEEE10hipError_tPvRmT1_T2_T3_mT4_P12ihipStream_tbEUlT_E0_NS1_11comp_targetILNS1_3genE2ELNS1_11target_archE906ELNS1_3gpuE6ELNS1_3repE0EEENS1_30default_config_static_selectorELNS0_4arch9wavefront6targetE1EEEvSW_.kd
    .uniform_work_group_size: 1
    .uses_dynamic_stack: false
    .vgpr_count:     15
    .vgpr_spill_count: 0
    .wavefront_size: 64
  - .args:
      - .offset:         0
        .size:           80
        .value_kind:     by_value
    .group_segment_fixed_size: 0
    .kernarg_segment_align: 8
    .kernarg_segment_size: 80
    .language:       OpenCL C
    .language_version:
      - 2
      - 0
    .max_flat_workgroup_size: 256
    .name:           _ZN7rocprim17ROCPRIM_400000_NS6detail17trampoline_kernelINS0_14default_configENS1_22reduce_config_selectorIlEEZNS1_11reduce_implILb1ES3_N6thrust23THRUST_200600_302600_NS11hip_rocprim26transform_input_iterator_tIlNS8_12zip_iteratorINS8_5tupleINS8_6detail15normal_iteratorINS8_10device_ptrIdEEEESH_NS8_9null_typeESI_SI_SI_SI_SI_SI_SI_EEEENS9_21zip_adj_not_predicateI22is_equal_div_10_uniqueIdEEEEEPllNS8_4plusIlEEEE10hipError_tPvRmT1_T2_T3_mT4_P12ihipStream_tbEUlT_E0_NS1_11comp_targetILNS1_3genE10ELNS1_11target_archE1201ELNS1_3gpuE5ELNS1_3repE0EEENS1_30default_config_static_selectorELNS0_4arch9wavefront6targetE1EEEvSW_
    .private_segment_fixed_size: 0
    .sgpr_count:     4
    .sgpr_spill_count: 0
    .symbol:         _ZN7rocprim17ROCPRIM_400000_NS6detail17trampoline_kernelINS0_14default_configENS1_22reduce_config_selectorIlEEZNS1_11reduce_implILb1ES3_N6thrust23THRUST_200600_302600_NS11hip_rocprim26transform_input_iterator_tIlNS8_12zip_iteratorINS8_5tupleINS8_6detail15normal_iteratorINS8_10device_ptrIdEEEESH_NS8_9null_typeESI_SI_SI_SI_SI_SI_SI_EEEENS9_21zip_adj_not_predicateI22is_equal_div_10_uniqueIdEEEEEPllNS8_4plusIlEEEE10hipError_tPvRmT1_T2_T3_mT4_P12ihipStream_tbEUlT_E0_NS1_11comp_targetILNS1_3genE10ELNS1_11target_archE1201ELNS1_3gpuE5ELNS1_3repE0EEENS1_30default_config_static_selectorELNS0_4arch9wavefront6targetE1EEEvSW_.kd
    .uniform_work_group_size: 1
    .uses_dynamic_stack: false
    .vgpr_count:     0
    .vgpr_spill_count: 0
    .wavefront_size: 64
  - .args:
      - .offset:         0
        .size:           80
        .value_kind:     by_value
    .group_segment_fixed_size: 0
    .kernarg_segment_align: 8
    .kernarg_segment_size: 80
    .language:       OpenCL C
    .language_version:
      - 2
      - 0
    .max_flat_workgroup_size: 256
    .name:           _ZN7rocprim17ROCPRIM_400000_NS6detail17trampoline_kernelINS0_14default_configENS1_22reduce_config_selectorIlEEZNS1_11reduce_implILb1ES3_N6thrust23THRUST_200600_302600_NS11hip_rocprim26transform_input_iterator_tIlNS8_12zip_iteratorINS8_5tupleINS8_6detail15normal_iteratorINS8_10device_ptrIdEEEESH_NS8_9null_typeESI_SI_SI_SI_SI_SI_SI_EEEENS9_21zip_adj_not_predicateI22is_equal_div_10_uniqueIdEEEEEPllNS8_4plusIlEEEE10hipError_tPvRmT1_T2_T3_mT4_P12ihipStream_tbEUlT_E0_NS1_11comp_targetILNS1_3genE10ELNS1_11target_archE1200ELNS1_3gpuE4ELNS1_3repE0EEENS1_30default_config_static_selectorELNS0_4arch9wavefront6targetE1EEEvSW_
    .private_segment_fixed_size: 0
    .sgpr_count:     4
    .sgpr_spill_count: 0
    .symbol:         _ZN7rocprim17ROCPRIM_400000_NS6detail17trampoline_kernelINS0_14default_configENS1_22reduce_config_selectorIlEEZNS1_11reduce_implILb1ES3_N6thrust23THRUST_200600_302600_NS11hip_rocprim26transform_input_iterator_tIlNS8_12zip_iteratorINS8_5tupleINS8_6detail15normal_iteratorINS8_10device_ptrIdEEEESH_NS8_9null_typeESI_SI_SI_SI_SI_SI_SI_EEEENS9_21zip_adj_not_predicateI22is_equal_div_10_uniqueIdEEEEEPllNS8_4plusIlEEEE10hipError_tPvRmT1_T2_T3_mT4_P12ihipStream_tbEUlT_E0_NS1_11comp_targetILNS1_3genE10ELNS1_11target_archE1200ELNS1_3gpuE4ELNS1_3repE0EEENS1_30default_config_static_selectorELNS0_4arch9wavefront6targetE1EEEvSW_.kd
    .uniform_work_group_size: 1
    .uses_dynamic_stack: false
    .vgpr_count:     0
    .vgpr_spill_count: 0
    .wavefront_size: 64
  - .args:
      - .offset:         0
        .size:           80
        .value_kind:     by_value
    .group_segment_fixed_size: 0
    .kernarg_segment_align: 8
    .kernarg_segment_size: 80
    .language:       OpenCL C
    .language_version:
      - 2
      - 0
    .max_flat_workgroup_size: 256
    .name:           _ZN7rocprim17ROCPRIM_400000_NS6detail17trampoline_kernelINS0_14default_configENS1_22reduce_config_selectorIlEEZNS1_11reduce_implILb1ES3_N6thrust23THRUST_200600_302600_NS11hip_rocprim26transform_input_iterator_tIlNS8_12zip_iteratorINS8_5tupleINS8_6detail15normal_iteratorINS8_10device_ptrIdEEEESH_NS8_9null_typeESI_SI_SI_SI_SI_SI_SI_EEEENS9_21zip_adj_not_predicateI22is_equal_div_10_uniqueIdEEEEEPllNS8_4plusIlEEEE10hipError_tPvRmT1_T2_T3_mT4_P12ihipStream_tbEUlT_E0_NS1_11comp_targetILNS1_3genE9ELNS1_11target_archE1100ELNS1_3gpuE3ELNS1_3repE0EEENS1_30default_config_static_selectorELNS0_4arch9wavefront6targetE1EEEvSW_
    .private_segment_fixed_size: 0
    .sgpr_count:     4
    .sgpr_spill_count: 0
    .symbol:         _ZN7rocprim17ROCPRIM_400000_NS6detail17trampoline_kernelINS0_14default_configENS1_22reduce_config_selectorIlEEZNS1_11reduce_implILb1ES3_N6thrust23THRUST_200600_302600_NS11hip_rocprim26transform_input_iterator_tIlNS8_12zip_iteratorINS8_5tupleINS8_6detail15normal_iteratorINS8_10device_ptrIdEEEESH_NS8_9null_typeESI_SI_SI_SI_SI_SI_SI_EEEENS9_21zip_adj_not_predicateI22is_equal_div_10_uniqueIdEEEEEPllNS8_4plusIlEEEE10hipError_tPvRmT1_T2_T3_mT4_P12ihipStream_tbEUlT_E0_NS1_11comp_targetILNS1_3genE9ELNS1_11target_archE1100ELNS1_3gpuE3ELNS1_3repE0EEENS1_30default_config_static_selectorELNS0_4arch9wavefront6targetE1EEEvSW_.kd
    .uniform_work_group_size: 1
    .uses_dynamic_stack: false
    .vgpr_count:     0
    .vgpr_spill_count: 0
    .wavefront_size: 64
  - .args:
      - .offset:         0
        .size:           80
        .value_kind:     by_value
    .group_segment_fixed_size: 0
    .kernarg_segment_align: 8
    .kernarg_segment_size: 80
    .language:       OpenCL C
    .language_version:
      - 2
      - 0
    .max_flat_workgroup_size: 256
    .name:           _ZN7rocprim17ROCPRIM_400000_NS6detail17trampoline_kernelINS0_14default_configENS1_22reduce_config_selectorIlEEZNS1_11reduce_implILb1ES3_N6thrust23THRUST_200600_302600_NS11hip_rocprim26transform_input_iterator_tIlNS8_12zip_iteratorINS8_5tupleINS8_6detail15normal_iteratorINS8_10device_ptrIdEEEESH_NS8_9null_typeESI_SI_SI_SI_SI_SI_SI_EEEENS9_21zip_adj_not_predicateI22is_equal_div_10_uniqueIdEEEEEPllNS8_4plusIlEEEE10hipError_tPvRmT1_T2_T3_mT4_P12ihipStream_tbEUlT_E0_NS1_11comp_targetILNS1_3genE8ELNS1_11target_archE1030ELNS1_3gpuE2ELNS1_3repE0EEENS1_30default_config_static_selectorELNS0_4arch9wavefront6targetE1EEEvSW_
    .private_segment_fixed_size: 0
    .sgpr_count:     4
    .sgpr_spill_count: 0
    .symbol:         _ZN7rocprim17ROCPRIM_400000_NS6detail17trampoline_kernelINS0_14default_configENS1_22reduce_config_selectorIlEEZNS1_11reduce_implILb1ES3_N6thrust23THRUST_200600_302600_NS11hip_rocprim26transform_input_iterator_tIlNS8_12zip_iteratorINS8_5tupleINS8_6detail15normal_iteratorINS8_10device_ptrIdEEEESH_NS8_9null_typeESI_SI_SI_SI_SI_SI_SI_EEEENS9_21zip_adj_not_predicateI22is_equal_div_10_uniqueIdEEEEEPllNS8_4plusIlEEEE10hipError_tPvRmT1_T2_T3_mT4_P12ihipStream_tbEUlT_E0_NS1_11comp_targetILNS1_3genE8ELNS1_11target_archE1030ELNS1_3gpuE2ELNS1_3repE0EEENS1_30default_config_static_selectorELNS0_4arch9wavefront6targetE1EEEvSW_.kd
    .uniform_work_group_size: 1
    .uses_dynamic_stack: false
    .vgpr_count:     0
    .vgpr_spill_count: 0
    .wavefront_size: 64
  - .args:
      - .offset:         0
        .size:           64
        .value_kind:     by_value
    .group_segment_fixed_size: 0
    .kernarg_segment_align: 8
    .kernarg_segment_size: 64
    .language:       OpenCL C
    .language_version:
      - 2
      - 0
    .max_flat_workgroup_size: 256
    .name:           _ZN7rocprim17ROCPRIM_400000_NS6detail17trampoline_kernelINS0_14default_configENS1_22reduce_config_selectorIlEEZNS1_11reduce_implILb1ES3_N6thrust23THRUST_200600_302600_NS11hip_rocprim26transform_input_iterator_tIlNS8_12zip_iteratorINS8_5tupleINS8_6detail15normal_iteratorINS8_10device_ptrIdEEEESH_NS8_9null_typeESI_SI_SI_SI_SI_SI_SI_EEEENS9_21zip_adj_not_predicateI22is_equal_div_10_uniqueIdEEEEEPllNS8_4plusIlEEEE10hipError_tPvRmT1_T2_T3_mT4_P12ihipStream_tbEUlT_E1_NS1_11comp_targetILNS1_3genE0ELNS1_11target_archE4294967295ELNS1_3gpuE0ELNS1_3repE0EEENS1_30default_config_static_selectorELNS0_4arch9wavefront6targetE1EEEvSW_
    .private_segment_fixed_size: 0
    .sgpr_count:     4
    .sgpr_spill_count: 0
    .symbol:         _ZN7rocprim17ROCPRIM_400000_NS6detail17trampoline_kernelINS0_14default_configENS1_22reduce_config_selectorIlEEZNS1_11reduce_implILb1ES3_N6thrust23THRUST_200600_302600_NS11hip_rocprim26transform_input_iterator_tIlNS8_12zip_iteratorINS8_5tupleINS8_6detail15normal_iteratorINS8_10device_ptrIdEEEESH_NS8_9null_typeESI_SI_SI_SI_SI_SI_SI_EEEENS9_21zip_adj_not_predicateI22is_equal_div_10_uniqueIdEEEEEPllNS8_4plusIlEEEE10hipError_tPvRmT1_T2_T3_mT4_P12ihipStream_tbEUlT_E1_NS1_11comp_targetILNS1_3genE0ELNS1_11target_archE4294967295ELNS1_3gpuE0ELNS1_3repE0EEENS1_30default_config_static_selectorELNS0_4arch9wavefront6targetE1EEEvSW_.kd
    .uniform_work_group_size: 1
    .uses_dynamic_stack: false
    .vgpr_count:     0
    .vgpr_spill_count: 0
    .wavefront_size: 64
  - .args:
      - .offset:         0
        .size:           64
        .value_kind:     by_value
    .group_segment_fixed_size: 0
    .kernarg_segment_align: 8
    .kernarg_segment_size: 64
    .language:       OpenCL C
    .language_version:
      - 2
      - 0
    .max_flat_workgroup_size: 256
    .name:           _ZN7rocprim17ROCPRIM_400000_NS6detail17trampoline_kernelINS0_14default_configENS1_22reduce_config_selectorIlEEZNS1_11reduce_implILb1ES3_N6thrust23THRUST_200600_302600_NS11hip_rocprim26transform_input_iterator_tIlNS8_12zip_iteratorINS8_5tupleINS8_6detail15normal_iteratorINS8_10device_ptrIdEEEESH_NS8_9null_typeESI_SI_SI_SI_SI_SI_SI_EEEENS9_21zip_adj_not_predicateI22is_equal_div_10_uniqueIdEEEEEPllNS8_4plusIlEEEE10hipError_tPvRmT1_T2_T3_mT4_P12ihipStream_tbEUlT_E1_NS1_11comp_targetILNS1_3genE5ELNS1_11target_archE942ELNS1_3gpuE9ELNS1_3repE0EEENS1_30default_config_static_selectorELNS0_4arch9wavefront6targetE1EEEvSW_
    .private_segment_fixed_size: 0
    .sgpr_count:     4
    .sgpr_spill_count: 0
    .symbol:         _ZN7rocprim17ROCPRIM_400000_NS6detail17trampoline_kernelINS0_14default_configENS1_22reduce_config_selectorIlEEZNS1_11reduce_implILb1ES3_N6thrust23THRUST_200600_302600_NS11hip_rocprim26transform_input_iterator_tIlNS8_12zip_iteratorINS8_5tupleINS8_6detail15normal_iteratorINS8_10device_ptrIdEEEESH_NS8_9null_typeESI_SI_SI_SI_SI_SI_SI_EEEENS9_21zip_adj_not_predicateI22is_equal_div_10_uniqueIdEEEEEPllNS8_4plusIlEEEE10hipError_tPvRmT1_T2_T3_mT4_P12ihipStream_tbEUlT_E1_NS1_11comp_targetILNS1_3genE5ELNS1_11target_archE942ELNS1_3gpuE9ELNS1_3repE0EEENS1_30default_config_static_selectorELNS0_4arch9wavefront6targetE1EEEvSW_.kd
    .uniform_work_group_size: 1
    .uses_dynamic_stack: false
    .vgpr_count:     0
    .vgpr_spill_count: 0
    .wavefront_size: 64
  - .args:
      - .offset:         0
        .size:           64
        .value_kind:     by_value
    .group_segment_fixed_size: 0
    .kernarg_segment_align: 8
    .kernarg_segment_size: 64
    .language:       OpenCL C
    .language_version:
      - 2
      - 0
    .max_flat_workgroup_size: 256
    .name:           _ZN7rocprim17ROCPRIM_400000_NS6detail17trampoline_kernelINS0_14default_configENS1_22reduce_config_selectorIlEEZNS1_11reduce_implILb1ES3_N6thrust23THRUST_200600_302600_NS11hip_rocprim26transform_input_iterator_tIlNS8_12zip_iteratorINS8_5tupleINS8_6detail15normal_iteratorINS8_10device_ptrIdEEEESH_NS8_9null_typeESI_SI_SI_SI_SI_SI_SI_EEEENS9_21zip_adj_not_predicateI22is_equal_div_10_uniqueIdEEEEEPllNS8_4plusIlEEEE10hipError_tPvRmT1_T2_T3_mT4_P12ihipStream_tbEUlT_E1_NS1_11comp_targetILNS1_3genE4ELNS1_11target_archE910ELNS1_3gpuE8ELNS1_3repE0EEENS1_30default_config_static_selectorELNS0_4arch9wavefront6targetE1EEEvSW_
    .private_segment_fixed_size: 0
    .sgpr_count:     4
    .sgpr_spill_count: 0
    .symbol:         _ZN7rocprim17ROCPRIM_400000_NS6detail17trampoline_kernelINS0_14default_configENS1_22reduce_config_selectorIlEEZNS1_11reduce_implILb1ES3_N6thrust23THRUST_200600_302600_NS11hip_rocprim26transform_input_iterator_tIlNS8_12zip_iteratorINS8_5tupleINS8_6detail15normal_iteratorINS8_10device_ptrIdEEEESH_NS8_9null_typeESI_SI_SI_SI_SI_SI_SI_EEEENS9_21zip_adj_not_predicateI22is_equal_div_10_uniqueIdEEEEEPllNS8_4plusIlEEEE10hipError_tPvRmT1_T2_T3_mT4_P12ihipStream_tbEUlT_E1_NS1_11comp_targetILNS1_3genE4ELNS1_11target_archE910ELNS1_3gpuE8ELNS1_3repE0EEENS1_30default_config_static_selectorELNS0_4arch9wavefront6targetE1EEEvSW_.kd
    .uniform_work_group_size: 1
    .uses_dynamic_stack: false
    .vgpr_count:     0
    .vgpr_spill_count: 0
    .wavefront_size: 64
  - .args:
      - .offset:         0
        .size:           64
        .value_kind:     by_value
    .group_segment_fixed_size: 0
    .kernarg_segment_align: 8
    .kernarg_segment_size: 64
    .language:       OpenCL C
    .language_version:
      - 2
      - 0
    .max_flat_workgroup_size: 256
    .name:           _ZN7rocprim17ROCPRIM_400000_NS6detail17trampoline_kernelINS0_14default_configENS1_22reduce_config_selectorIlEEZNS1_11reduce_implILb1ES3_N6thrust23THRUST_200600_302600_NS11hip_rocprim26transform_input_iterator_tIlNS8_12zip_iteratorINS8_5tupleINS8_6detail15normal_iteratorINS8_10device_ptrIdEEEESH_NS8_9null_typeESI_SI_SI_SI_SI_SI_SI_EEEENS9_21zip_adj_not_predicateI22is_equal_div_10_uniqueIdEEEEEPllNS8_4plusIlEEEE10hipError_tPvRmT1_T2_T3_mT4_P12ihipStream_tbEUlT_E1_NS1_11comp_targetILNS1_3genE3ELNS1_11target_archE908ELNS1_3gpuE7ELNS1_3repE0EEENS1_30default_config_static_selectorELNS0_4arch9wavefront6targetE1EEEvSW_
    .private_segment_fixed_size: 0
    .sgpr_count:     4
    .sgpr_spill_count: 0
    .symbol:         _ZN7rocprim17ROCPRIM_400000_NS6detail17trampoline_kernelINS0_14default_configENS1_22reduce_config_selectorIlEEZNS1_11reduce_implILb1ES3_N6thrust23THRUST_200600_302600_NS11hip_rocprim26transform_input_iterator_tIlNS8_12zip_iteratorINS8_5tupleINS8_6detail15normal_iteratorINS8_10device_ptrIdEEEESH_NS8_9null_typeESI_SI_SI_SI_SI_SI_SI_EEEENS9_21zip_adj_not_predicateI22is_equal_div_10_uniqueIdEEEEEPllNS8_4plusIlEEEE10hipError_tPvRmT1_T2_T3_mT4_P12ihipStream_tbEUlT_E1_NS1_11comp_targetILNS1_3genE3ELNS1_11target_archE908ELNS1_3gpuE7ELNS1_3repE0EEENS1_30default_config_static_selectorELNS0_4arch9wavefront6targetE1EEEvSW_.kd
    .uniform_work_group_size: 1
    .uses_dynamic_stack: false
    .vgpr_count:     0
    .vgpr_spill_count: 0
    .wavefront_size: 64
  - .args:
      - .offset:         0
        .size:           64
        .value_kind:     by_value
    .group_segment_fixed_size: 192
    .kernarg_segment_align: 8
    .kernarg_segment_size: 64
    .language:       OpenCL C
    .language_version:
      - 2
      - 0
    .max_flat_workgroup_size: 256
    .name:           _ZN7rocprim17ROCPRIM_400000_NS6detail17trampoline_kernelINS0_14default_configENS1_22reduce_config_selectorIlEEZNS1_11reduce_implILb1ES3_N6thrust23THRUST_200600_302600_NS11hip_rocprim26transform_input_iterator_tIlNS8_12zip_iteratorINS8_5tupleINS8_6detail15normal_iteratorINS8_10device_ptrIdEEEESH_NS8_9null_typeESI_SI_SI_SI_SI_SI_SI_EEEENS9_21zip_adj_not_predicateI22is_equal_div_10_uniqueIdEEEEEPllNS8_4plusIlEEEE10hipError_tPvRmT1_T2_T3_mT4_P12ihipStream_tbEUlT_E1_NS1_11comp_targetILNS1_3genE2ELNS1_11target_archE906ELNS1_3gpuE6ELNS1_3repE0EEENS1_30default_config_static_selectorELNS0_4arch9wavefront6targetE1EEEvSW_
    .private_segment_fixed_size: 0
    .sgpr_count:     39
    .sgpr_spill_count: 0
    .symbol:         _ZN7rocprim17ROCPRIM_400000_NS6detail17trampoline_kernelINS0_14default_configENS1_22reduce_config_selectorIlEEZNS1_11reduce_implILb1ES3_N6thrust23THRUST_200600_302600_NS11hip_rocprim26transform_input_iterator_tIlNS8_12zip_iteratorINS8_5tupleINS8_6detail15normal_iteratorINS8_10device_ptrIdEEEESH_NS8_9null_typeESI_SI_SI_SI_SI_SI_SI_EEEENS9_21zip_adj_not_predicateI22is_equal_div_10_uniqueIdEEEEEPllNS8_4plusIlEEEE10hipError_tPvRmT1_T2_T3_mT4_P12ihipStream_tbEUlT_E1_NS1_11comp_targetILNS1_3genE2ELNS1_11target_archE906ELNS1_3gpuE6ELNS1_3repE0EEENS1_30default_config_static_selectorELNS0_4arch9wavefront6targetE1EEEvSW_.kd
    .uniform_work_group_size: 1
    .uses_dynamic_stack: false
    .vgpr_count:     40
    .vgpr_spill_count: 0
    .wavefront_size: 64
  - .args:
      - .offset:         0
        .size:           64
        .value_kind:     by_value
    .group_segment_fixed_size: 0
    .kernarg_segment_align: 8
    .kernarg_segment_size: 64
    .language:       OpenCL C
    .language_version:
      - 2
      - 0
    .max_flat_workgroup_size: 256
    .name:           _ZN7rocprim17ROCPRIM_400000_NS6detail17trampoline_kernelINS0_14default_configENS1_22reduce_config_selectorIlEEZNS1_11reduce_implILb1ES3_N6thrust23THRUST_200600_302600_NS11hip_rocprim26transform_input_iterator_tIlNS8_12zip_iteratorINS8_5tupleINS8_6detail15normal_iteratorINS8_10device_ptrIdEEEESH_NS8_9null_typeESI_SI_SI_SI_SI_SI_SI_EEEENS9_21zip_adj_not_predicateI22is_equal_div_10_uniqueIdEEEEEPllNS8_4plusIlEEEE10hipError_tPvRmT1_T2_T3_mT4_P12ihipStream_tbEUlT_E1_NS1_11comp_targetILNS1_3genE10ELNS1_11target_archE1201ELNS1_3gpuE5ELNS1_3repE0EEENS1_30default_config_static_selectorELNS0_4arch9wavefront6targetE1EEEvSW_
    .private_segment_fixed_size: 0
    .sgpr_count:     4
    .sgpr_spill_count: 0
    .symbol:         _ZN7rocprim17ROCPRIM_400000_NS6detail17trampoline_kernelINS0_14default_configENS1_22reduce_config_selectorIlEEZNS1_11reduce_implILb1ES3_N6thrust23THRUST_200600_302600_NS11hip_rocprim26transform_input_iterator_tIlNS8_12zip_iteratorINS8_5tupleINS8_6detail15normal_iteratorINS8_10device_ptrIdEEEESH_NS8_9null_typeESI_SI_SI_SI_SI_SI_SI_EEEENS9_21zip_adj_not_predicateI22is_equal_div_10_uniqueIdEEEEEPllNS8_4plusIlEEEE10hipError_tPvRmT1_T2_T3_mT4_P12ihipStream_tbEUlT_E1_NS1_11comp_targetILNS1_3genE10ELNS1_11target_archE1201ELNS1_3gpuE5ELNS1_3repE0EEENS1_30default_config_static_selectorELNS0_4arch9wavefront6targetE1EEEvSW_.kd
    .uniform_work_group_size: 1
    .uses_dynamic_stack: false
    .vgpr_count:     0
    .vgpr_spill_count: 0
    .wavefront_size: 64
  - .args:
      - .offset:         0
        .size:           64
        .value_kind:     by_value
    .group_segment_fixed_size: 0
    .kernarg_segment_align: 8
    .kernarg_segment_size: 64
    .language:       OpenCL C
    .language_version:
      - 2
      - 0
    .max_flat_workgroup_size: 256
    .name:           _ZN7rocprim17ROCPRIM_400000_NS6detail17trampoline_kernelINS0_14default_configENS1_22reduce_config_selectorIlEEZNS1_11reduce_implILb1ES3_N6thrust23THRUST_200600_302600_NS11hip_rocprim26transform_input_iterator_tIlNS8_12zip_iteratorINS8_5tupleINS8_6detail15normal_iteratorINS8_10device_ptrIdEEEESH_NS8_9null_typeESI_SI_SI_SI_SI_SI_SI_EEEENS9_21zip_adj_not_predicateI22is_equal_div_10_uniqueIdEEEEEPllNS8_4plusIlEEEE10hipError_tPvRmT1_T2_T3_mT4_P12ihipStream_tbEUlT_E1_NS1_11comp_targetILNS1_3genE10ELNS1_11target_archE1200ELNS1_3gpuE4ELNS1_3repE0EEENS1_30default_config_static_selectorELNS0_4arch9wavefront6targetE1EEEvSW_
    .private_segment_fixed_size: 0
    .sgpr_count:     4
    .sgpr_spill_count: 0
    .symbol:         _ZN7rocprim17ROCPRIM_400000_NS6detail17trampoline_kernelINS0_14default_configENS1_22reduce_config_selectorIlEEZNS1_11reduce_implILb1ES3_N6thrust23THRUST_200600_302600_NS11hip_rocprim26transform_input_iterator_tIlNS8_12zip_iteratorINS8_5tupleINS8_6detail15normal_iteratorINS8_10device_ptrIdEEEESH_NS8_9null_typeESI_SI_SI_SI_SI_SI_SI_EEEENS9_21zip_adj_not_predicateI22is_equal_div_10_uniqueIdEEEEEPllNS8_4plusIlEEEE10hipError_tPvRmT1_T2_T3_mT4_P12ihipStream_tbEUlT_E1_NS1_11comp_targetILNS1_3genE10ELNS1_11target_archE1200ELNS1_3gpuE4ELNS1_3repE0EEENS1_30default_config_static_selectorELNS0_4arch9wavefront6targetE1EEEvSW_.kd
    .uniform_work_group_size: 1
    .uses_dynamic_stack: false
    .vgpr_count:     0
    .vgpr_spill_count: 0
    .wavefront_size: 64
  - .args:
      - .offset:         0
        .size:           64
        .value_kind:     by_value
    .group_segment_fixed_size: 0
    .kernarg_segment_align: 8
    .kernarg_segment_size: 64
    .language:       OpenCL C
    .language_version:
      - 2
      - 0
    .max_flat_workgroup_size: 256
    .name:           _ZN7rocprim17ROCPRIM_400000_NS6detail17trampoline_kernelINS0_14default_configENS1_22reduce_config_selectorIlEEZNS1_11reduce_implILb1ES3_N6thrust23THRUST_200600_302600_NS11hip_rocprim26transform_input_iterator_tIlNS8_12zip_iteratorINS8_5tupleINS8_6detail15normal_iteratorINS8_10device_ptrIdEEEESH_NS8_9null_typeESI_SI_SI_SI_SI_SI_SI_EEEENS9_21zip_adj_not_predicateI22is_equal_div_10_uniqueIdEEEEEPllNS8_4plusIlEEEE10hipError_tPvRmT1_T2_T3_mT4_P12ihipStream_tbEUlT_E1_NS1_11comp_targetILNS1_3genE9ELNS1_11target_archE1100ELNS1_3gpuE3ELNS1_3repE0EEENS1_30default_config_static_selectorELNS0_4arch9wavefront6targetE1EEEvSW_
    .private_segment_fixed_size: 0
    .sgpr_count:     4
    .sgpr_spill_count: 0
    .symbol:         _ZN7rocprim17ROCPRIM_400000_NS6detail17trampoline_kernelINS0_14default_configENS1_22reduce_config_selectorIlEEZNS1_11reduce_implILb1ES3_N6thrust23THRUST_200600_302600_NS11hip_rocprim26transform_input_iterator_tIlNS8_12zip_iteratorINS8_5tupleINS8_6detail15normal_iteratorINS8_10device_ptrIdEEEESH_NS8_9null_typeESI_SI_SI_SI_SI_SI_SI_EEEENS9_21zip_adj_not_predicateI22is_equal_div_10_uniqueIdEEEEEPllNS8_4plusIlEEEE10hipError_tPvRmT1_T2_T3_mT4_P12ihipStream_tbEUlT_E1_NS1_11comp_targetILNS1_3genE9ELNS1_11target_archE1100ELNS1_3gpuE3ELNS1_3repE0EEENS1_30default_config_static_selectorELNS0_4arch9wavefront6targetE1EEEvSW_.kd
    .uniform_work_group_size: 1
    .uses_dynamic_stack: false
    .vgpr_count:     0
    .vgpr_spill_count: 0
    .wavefront_size: 64
  - .args:
      - .offset:         0
        .size:           64
        .value_kind:     by_value
    .group_segment_fixed_size: 0
    .kernarg_segment_align: 8
    .kernarg_segment_size: 64
    .language:       OpenCL C
    .language_version:
      - 2
      - 0
    .max_flat_workgroup_size: 256
    .name:           _ZN7rocprim17ROCPRIM_400000_NS6detail17trampoline_kernelINS0_14default_configENS1_22reduce_config_selectorIlEEZNS1_11reduce_implILb1ES3_N6thrust23THRUST_200600_302600_NS11hip_rocprim26transform_input_iterator_tIlNS8_12zip_iteratorINS8_5tupleINS8_6detail15normal_iteratorINS8_10device_ptrIdEEEESH_NS8_9null_typeESI_SI_SI_SI_SI_SI_SI_EEEENS9_21zip_adj_not_predicateI22is_equal_div_10_uniqueIdEEEEEPllNS8_4plusIlEEEE10hipError_tPvRmT1_T2_T3_mT4_P12ihipStream_tbEUlT_E1_NS1_11comp_targetILNS1_3genE8ELNS1_11target_archE1030ELNS1_3gpuE2ELNS1_3repE0EEENS1_30default_config_static_selectorELNS0_4arch9wavefront6targetE1EEEvSW_
    .private_segment_fixed_size: 0
    .sgpr_count:     4
    .sgpr_spill_count: 0
    .symbol:         _ZN7rocprim17ROCPRIM_400000_NS6detail17trampoline_kernelINS0_14default_configENS1_22reduce_config_selectorIlEEZNS1_11reduce_implILb1ES3_N6thrust23THRUST_200600_302600_NS11hip_rocprim26transform_input_iterator_tIlNS8_12zip_iteratorINS8_5tupleINS8_6detail15normal_iteratorINS8_10device_ptrIdEEEESH_NS8_9null_typeESI_SI_SI_SI_SI_SI_SI_EEEENS9_21zip_adj_not_predicateI22is_equal_div_10_uniqueIdEEEEEPllNS8_4plusIlEEEE10hipError_tPvRmT1_T2_T3_mT4_P12ihipStream_tbEUlT_E1_NS1_11comp_targetILNS1_3genE8ELNS1_11target_archE1030ELNS1_3gpuE2ELNS1_3repE0EEENS1_30default_config_static_selectorELNS0_4arch9wavefront6targetE1EEEvSW_.kd
    .uniform_work_group_size: 1
    .uses_dynamic_stack: false
    .vgpr_count:     0
    .vgpr_spill_count: 0
    .wavefront_size: 64
  - .args:
      - .offset:         0
        .size:           80
        .value_kind:     by_value
    .group_segment_fixed_size: 0
    .kernarg_segment_align: 8
    .kernarg_segment_size: 80
    .language:       OpenCL C
    .language_version:
      - 2
      - 0
    .max_flat_workgroup_size: 256
    .name:           _ZN7rocprim17ROCPRIM_400000_NS6detail17trampoline_kernelINS0_14default_configENS1_22reduce_config_selectorIlEEZNS1_11reduce_implILb1ES3_N6thrust23THRUST_200600_302600_NS11hip_rocprim26transform_input_iterator_tIlNS8_12zip_iteratorINS8_5tupleINS8_6detail15normal_iteratorINS8_10device_ptrIfEEEESH_NS8_9null_typeESI_SI_SI_SI_SI_SI_SI_EEEENS9_21zip_adj_not_predicateINS8_8equal_toIfEEEEEEPllNS8_4plusIlEEEE10hipError_tPvRmT1_T2_T3_mT4_P12ihipStream_tbEUlT_E0_NS1_11comp_targetILNS1_3genE0ELNS1_11target_archE4294967295ELNS1_3gpuE0ELNS1_3repE0EEENS1_30default_config_static_selectorELNS0_4arch9wavefront6targetE1EEEvSW_
    .private_segment_fixed_size: 0
    .sgpr_count:     4
    .sgpr_spill_count: 0
    .symbol:         _ZN7rocprim17ROCPRIM_400000_NS6detail17trampoline_kernelINS0_14default_configENS1_22reduce_config_selectorIlEEZNS1_11reduce_implILb1ES3_N6thrust23THRUST_200600_302600_NS11hip_rocprim26transform_input_iterator_tIlNS8_12zip_iteratorINS8_5tupleINS8_6detail15normal_iteratorINS8_10device_ptrIfEEEESH_NS8_9null_typeESI_SI_SI_SI_SI_SI_SI_EEEENS9_21zip_adj_not_predicateINS8_8equal_toIfEEEEEEPllNS8_4plusIlEEEE10hipError_tPvRmT1_T2_T3_mT4_P12ihipStream_tbEUlT_E0_NS1_11comp_targetILNS1_3genE0ELNS1_11target_archE4294967295ELNS1_3gpuE0ELNS1_3repE0EEENS1_30default_config_static_selectorELNS0_4arch9wavefront6targetE1EEEvSW_.kd
    .uniform_work_group_size: 1
    .uses_dynamic_stack: false
    .vgpr_count:     0
    .vgpr_spill_count: 0
    .wavefront_size: 64
  - .args:
      - .offset:         0
        .size:           80
        .value_kind:     by_value
    .group_segment_fixed_size: 0
    .kernarg_segment_align: 8
    .kernarg_segment_size: 80
    .language:       OpenCL C
    .language_version:
      - 2
      - 0
    .max_flat_workgroup_size: 256
    .name:           _ZN7rocprim17ROCPRIM_400000_NS6detail17trampoline_kernelINS0_14default_configENS1_22reduce_config_selectorIlEEZNS1_11reduce_implILb1ES3_N6thrust23THRUST_200600_302600_NS11hip_rocprim26transform_input_iterator_tIlNS8_12zip_iteratorINS8_5tupleINS8_6detail15normal_iteratorINS8_10device_ptrIfEEEESH_NS8_9null_typeESI_SI_SI_SI_SI_SI_SI_EEEENS9_21zip_adj_not_predicateINS8_8equal_toIfEEEEEEPllNS8_4plusIlEEEE10hipError_tPvRmT1_T2_T3_mT4_P12ihipStream_tbEUlT_E0_NS1_11comp_targetILNS1_3genE5ELNS1_11target_archE942ELNS1_3gpuE9ELNS1_3repE0EEENS1_30default_config_static_selectorELNS0_4arch9wavefront6targetE1EEEvSW_
    .private_segment_fixed_size: 0
    .sgpr_count:     4
    .sgpr_spill_count: 0
    .symbol:         _ZN7rocprim17ROCPRIM_400000_NS6detail17trampoline_kernelINS0_14default_configENS1_22reduce_config_selectorIlEEZNS1_11reduce_implILb1ES3_N6thrust23THRUST_200600_302600_NS11hip_rocprim26transform_input_iterator_tIlNS8_12zip_iteratorINS8_5tupleINS8_6detail15normal_iteratorINS8_10device_ptrIfEEEESH_NS8_9null_typeESI_SI_SI_SI_SI_SI_SI_EEEENS9_21zip_adj_not_predicateINS8_8equal_toIfEEEEEEPllNS8_4plusIlEEEE10hipError_tPvRmT1_T2_T3_mT4_P12ihipStream_tbEUlT_E0_NS1_11comp_targetILNS1_3genE5ELNS1_11target_archE942ELNS1_3gpuE9ELNS1_3repE0EEENS1_30default_config_static_selectorELNS0_4arch9wavefront6targetE1EEEvSW_.kd
    .uniform_work_group_size: 1
    .uses_dynamic_stack: false
    .vgpr_count:     0
    .vgpr_spill_count: 0
    .wavefront_size: 64
  - .args:
      - .offset:         0
        .size:           80
        .value_kind:     by_value
    .group_segment_fixed_size: 0
    .kernarg_segment_align: 8
    .kernarg_segment_size: 80
    .language:       OpenCL C
    .language_version:
      - 2
      - 0
    .max_flat_workgroup_size: 256
    .name:           _ZN7rocprim17ROCPRIM_400000_NS6detail17trampoline_kernelINS0_14default_configENS1_22reduce_config_selectorIlEEZNS1_11reduce_implILb1ES3_N6thrust23THRUST_200600_302600_NS11hip_rocprim26transform_input_iterator_tIlNS8_12zip_iteratorINS8_5tupleINS8_6detail15normal_iteratorINS8_10device_ptrIfEEEESH_NS8_9null_typeESI_SI_SI_SI_SI_SI_SI_EEEENS9_21zip_adj_not_predicateINS8_8equal_toIfEEEEEEPllNS8_4plusIlEEEE10hipError_tPvRmT1_T2_T3_mT4_P12ihipStream_tbEUlT_E0_NS1_11comp_targetILNS1_3genE4ELNS1_11target_archE910ELNS1_3gpuE8ELNS1_3repE0EEENS1_30default_config_static_selectorELNS0_4arch9wavefront6targetE1EEEvSW_
    .private_segment_fixed_size: 0
    .sgpr_count:     4
    .sgpr_spill_count: 0
    .symbol:         _ZN7rocprim17ROCPRIM_400000_NS6detail17trampoline_kernelINS0_14default_configENS1_22reduce_config_selectorIlEEZNS1_11reduce_implILb1ES3_N6thrust23THRUST_200600_302600_NS11hip_rocprim26transform_input_iterator_tIlNS8_12zip_iteratorINS8_5tupleINS8_6detail15normal_iteratorINS8_10device_ptrIfEEEESH_NS8_9null_typeESI_SI_SI_SI_SI_SI_SI_EEEENS9_21zip_adj_not_predicateINS8_8equal_toIfEEEEEEPllNS8_4plusIlEEEE10hipError_tPvRmT1_T2_T3_mT4_P12ihipStream_tbEUlT_E0_NS1_11comp_targetILNS1_3genE4ELNS1_11target_archE910ELNS1_3gpuE8ELNS1_3repE0EEENS1_30default_config_static_selectorELNS0_4arch9wavefront6targetE1EEEvSW_.kd
    .uniform_work_group_size: 1
    .uses_dynamic_stack: false
    .vgpr_count:     0
    .vgpr_spill_count: 0
    .wavefront_size: 64
  - .args:
      - .offset:         0
        .size:           80
        .value_kind:     by_value
    .group_segment_fixed_size: 0
    .kernarg_segment_align: 8
    .kernarg_segment_size: 80
    .language:       OpenCL C
    .language_version:
      - 2
      - 0
    .max_flat_workgroup_size: 256
    .name:           _ZN7rocprim17ROCPRIM_400000_NS6detail17trampoline_kernelINS0_14default_configENS1_22reduce_config_selectorIlEEZNS1_11reduce_implILb1ES3_N6thrust23THRUST_200600_302600_NS11hip_rocprim26transform_input_iterator_tIlNS8_12zip_iteratorINS8_5tupleINS8_6detail15normal_iteratorINS8_10device_ptrIfEEEESH_NS8_9null_typeESI_SI_SI_SI_SI_SI_SI_EEEENS9_21zip_adj_not_predicateINS8_8equal_toIfEEEEEEPllNS8_4plusIlEEEE10hipError_tPvRmT1_T2_T3_mT4_P12ihipStream_tbEUlT_E0_NS1_11comp_targetILNS1_3genE3ELNS1_11target_archE908ELNS1_3gpuE7ELNS1_3repE0EEENS1_30default_config_static_selectorELNS0_4arch9wavefront6targetE1EEEvSW_
    .private_segment_fixed_size: 0
    .sgpr_count:     4
    .sgpr_spill_count: 0
    .symbol:         _ZN7rocprim17ROCPRIM_400000_NS6detail17trampoline_kernelINS0_14default_configENS1_22reduce_config_selectorIlEEZNS1_11reduce_implILb1ES3_N6thrust23THRUST_200600_302600_NS11hip_rocprim26transform_input_iterator_tIlNS8_12zip_iteratorINS8_5tupleINS8_6detail15normal_iteratorINS8_10device_ptrIfEEEESH_NS8_9null_typeESI_SI_SI_SI_SI_SI_SI_EEEENS9_21zip_adj_not_predicateINS8_8equal_toIfEEEEEEPllNS8_4plusIlEEEE10hipError_tPvRmT1_T2_T3_mT4_P12ihipStream_tbEUlT_E0_NS1_11comp_targetILNS1_3genE3ELNS1_11target_archE908ELNS1_3gpuE7ELNS1_3repE0EEENS1_30default_config_static_selectorELNS0_4arch9wavefront6targetE1EEEvSW_.kd
    .uniform_work_group_size: 1
    .uses_dynamic_stack: false
    .vgpr_count:     0
    .vgpr_spill_count: 0
    .wavefront_size: 64
  - .args:
      - .offset:         0
        .size:           80
        .value_kind:     by_value
    .group_segment_fixed_size: 64
    .kernarg_segment_align: 8
    .kernarg_segment_size: 80
    .language:       OpenCL C
    .language_version:
      - 2
      - 0
    .max_flat_workgroup_size: 256
    .name:           _ZN7rocprim17ROCPRIM_400000_NS6detail17trampoline_kernelINS0_14default_configENS1_22reduce_config_selectorIlEEZNS1_11reduce_implILb1ES3_N6thrust23THRUST_200600_302600_NS11hip_rocprim26transform_input_iterator_tIlNS8_12zip_iteratorINS8_5tupleINS8_6detail15normal_iteratorINS8_10device_ptrIfEEEESH_NS8_9null_typeESI_SI_SI_SI_SI_SI_SI_EEEENS9_21zip_adj_not_predicateINS8_8equal_toIfEEEEEEPllNS8_4plusIlEEEE10hipError_tPvRmT1_T2_T3_mT4_P12ihipStream_tbEUlT_E0_NS1_11comp_targetILNS1_3genE2ELNS1_11target_archE906ELNS1_3gpuE6ELNS1_3repE0EEENS1_30default_config_static_selectorELNS0_4arch9wavefront6targetE1EEEvSW_
    .private_segment_fixed_size: 0
    .sgpr_count:     26
    .sgpr_spill_count: 0
    .symbol:         _ZN7rocprim17ROCPRIM_400000_NS6detail17trampoline_kernelINS0_14default_configENS1_22reduce_config_selectorIlEEZNS1_11reduce_implILb1ES3_N6thrust23THRUST_200600_302600_NS11hip_rocprim26transform_input_iterator_tIlNS8_12zip_iteratorINS8_5tupleINS8_6detail15normal_iteratorINS8_10device_ptrIfEEEESH_NS8_9null_typeESI_SI_SI_SI_SI_SI_SI_EEEENS9_21zip_adj_not_predicateINS8_8equal_toIfEEEEEEPllNS8_4plusIlEEEE10hipError_tPvRmT1_T2_T3_mT4_P12ihipStream_tbEUlT_E0_NS1_11comp_targetILNS1_3genE2ELNS1_11target_archE906ELNS1_3gpuE6ELNS1_3repE0EEENS1_30default_config_static_selectorELNS0_4arch9wavefront6targetE1EEEvSW_.kd
    .uniform_work_group_size: 1
    .uses_dynamic_stack: false
    .vgpr_count:     11
    .vgpr_spill_count: 0
    .wavefront_size: 64
  - .args:
      - .offset:         0
        .size:           80
        .value_kind:     by_value
    .group_segment_fixed_size: 0
    .kernarg_segment_align: 8
    .kernarg_segment_size: 80
    .language:       OpenCL C
    .language_version:
      - 2
      - 0
    .max_flat_workgroup_size: 256
    .name:           _ZN7rocprim17ROCPRIM_400000_NS6detail17trampoline_kernelINS0_14default_configENS1_22reduce_config_selectorIlEEZNS1_11reduce_implILb1ES3_N6thrust23THRUST_200600_302600_NS11hip_rocprim26transform_input_iterator_tIlNS8_12zip_iteratorINS8_5tupleINS8_6detail15normal_iteratorINS8_10device_ptrIfEEEESH_NS8_9null_typeESI_SI_SI_SI_SI_SI_SI_EEEENS9_21zip_adj_not_predicateINS8_8equal_toIfEEEEEEPllNS8_4plusIlEEEE10hipError_tPvRmT1_T2_T3_mT4_P12ihipStream_tbEUlT_E0_NS1_11comp_targetILNS1_3genE10ELNS1_11target_archE1201ELNS1_3gpuE5ELNS1_3repE0EEENS1_30default_config_static_selectorELNS0_4arch9wavefront6targetE1EEEvSW_
    .private_segment_fixed_size: 0
    .sgpr_count:     4
    .sgpr_spill_count: 0
    .symbol:         _ZN7rocprim17ROCPRIM_400000_NS6detail17trampoline_kernelINS0_14default_configENS1_22reduce_config_selectorIlEEZNS1_11reduce_implILb1ES3_N6thrust23THRUST_200600_302600_NS11hip_rocprim26transform_input_iterator_tIlNS8_12zip_iteratorINS8_5tupleINS8_6detail15normal_iteratorINS8_10device_ptrIfEEEESH_NS8_9null_typeESI_SI_SI_SI_SI_SI_SI_EEEENS9_21zip_adj_not_predicateINS8_8equal_toIfEEEEEEPllNS8_4plusIlEEEE10hipError_tPvRmT1_T2_T3_mT4_P12ihipStream_tbEUlT_E0_NS1_11comp_targetILNS1_3genE10ELNS1_11target_archE1201ELNS1_3gpuE5ELNS1_3repE0EEENS1_30default_config_static_selectorELNS0_4arch9wavefront6targetE1EEEvSW_.kd
    .uniform_work_group_size: 1
    .uses_dynamic_stack: false
    .vgpr_count:     0
    .vgpr_spill_count: 0
    .wavefront_size: 64
  - .args:
      - .offset:         0
        .size:           80
        .value_kind:     by_value
    .group_segment_fixed_size: 0
    .kernarg_segment_align: 8
    .kernarg_segment_size: 80
    .language:       OpenCL C
    .language_version:
      - 2
      - 0
    .max_flat_workgroup_size: 256
    .name:           _ZN7rocprim17ROCPRIM_400000_NS6detail17trampoline_kernelINS0_14default_configENS1_22reduce_config_selectorIlEEZNS1_11reduce_implILb1ES3_N6thrust23THRUST_200600_302600_NS11hip_rocprim26transform_input_iterator_tIlNS8_12zip_iteratorINS8_5tupleINS8_6detail15normal_iteratorINS8_10device_ptrIfEEEESH_NS8_9null_typeESI_SI_SI_SI_SI_SI_SI_EEEENS9_21zip_adj_not_predicateINS8_8equal_toIfEEEEEEPllNS8_4plusIlEEEE10hipError_tPvRmT1_T2_T3_mT4_P12ihipStream_tbEUlT_E0_NS1_11comp_targetILNS1_3genE10ELNS1_11target_archE1200ELNS1_3gpuE4ELNS1_3repE0EEENS1_30default_config_static_selectorELNS0_4arch9wavefront6targetE1EEEvSW_
    .private_segment_fixed_size: 0
    .sgpr_count:     4
    .sgpr_spill_count: 0
    .symbol:         _ZN7rocprim17ROCPRIM_400000_NS6detail17trampoline_kernelINS0_14default_configENS1_22reduce_config_selectorIlEEZNS1_11reduce_implILb1ES3_N6thrust23THRUST_200600_302600_NS11hip_rocprim26transform_input_iterator_tIlNS8_12zip_iteratorINS8_5tupleINS8_6detail15normal_iteratorINS8_10device_ptrIfEEEESH_NS8_9null_typeESI_SI_SI_SI_SI_SI_SI_EEEENS9_21zip_adj_not_predicateINS8_8equal_toIfEEEEEEPllNS8_4plusIlEEEE10hipError_tPvRmT1_T2_T3_mT4_P12ihipStream_tbEUlT_E0_NS1_11comp_targetILNS1_3genE10ELNS1_11target_archE1200ELNS1_3gpuE4ELNS1_3repE0EEENS1_30default_config_static_selectorELNS0_4arch9wavefront6targetE1EEEvSW_.kd
    .uniform_work_group_size: 1
    .uses_dynamic_stack: false
    .vgpr_count:     0
    .vgpr_spill_count: 0
    .wavefront_size: 64
  - .args:
      - .offset:         0
        .size:           80
        .value_kind:     by_value
    .group_segment_fixed_size: 0
    .kernarg_segment_align: 8
    .kernarg_segment_size: 80
    .language:       OpenCL C
    .language_version:
      - 2
      - 0
    .max_flat_workgroup_size: 256
    .name:           _ZN7rocprim17ROCPRIM_400000_NS6detail17trampoline_kernelINS0_14default_configENS1_22reduce_config_selectorIlEEZNS1_11reduce_implILb1ES3_N6thrust23THRUST_200600_302600_NS11hip_rocprim26transform_input_iterator_tIlNS8_12zip_iteratorINS8_5tupleINS8_6detail15normal_iteratorINS8_10device_ptrIfEEEESH_NS8_9null_typeESI_SI_SI_SI_SI_SI_SI_EEEENS9_21zip_adj_not_predicateINS8_8equal_toIfEEEEEEPllNS8_4plusIlEEEE10hipError_tPvRmT1_T2_T3_mT4_P12ihipStream_tbEUlT_E0_NS1_11comp_targetILNS1_3genE9ELNS1_11target_archE1100ELNS1_3gpuE3ELNS1_3repE0EEENS1_30default_config_static_selectorELNS0_4arch9wavefront6targetE1EEEvSW_
    .private_segment_fixed_size: 0
    .sgpr_count:     4
    .sgpr_spill_count: 0
    .symbol:         _ZN7rocprim17ROCPRIM_400000_NS6detail17trampoline_kernelINS0_14default_configENS1_22reduce_config_selectorIlEEZNS1_11reduce_implILb1ES3_N6thrust23THRUST_200600_302600_NS11hip_rocprim26transform_input_iterator_tIlNS8_12zip_iteratorINS8_5tupleINS8_6detail15normal_iteratorINS8_10device_ptrIfEEEESH_NS8_9null_typeESI_SI_SI_SI_SI_SI_SI_EEEENS9_21zip_adj_not_predicateINS8_8equal_toIfEEEEEEPllNS8_4plusIlEEEE10hipError_tPvRmT1_T2_T3_mT4_P12ihipStream_tbEUlT_E0_NS1_11comp_targetILNS1_3genE9ELNS1_11target_archE1100ELNS1_3gpuE3ELNS1_3repE0EEENS1_30default_config_static_selectorELNS0_4arch9wavefront6targetE1EEEvSW_.kd
    .uniform_work_group_size: 1
    .uses_dynamic_stack: false
    .vgpr_count:     0
    .vgpr_spill_count: 0
    .wavefront_size: 64
  - .args:
      - .offset:         0
        .size:           80
        .value_kind:     by_value
    .group_segment_fixed_size: 0
    .kernarg_segment_align: 8
    .kernarg_segment_size: 80
    .language:       OpenCL C
    .language_version:
      - 2
      - 0
    .max_flat_workgroup_size: 256
    .name:           _ZN7rocprim17ROCPRIM_400000_NS6detail17trampoline_kernelINS0_14default_configENS1_22reduce_config_selectorIlEEZNS1_11reduce_implILb1ES3_N6thrust23THRUST_200600_302600_NS11hip_rocprim26transform_input_iterator_tIlNS8_12zip_iteratorINS8_5tupleINS8_6detail15normal_iteratorINS8_10device_ptrIfEEEESH_NS8_9null_typeESI_SI_SI_SI_SI_SI_SI_EEEENS9_21zip_adj_not_predicateINS8_8equal_toIfEEEEEEPllNS8_4plusIlEEEE10hipError_tPvRmT1_T2_T3_mT4_P12ihipStream_tbEUlT_E0_NS1_11comp_targetILNS1_3genE8ELNS1_11target_archE1030ELNS1_3gpuE2ELNS1_3repE0EEENS1_30default_config_static_selectorELNS0_4arch9wavefront6targetE1EEEvSW_
    .private_segment_fixed_size: 0
    .sgpr_count:     4
    .sgpr_spill_count: 0
    .symbol:         _ZN7rocprim17ROCPRIM_400000_NS6detail17trampoline_kernelINS0_14default_configENS1_22reduce_config_selectorIlEEZNS1_11reduce_implILb1ES3_N6thrust23THRUST_200600_302600_NS11hip_rocprim26transform_input_iterator_tIlNS8_12zip_iteratorINS8_5tupleINS8_6detail15normal_iteratorINS8_10device_ptrIfEEEESH_NS8_9null_typeESI_SI_SI_SI_SI_SI_SI_EEEENS9_21zip_adj_not_predicateINS8_8equal_toIfEEEEEEPllNS8_4plusIlEEEE10hipError_tPvRmT1_T2_T3_mT4_P12ihipStream_tbEUlT_E0_NS1_11comp_targetILNS1_3genE8ELNS1_11target_archE1030ELNS1_3gpuE2ELNS1_3repE0EEENS1_30default_config_static_selectorELNS0_4arch9wavefront6targetE1EEEvSW_.kd
    .uniform_work_group_size: 1
    .uses_dynamic_stack: false
    .vgpr_count:     0
    .vgpr_spill_count: 0
    .wavefront_size: 64
  - .args:
      - .offset:         0
        .size:           64
        .value_kind:     by_value
    .group_segment_fixed_size: 0
    .kernarg_segment_align: 8
    .kernarg_segment_size: 64
    .language:       OpenCL C
    .language_version:
      - 2
      - 0
    .max_flat_workgroup_size: 256
    .name:           _ZN7rocprim17ROCPRIM_400000_NS6detail17trampoline_kernelINS0_14default_configENS1_22reduce_config_selectorIlEEZNS1_11reduce_implILb1ES3_N6thrust23THRUST_200600_302600_NS11hip_rocprim26transform_input_iterator_tIlNS8_12zip_iteratorINS8_5tupleINS8_6detail15normal_iteratorINS8_10device_ptrIfEEEESH_NS8_9null_typeESI_SI_SI_SI_SI_SI_SI_EEEENS9_21zip_adj_not_predicateINS8_8equal_toIfEEEEEEPllNS8_4plusIlEEEE10hipError_tPvRmT1_T2_T3_mT4_P12ihipStream_tbEUlT_E1_NS1_11comp_targetILNS1_3genE0ELNS1_11target_archE4294967295ELNS1_3gpuE0ELNS1_3repE0EEENS1_30default_config_static_selectorELNS0_4arch9wavefront6targetE1EEEvSW_
    .private_segment_fixed_size: 0
    .sgpr_count:     4
    .sgpr_spill_count: 0
    .symbol:         _ZN7rocprim17ROCPRIM_400000_NS6detail17trampoline_kernelINS0_14default_configENS1_22reduce_config_selectorIlEEZNS1_11reduce_implILb1ES3_N6thrust23THRUST_200600_302600_NS11hip_rocprim26transform_input_iterator_tIlNS8_12zip_iteratorINS8_5tupleINS8_6detail15normal_iteratorINS8_10device_ptrIfEEEESH_NS8_9null_typeESI_SI_SI_SI_SI_SI_SI_EEEENS9_21zip_adj_not_predicateINS8_8equal_toIfEEEEEEPllNS8_4plusIlEEEE10hipError_tPvRmT1_T2_T3_mT4_P12ihipStream_tbEUlT_E1_NS1_11comp_targetILNS1_3genE0ELNS1_11target_archE4294967295ELNS1_3gpuE0ELNS1_3repE0EEENS1_30default_config_static_selectorELNS0_4arch9wavefront6targetE1EEEvSW_.kd
    .uniform_work_group_size: 1
    .uses_dynamic_stack: false
    .vgpr_count:     0
    .vgpr_spill_count: 0
    .wavefront_size: 64
  - .args:
      - .offset:         0
        .size:           64
        .value_kind:     by_value
    .group_segment_fixed_size: 0
    .kernarg_segment_align: 8
    .kernarg_segment_size: 64
    .language:       OpenCL C
    .language_version:
      - 2
      - 0
    .max_flat_workgroup_size: 256
    .name:           _ZN7rocprim17ROCPRIM_400000_NS6detail17trampoline_kernelINS0_14default_configENS1_22reduce_config_selectorIlEEZNS1_11reduce_implILb1ES3_N6thrust23THRUST_200600_302600_NS11hip_rocprim26transform_input_iterator_tIlNS8_12zip_iteratorINS8_5tupleINS8_6detail15normal_iteratorINS8_10device_ptrIfEEEESH_NS8_9null_typeESI_SI_SI_SI_SI_SI_SI_EEEENS9_21zip_adj_not_predicateINS8_8equal_toIfEEEEEEPllNS8_4plusIlEEEE10hipError_tPvRmT1_T2_T3_mT4_P12ihipStream_tbEUlT_E1_NS1_11comp_targetILNS1_3genE5ELNS1_11target_archE942ELNS1_3gpuE9ELNS1_3repE0EEENS1_30default_config_static_selectorELNS0_4arch9wavefront6targetE1EEEvSW_
    .private_segment_fixed_size: 0
    .sgpr_count:     4
    .sgpr_spill_count: 0
    .symbol:         _ZN7rocprim17ROCPRIM_400000_NS6detail17trampoline_kernelINS0_14default_configENS1_22reduce_config_selectorIlEEZNS1_11reduce_implILb1ES3_N6thrust23THRUST_200600_302600_NS11hip_rocprim26transform_input_iterator_tIlNS8_12zip_iteratorINS8_5tupleINS8_6detail15normal_iteratorINS8_10device_ptrIfEEEESH_NS8_9null_typeESI_SI_SI_SI_SI_SI_SI_EEEENS9_21zip_adj_not_predicateINS8_8equal_toIfEEEEEEPllNS8_4plusIlEEEE10hipError_tPvRmT1_T2_T3_mT4_P12ihipStream_tbEUlT_E1_NS1_11comp_targetILNS1_3genE5ELNS1_11target_archE942ELNS1_3gpuE9ELNS1_3repE0EEENS1_30default_config_static_selectorELNS0_4arch9wavefront6targetE1EEEvSW_.kd
    .uniform_work_group_size: 1
    .uses_dynamic_stack: false
    .vgpr_count:     0
    .vgpr_spill_count: 0
    .wavefront_size: 64
  - .args:
      - .offset:         0
        .size:           64
        .value_kind:     by_value
    .group_segment_fixed_size: 0
    .kernarg_segment_align: 8
    .kernarg_segment_size: 64
    .language:       OpenCL C
    .language_version:
      - 2
      - 0
    .max_flat_workgroup_size: 256
    .name:           _ZN7rocprim17ROCPRIM_400000_NS6detail17trampoline_kernelINS0_14default_configENS1_22reduce_config_selectorIlEEZNS1_11reduce_implILb1ES3_N6thrust23THRUST_200600_302600_NS11hip_rocprim26transform_input_iterator_tIlNS8_12zip_iteratorINS8_5tupleINS8_6detail15normal_iteratorINS8_10device_ptrIfEEEESH_NS8_9null_typeESI_SI_SI_SI_SI_SI_SI_EEEENS9_21zip_adj_not_predicateINS8_8equal_toIfEEEEEEPllNS8_4plusIlEEEE10hipError_tPvRmT1_T2_T3_mT4_P12ihipStream_tbEUlT_E1_NS1_11comp_targetILNS1_3genE4ELNS1_11target_archE910ELNS1_3gpuE8ELNS1_3repE0EEENS1_30default_config_static_selectorELNS0_4arch9wavefront6targetE1EEEvSW_
    .private_segment_fixed_size: 0
    .sgpr_count:     4
    .sgpr_spill_count: 0
    .symbol:         _ZN7rocprim17ROCPRIM_400000_NS6detail17trampoline_kernelINS0_14default_configENS1_22reduce_config_selectorIlEEZNS1_11reduce_implILb1ES3_N6thrust23THRUST_200600_302600_NS11hip_rocprim26transform_input_iterator_tIlNS8_12zip_iteratorINS8_5tupleINS8_6detail15normal_iteratorINS8_10device_ptrIfEEEESH_NS8_9null_typeESI_SI_SI_SI_SI_SI_SI_EEEENS9_21zip_adj_not_predicateINS8_8equal_toIfEEEEEEPllNS8_4plusIlEEEE10hipError_tPvRmT1_T2_T3_mT4_P12ihipStream_tbEUlT_E1_NS1_11comp_targetILNS1_3genE4ELNS1_11target_archE910ELNS1_3gpuE8ELNS1_3repE0EEENS1_30default_config_static_selectorELNS0_4arch9wavefront6targetE1EEEvSW_.kd
    .uniform_work_group_size: 1
    .uses_dynamic_stack: false
    .vgpr_count:     0
    .vgpr_spill_count: 0
    .wavefront_size: 64
  - .args:
      - .offset:         0
        .size:           64
        .value_kind:     by_value
    .group_segment_fixed_size: 0
    .kernarg_segment_align: 8
    .kernarg_segment_size: 64
    .language:       OpenCL C
    .language_version:
      - 2
      - 0
    .max_flat_workgroup_size: 256
    .name:           _ZN7rocprim17ROCPRIM_400000_NS6detail17trampoline_kernelINS0_14default_configENS1_22reduce_config_selectorIlEEZNS1_11reduce_implILb1ES3_N6thrust23THRUST_200600_302600_NS11hip_rocprim26transform_input_iterator_tIlNS8_12zip_iteratorINS8_5tupleINS8_6detail15normal_iteratorINS8_10device_ptrIfEEEESH_NS8_9null_typeESI_SI_SI_SI_SI_SI_SI_EEEENS9_21zip_adj_not_predicateINS8_8equal_toIfEEEEEEPllNS8_4plusIlEEEE10hipError_tPvRmT1_T2_T3_mT4_P12ihipStream_tbEUlT_E1_NS1_11comp_targetILNS1_3genE3ELNS1_11target_archE908ELNS1_3gpuE7ELNS1_3repE0EEENS1_30default_config_static_selectorELNS0_4arch9wavefront6targetE1EEEvSW_
    .private_segment_fixed_size: 0
    .sgpr_count:     4
    .sgpr_spill_count: 0
    .symbol:         _ZN7rocprim17ROCPRIM_400000_NS6detail17trampoline_kernelINS0_14default_configENS1_22reduce_config_selectorIlEEZNS1_11reduce_implILb1ES3_N6thrust23THRUST_200600_302600_NS11hip_rocprim26transform_input_iterator_tIlNS8_12zip_iteratorINS8_5tupleINS8_6detail15normal_iteratorINS8_10device_ptrIfEEEESH_NS8_9null_typeESI_SI_SI_SI_SI_SI_SI_EEEENS9_21zip_adj_not_predicateINS8_8equal_toIfEEEEEEPllNS8_4plusIlEEEE10hipError_tPvRmT1_T2_T3_mT4_P12ihipStream_tbEUlT_E1_NS1_11comp_targetILNS1_3genE3ELNS1_11target_archE908ELNS1_3gpuE7ELNS1_3repE0EEENS1_30default_config_static_selectorELNS0_4arch9wavefront6targetE1EEEvSW_.kd
    .uniform_work_group_size: 1
    .uses_dynamic_stack: false
    .vgpr_count:     0
    .vgpr_spill_count: 0
    .wavefront_size: 64
  - .args:
      - .offset:         0
        .size:           64
        .value_kind:     by_value
    .group_segment_fixed_size: 192
    .kernarg_segment_align: 8
    .kernarg_segment_size: 64
    .language:       OpenCL C
    .language_version:
      - 2
      - 0
    .max_flat_workgroup_size: 256
    .name:           _ZN7rocprim17ROCPRIM_400000_NS6detail17trampoline_kernelINS0_14default_configENS1_22reduce_config_selectorIlEEZNS1_11reduce_implILb1ES3_N6thrust23THRUST_200600_302600_NS11hip_rocprim26transform_input_iterator_tIlNS8_12zip_iteratorINS8_5tupleINS8_6detail15normal_iteratorINS8_10device_ptrIfEEEESH_NS8_9null_typeESI_SI_SI_SI_SI_SI_SI_EEEENS9_21zip_adj_not_predicateINS8_8equal_toIfEEEEEEPllNS8_4plusIlEEEE10hipError_tPvRmT1_T2_T3_mT4_P12ihipStream_tbEUlT_E1_NS1_11comp_targetILNS1_3genE2ELNS1_11target_archE906ELNS1_3gpuE6ELNS1_3repE0EEENS1_30default_config_static_selectorELNS0_4arch9wavefront6targetE1EEEvSW_
    .private_segment_fixed_size: 0
    .sgpr_count:     38
    .sgpr_spill_count: 0
    .symbol:         _ZN7rocprim17ROCPRIM_400000_NS6detail17trampoline_kernelINS0_14default_configENS1_22reduce_config_selectorIlEEZNS1_11reduce_implILb1ES3_N6thrust23THRUST_200600_302600_NS11hip_rocprim26transform_input_iterator_tIlNS8_12zip_iteratorINS8_5tupleINS8_6detail15normal_iteratorINS8_10device_ptrIfEEEESH_NS8_9null_typeESI_SI_SI_SI_SI_SI_SI_EEEENS9_21zip_adj_not_predicateINS8_8equal_toIfEEEEEEPllNS8_4plusIlEEEE10hipError_tPvRmT1_T2_T3_mT4_P12ihipStream_tbEUlT_E1_NS1_11comp_targetILNS1_3genE2ELNS1_11target_archE906ELNS1_3gpuE6ELNS1_3repE0EEENS1_30default_config_static_selectorELNS0_4arch9wavefront6targetE1EEEvSW_.kd
    .uniform_work_group_size: 1
    .uses_dynamic_stack: false
    .vgpr_count:     34
    .vgpr_spill_count: 0
    .wavefront_size: 64
  - .args:
      - .offset:         0
        .size:           64
        .value_kind:     by_value
    .group_segment_fixed_size: 0
    .kernarg_segment_align: 8
    .kernarg_segment_size: 64
    .language:       OpenCL C
    .language_version:
      - 2
      - 0
    .max_flat_workgroup_size: 256
    .name:           _ZN7rocprim17ROCPRIM_400000_NS6detail17trampoline_kernelINS0_14default_configENS1_22reduce_config_selectorIlEEZNS1_11reduce_implILb1ES3_N6thrust23THRUST_200600_302600_NS11hip_rocprim26transform_input_iterator_tIlNS8_12zip_iteratorINS8_5tupleINS8_6detail15normal_iteratorINS8_10device_ptrIfEEEESH_NS8_9null_typeESI_SI_SI_SI_SI_SI_SI_EEEENS9_21zip_adj_not_predicateINS8_8equal_toIfEEEEEEPllNS8_4plusIlEEEE10hipError_tPvRmT1_T2_T3_mT4_P12ihipStream_tbEUlT_E1_NS1_11comp_targetILNS1_3genE10ELNS1_11target_archE1201ELNS1_3gpuE5ELNS1_3repE0EEENS1_30default_config_static_selectorELNS0_4arch9wavefront6targetE1EEEvSW_
    .private_segment_fixed_size: 0
    .sgpr_count:     4
    .sgpr_spill_count: 0
    .symbol:         _ZN7rocprim17ROCPRIM_400000_NS6detail17trampoline_kernelINS0_14default_configENS1_22reduce_config_selectorIlEEZNS1_11reduce_implILb1ES3_N6thrust23THRUST_200600_302600_NS11hip_rocprim26transform_input_iterator_tIlNS8_12zip_iteratorINS8_5tupleINS8_6detail15normal_iteratorINS8_10device_ptrIfEEEESH_NS8_9null_typeESI_SI_SI_SI_SI_SI_SI_EEEENS9_21zip_adj_not_predicateINS8_8equal_toIfEEEEEEPllNS8_4plusIlEEEE10hipError_tPvRmT1_T2_T3_mT4_P12ihipStream_tbEUlT_E1_NS1_11comp_targetILNS1_3genE10ELNS1_11target_archE1201ELNS1_3gpuE5ELNS1_3repE0EEENS1_30default_config_static_selectorELNS0_4arch9wavefront6targetE1EEEvSW_.kd
    .uniform_work_group_size: 1
    .uses_dynamic_stack: false
    .vgpr_count:     0
    .vgpr_spill_count: 0
    .wavefront_size: 64
  - .args:
      - .offset:         0
        .size:           64
        .value_kind:     by_value
    .group_segment_fixed_size: 0
    .kernarg_segment_align: 8
    .kernarg_segment_size: 64
    .language:       OpenCL C
    .language_version:
      - 2
      - 0
    .max_flat_workgroup_size: 256
    .name:           _ZN7rocprim17ROCPRIM_400000_NS6detail17trampoline_kernelINS0_14default_configENS1_22reduce_config_selectorIlEEZNS1_11reduce_implILb1ES3_N6thrust23THRUST_200600_302600_NS11hip_rocprim26transform_input_iterator_tIlNS8_12zip_iteratorINS8_5tupleINS8_6detail15normal_iteratorINS8_10device_ptrIfEEEESH_NS8_9null_typeESI_SI_SI_SI_SI_SI_SI_EEEENS9_21zip_adj_not_predicateINS8_8equal_toIfEEEEEEPllNS8_4plusIlEEEE10hipError_tPvRmT1_T2_T3_mT4_P12ihipStream_tbEUlT_E1_NS1_11comp_targetILNS1_3genE10ELNS1_11target_archE1200ELNS1_3gpuE4ELNS1_3repE0EEENS1_30default_config_static_selectorELNS0_4arch9wavefront6targetE1EEEvSW_
    .private_segment_fixed_size: 0
    .sgpr_count:     4
    .sgpr_spill_count: 0
    .symbol:         _ZN7rocprim17ROCPRIM_400000_NS6detail17trampoline_kernelINS0_14default_configENS1_22reduce_config_selectorIlEEZNS1_11reduce_implILb1ES3_N6thrust23THRUST_200600_302600_NS11hip_rocprim26transform_input_iterator_tIlNS8_12zip_iteratorINS8_5tupleINS8_6detail15normal_iteratorINS8_10device_ptrIfEEEESH_NS8_9null_typeESI_SI_SI_SI_SI_SI_SI_EEEENS9_21zip_adj_not_predicateINS8_8equal_toIfEEEEEEPllNS8_4plusIlEEEE10hipError_tPvRmT1_T2_T3_mT4_P12ihipStream_tbEUlT_E1_NS1_11comp_targetILNS1_3genE10ELNS1_11target_archE1200ELNS1_3gpuE4ELNS1_3repE0EEENS1_30default_config_static_selectorELNS0_4arch9wavefront6targetE1EEEvSW_.kd
    .uniform_work_group_size: 1
    .uses_dynamic_stack: false
    .vgpr_count:     0
    .vgpr_spill_count: 0
    .wavefront_size: 64
  - .args:
      - .offset:         0
        .size:           64
        .value_kind:     by_value
    .group_segment_fixed_size: 0
    .kernarg_segment_align: 8
    .kernarg_segment_size: 64
    .language:       OpenCL C
    .language_version:
      - 2
      - 0
    .max_flat_workgroup_size: 256
    .name:           _ZN7rocprim17ROCPRIM_400000_NS6detail17trampoline_kernelINS0_14default_configENS1_22reduce_config_selectorIlEEZNS1_11reduce_implILb1ES3_N6thrust23THRUST_200600_302600_NS11hip_rocprim26transform_input_iterator_tIlNS8_12zip_iteratorINS8_5tupleINS8_6detail15normal_iteratorINS8_10device_ptrIfEEEESH_NS8_9null_typeESI_SI_SI_SI_SI_SI_SI_EEEENS9_21zip_adj_not_predicateINS8_8equal_toIfEEEEEEPllNS8_4plusIlEEEE10hipError_tPvRmT1_T2_T3_mT4_P12ihipStream_tbEUlT_E1_NS1_11comp_targetILNS1_3genE9ELNS1_11target_archE1100ELNS1_3gpuE3ELNS1_3repE0EEENS1_30default_config_static_selectorELNS0_4arch9wavefront6targetE1EEEvSW_
    .private_segment_fixed_size: 0
    .sgpr_count:     4
    .sgpr_spill_count: 0
    .symbol:         _ZN7rocprim17ROCPRIM_400000_NS6detail17trampoline_kernelINS0_14default_configENS1_22reduce_config_selectorIlEEZNS1_11reduce_implILb1ES3_N6thrust23THRUST_200600_302600_NS11hip_rocprim26transform_input_iterator_tIlNS8_12zip_iteratorINS8_5tupleINS8_6detail15normal_iteratorINS8_10device_ptrIfEEEESH_NS8_9null_typeESI_SI_SI_SI_SI_SI_SI_EEEENS9_21zip_adj_not_predicateINS8_8equal_toIfEEEEEEPllNS8_4plusIlEEEE10hipError_tPvRmT1_T2_T3_mT4_P12ihipStream_tbEUlT_E1_NS1_11comp_targetILNS1_3genE9ELNS1_11target_archE1100ELNS1_3gpuE3ELNS1_3repE0EEENS1_30default_config_static_selectorELNS0_4arch9wavefront6targetE1EEEvSW_.kd
    .uniform_work_group_size: 1
    .uses_dynamic_stack: false
    .vgpr_count:     0
    .vgpr_spill_count: 0
    .wavefront_size: 64
  - .args:
      - .offset:         0
        .size:           64
        .value_kind:     by_value
    .group_segment_fixed_size: 0
    .kernarg_segment_align: 8
    .kernarg_segment_size: 64
    .language:       OpenCL C
    .language_version:
      - 2
      - 0
    .max_flat_workgroup_size: 256
    .name:           _ZN7rocprim17ROCPRIM_400000_NS6detail17trampoline_kernelINS0_14default_configENS1_22reduce_config_selectorIlEEZNS1_11reduce_implILb1ES3_N6thrust23THRUST_200600_302600_NS11hip_rocprim26transform_input_iterator_tIlNS8_12zip_iteratorINS8_5tupleINS8_6detail15normal_iteratorINS8_10device_ptrIfEEEESH_NS8_9null_typeESI_SI_SI_SI_SI_SI_SI_EEEENS9_21zip_adj_not_predicateINS8_8equal_toIfEEEEEEPllNS8_4plusIlEEEE10hipError_tPvRmT1_T2_T3_mT4_P12ihipStream_tbEUlT_E1_NS1_11comp_targetILNS1_3genE8ELNS1_11target_archE1030ELNS1_3gpuE2ELNS1_3repE0EEENS1_30default_config_static_selectorELNS0_4arch9wavefront6targetE1EEEvSW_
    .private_segment_fixed_size: 0
    .sgpr_count:     4
    .sgpr_spill_count: 0
    .symbol:         _ZN7rocprim17ROCPRIM_400000_NS6detail17trampoline_kernelINS0_14default_configENS1_22reduce_config_selectorIlEEZNS1_11reduce_implILb1ES3_N6thrust23THRUST_200600_302600_NS11hip_rocprim26transform_input_iterator_tIlNS8_12zip_iteratorINS8_5tupleINS8_6detail15normal_iteratorINS8_10device_ptrIfEEEESH_NS8_9null_typeESI_SI_SI_SI_SI_SI_SI_EEEENS9_21zip_adj_not_predicateINS8_8equal_toIfEEEEEEPllNS8_4plusIlEEEE10hipError_tPvRmT1_T2_T3_mT4_P12ihipStream_tbEUlT_E1_NS1_11comp_targetILNS1_3genE8ELNS1_11target_archE1030ELNS1_3gpuE2ELNS1_3repE0EEENS1_30default_config_static_selectorELNS0_4arch9wavefront6targetE1EEEvSW_.kd
    .uniform_work_group_size: 1
    .uses_dynamic_stack: false
    .vgpr_count:     0
    .vgpr_spill_count: 0
    .wavefront_size: 64
  - .args:
      - .offset:         0
        .size:           80
        .value_kind:     by_value
    .group_segment_fixed_size: 0
    .kernarg_segment_align: 8
    .kernarg_segment_size: 80
    .language:       OpenCL C
    .language_version:
      - 2
      - 0
    .max_flat_workgroup_size: 256
    .name:           _ZN7rocprim17ROCPRIM_400000_NS6detail17trampoline_kernelINS0_14default_configENS1_22reduce_config_selectorIlEEZNS1_11reduce_implILb1ES3_N6thrust23THRUST_200600_302600_NS11hip_rocprim26transform_input_iterator_tIlNS8_12zip_iteratorINS8_5tupleINS8_6detail15normal_iteratorINS8_10device_ptrIfEEEESH_NS8_9null_typeESI_SI_SI_SI_SI_SI_SI_EEEENS9_21zip_adj_not_predicateI22is_equal_div_10_uniqueIfEEEEEPllNS8_4plusIlEEEE10hipError_tPvRmT1_T2_T3_mT4_P12ihipStream_tbEUlT_E0_NS1_11comp_targetILNS1_3genE0ELNS1_11target_archE4294967295ELNS1_3gpuE0ELNS1_3repE0EEENS1_30default_config_static_selectorELNS0_4arch9wavefront6targetE1EEEvSW_
    .private_segment_fixed_size: 0
    .sgpr_count:     4
    .sgpr_spill_count: 0
    .symbol:         _ZN7rocprim17ROCPRIM_400000_NS6detail17trampoline_kernelINS0_14default_configENS1_22reduce_config_selectorIlEEZNS1_11reduce_implILb1ES3_N6thrust23THRUST_200600_302600_NS11hip_rocprim26transform_input_iterator_tIlNS8_12zip_iteratorINS8_5tupleINS8_6detail15normal_iteratorINS8_10device_ptrIfEEEESH_NS8_9null_typeESI_SI_SI_SI_SI_SI_SI_EEEENS9_21zip_adj_not_predicateI22is_equal_div_10_uniqueIfEEEEEPllNS8_4plusIlEEEE10hipError_tPvRmT1_T2_T3_mT4_P12ihipStream_tbEUlT_E0_NS1_11comp_targetILNS1_3genE0ELNS1_11target_archE4294967295ELNS1_3gpuE0ELNS1_3repE0EEENS1_30default_config_static_selectorELNS0_4arch9wavefront6targetE1EEEvSW_.kd
    .uniform_work_group_size: 1
    .uses_dynamic_stack: false
    .vgpr_count:     0
    .vgpr_spill_count: 0
    .wavefront_size: 64
  - .args:
      - .offset:         0
        .size:           80
        .value_kind:     by_value
    .group_segment_fixed_size: 0
    .kernarg_segment_align: 8
    .kernarg_segment_size: 80
    .language:       OpenCL C
    .language_version:
      - 2
      - 0
    .max_flat_workgroup_size: 256
    .name:           _ZN7rocprim17ROCPRIM_400000_NS6detail17trampoline_kernelINS0_14default_configENS1_22reduce_config_selectorIlEEZNS1_11reduce_implILb1ES3_N6thrust23THRUST_200600_302600_NS11hip_rocprim26transform_input_iterator_tIlNS8_12zip_iteratorINS8_5tupleINS8_6detail15normal_iteratorINS8_10device_ptrIfEEEESH_NS8_9null_typeESI_SI_SI_SI_SI_SI_SI_EEEENS9_21zip_adj_not_predicateI22is_equal_div_10_uniqueIfEEEEEPllNS8_4plusIlEEEE10hipError_tPvRmT1_T2_T3_mT4_P12ihipStream_tbEUlT_E0_NS1_11comp_targetILNS1_3genE5ELNS1_11target_archE942ELNS1_3gpuE9ELNS1_3repE0EEENS1_30default_config_static_selectorELNS0_4arch9wavefront6targetE1EEEvSW_
    .private_segment_fixed_size: 0
    .sgpr_count:     4
    .sgpr_spill_count: 0
    .symbol:         _ZN7rocprim17ROCPRIM_400000_NS6detail17trampoline_kernelINS0_14default_configENS1_22reduce_config_selectorIlEEZNS1_11reduce_implILb1ES3_N6thrust23THRUST_200600_302600_NS11hip_rocprim26transform_input_iterator_tIlNS8_12zip_iteratorINS8_5tupleINS8_6detail15normal_iteratorINS8_10device_ptrIfEEEESH_NS8_9null_typeESI_SI_SI_SI_SI_SI_SI_EEEENS9_21zip_adj_not_predicateI22is_equal_div_10_uniqueIfEEEEEPllNS8_4plusIlEEEE10hipError_tPvRmT1_T2_T3_mT4_P12ihipStream_tbEUlT_E0_NS1_11comp_targetILNS1_3genE5ELNS1_11target_archE942ELNS1_3gpuE9ELNS1_3repE0EEENS1_30default_config_static_selectorELNS0_4arch9wavefront6targetE1EEEvSW_.kd
    .uniform_work_group_size: 1
    .uses_dynamic_stack: false
    .vgpr_count:     0
    .vgpr_spill_count: 0
    .wavefront_size: 64
  - .args:
      - .offset:         0
        .size:           80
        .value_kind:     by_value
    .group_segment_fixed_size: 0
    .kernarg_segment_align: 8
    .kernarg_segment_size: 80
    .language:       OpenCL C
    .language_version:
      - 2
      - 0
    .max_flat_workgroup_size: 256
    .name:           _ZN7rocprim17ROCPRIM_400000_NS6detail17trampoline_kernelINS0_14default_configENS1_22reduce_config_selectorIlEEZNS1_11reduce_implILb1ES3_N6thrust23THRUST_200600_302600_NS11hip_rocprim26transform_input_iterator_tIlNS8_12zip_iteratorINS8_5tupleINS8_6detail15normal_iteratorINS8_10device_ptrIfEEEESH_NS8_9null_typeESI_SI_SI_SI_SI_SI_SI_EEEENS9_21zip_adj_not_predicateI22is_equal_div_10_uniqueIfEEEEEPllNS8_4plusIlEEEE10hipError_tPvRmT1_T2_T3_mT4_P12ihipStream_tbEUlT_E0_NS1_11comp_targetILNS1_3genE4ELNS1_11target_archE910ELNS1_3gpuE8ELNS1_3repE0EEENS1_30default_config_static_selectorELNS0_4arch9wavefront6targetE1EEEvSW_
    .private_segment_fixed_size: 0
    .sgpr_count:     4
    .sgpr_spill_count: 0
    .symbol:         _ZN7rocprim17ROCPRIM_400000_NS6detail17trampoline_kernelINS0_14default_configENS1_22reduce_config_selectorIlEEZNS1_11reduce_implILb1ES3_N6thrust23THRUST_200600_302600_NS11hip_rocprim26transform_input_iterator_tIlNS8_12zip_iteratorINS8_5tupleINS8_6detail15normal_iteratorINS8_10device_ptrIfEEEESH_NS8_9null_typeESI_SI_SI_SI_SI_SI_SI_EEEENS9_21zip_adj_not_predicateI22is_equal_div_10_uniqueIfEEEEEPllNS8_4plusIlEEEE10hipError_tPvRmT1_T2_T3_mT4_P12ihipStream_tbEUlT_E0_NS1_11comp_targetILNS1_3genE4ELNS1_11target_archE910ELNS1_3gpuE8ELNS1_3repE0EEENS1_30default_config_static_selectorELNS0_4arch9wavefront6targetE1EEEvSW_.kd
    .uniform_work_group_size: 1
    .uses_dynamic_stack: false
    .vgpr_count:     0
    .vgpr_spill_count: 0
    .wavefront_size: 64
  - .args:
      - .offset:         0
        .size:           80
        .value_kind:     by_value
    .group_segment_fixed_size: 0
    .kernarg_segment_align: 8
    .kernarg_segment_size: 80
    .language:       OpenCL C
    .language_version:
      - 2
      - 0
    .max_flat_workgroup_size: 256
    .name:           _ZN7rocprim17ROCPRIM_400000_NS6detail17trampoline_kernelINS0_14default_configENS1_22reduce_config_selectorIlEEZNS1_11reduce_implILb1ES3_N6thrust23THRUST_200600_302600_NS11hip_rocprim26transform_input_iterator_tIlNS8_12zip_iteratorINS8_5tupleINS8_6detail15normal_iteratorINS8_10device_ptrIfEEEESH_NS8_9null_typeESI_SI_SI_SI_SI_SI_SI_EEEENS9_21zip_adj_not_predicateI22is_equal_div_10_uniqueIfEEEEEPllNS8_4plusIlEEEE10hipError_tPvRmT1_T2_T3_mT4_P12ihipStream_tbEUlT_E0_NS1_11comp_targetILNS1_3genE3ELNS1_11target_archE908ELNS1_3gpuE7ELNS1_3repE0EEENS1_30default_config_static_selectorELNS0_4arch9wavefront6targetE1EEEvSW_
    .private_segment_fixed_size: 0
    .sgpr_count:     4
    .sgpr_spill_count: 0
    .symbol:         _ZN7rocprim17ROCPRIM_400000_NS6detail17trampoline_kernelINS0_14default_configENS1_22reduce_config_selectorIlEEZNS1_11reduce_implILb1ES3_N6thrust23THRUST_200600_302600_NS11hip_rocprim26transform_input_iterator_tIlNS8_12zip_iteratorINS8_5tupleINS8_6detail15normal_iteratorINS8_10device_ptrIfEEEESH_NS8_9null_typeESI_SI_SI_SI_SI_SI_SI_EEEENS9_21zip_adj_not_predicateI22is_equal_div_10_uniqueIfEEEEEPllNS8_4plusIlEEEE10hipError_tPvRmT1_T2_T3_mT4_P12ihipStream_tbEUlT_E0_NS1_11comp_targetILNS1_3genE3ELNS1_11target_archE908ELNS1_3gpuE7ELNS1_3repE0EEENS1_30default_config_static_selectorELNS0_4arch9wavefront6targetE1EEEvSW_.kd
    .uniform_work_group_size: 1
    .uses_dynamic_stack: false
    .vgpr_count:     0
    .vgpr_spill_count: 0
    .wavefront_size: 64
  - .args:
      - .offset:         0
        .size:           80
        .value_kind:     by_value
    .group_segment_fixed_size: 64
    .kernarg_segment_align: 8
    .kernarg_segment_size: 80
    .language:       OpenCL C
    .language_version:
      - 2
      - 0
    .max_flat_workgroup_size: 256
    .name:           _ZN7rocprim17ROCPRIM_400000_NS6detail17trampoline_kernelINS0_14default_configENS1_22reduce_config_selectorIlEEZNS1_11reduce_implILb1ES3_N6thrust23THRUST_200600_302600_NS11hip_rocprim26transform_input_iterator_tIlNS8_12zip_iteratorINS8_5tupleINS8_6detail15normal_iteratorINS8_10device_ptrIfEEEESH_NS8_9null_typeESI_SI_SI_SI_SI_SI_SI_EEEENS9_21zip_adj_not_predicateI22is_equal_div_10_uniqueIfEEEEEPllNS8_4plusIlEEEE10hipError_tPvRmT1_T2_T3_mT4_P12ihipStream_tbEUlT_E0_NS1_11comp_targetILNS1_3genE2ELNS1_11target_archE906ELNS1_3gpuE6ELNS1_3repE0EEENS1_30default_config_static_selectorELNS0_4arch9wavefront6targetE1EEEvSW_
    .private_segment_fixed_size: 0
    .sgpr_count:     26
    .sgpr_spill_count: 0
    .symbol:         _ZN7rocprim17ROCPRIM_400000_NS6detail17trampoline_kernelINS0_14default_configENS1_22reduce_config_selectorIlEEZNS1_11reduce_implILb1ES3_N6thrust23THRUST_200600_302600_NS11hip_rocprim26transform_input_iterator_tIlNS8_12zip_iteratorINS8_5tupleINS8_6detail15normal_iteratorINS8_10device_ptrIfEEEESH_NS8_9null_typeESI_SI_SI_SI_SI_SI_SI_EEEENS9_21zip_adj_not_predicateI22is_equal_div_10_uniqueIfEEEEEPllNS8_4plusIlEEEE10hipError_tPvRmT1_T2_T3_mT4_P12ihipStream_tbEUlT_E0_NS1_11comp_targetILNS1_3genE2ELNS1_11target_archE906ELNS1_3gpuE6ELNS1_3repE0EEENS1_30default_config_static_selectorELNS0_4arch9wavefront6targetE1EEEvSW_.kd
    .uniform_work_group_size: 1
    .uses_dynamic_stack: false
    .vgpr_count:     15
    .vgpr_spill_count: 0
    .wavefront_size: 64
  - .args:
      - .offset:         0
        .size:           80
        .value_kind:     by_value
    .group_segment_fixed_size: 0
    .kernarg_segment_align: 8
    .kernarg_segment_size: 80
    .language:       OpenCL C
    .language_version:
      - 2
      - 0
    .max_flat_workgroup_size: 256
    .name:           _ZN7rocprim17ROCPRIM_400000_NS6detail17trampoline_kernelINS0_14default_configENS1_22reduce_config_selectorIlEEZNS1_11reduce_implILb1ES3_N6thrust23THRUST_200600_302600_NS11hip_rocprim26transform_input_iterator_tIlNS8_12zip_iteratorINS8_5tupleINS8_6detail15normal_iteratorINS8_10device_ptrIfEEEESH_NS8_9null_typeESI_SI_SI_SI_SI_SI_SI_EEEENS9_21zip_adj_not_predicateI22is_equal_div_10_uniqueIfEEEEEPllNS8_4plusIlEEEE10hipError_tPvRmT1_T2_T3_mT4_P12ihipStream_tbEUlT_E0_NS1_11comp_targetILNS1_3genE10ELNS1_11target_archE1201ELNS1_3gpuE5ELNS1_3repE0EEENS1_30default_config_static_selectorELNS0_4arch9wavefront6targetE1EEEvSW_
    .private_segment_fixed_size: 0
    .sgpr_count:     4
    .sgpr_spill_count: 0
    .symbol:         _ZN7rocprim17ROCPRIM_400000_NS6detail17trampoline_kernelINS0_14default_configENS1_22reduce_config_selectorIlEEZNS1_11reduce_implILb1ES3_N6thrust23THRUST_200600_302600_NS11hip_rocprim26transform_input_iterator_tIlNS8_12zip_iteratorINS8_5tupleINS8_6detail15normal_iteratorINS8_10device_ptrIfEEEESH_NS8_9null_typeESI_SI_SI_SI_SI_SI_SI_EEEENS9_21zip_adj_not_predicateI22is_equal_div_10_uniqueIfEEEEEPllNS8_4plusIlEEEE10hipError_tPvRmT1_T2_T3_mT4_P12ihipStream_tbEUlT_E0_NS1_11comp_targetILNS1_3genE10ELNS1_11target_archE1201ELNS1_3gpuE5ELNS1_3repE0EEENS1_30default_config_static_selectorELNS0_4arch9wavefront6targetE1EEEvSW_.kd
    .uniform_work_group_size: 1
    .uses_dynamic_stack: false
    .vgpr_count:     0
    .vgpr_spill_count: 0
    .wavefront_size: 64
  - .args:
      - .offset:         0
        .size:           80
        .value_kind:     by_value
    .group_segment_fixed_size: 0
    .kernarg_segment_align: 8
    .kernarg_segment_size: 80
    .language:       OpenCL C
    .language_version:
      - 2
      - 0
    .max_flat_workgroup_size: 256
    .name:           _ZN7rocprim17ROCPRIM_400000_NS6detail17trampoline_kernelINS0_14default_configENS1_22reduce_config_selectorIlEEZNS1_11reduce_implILb1ES3_N6thrust23THRUST_200600_302600_NS11hip_rocprim26transform_input_iterator_tIlNS8_12zip_iteratorINS8_5tupleINS8_6detail15normal_iteratorINS8_10device_ptrIfEEEESH_NS8_9null_typeESI_SI_SI_SI_SI_SI_SI_EEEENS9_21zip_adj_not_predicateI22is_equal_div_10_uniqueIfEEEEEPllNS8_4plusIlEEEE10hipError_tPvRmT1_T2_T3_mT4_P12ihipStream_tbEUlT_E0_NS1_11comp_targetILNS1_3genE10ELNS1_11target_archE1200ELNS1_3gpuE4ELNS1_3repE0EEENS1_30default_config_static_selectorELNS0_4arch9wavefront6targetE1EEEvSW_
    .private_segment_fixed_size: 0
    .sgpr_count:     4
    .sgpr_spill_count: 0
    .symbol:         _ZN7rocprim17ROCPRIM_400000_NS6detail17trampoline_kernelINS0_14default_configENS1_22reduce_config_selectorIlEEZNS1_11reduce_implILb1ES3_N6thrust23THRUST_200600_302600_NS11hip_rocprim26transform_input_iterator_tIlNS8_12zip_iteratorINS8_5tupleINS8_6detail15normal_iteratorINS8_10device_ptrIfEEEESH_NS8_9null_typeESI_SI_SI_SI_SI_SI_SI_EEEENS9_21zip_adj_not_predicateI22is_equal_div_10_uniqueIfEEEEEPllNS8_4plusIlEEEE10hipError_tPvRmT1_T2_T3_mT4_P12ihipStream_tbEUlT_E0_NS1_11comp_targetILNS1_3genE10ELNS1_11target_archE1200ELNS1_3gpuE4ELNS1_3repE0EEENS1_30default_config_static_selectorELNS0_4arch9wavefront6targetE1EEEvSW_.kd
    .uniform_work_group_size: 1
    .uses_dynamic_stack: false
    .vgpr_count:     0
    .vgpr_spill_count: 0
    .wavefront_size: 64
  - .args:
      - .offset:         0
        .size:           80
        .value_kind:     by_value
    .group_segment_fixed_size: 0
    .kernarg_segment_align: 8
    .kernarg_segment_size: 80
    .language:       OpenCL C
    .language_version:
      - 2
      - 0
    .max_flat_workgroup_size: 256
    .name:           _ZN7rocprim17ROCPRIM_400000_NS6detail17trampoline_kernelINS0_14default_configENS1_22reduce_config_selectorIlEEZNS1_11reduce_implILb1ES3_N6thrust23THRUST_200600_302600_NS11hip_rocprim26transform_input_iterator_tIlNS8_12zip_iteratorINS8_5tupleINS8_6detail15normal_iteratorINS8_10device_ptrIfEEEESH_NS8_9null_typeESI_SI_SI_SI_SI_SI_SI_EEEENS9_21zip_adj_not_predicateI22is_equal_div_10_uniqueIfEEEEEPllNS8_4plusIlEEEE10hipError_tPvRmT1_T2_T3_mT4_P12ihipStream_tbEUlT_E0_NS1_11comp_targetILNS1_3genE9ELNS1_11target_archE1100ELNS1_3gpuE3ELNS1_3repE0EEENS1_30default_config_static_selectorELNS0_4arch9wavefront6targetE1EEEvSW_
    .private_segment_fixed_size: 0
    .sgpr_count:     4
    .sgpr_spill_count: 0
    .symbol:         _ZN7rocprim17ROCPRIM_400000_NS6detail17trampoline_kernelINS0_14default_configENS1_22reduce_config_selectorIlEEZNS1_11reduce_implILb1ES3_N6thrust23THRUST_200600_302600_NS11hip_rocprim26transform_input_iterator_tIlNS8_12zip_iteratorINS8_5tupleINS8_6detail15normal_iteratorINS8_10device_ptrIfEEEESH_NS8_9null_typeESI_SI_SI_SI_SI_SI_SI_EEEENS9_21zip_adj_not_predicateI22is_equal_div_10_uniqueIfEEEEEPllNS8_4plusIlEEEE10hipError_tPvRmT1_T2_T3_mT4_P12ihipStream_tbEUlT_E0_NS1_11comp_targetILNS1_3genE9ELNS1_11target_archE1100ELNS1_3gpuE3ELNS1_3repE0EEENS1_30default_config_static_selectorELNS0_4arch9wavefront6targetE1EEEvSW_.kd
    .uniform_work_group_size: 1
    .uses_dynamic_stack: false
    .vgpr_count:     0
    .vgpr_spill_count: 0
    .wavefront_size: 64
  - .args:
      - .offset:         0
        .size:           80
        .value_kind:     by_value
    .group_segment_fixed_size: 0
    .kernarg_segment_align: 8
    .kernarg_segment_size: 80
    .language:       OpenCL C
    .language_version:
      - 2
      - 0
    .max_flat_workgroup_size: 256
    .name:           _ZN7rocprim17ROCPRIM_400000_NS6detail17trampoline_kernelINS0_14default_configENS1_22reduce_config_selectorIlEEZNS1_11reduce_implILb1ES3_N6thrust23THRUST_200600_302600_NS11hip_rocprim26transform_input_iterator_tIlNS8_12zip_iteratorINS8_5tupleINS8_6detail15normal_iteratorINS8_10device_ptrIfEEEESH_NS8_9null_typeESI_SI_SI_SI_SI_SI_SI_EEEENS9_21zip_adj_not_predicateI22is_equal_div_10_uniqueIfEEEEEPllNS8_4plusIlEEEE10hipError_tPvRmT1_T2_T3_mT4_P12ihipStream_tbEUlT_E0_NS1_11comp_targetILNS1_3genE8ELNS1_11target_archE1030ELNS1_3gpuE2ELNS1_3repE0EEENS1_30default_config_static_selectorELNS0_4arch9wavefront6targetE1EEEvSW_
    .private_segment_fixed_size: 0
    .sgpr_count:     4
    .sgpr_spill_count: 0
    .symbol:         _ZN7rocprim17ROCPRIM_400000_NS6detail17trampoline_kernelINS0_14default_configENS1_22reduce_config_selectorIlEEZNS1_11reduce_implILb1ES3_N6thrust23THRUST_200600_302600_NS11hip_rocprim26transform_input_iterator_tIlNS8_12zip_iteratorINS8_5tupleINS8_6detail15normal_iteratorINS8_10device_ptrIfEEEESH_NS8_9null_typeESI_SI_SI_SI_SI_SI_SI_EEEENS9_21zip_adj_not_predicateI22is_equal_div_10_uniqueIfEEEEEPllNS8_4plusIlEEEE10hipError_tPvRmT1_T2_T3_mT4_P12ihipStream_tbEUlT_E0_NS1_11comp_targetILNS1_3genE8ELNS1_11target_archE1030ELNS1_3gpuE2ELNS1_3repE0EEENS1_30default_config_static_selectorELNS0_4arch9wavefront6targetE1EEEvSW_.kd
    .uniform_work_group_size: 1
    .uses_dynamic_stack: false
    .vgpr_count:     0
    .vgpr_spill_count: 0
    .wavefront_size: 64
  - .args:
      - .offset:         0
        .size:           64
        .value_kind:     by_value
    .group_segment_fixed_size: 0
    .kernarg_segment_align: 8
    .kernarg_segment_size: 64
    .language:       OpenCL C
    .language_version:
      - 2
      - 0
    .max_flat_workgroup_size: 256
    .name:           _ZN7rocprim17ROCPRIM_400000_NS6detail17trampoline_kernelINS0_14default_configENS1_22reduce_config_selectorIlEEZNS1_11reduce_implILb1ES3_N6thrust23THRUST_200600_302600_NS11hip_rocprim26transform_input_iterator_tIlNS8_12zip_iteratorINS8_5tupleINS8_6detail15normal_iteratorINS8_10device_ptrIfEEEESH_NS8_9null_typeESI_SI_SI_SI_SI_SI_SI_EEEENS9_21zip_adj_not_predicateI22is_equal_div_10_uniqueIfEEEEEPllNS8_4plusIlEEEE10hipError_tPvRmT1_T2_T3_mT4_P12ihipStream_tbEUlT_E1_NS1_11comp_targetILNS1_3genE0ELNS1_11target_archE4294967295ELNS1_3gpuE0ELNS1_3repE0EEENS1_30default_config_static_selectorELNS0_4arch9wavefront6targetE1EEEvSW_
    .private_segment_fixed_size: 0
    .sgpr_count:     4
    .sgpr_spill_count: 0
    .symbol:         _ZN7rocprim17ROCPRIM_400000_NS6detail17trampoline_kernelINS0_14default_configENS1_22reduce_config_selectorIlEEZNS1_11reduce_implILb1ES3_N6thrust23THRUST_200600_302600_NS11hip_rocprim26transform_input_iterator_tIlNS8_12zip_iteratorINS8_5tupleINS8_6detail15normal_iteratorINS8_10device_ptrIfEEEESH_NS8_9null_typeESI_SI_SI_SI_SI_SI_SI_EEEENS9_21zip_adj_not_predicateI22is_equal_div_10_uniqueIfEEEEEPllNS8_4plusIlEEEE10hipError_tPvRmT1_T2_T3_mT4_P12ihipStream_tbEUlT_E1_NS1_11comp_targetILNS1_3genE0ELNS1_11target_archE4294967295ELNS1_3gpuE0ELNS1_3repE0EEENS1_30default_config_static_selectorELNS0_4arch9wavefront6targetE1EEEvSW_.kd
    .uniform_work_group_size: 1
    .uses_dynamic_stack: false
    .vgpr_count:     0
    .vgpr_spill_count: 0
    .wavefront_size: 64
  - .args:
      - .offset:         0
        .size:           64
        .value_kind:     by_value
    .group_segment_fixed_size: 0
    .kernarg_segment_align: 8
    .kernarg_segment_size: 64
    .language:       OpenCL C
    .language_version:
      - 2
      - 0
    .max_flat_workgroup_size: 256
    .name:           _ZN7rocprim17ROCPRIM_400000_NS6detail17trampoline_kernelINS0_14default_configENS1_22reduce_config_selectorIlEEZNS1_11reduce_implILb1ES3_N6thrust23THRUST_200600_302600_NS11hip_rocprim26transform_input_iterator_tIlNS8_12zip_iteratorINS8_5tupleINS8_6detail15normal_iteratorINS8_10device_ptrIfEEEESH_NS8_9null_typeESI_SI_SI_SI_SI_SI_SI_EEEENS9_21zip_adj_not_predicateI22is_equal_div_10_uniqueIfEEEEEPllNS8_4plusIlEEEE10hipError_tPvRmT1_T2_T3_mT4_P12ihipStream_tbEUlT_E1_NS1_11comp_targetILNS1_3genE5ELNS1_11target_archE942ELNS1_3gpuE9ELNS1_3repE0EEENS1_30default_config_static_selectorELNS0_4arch9wavefront6targetE1EEEvSW_
    .private_segment_fixed_size: 0
    .sgpr_count:     4
    .sgpr_spill_count: 0
    .symbol:         _ZN7rocprim17ROCPRIM_400000_NS6detail17trampoline_kernelINS0_14default_configENS1_22reduce_config_selectorIlEEZNS1_11reduce_implILb1ES3_N6thrust23THRUST_200600_302600_NS11hip_rocprim26transform_input_iterator_tIlNS8_12zip_iteratorINS8_5tupleINS8_6detail15normal_iteratorINS8_10device_ptrIfEEEESH_NS8_9null_typeESI_SI_SI_SI_SI_SI_SI_EEEENS9_21zip_adj_not_predicateI22is_equal_div_10_uniqueIfEEEEEPllNS8_4plusIlEEEE10hipError_tPvRmT1_T2_T3_mT4_P12ihipStream_tbEUlT_E1_NS1_11comp_targetILNS1_3genE5ELNS1_11target_archE942ELNS1_3gpuE9ELNS1_3repE0EEENS1_30default_config_static_selectorELNS0_4arch9wavefront6targetE1EEEvSW_.kd
    .uniform_work_group_size: 1
    .uses_dynamic_stack: false
    .vgpr_count:     0
    .vgpr_spill_count: 0
    .wavefront_size: 64
  - .args:
      - .offset:         0
        .size:           64
        .value_kind:     by_value
    .group_segment_fixed_size: 0
    .kernarg_segment_align: 8
    .kernarg_segment_size: 64
    .language:       OpenCL C
    .language_version:
      - 2
      - 0
    .max_flat_workgroup_size: 256
    .name:           _ZN7rocprim17ROCPRIM_400000_NS6detail17trampoline_kernelINS0_14default_configENS1_22reduce_config_selectorIlEEZNS1_11reduce_implILb1ES3_N6thrust23THRUST_200600_302600_NS11hip_rocprim26transform_input_iterator_tIlNS8_12zip_iteratorINS8_5tupleINS8_6detail15normal_iteratorINS8_10device_ptrIfEEEESH_NS8_9null_typeESI_SI_SI_SI_SI_SI_SI_EEEENS9_21zip_adj_not_predicateI22is_equal_div_10_uniqueIfEEEEEPllNS8_4plusIlEEEE10hipError_tPvRmT1_T2_T3_mT4_P12ihipStream_tbEUlT_E1_NS1_11comp_targetILNS1_3genE4ELNS1_11target_archE910ELNS1_3gpuE8ELNS1_3repE0EEENS1_30default_config_static_selectorELNS0_4arch9wavefront6targetE1EEEvSW_
    .private_segment_fixed_size: 0
    .sgpr_count:     4
    .sgpr_spill_count: 0
    .symbol:         _ZN7rocprim17ROCPRIM_400000_NS6detail17trampoline_kernelINS0_14default_configENS1_22reduce_config_selectorIlEEZNS1_11reduce_implILb1ES3_N6thrust23THRUST_200600_302600_NS11hip_rocprim26transform_input_iterator_tIlNS8_12zip_iteratorINS8_5tupleINS8_6detail15normal_iteratorINS8_10device_ptrIfEEEESH_NS8_9null_typeESI_SI_SI_SI_SI_SI_SI_EEEENS9_21zip_adj_not_predicateI22is_equal_div_10_uniqueIfEEEEEPllNS8_4plusIlEEEE10hipError_tPvRmT1_T2_T3_mT4_P12ihipStream_tbEUlT_E1_NS1_11comp_targetILNS1_3genE4ELNS1_11target_archE910ELNS1_3gpuE8ELNS1_3repE0EEENS1_30default_config_static_selectorELNS0_4arch9wavefront6targetE1EEEvSW_.kd
    .uniform_work_group_size: 1
    .uses_dynamic_stack: false
    .vgpr_count:     0
    .vgpr_spill_count: 0
    .wavefront_size: 64
  - .args:
      - .offset:         0
        .size:           64
        .value_kind:     by_value
    .group_segment_fixed_size: 0
    .kernarg_segment_align: 8
    .kernarg_segment_size: 64
    .language:       OpenCL C
    .language_version:
      - 2
      - 0
    .max_flat_workgroup_size: 256
    .name:           _ZN7rocprim17ROCPRIM_400000_NS6detail17trampoline_kernelINS0_14default_configENS1_22reduce_config_selectorIlEEZNS1_11reduce_implILb1ES3_N6thrust23THRUST_200600_302600_NS11hip_rocprim26transform_input_iterator_tIlNS8_12zip_iteratorINS8_5tupleINS8_6detail15normal_iteratorINS8_10device_ptrIfEEEESH_NS8_9null_typeESI_SI_SI_SI_SI_SI_SI_EEEENS9_21zip_adj_not_predicateI22is_equal_div_10_uniqueIfEEEEEPllNS8_4plusIlEEEE10hipError_tPvRmT1_T2_T3_mT4_P12ihipStream_tbEUlT_E1_NS1_11comp_targetILNS1_3genE3ELNS1_11target_archE908ELNS1_3gpuE7ELNS1_3repE0EEENS1_30default_config_static_selectorELNS0_4arch9wavefront6targetE1EEEvSW_
    .private_segment_fixed_size: 0
    .sgpr_count:     4
    .sgpr_spill_count: 0
    .symbol:         _ZN7rocprim17ROCPRIM_400000_NS6detail17trampoline_kernelINS0_14default_configENS1_22reduce_config_selectorIlEEZNS1_11reduce_implILb1ES3_N6thrust23THRUST_200600_302600_NS11hip_rocprim26transform_input_iterator_tIlNS8_12zip_iteratorINS8_5tupleINS8_6detail15normal_iteratorINS8_10device_ptrIfEEEESH_NS8_9null_typeESI_SI_SI_SI_SI_SI_SI_EEEENS9_21zip_adj_not_predicateI22is_equal_div_10_uniqueIfEEEEEPllNS8_4plusIlEEEE10hipError_tPvRmT1_T2_T3_mT4_P12ihipStream_tbEUlT_E1_NS1_11comp_targetILNS1_3genE3ELNS1_11target_archE908ELNS1_3gpuE7ELNS1_3repE0EEENS1_30default_config_static_selectorELNS0_4arch9wavefront6targetE1EEEvSW_.kd
    .uniform_work_group_size: 1
    .uses_dynamic_stack: false
    .vgpr_count:     0
    .vgpr_spill_count: 0
    .wavefront_size: 64
  - .args:
      - .offset:         0
        .size:           64
        .value_kind:     by_value
    .group_segment_fixed_size: 192
    .kernarg_segment_align: 8
    .kernarg_segment_size: 64
    .language:       OpenCL C
    .language_version:
      - 2
      - 0
    .max_flat_workgroup_size: 256
    .name:           _ZN7rocprim17ROCPRIM_400000_NS6detail17trampoline_kernelINS0_14default_configENS1_22reduce_config_selectorIlEEZNS1_11reduce_implILb1ES3_N6thrust23THRUST_200600_302600_NS11hip_rocprim26transform_input_iterator_tIlNS8_12zip_iteratorINS8_5tupleINS8_6detail15normal_iteratorINS8_10device_ptrIfEEEESH_NS8_9null_typeESI_SI_SI_SI_SI_SI_SI_EEEENS9_21zip_adj_not_predicateI22is_equal_div_10_uniqueIfEEEEEPllNS8_4plusIlEEEE10hipError_tPvRmT1_T2_T3_mT4_P12ihipStream_tbEUlT_E1_NS1_11comp_targetILNS1_3genE2ELNS1_11target_archE906ELNS1_3gpuE6ELNS1_3repE0EEENS1_30default_config_static_selectorELNS0_4arch9wavefront6targetE1EEEvSW_
    .private_segment_fixed_size: 0
    .sgpr_count:     38
    .sgpr_spill_count: 0
    .symbol:         _ZN7rocprim17ROCPRIM_400000_NS6detail17trampoline_kernelINS0_14default_configENS1_22reduce_config_selectorIlEEZNS1_11reduce_implILb1ES3_N6thrust23THRUST_200600_302600_NS11hip_rocprim26transform_input_iterator_tIlNS8_12zip_iteratorINS8_5tupleINS8_6detail15normal_iteratorINS8_10device_ptrIfEEEESH_NS8_9null_typeESI_SI_SI_SI_SI_SI_SI_EEEENS9_21zip_adj_not_predicateI22is_equal_div_10_uniqueIfEEEEEPllNS8_4plusIlEEEE10hipError_tPvRmT1_T2_T3_mT4_P12ihipStream_tbEUlT_E1_NS1_11comp_targetILNS1_3genE2ELNS1_11target_archE906ELNS1_3gpuE6ELNS1_3repE0EEENS1_30default_config_static_selectorELNS0_4arch9wavefront6targetE1EEEvSW_.kd
    .uniform_work_group_size: 1
    .uses_dynamic_stack: false
    .vgpr_count:     35
    .vgpr_spill_count: 0
    .wavefront_size: 64
  - .args:
      - .offset:         0
        .size:           64
        .value_kind:     by_value
    .group_segment_fixed_size: 0
    .kernarg_segment_align: 8
    .kernarg_segment_size: 64
    .language:       OpenCL C
    .language_version:
      - 2
      - 0
    .max_flat_workgroup_size: 256
    .name:           _ZN7rocprim17ROCPRIM_400000_NS6detail17trampoline_kernelINS0_14default_configENS1_22reduce_config_selectorIlEEZNS1_11reduce_implILb1ES3_N6thrust23THRUST_200600_302600_NS11hip_rocprim26transform_input_iterator_tIlNS8_12zip_iteratorINS8_5tupleINS8_6detail15normal_iteratorINS8_10device_ptrIfEEEESH_NS8_9null_typeESI_SI_SI_SI_SI_SI_SI_EEEENS9_21zip_adj_not_predicateI22is_equal_div_10_uniqueIfEEEEEPllNS8_4plusIlEEEE10hipError_tPvRmT1_T2_T3_mT4_P12ihipStream_tbEUlT_E1_NS1_11comp_targetILNS1_3genE10ELNS1_11target_archE1201ELNS1_3gpuE5ELNS1_3repE0EEENS1_30default_config_static_selectorELNS0_4arch9wavefront6targetE1EEEvSW_
    .private_segment_fixed_size: 0
    .sgpr_count:     4
    .sgpr_spill_count: 0
    .symbol:         _ZN7rocprim17ROCPRIM_400000_NS6detail17trampoline_kernelINS0_14default_configENS1_22reduce_config_selectorIlEEZNS1_11reduce_implILb1ES3_N6thrust23THRUST_200600_302600_NS11hip_rocprim26transform_input_iterator_tIlNS8_12zip_iteratorINS8_5tupleINS8_6detail15normal_iteratorINS8_10device_ptrIfEEEESH_NS8_9null_typeESI_SI_SI_SI_SI_SI_SI_EEEENS9_21zip_adj_not_predicateI22is_equal_div_10_uniqueIfEEEEEPllNS8_4plusIlEEEE10hipError_tPvRmT1_T2_T3_mT4_P12ihipStream_tbEUlT_E1_NS1_11comp_targetILNS1_3genE10ELNS1_11target_archE1201ELNS1_3gpuE5ELNS1_3repE0EEENS1_30default_config_static_selectorELNS0_4arch9wavefront6targetE1EEEvSW_.kd
    .uniform_work_group_size: 1
    .uses_dynamic_stack: false
    .vgpr_count:     0
    .vgpr_spill_count: 0
    .wavefront_size: 64
  - .args:
      - .offset:         0
        .size:           64
        .value_kind:     by_value
    .group_segment_fixed_size: 0
    .kernarg_segment_align: 8
    .kernarg_segment_size: 64
    .language:       OpenCL C
    .language_version:
      - 2
      - 0
    .max_flat_workgroup_size: 256
    .name:           _ZN7rocprim17ROCPRIM_400000_NS6detail17trampoline_kernelINS0_14default_configENS1_22reduce_config_selectorIlEEZNS1_11reduce_implILb1ES3_N6thrust23THRUST_200600_302600_NS11hip_rocprim26transform_input_iterator_tIlNS8_12zip_iteratorINS8_5tupleINS8_6detail15normal_iteratorINS8_10device_ptrIfEEEESH_NS8_9null_typeESI_SI_SI_SI_SI_SI_SI_EEEENS9_21zip_adj_not_predicateI22is_equal_div_10_uniqueIfEEEEEPllNS8_4plusIlEEEE10hipError_tPvRmT1_T2_T3_mT4_P12ihipStream_tbEUlT_E1_NS1_11comp_targetILNS1_3genE10ELNS1_11target_archE1200ELNS1_3gpuE4ELNS1_3repE0EEENS1_30default_config_static_selectorELNS0_4arch9wavefront6targetE1EEEvSW_
    .private_segment_fixed_size: 0
    .sgpr_count:     4
    .sgpr_spill_count: 0
    .symbol:         _ZN7rocprim17ROCPRIM_400000_NS6detail17trampoline_kernelINS0_14default_configENS1_22reduce_config_selectorIlEEZNS1_11reduce_implILb1ES3_N6thrust23THRUST_200600_302600_NS11hip_rocprim26transform_input_iterator_tIlNS8_12zip_iteratorINS8_5tupleINS8_6detail15normal_iteratorINS8_10device_ptrIfEEEESH_NS8_9null_typeESI_SI_SI_SI_SI_SI_SI_EEEENS9_21zip_adj_not_predicateI22is_equal_div_10_uniqueIfEEEEEPllNS8_4plusIlEEEE10hipError_tPvRmT1_T2_T3_mT4_P12ihipStream_tbEUlT_E1_NS1_11comp_targetILNS1_3genE10ELNS1_11target_archE1200ELNS1_3gpuE4ELNS1_3repE0EEENS1_30default_config_static_selectorELNS0_4arch9wavefront6targetE1EEEvSW_.kd
    .uniform_work_group_size: 1
    .uses_dynamic_stack: false
    .vgpr_count:     0
    .vgpr_spill_count: 0
    .wavefront_size: 64
  - .args:
      - .offset:         0
        .size:           64
        .value_kind:     by_value
    .group_segment_fixed_size: 0
    .kernarg_segment_align: 8
    .kernarg_segment_size: 64
    .language:       OpenCL C
    .language_version:
      - 2
      - 0
    .max_flat_workgroup_size: 256
    .name:           _ZN7rocprim17ROCPRIM_400000_NS6detail17trampoline_kernelINS0_14default_configENS1_22reduce_config_selectorIlEEZNS1_11reduce_implILb1ES3_N6thrust23THRUST_200600_302600_NS11hip_rocprim26transform_input_iterator_tIlNS8_12zip_iteratorINS8_5tupleINS8_6detail15normal_iteratorINS8_10device_ptrIfEEEESH_NS8_9null_typeESI_SI_SI_SI_SI_SI_SI_EEEENS9_21zip_adj_not_predicateI22is_equal_div_10_uniqueIfEEEEEPllNS8_4plusIlEEEE10hipError_tPvRmT1_T2_T3_mT4_P12ihipStream_tbEUlT_E1_NS1_11comp_targetILNS1_3genE9ELNS1_11target_archE1100ELNS1_3gpuE3ELNS1_3repE0EEENS1_30default_config_static_selectorELNS0_4arch9wavefront6targetE1EEEvSW_
    .private_segment_fixed_size: 0
    .sgpr_count:     4
    .sgpr_spill_count: 0
    .symbol:         _ZN7rocprim17ROCPRIM_400000_NS6detail17trampoline_kernelINS0_14default_configENS1_22reduce_config_selectorIlEEZNS1_11reduce_implILb1ES3_N6thrust23THRUST_200600_302600_NS11hip_rocprim26transform_input_iterator_tIlNS8_12zip_iteratorINS8_5tupleINS8_6detail15normal_iteratorINS8_10device_ptrIfEEEESH_NS8_9null_typeESI_SI_SI_SI_SI_SI_SI_EEEENS9_21zip_adj_not_predicateI22is_equal_div_10_uniqueIfEEEEEPllNS8_4plusIlEEEE10hipError_tPvRmT1_T2_T3_mT4_P12ihipStream_tbEUlT_E1_NS1_11comp_targetILNS1_3genE9ELNS1_11target_archE1100ELNS1_3gpuE3ELNS1_3repE0EEENS1_30default_config_static_selectorELNS0_4arch9wavefront6targetE1EEEvSW_.kd
    .uniform_work_group_size: 1
    .uses_dynamic_stack: false
    .vgpr_count:     0
    .vgpr_spill_count: 0
    .wavefront_size: 64
  - .args:
      - .offset:         0
        .size:           64
        .value_kind:     by_value
    .group_segment_fixed_size: 0
    .kernarg_segment_align: 8
    .kernarg_segment_size: 64
    .language:       OpenCL C
    .language_version:
      - 2
      - 0
    .max_flat_workgroup_size: 256
    .name:           _ZN7rocprim17ROCPRIM_400000_NS6detail17trampoline_kernelINS0_14default_configENS1_22reduce_config_selectorIlEEZNS1_11reduce_implILb1ES3_N6thrust23THRUST_200600_302600_NS11hip_rocprim26transform_input_iterator_tIlNS8_12zip_iteratorINS8_5tupleINS8_6detail15normal_iteratorINS8_10device_ptrIfEEEESH_NS8_9null_typeESI_SI_SI_SI_SI_SI_SI_EEEENS9_21zip_adj_not_predicateI22is_equal_div_10_uniqueIfEEEEEPllNS8_4plusIlEEEE10hipError_tPvRmT1_T2_T3_mT4_P12ihipStream_tbEUlT_E1_NS1_11comp_targetILNS1_3genE8ELNS1_11target_archE1030ELNS1_3gpuE2ELNS1_3repE0EEENS1_30default_config_static_selectorELNS0_4arch9wavefront6targetE1EEEvSW_
    .private_segment_fixed_size: 0
    .sgpr_count:     4
    .sgpr_spill_count: 0
    .symbol:         _ZN7rocprim17ROCPRIM_400000_NS6detail17trampoline_kernelINS0_14default_configENS1_22reduce_config_selectorIlEEZNS1_11reduce_implILb1ES3_N6thrust23THRUST_200600_302600_NS11hip_rocprim26transform_input_iterator_tIlNS8_12zip_iteratorINS8_5tupleINS8_6detail15normal_iteratorINS8_10device_ptrIfEEEESH_NS8_9null_typeESI_SI_SI_SI_SI_SI_SI_EEEENS9_21zip_adj_not_predicateI22is_equal_div_10_uniqueIfEEEEEPllNS8_4plusIlEEEE10hipError_tPvRmT1_T2_T3_mT4_P12ihipStream_tbEUlT_E1_NS1_11comp_targetILNS1_3genE8ELNS1_11target_archE1030ELNS1_3gpuE2ELNS1_3repE0EEENS1_30default_config_static_selectorELNS0_4arch9wavefront6targetE1EEEvSW_.kd
    .uniform_work_group_size: 1
    .uses_dynamic_stack: false
    .vgpr_count:     0
    .vgpr_spill_count: 0
    .wavefront_size: 64
  - .args:
      - .offset:         0
        .size:           80
        .value_kind:     by_value
    .group_segment_fixed_size: 0
    .kernarg_segment_align: 8
    .kernarg_segment_size: 80
    .language:       OpenCL C
    .language_version:
      - 2
      - 0
    .max_flat_workgroup_size: 256
    .name:           _ZN7rocprim17ROCPRIM_400000_NS6detail17trampoline_kernelINS0_14default_configENS1_22reduce_config_selectorIlEEZNS1_11reduce_implILb1ES3_N6thrust23THRUST_200600_302600_NS11hip_rocprim26transform_input_iterator_tIlNS8_12zip_iteratorINS8_5tupleINS8_6detail15normal_iteratorINS8_10device_ptrIyEEEESH_NS8_9null_typeESI_SI_SI_SI_SI_SI_SI_EEEENS9_21zip_adj_not_predicateINS8_8equal_toIyEEEEEEPllNS8_4plusIlEEEE10hipError_tPvRmT1_T2_T3_mT4_P12ihipStream_tbEUlT_E0_NS1_11comp_targetILNS1_3genE0ELNS1_11target_archE4294967295ELNS1_3gpuE0ELNS1_3repE0EEENS1_30default_config_static_selectorELNS0_4arch9wavefront6targetE1EEEvSW_
    .private_segment_fixed_size: 0
    .sgpr_count:     4
    .sgpr_spill_count: 0
    .symbol:         _ZN7rocprim17ROCPRIM_400000_NS6detail17trampoline_kernelINS0_14default_configENS1_22reduce_config_selectorIlEEZNS1_11reduce_implILb1ES3_N6thrust23THRUST_200600_302600_NS11hip_rocprim26transform_input_iterator_tIlNS8_12zip_iteratorINS8_5tupleINS8_6detail15normal_iteratorINS8_10device_ptrIyEEEESH_NS8_9null_typeESI_SI_SI_SI_SI_SI_SI_EEEENS9_21zip_adj_not_predicateINS8_8equal_toIyEEEEEEPllNS8_4plusIlEEEE10hipError_tPvRmT1_T2_T3_mT4_P12ihipStream_tbEUlT_E0_NS1_11comp_targetILNS1_3genE0ELNS1_11target_archE4294967295ELNS1_3gpuE0ELNS1_3repE0EEENS1_30default_config_static_selectorELNS0_4arch9wavefront6targetE1EEEvSW_.kd
    .uniform_work_group_size: 1
    .uses_dynamic_stack: false
    .vgpr_count:     0
    .vgpr_spill_count: 0
    .wavefront_size: 64
  - .args:
      - .offset:         0
        .size:           80
        .value_kind:     by_value
    .group_segment_fixed_size: 0
    .kernarg_segment_align: 8
    .kernarg_segment_size: 80
    .language:       OpenCL C
    .language_version:
      - 2
      - 0
    .max_flat_workgroup_size: 256
    .name:           _ZN7rocprim17ROCPRIM_400000_NS6detail17trampoline_kernelINS0_14default_configENS1_22reduce_config_selectorIlEEZNS1_11reduce_implILb1ES3_N6thrust23THRUST_200600_302600_NS11hip_rocprim26transform_input_iterator_tIlNS8_12zip_iteratorINS8_5tupleINS8_6detail15normal_iteratorINS8_10device_ptrIyEEEESH_NS8_9null_typeESI_SI_SI_SI_SI_SI_SI_EEEENS9_21zip_adj_not_predicateINS8_8equal_toIyEEEEEEPllNS8_4plusIlEEEE10hipError_tPvRmT1_T2_T3_mT4_P12ihipStream_tbEUlT_E0_NS1_11comp_targetILNS1_3genE5ELNS1_11target_archE942ELNS1_3gpuE9ELNS1_3repE0EEENS1_30default_config_static_selectorELNS0_4arch9wavefront6targetE1EEEvSW_
    .private_segment_fixed_size: 0
    .sgpr_count:     4
    .sgpr_spill_count: 0
    .symbol:         _ZN7rocprim17ROCPRIM_400000_NS6detail17trampoline_kernelINS0_14default_configENS1_22reduce_config_selectorIlEEZNS1_11reduce_implILb1ES3_N6thrust23THRUST_200600_302600_NS11hip_rocprim26transform_input_iterator_tIlNS8_12zip_iteratorINS8_5tupleINS8_6detail15normal_iteratorINS8_10device_ptrIyEEEESH_NS8_9null_typeESI_SI_SI_SI_SI_SI_SI_EEEENS9_21zip_adj_not_predicateINS8_8equal_toIyEEEEEEPllNS8_4plusIlEEEE10hipError_tPvRmT1_T2_T3_mT4_P12ihipStream_tbEUlT_E0_NS1_11comp_targetILNS1_3genE5ELNS1_11target_archE942ELNS1_3gpuE9ELNS1_3repE0EEENS1_30default_config_static_selectorELNS0_4arch9wavefront6targetE1EEEvSW_.kd
    .uniform_work_group_size: 1
    .uses_dynamic_stack: false
    .vgpr_count:     0
    .vgpr_spill_count: 0
    .wavefront_size: 64
  - .args:
      - .offset:         0
        .size:           80
        .value_kind:     by_value
    .group_segment_fixed_size: 0
    .kernarg_segment_align: 8
    .kernarg_segment_size: 80
    .language:       OpenCL C
    .language_version:
      - 2
      - 0
    .max_flat_workgroup_size: 256
    .name:           _ZN7rocprim17ROCPRIM_400000_NS6detail17trampoline_kernelINS0_14default_configENS1_22reduce_config_selectorIlEEZNS1_11reduce_implILb1ES3_N6thrust23THRUST_200600_302600_NS11hip_rocprim26transform_input_iterator_tIlNS8_12zip_iteratorINS8_5tupleINS8_6detail15normal_iteratorINS8_10device_ptrIyEEEESH_NS8_9null_typeESI_SI_SI_SI_SI_SI_SI_EEEENS9_21zip_adj_not_predicateINS8_8equal_toIyEEEEEEPllNS8_4plusIlEEEE10hipError_tPvRmT1_T2_T3_mT4_P12ihipStream_tbEUlT_E0_NS1_11comp_targetILNS1_3genE4ELNS1_11target_archE910ELNS1_3gpuE8ELNS1_3repE0EEENS1_30default_config_static_selectorELNS0_4arch9wavefront6targetE1EEEvSW_
    .private_segment_fixed_size: 0
    .sgpr_count:     4
    .sgpr_spill_count: 0
    .symbol:         _ZN7rocprim17ROCPRIM_400000_NS6detail17trampoline_kernelINS0_14default_configENS1_22reduce_config_selectorIlEEZNS1_11reduce_implILb1ES3_N6thrust23THRUST_200600_302600_NS11hip_rocprim26transform_input_iterator_tIlNS8_12zip_iteratorINS8_5tupleINS8_6detail15normal_iteratorINS8_10device_ptrIyEEEESH_NS8_9null_typeESI_SI_SI_SI_SI_SI_SI_EEEENS9_21zip_adj_not_predicateINS8_8equal_toIyEEEEEEPllNS8_4plusIlEEEE10hipError_tPvRmT1_T2_T3_mT4_P12ihipStream_tbEUlT_E0_NS1_11comp_targetILNS1_3genE4ELNS1_11target_archE910ELNS1_3gpuE8ELNS1_3repE0EEENS1_30default_config_static_selectorELNS0_4arch9wavefront6targetE1EEEvSW_.kd
    .uniform_work_group_size: 1
    .uses_dynamic_stack: false
    .vgpr_count:     0
    .vgpr_spill_count: 0
    .wavefront_size: 64
  - .args:
      - .offset:         0
        .size:           80
        .value_kind:     by_value
    .group_segment_fixed_size: 0
    .kernarg_segment_align: 8
    .kernarg_segment_size: 80
    .language:       OpenCL C
    .language_version:
      - 2
      - 0
    .max_flat_workgroup_size: 256
    .name:           _ZN7rocprim17ROCPRIM_400000_NS6detail17trampoline_kernelINS0_14default_configENS1_22reduce_config_selectorIlEEZNS1_11reduce_implILb1ES3_N6thrust23THRUST_200600_302600_NS11hip_rocprim26transform_input_iterator_tIlNS8_12zip_iteratorINS8_5tupleINS8_6detail15normal_iteratorINS8_10device_ptrIyEEEESH_NS8_9null_typeESI_SI_SI_SI_SI_SI_SI_EEEENS9_21zip_adj_not_predicateINS8_8equal_toIyEEEEEEPllNS8_4plusIlEEEE10hipError_tPvRmT1_T2_T3_mT4_P12ihipStream_tbEUlT_E0_NS1_11comp_targetILNS1_3genE3ELNS1_11target_archE908ELNS1_3gpuE7ELNS1_3repE0EEENS1_30default_config_static_selectorELNS0_4arch9wavefront6targetE1EEEvSW_
    .private_segment_fixed_size: 0
    .sgpr_count:     4
    .sgpr_spill_count: 0
    .symbol:         _ZN7rocprim17ROCPRIM_400000_NS6detail17trampoline_kernelINS0_14default_configENS1_22reduce_config_selectorIlEEZNS1_11reduce_implILb1ES3_N6thrust23THRUST_200600_302600_NS11hip_rocprim26transform_input_iterator_tIlNS8_12zip_iteratorINS8_5tupleINS8_6detail15normal_iteratorINS8_10device_ptrIyEEEESH_NS8_9null_typeESI_SI_SI_SI_SI_SI_SI_EEEENS9_21zip_adj_not_predicateINS8_8equal_toIyEEEEEEPllNS8_4plusIlEEEE10hipError_tPvRmT1_T2_T3_mT4_P12ihipStream_tbEUlT_E0_NS1_11comp_targetILNS1_3genE3ELNS1_11target_archE908ELNS1_3gpuE7ELNS1_3repE0EEENS1_30default_config_static_selectorELNS0_4arch9wavefront6targetE1EEEvSW_.kd
    .uniform_work_group_size: 1
    .uses_dynamic_stack: false
    .vgpr_count:     0
    .vgpr_spill_count: 0
    .wavefront_size: 64
  - .args:
      - .offset:         0
        .size:           80
        .value_kind:     by_value
    .group_segment_fixed_size: 64
    .kernarg_segment_align: 8
    .kernarg_segment_size: 80
    .language:       OpenCL C
    .language_version:
      - 2
      - 0
    .max_flat_workgroup_size: 256
    .name:           _ZN7rocprim17ROCPRIM_400000_NS6detail17trampoline_kernelINS0_14default_configENS1_22reduce_config_selectorIlEEZNS1_11reduce_implILb1ES3_N6thrust23THRUST_200600_302600_NS11hip_rocprim26transform_input_iterator_tIlNS8_12zip_iteratorINS8_5tupleINS8_6detail15normal_iteratorINS8_10device_ptrIyEEEESH_NS8_9null_typeESI_SI_SI_SI_SI_SI_SI_EEEENS9_21zip_adj_not_predicateINS8_8equal_toIyEEEEEEPllNS8_4plusIlEEEE10hipError_tPvRmT1_T2_T3_mT4_P12ihipStream_tbEUlT_E0_NS1_11comp_targetILNS1_3genE2ELNS1_11target_archE906ELNS1_3gpuE6ELNS1_3repE0EEENS1_30default_config_static_selectorELNS0_4arch9wavefront6targetE1EEEvSW_
    .private_segment_fixed_size: 0
    .sgpr_count:     26
    .sgpr_spill_count: 0
    .symbol:         _ZN7rocprim17ROCPRIM_400000_NS6detail17trampoline_kernelINS0_14default_configENS1_22reduce_config_selectorIlEEZNS1_11reduce_implILb1ES3_N6thrust23THRUST_200600_302600_NS11hip_rocprim26transform_input_iterator_tIlNS8_12zip_iteratorINS8_5tupleINS8_6detail15normal_iteratorINS8_10device_ptrIyEEEESH_NS8_9null_typeESI_SI_SI_SI_SI_SI_SI_EEEENS9_21zip_adj_not_predicateINS8_8equal_toIyEEEEEEPllNS8_4plusIlEEEE10hipError_tPvRmT1_T2_T3_mT4_P12ihipStream_tbEUlT_E0_NS1_11comp_targetILNS1_3genE2ELNS1_11target_archE906ELNS1_3gpuE6ELNS1_3repE0EEENS1_30default_config_static_selectorELNS0_4arch9wavefront6targetE1EEEvSW_.kd
    .uniform_work_group_size: 1
    .uses_dynamic_stack: false
    .vgpr_count:     15
    .vgpr_spill_count: 0
    .wavefront_size: 64
  - .args:
      - .offset:         0
        .size:           80
        .value_kind:     by_value
    .group_segment_fixed_size: 0
    .kernarg_segment_align: 8
    .kernarg_segment_size: 80
    .language:       OpenCL C
    .language_version:
      - 2
      - 0
    .max_flat_workgroup_size: 256
    .name:           _ZN7rocprim17ROCPRIM_400000_NS6detail17trampoline_kernelINS0_14default_configENS1_22reduce_config_selectorIlEEZNS1_11reduce_implILb1ES3_N6thrust23THRUST_200600_302600_NS11hip_rocprim26transform_input_iterator_tIlNS8_12zip_iteratorINS8_5tupleINS8_6detail15normal_iteratorINS8_10device_ptrIyEEEESH_NS8_9null_typeESI_SI_SI_SI_SI_SI_SI_EEEENS9_21zip_adj_not_predicateINS8_8equal_toIyEEEEEEPllNS8_4plusIlEEEE10hipError_tPvRmT1_T2_T3_mT4_P12ihipStream_tbEUlT_E0_NS1_11comp_targetILNS1_3genE10ELNS1_11target_archE1201ELNS1_3gpuE5ELNS1_3repE0EEENS1_30default_config_static_selectorELNS0_4arch9wavefront6targetE1EEEvSW_
    .private_segment_fixed_size: 0
    .sgpr_count:     4
    .sgpr_spill_count: 0
    .symbol:         _ZN7rocprim17ROCPRIM_400000_NS6detail17trampoline_kernelINS0_14default_configENS1_22reduce_config_selectorIlEEZNS1_11reduce_implILb1ES3_N6thrust23THRUST_200600_302600_NS11hip_rocprim26transform_input_iterator_tIlNS8_12zip_iteratorINS8_5tupleINS8_6detail15normal_iteratorINS8_10device_ptrIyEEEESH_NS8_9null_typeESI_SI_SI_SI_SI_SI_SI_EEEENS9_21zip_adj_not_predicateINS8_8equal_toIyEEEEEEPllNS8_4plusIlEEEE10hipError_tPvRmT1_T2_T3_mT4_P12ihipStream_tbEUlT_E0_NS1_11comp_targetILNS1_3genE10ELNS1_11target_archE1201ELNS1_3gpuE5ELNS1_3repE0EEENS1_30default_config_static_selectorELNS0_4arch9wavefront6targetE1EEEvSW_.kd
    .uniform_work_group_size: 1
    .uses_dynamic_stack: false
    .vgpr_count:     0
    .vgpr_spill_count: 0
    .wavefront_size: 64
  - .args:
      - .offset:         0
        .size:           80
        .value_kind:     by_value
    .group_segment_fixed_size: 0
    .kernarg_segment_align: 8
    .kernarg_segment_size: 80
    .language:       OpenCL C
    .language_version:
      - 2
      - 0
    .max_flat_workgroup_size: 256
    .name:           _ZN7rocprim17ROCPRIM_400000_NS6detail17trampoline_kernelINS0_14default_configENS1_22reduce_config_selectorIlEEZNS1_11reduce_implILb1ES3_N6thrust23THRUST_200600_302600_NS11hip_rocprim26transform_input_iterator_tIlNS8_12zip_iteratorINS8_5tupleINS8_6detail15normal_iteratorINS8_10device_ptrIyEEEESH_NS8_9null_typeESI_SI_SI_SI_SI_SI_SI_EEEENS9_21zip_adj_not_predicateINS8_8equal_toIyEEEEEEPllNS8_4plusIlEEEE10hipError_tPvRmT1_T2_T3_mT4_P12ihipStream_tbEUlT_E0_NS1_11comp_targetILNS1_3genE10ELNS1_11target_archE1200ELNS1_3gpuE4ELNS1_3repE0EEENS1_30default_config_static_selectorELNS0_4arch9wavefront6targetE1EEEvSW_
    .private_segment_fixed_size: 0
    .sgpr_count:     4
    .sgpr_spill_count: 0
    .symbol:         _ZN7rocprim17ROCPRIM_400000_NS6detail17trampoline_kernelINS0_14default_configENS1_22reduce_config_selectorIlEEZNS1_11reduce_implILb1ES3_N6thrust23THRUST_200600_302600_NS11hip_rocprim26transform_input_iterator_tIlNS8_12zip_iteratorINS8_5tupleINS8_6detail15normal_iteratorINS8_10device_ptrIyEEEESH_NS8_9null_typeESI_SI_SI_SI_SI_SI_SI_EEEENS9_21zip_adj_not_predicateINS8_8equal_toIyEEEEEEPllNS8_4plusIlEEEE10hipError_tPvRmT1_T2_T3_mT4_P12ihipStream_tbEUlT_E0_NS1_11comp_targetILNS1_3genE10ELNS1_11target_archE1200ELNS1_3gpuE4ELNS1_3repE0EEENS1_30default_config_static_selectorELNS0_4arch9wavefront6targetE1EEEvSW_.kd
    .uniform_work_group_size: 1
    .uses_dynamic_stack: false
    .vgpr_count:     0
    .vgpr_spill_count: 0
    .wavefront_size: 64
  - .args:
      - .offset:         0
        .size:           80
        .value_kind:     by_value
    .group_segment_fixed_size: 0
    .kernarg_segment_align: 8
    .kernarg_segment_size: 80
    .language:       OpenCL C
    .language_version:
      - 2
      - 0
    .max_flat_workgroup_size: 256
    .name:           _ZN7rocprim17ROCPRIM_400000_NS6detail17trampoline_kernelINS0_14default_configENS1_22reduce_config_selectorIlEEZNS1_11reduce_implILb1ES3_N6thrust23THRUST_200600_302600_NS11hip_rocprim26transform_input_iterator_tIlNS8_12zip_iteratorINS8_5tupleINS8_6detail15normal_iteratorINS8_10device_ptrIyEEEESH_NS8_9null_typeESI_SI_SI_SI_SI_SI_SI_EEEENS9_21zip_adj_not_predicateINS8_8equal_toIyEEEEEEPllNS8_4plusIlEEEE10hipError_tPvRmT1_T2_T3_mT4_P12ihipStream_tbEUlT_E0_NS1_11comp_targetILNS1_3genE9ELNS1_11target_archE1100ELNS1_3gpuE3ELNS1_3repE0EEENS1_30default_config_static_selectorELNS0_4arch9wavefront6targetE1EEEvSW_
    .private_segment_fixed_size: 0
    .sgpr_count:     4
    .sgpr_spill_count: 0
    .symbol:         _ZN7rocprim17ROCPRIM_400000_NS6detail17trampoline_kernelINS0_14default_configENS1_22reduce_config_selectorIlEEZNS1_11reduce_implILb1ES3_N6thrust23THRUST_200600_302600_NS11hip_rocprim26transform_input_iterator_tIlNS8_12zip_iteratorINS8_5tupleINS8_6detail15normal_iteratorINS8_10device_ptrIyEEEESH_NS8_9null_typeESI_SI_SI_SI_SI_SI_SI_EEEENS9_21zip_adj_not_predicateINS8_8equal_toIyEEEEEEPllNS8_4plusIlEEEE10hipError_tPvRmT1_T2_T3_mT4_P12ihipStream_tbEUlT_E0_NS1_11comp_targetILNS1_3genE9ELNS1_11target_archE1100ELNS1_3gpuE3ELNS1_3repE0EEENS1_30default_config_static_selectorELNS0_4arch9wavefront6targetE1EEEvSW_.kd
    .uniform_work_group_size: 1
    .uses_dynamic_stack: false
    .vgpr_count:     0
    .vgpr_spill_count: 0
    .wavefront_size: 64
  - .args:
      - .offset:         0
        .size:           80
        .value_kind:     by_value
    .group_segment_fixed_size: 0
    .kernarg_segment_align: 8
    .kernarg_segment_size: 80
    .language:       OpenCL C
    .language_version:
      - 2
      - 0
    .max_flat_workgroup_size: 256
    .name:           _ZN7rocprim17ROCPRIM_400000_NS6detail17trampoline_kernelINS0_14default_configENS1_22reduce_config_selectorIlEEZNS1_11reduce_implILb1ES3_N6thrust23THRUST_200600_302600_NS11hip_rocprim26transform_input_iterator_tIlNS8_12zip_iteratorINS8_5tupleINS8_6detail15normal_iteratorINS8_10device_ptrIyEEEESH_NS8_9null_typeESI_SI_SI_SI_SI_SI_SI_EEEENS9_21zip_adj_not_predicateINS8_8equal_toIyEEEEEEPllNS8_4plusIlEEEE10hipError_tPvRmT1_T2_T3_mT4_P12ihipStream_tbEUlT_E0_NS1_11comp_targetILNS1_3genE8ELNS1_11target_archE1030ELNS1_3gpuE2ELNS1_3repE0EEENS1_30default_config_static_selectorELNS0_4arch9wavefront6targetE1EEEvSW_
    .private_segment_fixed_size: 0
    .sgpr_count:     4
    .sgpr_spill_count: 0
    .symbol:         _ZN7rocprim17ROCPRIM_400000_NS6detail17trampoline_kernelINS0_14default_configENS1_22reduce_config_selectorIlEEZNS1_11reduce_implILb1ES3_N6thrust23THRUST_200600_302600_NS11hip_rocprim26transform_input_iterator_tIlNS8_12zip_iteratorINS8_5tupleINS8_6detail15normal_iteratorINS8_10device_ptrIyEEEESH_NS8_9null_typeESI_SI_SI_SI_SI_SI_SI_EEEENS9_21zip_adj_not_predicateINS8_8equal_toIyEEEEEEPllNS8_4plusIlEEEE10hipError_tPvRmT1_T2_T3_mT4_P12ihipStream_tbEUlT_E0_NS1_11comp_targetILNS1_3genE8ELNS1_11target_archE1030ELNS1_3gpuE2ELNS1_3repE0EEENS1_30default_config_static_selectorELNS0_4arch9wavefront6targetE1EEEvSW_.kd
    .uniform_work_group_size: 1
    .uses_dynamic_stack: false
    .vgpr_count:     0
    .vgpr_spill_count: 0
    .wavefront_size: 64
  - .args:
      - .offset:         0
        .size:           64
        .value_kind:     by_value
    .group_segment_fixed_size: 0
    .kernarg_segment_align: 8
    .kernarg_segment_size: 64
    .language:       OpenCL C
    .language_version:
      - 2
      - 0
    .max_flat_workgroup_size: 256
    .name:           _ZN7rocprim17ROCPRIM_400000_NS6detail17trampoline_kernelINS0_14default_configENS1_22reduce_config_selectorIlEEZNS1_11reduce_implILb1ES3_N6thrust23THRUST_200600_302600_NS11hip_rocprim26transform_input_iterator_tIlNS8_12zip_iteratorINS8_5tupleINS8_6detail15normal_iteratorINS8_10device_ptrIyEEEESH_NS8_9null_typeESI_SI_SI_SI_SI_SI_SI_EEEENS9_21zip_adj_not_predicateINS8_8equal_toIyEEEEEEPllNS8_4plusIlEEEE10hipError_tPvRmT1_T2_T3_mT4_P12ihipStream_tbEUlT_E1_NS1_11comp_targetILNS1_3genE0ELNS1_11target_archE4294967295ELNS1_3gpuE0ELNS1_3repE0EEENS1_30default_config_static_selectorELNS0_4arch9wavefront6targetE1EEEvSW_
    .private_segment_fixed_size: 0
    .sgpr_count:     4
    .sgpr_spill_count: 0
    .symbol:         _ZN7rocprim17ROCPRIM_400000_NS6detail17trampoline_kernelINS0_14default_configENS1_22reduce_config_selectorIlEEZNS1_11reduce_implILb1ES3_N6thrust23THRUST_200600_302600_NS11hip_rocprim26transform_input_iterator_tIlNS8_12zip_iteratorINS8_5tupleINS8_6detail15normal_iteratorINS8_10device_ptrIyEEEESH_NS8_9null_typeESI_SI_SI_SI_SI_SI_SI_EEEENS9_21zip_adj_not_predicateINS8_8equal_toIyEEEEEEPllNS8_4plusIlEEEE10hipError_tPvRmT1_T2_T3_mT4_P12ihipStream_tbEUlT_E1_NS1_11comp_targetILNS1_3genE0ELNS1_11target_archE4294967295ELNS1_3gpuE0ELNS1_3repE0EEENS1_30default_config_static_selectorELNS0_4arch9wavefront6targetE1EEEvSW_.kd
    .uniform_work_group_size: 1
    .uses_dynamic_stack: false
    .vgpr_count:     0
    .vgpr_spill_count: 0
    .wavefront_size: 64
  - .args:
      - .offset:         0
        .size:           64
        .value_kind:     by_value
    .group_segment_fixed_size: 0
    .kernarg_segment_align: 8
    .kernarg_segment_size: 64
    .language:       OpenCL C
    .language_version:
      - 2
      - 0
    .max_flat_workgroup_size: 256
    .name:           _ZN7rocprim17ROCPRIM_400000_NS6detail17trampoline_kernelINS0_14default_configENS1_22reduce_config_selectorIlEEZNS1_11reduce_implILb1ES3_N6thrust23THRUST_200600_302600_NS11hip_rocprim26transform_input_iterator_tIlNS8_12zip_iteratorINS8_5tupleINS8_6detail15normal_iteratorINS8_10device_ptrIyEEEESH_NS8_9null_typeESI_SI_SI_SI_SI_SI_SI_EEEENS9_21zip_adj_not_predicateINS8_8equal_toIyEEEEEEPllNS8_4plusIlEEEE10hipError_tPvRmT1_T2_T3_mT4_P12ihipStream_tbEUlT_E1_NS1_11comp_targetILNS1_3genE5ELNS1_11target_archE942ELNS1_3gpuE9ELNS1_3repE0EEENS1_30default_config_static_selectorELNS0_4arch9wavefront6targetE1EEEvSW_
    .private_segment_fixed_size: 0
    .sgpr_count:     4
    .sgpr_spill_count: 0
    .symbol:         _ZN7rocprim17ROCPRIM_400000_NS6detail17trampoline_kernelINS0_14default_configENS1_22reduce_config_selectorIlEEZNS1_11reduce_implILb1ES3_N6thrust23THRUST_200600_302600_NS11hip_rocprim26transform_input_iterator_tIlNS8_12zip_iteratorINS8_5tupleINS8_6detail15normal_iteratorINS8_10device_ptrIyEEEESH_NS8_9null_typeESI_SI_SI_SI_SI_SI_SI_EEEENS9_21zip_adj_not_predicateINS8_8equal_toIyEEEEEEPllNS8_4plusIlEEEE10hipError_tPvRmT1_T2_T3_mT4_P12ihipStream_tbEUlT_E1_NS1_11comp_targetILNS1_3genE5ELNS1_11target_archE942ELNS1_3gpuE9ELNS1_3repE0EEENS1_30default_config_static_selectorELNS0_4arch9wavefront6targetE1EEEvSW_.kd
    .uniform_work_group_size: 1
    .uses_dynamic_stack: false
    .vgpr_count:     0
    .vgpr_spill_count: 0
    .wavefront_size: 64
  - .args:
      - .offset:         0
        .size:           64
        .value_kind:     by_value
    .group_segment_fixed_size: 0
    .kernarg_segment_align: 8
    .kernarg_segment_size: 64
    .language:       OpenCL C
    .language_version:
      - 2
      - 0
    .max_flat_workgroup_size: 256
    .name:           _ZN7rocprim17ROCPRIM_400000_NS6detail17trampoline_kernelINS0_14default_configENS1_22reduce_config_selectorIlEEZNS1_11reduce_implILb1ES3_N6thrust23THRUST_200600_302600_NS11hip_rocprim26transform_input_iterator_tIlNS8_12zip_iteratorINS8_5tupleINS8_6detail15normal_iteratorINS8_10device_ptrIyEEEESH_NS8_9null_typeESI_SI_SI_SI_SI_SI_SI_EEEENS9_21zip_adj_not_predicateINS8_8equal_toIyEEEEEEPllNS8_4plusIlEEEE10hipError_tPvRmT1_T2_T3_mT4_P12ihipStream_tbEUlT_E1_NS1_11comp_targetILNS1_3genE4ELNS1_11target_archE910ELNS1_3gpuE8ELNS1_3repE0EEENS1_30default_config_static_selectorELNS0_4arch9wavefront6targetE1EEEvSW_
    .private_segment_fixed_size: 0
    .sgpr_count:     4
    .sgpr_spill_count: 0
    .symbol:         _ZN7rocprim17ROCPRIM_400000_NS6detail17trampoline_kernelINS0_14default_configENS1_22reduce_config_selectorIlEEZNS1_11reduce_implILb1ES3_N6thrust23THRUST_200600_302600_NS11hip_rocprim26transform_input_iterator_tIlNS8_12zip_iteratorINS8_5tupleINS8_6detail15normal_iteratorINS8_10device_ptrIyEEEESH_NS8_9null_typeESI_SI_SI_SI_SI_SI_SI_EEEENS9_21zip_adj_not_predicateINS8_8equal_toIyEEEEEEPllNS8_4plusIlEEEE10hipError_tPvRmT1_T2_T3_mT4_P12ihipStream_tbEUlT_E1_NS1_11comp_targetILNS1_3genE4ELNS1_11target_archE910ELNS1_3gpuE8ELNS1_3repE0EEENS1_30default_config_static_selectorELNS0_4arch9wavefront6targetE1EEEvSW_.kd
    .uniform_work_group_size: 1
    .uses_dynamic_stack: false
    .vgpr_count:     0
    .vgpr_spill_count: 0
    .wavefront_size: 64
  - .args:
      - .offset:         0
        .size:           64
        .value_kind:     by_value
    .group_segment_fixed_size: 0
    .kernarg_segment_align: 8
    .kernarg_segment_size: 64
    .language:       OpenCL C
    .language_version:
      - 2
      - 0
    .max_flat_workgroup_size: 256
    .name:           _ZN7rocprim17ROCPRIM_400000_NS6detail17trampoline_kernelINS0_14default_configENS1_22reduce_config_selectorIlEEZNS1_11reduce_implILb1ES3_N6thrust23THRUST_200600_302600_NS11hip_rocprim26transform_input_iterator_tIlNS8_12zip_iteratorINS8_5tupleINS8_6detail15normal_iteratorINS8_10device_ptrIyEEEESH_NS8_9null_typeESI_SI_SI_SI_SI_SI_SI_EEEENS9_21zip_adj_not_predicateINS8_8equal_toIyEEEEEEPllNS8_4plusIlEEEE10hipError_tPvRmT1_T2_T3_mT4_P12ihipStream_tbEUlT_E1_NS1_11comp_targetILNS1_3genE3ELNS1_11target_archE908ELNS1_3gpuE7ELNS1_3repE0EEENS1_30default_config_static_selectorELNS0_4arch9wavefront6targetE1EEEvSW_
    .private_segment_fixed_size: 0
    .sgpr_count:     4
    .sgpr_spill_count: 0
    .symbol:         _ZN7rocprim17ROCPRIM_400000_NS6detail17trampoline_kernelINS0_14default_configENS1_22reduce_config_selectorIlEEZNS1_11reduce_implILb1ES3_N6thrust23THRUST_200600_302600_NS11hip_rocprim26transform_input_iterator_tIlNS8_12zip_iteratorINS8_5tupleINS8_6detail15normal_iteratorINS8_10device_ptrIyEEEESH_NS8_9null_typeESI_SI_SI_SI_SI_SI_SI_EEEENS9_21zip_adj_not_predicateINS8_8equal_toIyEEEEEEPllNS8_4plusIlEEEE10hipError_tPvRmT1_T2_T3_mT4_P12ihipStream_tbEUlT_E1_NS1_11comp_targetILNS1_3genE3ELNS1_11target_archE908ELNS1_3gpuE7ELNS1_3repE0EEENS1_30default_config_static_selectorELNS0_4arch9wavefront6targetE1EEEvSW_.kd
    .uniform_work_group_size: 1
    .uses_dynamic_stack: false
    .vgpr_count:     0
    .vgpr_spill_count: 0
    .wavefront_size: 64
  - .args:
      - .offset:         0
        .size:           64
        .value_kind:     by_value
    .group_segment_fixed_size: 192
    .kernarg_segment_align: 8
    .kernarg_segment_size: 64
    .language:       OpenCL C
    .language_version:
      - 2
      - 0
    .max_flat_workgroup_size: 256
    .name:           _ZN7rocprim17ROCPRIM_400000_NS6detail17trampoline_kernelINS0_14default_configENS1_22reduce_config_selectorIlEEZNS1_11reduce_implILb1ES3_N6thrust23THRUST_200600_302600_NS11hip_rocprim26transform_input_iterator_tIlNS8_12zip_iteratorINS8_5tupleINS8_6detail15normal_iteratorINS8_10device_ptrIyEEEESH_NS8_9null_typeESI_SI_SI_SI_SI_SI_SI_EEEENS9_21zip_adj_not_predicateINS8_8equal_toIyEEEEEEPllNS8_4plusIlEEEE10hipError_tPvRmT1_T2_T3_mT4_P12ihipStream_tbEUlT_E1_NS1_11comp_targetILNS1_3genE2ELNS1_11target_archE906ELNS1_3gpuE6ELNS1_3repE0EEENS1_30default_config_static_selectorELNS0_4arch9wavefront6targetE1EEEvSW_
    .private_segment_fixed_size: 0
    .sgpr_count:     42
    .sgpr_spill_count: 0
    .symbol:         _ZN7rocprim17ROCPRIM_400000_NS6detail17trampoline_kernelINS0_14default_configENS1_22reduce_config_selectorIlEEZNS1_11reduce_implILb1ES3_N6thrust23THRUST_200600_302600_NS11hip_rocprim26transform_input_iterator_tIlNS8_12zip_iteratorINS8_5tupleINS8_6detail15normal_iteratorINS8_10device_ptrIyEEEESH_NS8_9null_typeESI_SI_SI_SI_SI_SI_SI_EEEENS9_21zip_adj_not_predicateINS8_8equal_toIyEEEEEEPllNS8_4plusIlEEEE10hipError_tPvRmT1_T2_T3_mT4_P12ihipStream_tbEUlT_E1_NS1_11comp_targetILNS1_3genE2ELNS1_11target_archE906ELNS1_3gpuE6ELNS1_3repE0EEENS1_30default_config_static_selectorELNS0_4arch9wavefront6targetE1EEEvSW_.kd
    .uniform_work_group_size: 1
    .uses_dynamic_stack: false
    .vgpr_count:     36
    .vgpr_spill_count: 0
    .wavefront_size: 64
  - .args:
      - .offset:         0
        .size:           64
        .value_kind:     by_value
    .group_segment_fixed_size: 0
    .kernarg_segment_align: 8
    .kernarg_segment_size: 64
    .language:       OpenCL C
    .language_version:
      - 2
      - 0
    .max_flat_workgroup_size: 256
    .name:           _ZN7rocprim17ROCPRIM_400000_NS6detail17trampoline_kernelINS0_14default_configENS1_22reduce_config_selectorIlEEZNS1_11reduce_implILb1ES3_N6thrust23THRUST_200600_302600_NS11hip_rocprim26transform_input_iterator_tIlNS8_12zip_iteratorINS8_5tupleINS8_6detail15normal_iteratorINS8_10device_ptrIyEEEESH_NS8_9null_typeESI_SI_SI_SI_SI_SI_SI_EEEENS9_21zip_adj_not_predicateINS8_8equal_toIyEEEEEEPllNS8_4plusIlEEEE10hipError_tPvRmT1_T2_T3_mT4_P12ihipStream_tbEUlT_E1_NS1_11comp_targetILNS1_3genE10ELNS1_11target_archE1201ELNS1_3gpuE5ELNS1_3repE0EEENS1_30default_config_static_selectorELNS0_4arch9wavefront6targetE1EEEvSW_
    .private_segment_fixed_size: 0
    .sgpr_count:     4
    .sgpr_spill_count: 0
    .symbol:         _ZN7rocprim17ROCPRIM_400000_NS6detail17trampoline_kernelINS0_14default_configENS1_22reduce_config_selectorIlEEZNS1_11reduce_implILb1ES3_N6thrust23THRUST_200600_302600_NS11hip_rocprim26transform_input_iterator_tIlNS8_12zip_iteratorINS8_5tupleINS8_6detail15normal_iteratorINS8_10device_ptrIyEEEESH_NS8_9null_typeESI_SI_SI_SI_SI_SI_SI_EEEENS9_21zip_adj_not_predicateINS8_8equal_toIyEEEEEEPllNS8_4plusIlEEEE10hipError_tPvRmT1_T2_T3_mT4_P12ihipStream_tbEUlT_E1_NS1_11comp_targetILNS1_3genE10ELNS1_11target_archE1201ELNS1_3gpuE5ELNS1_3repE0EEENS1_30default_config_static_selectorELNS0_4arch9wavefront6targetE1EEEvSW_.kd
    .uniform_work_group_size: 1
    .uses_dynamic_stack: false
    .vgpr_count:     0
    .vgpr_spill_count: 0
    .wavefront_size: 64
  - .args:
      - .offset:         0
        .size:           64
        .value_kind:     by_value
    .group_segment_fixed_size: 0
    .kernarg_segment_align: 8
    .kernarg_segment_size: 64
    .language:       OpenCL C
    .language_version:
      - 2
      - 0
    .max_flat_workgroup_size: 256
    .name:           _ZN7rocprim17ROCPRIM_400000_NS6detail17trampoline_kernelINS0_14default_configENS1_22reduce_config_selectorIlEEZNS1_11reduce_implILb1ES3_N6thrust23THRUST_200600_302600_NS11hip_rocprim26transform_input_iterator_tIlNS8_12zip_iteratorINS8_5tupleINS8_6detail15normal_iteratorINS8_10device_ptrIyEEEESH_NS8_9null_typeESI_SI_SI_SI_SI_SI_SI_EEEENS9_21zip_adj_not_predicateINS8_8equal_toIyEEEEEEPllNS8_4plusIlEEEE10hipError_tPvRmT1_T2_T3_mT4_P12ihipStream_tbEUlT_E1_NS1_11comp_targetILNS1_3genE10ELNS1_11target_archE1200ELNS1_3gpuE4ELNS1_3repE0EEENS1_30default_config_static_selectorELNS0_4arch9wavefront6targetE1EEEvSW_
    .private_segment_fixed_size: 0
    .sgpr_count:     4
    .sgpr_spill_count: 0
    .symbol:         _ZN7rocprim17ROCPRIM_400000_NS6detail17trampoline_kernelINS0_14default_configENS1_22reduce_config_selectorIlEEZNS1_11reduce_implILb1ES3_N6thrust23THRUST_200600_302600_NS11hip_rocprim26transform_input_iterator_tIlNS8_12zip_iteratorINS8_5tupleINS8_6detail15normal_iteratorINS8_10device_ptrIyEEEESH_NS8_9null_typeESI_SI_SI_SI_SI_SI_SI_EEEENS9_21zip_adj_not_predicateINS8_8equal_toIyEEEEEEPllNS8_4plusIlEEEE10hipError_tPvRmT1_T2_T3_mT4_P12ihipStream_tbEUlT_E1_NS1_11comp_targetILNS1_3genE10ELNS1_11target_archE1200ELNS1_3gpuE4ELNS1_3repE0EEENS1_30default_config_static_selectorELNS0_4arch9wavefront6targetE1EEEvSW_.kd
    .uniform_work_group_size: 1
    .uses_dynamic_stack: false
    .vgpr_count:     0
    .vgpr_spill_count: 0
    .wavefront_size: 64
  - .args:
      - .offset:         0
        .size:           64
        .value_kind:     by_value
    .group_segment_fixed_size: 0
    .kernarg_segment_align: 8
    .kernarg_segment_size: 64
    .language:       OpenCL C
    .language_version:
      - 2
      - 0
    .max_flat_workgroup_size: 256
    .name:           _ZN7rocprim17ROCPRIM_400000_NS6detail17trampoline_kernelINS0_14default_configENS1_22reduce_config_selectorIlEEZNS1_11reduce_implILb1ES3_N6thrust23THRUST_200600_302600_NS11hip_rocprim26transform_input_iterator_tIlNS8_12zip_iteratorINS8_5tupleINS8_6detail15normal_iteratorINS8_10device_ptrIyEEEESH_NS8_9null_typeESI_SI_SI_SI_SI_SI_SI_EEEENS9_21zip_adj_not_predicateINS8_8equal_toIyEEEEEEPllNS8_4plusIlEEEE10hipError_tPvRmT1_T2_T3_mT4_P12ihipStream_tbEUlT_E1_NS1_11comp_targetILNS1_3genE9ELNS1_11target_archE1100ELNS1_3gpuE3ELNS1_3repE0EEENS1_30default_config_static_selectorELNS0_4arch9wavefront6targetE1EEEvSW_
    .private_segment_fixed_size: 0
    .sgpr_count:     4
    .sgpr_spill_count: 0
    .symbol:         _ZN7rocprim17ROCPRIM_400000_NS6detail17trampoline_kernelINS0_14default_configENS1_22reduce_config_selectorIlEEZNS1_11reduce_implILb1ES3_N6thrust23THRUST_200600_302600_NS11hip_rocprim26transform_input_iterator_tIlNS8_12zip_iteratorINS8_5tupleINS8_6detail15normal_iteratorINS8_10device_ptrIyEEEESH_NS8_9null_typeESI_SI_SI_SI_SI_SI_SI_EEEENS9_21zip_adj_not_predicateINS8_8equal_toIyEEEEEEPllNS8_4plusIlEEEE10hipError_tPvRmT1_T2_T3_mT4_P12ihipStream_tbEUlT_E1_NS1_11comp_targetILNS1_3genE9ELNS1_11target_archE1100ELNS1_3gpuE3ELNS1_3repE0EEENS1_30default_config_static_selectorELNS0_4arch9wavefront6targetE1EEEvSW_.kd
    .uniform_work_group_size: 1
    .uses_dynamic_stack: false
    .vgpr_count:     0
    .vgpr_spill_count: 0
    .wavefront_size: 64
  - .args:
      - .offset:         0
        .size:           64
        .value_kind:     by_value
    .group_segment_fixed_size: 0
    .kernarg_segment_align: 8
    .kernarg_segment_size: 64
    .language:       OpenCL C
    .language_version:
      - 2
      - 0
    .max_flat_workgroup_size: 256
    .name:           _ZN7rocprim17ROCPRIM_400000_NS6detail17trampoline_kernelINS0_14default_configENS1_22reduce_config_selectorIlEEZNS1_11reduce_implILb1ES3_N6thrust23THRUST_200600_302600_NS11hip_rocprim26transform_input_iterator_tIlNS8_12zip_iteratorINS8_5tupleINS8_6detail15normal_iteratorINS8_10device_ptrIyEEEESH_NS8_9null_typeESI_SI_SI_SI_SI_SI_SI_EEEENS9_21zip_adj_not_predicateINS8_8equal_toIyEEEEEEPllNS8_4plusIlEEEE10hipError_tPvRmT1_T2_T3_mT4_P12ihipStream_tbEUlT_E1_NS1_11comp_targetILNS1_3genE8ELNS1_11target_archE1030ELNS1_3gpuE2ELNS1_3repE0EEENS1_30default_config_static_selectorELNS0_4arch9wavefront6targetE1EEEvSW_
    .private_segment_fixed_size: 0
    .sgpr_count:     4
    .sgpr_spill_count: 0
    .symbol:         _ZN7rocprim17ROCPRIM_400000_NS6detail17trampoline_kernelINS0_14default_configENS1_22reduce_config_selectorIlEEZNS1_11reduce_implILb1ES3_N6thrust23THRUST_200600_302600_NS11hip_rocprim26transform_input_iterator_tIlNS8_12zip_iteratorINS8_5tupleINS8_6detail15normal_iteratorINS8_10device_ptrIyEEEESH_NS8_9null_typeESI_SI_SI_SI_SI_SI_SI_EEEENS9_21zip_adj_not_predicateINS8_8equal_toIyEEEEEEPllNS8_4plusIlEEEE10hipError_tPvRmT1_T2_T3_mT4_P12ihipStream_tbEUlT_E1_NS1_11comp_targetILNS1_3genE8ELNS1_11target_archE1030ELNS1_3gpuE2ELNS1_3repE0EEENS1_30default_config_static_selectorELNS0_4arch9wavefront6targetE1EEEvSW_.kd
    .uniform_work_group_size: 1
    .uses_dynamic_stack: false
    .vgpr_count:     0
    .vgpr_spill_count: 0
    .wavefront_size: 64
  - .args:
      - .offset:         0
        .size:           80
        .value_kind:     by_value
    .group_segment_fixed_size: 0
    .kernarg_segment_align: 8
    .kernarg_segment_size: 80
    .language:       OpenCL C
    .language_version:
      - 2
      - 0
    .max_flat_workgroup_size: 256
    .name:           _ZN7rocprim17ROCPRIM_400000_NS6detail17trampoline_kernelINS0_14default_configENS1_22reduce_config_selectorIlEEZNS1_11reduce_implILb1ES3_N6thrust23THRUST_200600_302600_NS11hip_rocprim26transform_input_iterator_tIlNS8_12zip_iteratorINS8_5tupleINS8_6detail15normal_iteratorINS8_10device_ptrIyEEEESH_NS8_9null_typeESI_SI_SI_SI_SI_SI_SI_EEEENS9_21zip_adj_not_predicateI22is_equal_div_10_uniqueIyEEEEEPllNS8_4plusIlEEEE10hipError_tPvRmT1_T2_T3_mT4_P12ihipStream_tbEUlT_E0_NS1_11comp_targetILNS1_3genE0ELNS1_11target_archE4294967295ELNS1_3gpuE0ELNS1_3repE0EEENS1_30default_config_static_selectorELNS0_4arch9wavefront6targetE1EEEvSW_
    .private_segment_fixed_size: 0
    .sgpr_count:     4
    .sgpr_spill_count: 0
    .symbol:         _ZN7rocprim17ROCPRIM_400000_NS6detail17trampoline_kernelINS0_14default_configENS1_22reduce_config_selectorIlEEZNS1_11reduce_implILb1ES3_N6thrust23THRUST_200600_302600_NS11hip_rocprim26transform_input_iterator_tIlNS8_12zip_iteratorINS8_5tupleINS8_6detail15normal_iteratorINS8_10device_ptrIyEEEESH_NS8_9null_typeESI_SI_SI_SI_SI_SI_SI_EEEENS9_21zip_adj_not_predicateI22is_equal_div_10_uniqueIyEEEEEPllNS8_4plusIlEEEE10hipError_tPvRmT1_T2_T3_mT4_P12ihipStream_tbEUlT_E0_NS1_11comp_targetILNS1_3genE0ELNS1_11target_archE4294967295ELNS1_3gpuE0ELNS1_3repE0EEENS1_30default_config_static_selectorELNS0_4arch9wavefront6targetE1EEEvSW_.kd
    .uniform_work_group_size: 1
    .uses_dynamic_stack: false
    .vgpr_count:     0
    .vgpr_spill_count: 0
    .wavefront_size: 64
  - .args:
      - .offset:         0
        .size:           80
        .value_kind:     by_value
    .group_segment_fixed_size: 0
    .kernarg_segment_align: 8
    .kernarg_segment_size: 80
    .language:       OpenCL C
    .language_version:
      - 2
      - 0
    .max_flat_workgroup_size: 256
    .name:           _ZN7rocprim17ROCPRIM_400000_NS6detail17trampoline_kernelINS0_14default_configENS1_22reduce_config_selectorIlEEZNS1_11reduce_implILb1ES3_N6thrust23THRUST_200600_302600_NS11hip_rocprim26transform_input_iterator_tIlNS8_12zip_iteratorINS8_5tupleINS8_6detail15normal_iteratorINS8_10device_ptrIyEEEESH_NS8_9null_typeESI_SI_SI_SI_SI_SI_SI_EEEENS9_21zip_adj_not_predicateI22is_equal_div_10_uniqueIyEEEEEPllNS8_4plusIlEEEE10hipError_tPvRmT1_T2_T3_mT4_P12ihipStream_tbEUlT_E0_NS1_11comp_targetILNS1_3genE5ELNS1_11target_archE942ELNS1_3gpuE9ELNS1_3repE0EEENS1_30default_config_static_selectorELNS0_4arch9wavefront6targetE1EEEvSW_
    .private_segment_fixed_size: 0
    .sgpr_count:     4
    .sgpr_spill_count: 0
    .symbol:         _ZN7rocprim17ROCPRIM_400000_NS6detail17trampoline_kernelINS0_14default_configENS1_22reduce_config_selectorIlEEZNS1_11reduce_implILb1ES3_N6thrust23THRUST_200600_302600_NS11hip_rocprim26transform_input_iterator_tIlNS8_12zip_iteratorINS8_5tupleINS8_6detail15normal_iteratorINS8_10device_ptrIyEEEESH_NS8_9null_typeESI_SI_SI_SI_SI_SI_SI_EEEENS9_21zip_adj_not_predicateI22is_equal_div_10_uniqueIyEEEEEPllNS8_4plusIlEEEE10hipError_tPvRmT1_T2_T3_mT4_P12ihipStream_tbEUlT_E0_NS1_11comp_targetILNS1_3genE5ELNS1_11target_archE942ELNS1_3gpuE9ELNS1_3repE0EEENS1_30default_config_static_selectorELNS0_4arch9wavefront6targetE1EEEvSW_.kd
    .uniform_work_group_size: 1
    .uses_dynamic_stack: false
    .vgpr_count:     0
    .vgpr_spill_count: 0
    .wavefront_size: 64
  - .args:
      - .offset:         0
        .size:           80
        .value_kind:     by_value
    .group_segment_fixed_size: 0
    .kernarg_segment_align: 8
    .kernarg_segment_size: 80
    .language:       OpenCL C
    .language_version:
      - 2
      - 0
    .max_flat_workgroup_size: 256
    .name:           _ZN7rocprim17ROCPRIM_400000_NS6detail17trampoline_kernelINS0_14default_configENS1_22reduce_config_selectorIlEEZNS1_11reduce_implILb1ES3_N6thrust23THRUST_200600_302600_NS11hip_rocprim26transform_input_iterator_tIlNS8_12zip_iteratorINS8_5tupleINS8_6detail15normal_iteratorINS8_10device_ptrIyEEEESH_NS8_9null_typeESI_SI_SI_SI_SI_SI_SI_EEEENS9_21zip_adj_not_predicateI22is_equal_div_10_uniqueIyEEEEEPllNS8_4plusIlEEEE10hipError_tPvRmT1_T2_T3_mT4_P12ihipStream_tbEUlT_E0_NS1_11comp_targetILNS1_3genE4ELNS1_11target_archE910ELNS1_3gpuE8ELNS1_3repE0EEENS1_30default_config_static_selectorELNS0_4arch9wavefront6targetE1EEEvSW_
    .private_segment_fixed_size: 0
    .sgpr_count:     4
    .sgpr_spill_count: 0
    .symbol:         _ZN7rocprim17ROCPRIM_400000_NS6detail17trampoline_kernelINS0_14default_configENS1_22reduce_config_selectorIlEEZNS1_11reduce_implILb1ES3_N6thrust23THRUST_200600_302600_NS11hip_rocprim26transform_input_iterator_tIlNS8_12zip_iteratorINS8_5tupleINS8_6detail15normal_iteratorINS8_10device_ptrIyEEEESH_NS8_9null_typeESI_SI_SI_SI_SI_SI_SI_EEEENS9_21zip_adj_not_predicateI22is_equal_div_10_uniqueIyEEEEEPllNS8_4plusIlEEEE10hipError_tPvRmT1_T2_T3_mT4_P12ihipStream_tbEUlT_E0_NS1_11comp_targetILNS1_3genE4ELNS1_11target_archE910ELNS1_3gpuE8ELNS1_3repE0EEENS1_30default_config_static_selectorELNS0_4arch9wavefront6targetE1EEEvSW_.kd
    .uniform_work_group_size: 1
    .uses_dynamic_stack: false
    .vgpr_count:     0
    .vgpr_spill_count: 0
    .wavefront_size: 64
  - .args:
      - .offset:         0
        .size:           80
        .value_kind:     by_value
    .group_segment_fixed_size: 0
    .kernarg_segment_align: 8
    .kernarg_segment_size: 80
    .language:       OpenCL C
    .language_version:
      - 2
      - 0
    .max_flat_workgroup_size: 256
    .name:           _ZN7rocprim17ROCPRIM_400000_NS6detail17trampoline_kernelINS0_14default_configENS1_22reduce_config_selectorIlEEZNS1_11reduce_implILb1ES3_N6thrust23THRUST_200600_302600_NS11hip_rocprim26transform_input_iterator_tIlNS8_12zip_iteratorINS8_5tupleINS8_6detail15normal_iteratorINS8_10device_ptrIyEEEESH_NS8_9null_typeESI_SI_SI_SI_SI_SI_SI_EEEENS9_21zip_adj_not_predicateI22is_equal_div_10_uniqueIyEEEEEPllNS8_4plusIlEEEE10hipError_tPvRmT1_T2_T3_mT4_P12ihipStream_tbEUlT_E0_NS1_11comp_targetILNS1_3genE3ELNS1_11target_archE908ELNS1_3gpuE7ELNS1_3repE0EEENS1_30default_config_static_selectorELNS0_4arch9wavefront6targetE1EEEvSW_
    .private_segment_fixed_size: 0
    .sgpr_count:     4
    .sgpr_spill_count: 0
    .symbol:         _ZN7rocprim17ROCPRIM_400000_NS6detail17trampoline_kernelINS0_14default_configENS1_22reduce_config_selectorIlEEZNS1_11reduce_implILb1ES3_N6thrust23THRUST_200600_302600_NS11hip_rocprim26transform_input_iterator_tIlNS8_12zip_iteratorINS8_5tupleINS8_6detail15normal_iteratorINS8_10device_ptrIyEEEESH_NS8_9null_typeESI_SI_SI_SI_SI_SI_SI_EEEENS9_21zip_adj_not_predicateI22is_equal_div_10_uniqueIyEEEEEPllNS8_4plusIlEEEE10hipError_tPvRmT1_T2_T3_mT4_P12ihipStream_tbEUlT_E0_NS1_11comp_targetILNS1_3genE3ELNS1_11target_archE908ELNS1_3gpuE7ELNS1_3repE0EEENS1_30default_config_static_selectorELNS0_4arch9wavefront6targetE1EEEvSW_.kd
    .uniform_work_group_size: 1
    .uses_dynamic_stack: false
    .vgpr_count:     0
    .vgpr_spill_count: 0
    .wavefront_size: 64
  - .args:
      - .offset:         0
        .size:           80
        .value_kind:     by_value
    .group_segment_fixed_size: 64
    .kernarg_segment_align: 8
    .kernarg_segment_size: 80
    .language:       OpenCL C
    .language_version:
      - 2
      - 0
    .max_flat_workgroup_size: 256
    .name:           _ZN7rocprim17ROCPRIM_400000_NS6detail17trampoline_kernelINS0_14default_configENS1_22reduce_config_selectorIlEEZNS1_11reduce_implILb1ES3_N6thrust23THRUST_200600_302600_NS11hip_rocprim26transform_input_iterator_tIlNS8_12zip_iteratorINS8_5tupleINS8_6detail15normal_iteratorINS8_10device_ptrIyEEEESH_NS8_9null_typeESI_SI_SI_SI_SI_SI_SI_EEEENS9_21zip_adj_not_predicateI22is_equal_div_10_uniqueIyEEEEEPllNS8_4plusIlEEEE10hipError_tPvRmT1_T2_T3_mT4_P12ihipStream_tbEUlT_E0_NS1_11comp_targetILNS1_3genE2ELNS1_11target_archE906ELNS1_3gpuE6ELNS1_3repE0EEENS1_30default_config_static_selectorELNS0_4arch9wavefront6targetE1EEEvSW_
    .private_segment_fixed_size: 0
    .sgpr_count:     26
    .sgpr_spill_count: 0
    .symbol:         _ZN7rocprim17ROCPRIM_400000_NS6detail17trampoline_kernelINS0_14default_configENS1_22reduce_config_selectorIlEEZNS1_11reduce_implILb1ES3_N6thrust23THRUST_200600_302600_NS11hip_rocprim26transform_input_iterator_tIlNS8_12zip_iteratorINS8_5tupleINS8_6detail15normal_iteratorINS8_10device_ptrIyEEEESH_NS8_9null_typeESI_SI_SI_SI_SI_SI_SI_EEEENS9_21zip_adj_not_predicateI22is_equal_div_10_uniqueIyEEEEEPllNS8_4plusIlEEEE10hipError_tPvRmT1_T2_T3_mT4_P12ihipStream_tbEUlT_E0_NS1_11comp_targetILNS1_3genE2ELNS1_11target_archE906ELNS1_3gpuE6ELNS1_3repE0EEENS1_30default_config_static_selectorELNS0_4arch9wavefront6targetE1EEEvSW_.kd
    .uniform_work_group_size: 1
    .uses_dynamic_stack: false
    .vgpr_count:     15
    .vgpr_spill_count: 0
    .wavefront_size: 64
  - .args:
      - .offset:         0
        .size:           80
        .value_kind:     by_value
    .group_segment_fixed_size: 0
    .kernarg_segment_align: 8
    .kernarg_segment_size: 80
    .language:       OpenCL C
    .language_version:
      - 2
      - 0
    .max_flat_workgroup_size: 256
    .name:           _ZN7rocprim17ROCPRIM_400000_NS6detail17trampoline_kernelINS0_14default_configENS1_22reduce_config_selectorIlEEZNS1_11reduce_implILb1ES3_N6thrust23THRUST_200600_302600_NS11hip_rocprim26transform_input_iterator_tIlNS8_12zip_iteratorINS8_5tupleINS8_6detail15normal_iteratorINS8_10device_ptrIyEEEESH_NS8_9null_typeESI_SI_SI_SI_SI_SI_SI_EEEENS9_21zip_adj_not_predicateI22is_equal_div_10_uniqueIyEEEEEPllNS8_4plusIlEEEE10hipError_tPvRmT1_T2_T3_mT4_P12ihipStream_tbEUlT_E0_NS1_11comp_targetILNS1_3genE10ELNS1_11target_archE1201ELNS1_3gpuE5ELNS1_3repE0EEENS1_30default_config_static_selectorELNS0_4arch9wavefront6targetE1EEEvSW_
    .private_segment_fixed_size: 0
    .sgpr_count:     4
    .sgpr_spill_count: 0
    .symbol:         _ZN7rocprim17ROCPRIM_400000_NS6detail17trampoline_kernelINS0_14default_configENS1_22reduce_config_selectorIlEEZNS1_11reduce_implILb1ES3_N6thrust23THRUST_200600_302600_NS11hip_rocprim26transform_input_iterator_tIlNS8_12zip_iteratorINS8_5tupleINS8_6detail15normal_iteratorINS8_10device_ptrIyEEEESH_NS8_9null_typeESI_SI_SI_SI_SI_SI_SI_EEEENS9_21zip_adj_not_predicateI22is_equal_div_10_uniqueIyEEEEEPllNS8_4plusIlEEEE10hipError_tPvRmT1_T2_T3_mT4_P12ihipStream_tbEUlT_E0_NS1_11comp_targetILNS1_3genE10ELNS1_11target_archE1201ELNS1_3gpuE5ELNS1_3repE0EEENS1_30default_config_static_selectorELNS0_4arch9wavefront6targetE1EEEvSW_.kd
    .uniform_work_group_size: 1
    .uses_dynamic_stack: false
    .vgpr_count:     0
    .vgpr_spill_count: 0
    .wavefront_size: 64
  - .args:
      - .offset:         0
        .size:           80
        .value_kind:     by_value
    .group_segment_fixed_size: 0
    .kernarg_segment_align: 8
    .kernarg_segment_size: 80
    .language:       OpenCL C
    .language_version:
      - 2
      - 0
    .max_flat_workgroup_size: 256
    .name:           _ZN7rocprim17ROCPRIM_400000_NS6detail17trampoline_kernelINS0_14default_configENS1_22reduce_config_selectorIlEEZNS1_11reduce_implILb1ES3_N6thrust23THRUST_200600_302600_NS11hip_rocprim26transform_input_iterator_tIlNS8_12zip_iteratorINS8_5tupleINS8_6detail15normal_iteratorINS8_10device_ptrIyEEEESH_NS8_9null_typeESI_SI_SI_SI_SI_SI_SI_EEEENS9_21zip_adj_not_predicateI22is_equal_div_10_uniqueIyEEEEEPllNS8_4plusIlEEEE10hipError_tPvRmT1_T2_T3_mT4_P12ihipStream_tbEUlT_E0_NS1_11comp_targetILNS1_3genE10ELNS1_11target_archE1200ELNS1_3gpuE4ELNS1_3repE0EEENS1_30default_config_static_selectorELNS0_4arch9wavefront6targetE1EEEvSW_
    .private_segment_fixed_size: 0
    .sgpr_count:     4
    .sgpr_spill_count: 0
    .symbol:         _ZN7rocprim17ROCPRIM_400000_NS6detail17trampoline_kernelINS0_14default_configENS1_22reduce_config_selectorIlEEZNS1_11reduce_implILb1ES3_N6thrust23THRUST_200600_302600_NS11hip_rocprim26transform_input_iterator_tIlNS8_12zip_iteratorINS8_5tupleINS8_6detail15normal_iteratorINS8_10device_ptrIyEEEESH_NS8_9null_typeESI_SI_SI_SI_SI_SI_SI_EEEENS9_21zip_adj_not_predicateI22is_equal_div_10_uniqueIyEEEEEPllNS8_4plusIlEEEE10hipError_tPvRmT1_T2_T3_mT4_P12ihipStream_tbEUlT_E0_NS1_11comp_targetILNS1_3genE10ELNS1_11target_archE1200ELNS1_3gpuE4ELNS1_3repE0EEENS1_30default_config_static_selectorELNS0_4arch9wavefront6targetE1EEEvSW_.kd
    .uniform_work_group_size: 1
    .uses_dynamic_stack: false
    .vgpr_count:     0
    .vgpr_spill_count: 0
    .wavefront_size: 64
  - .args:
      - .offset:         0
        .size:           80
        .value_kind:     by_value
    .group_segment_fixed_size: 0
    .kernarg_segment_align: 8
    .kernarg_segment_size: 80
    .language:       OpenCL C
    .language_version:
      - 2
      - 0
    .max_flat_workgroup_size: 256
    .name:           _ZN7rocprim17ROCPRIM_400000_NS6detail17trampoline_kernelINS0_14default_configENS1_22reduce_config_selectorIlEEZNS1_11reduce_implILb1ES3_N6thrust23THRUST_200600_302600_NS11hip_rocprim26transform_input_iterator_tIlNS8_12zip_iteratorINS8_5tupleINS8_6detail15normal_iteratorINS8_10device_ptrIyEEEESH_NS8_9null_typeESI_SI_SI_SI_SI_SI_SI_EEEENS9_21zip_adj_not_predicateI22is_equal_div_10_uniqueIyEEEEEPllNS8_4plusIlEEEE10hipError_tPvRmT1_T2_T3_mT4_P12ihipStream_tbEUlT_E0_NS1_11comp_targetILNS1_3genE9ELNS1_11target_archE1100ELNS1_3gpuE3ELNS1_3repE0EEENS1_30default_config_static_selectorELNS0_4arch9wavefront6targetE1EEEvSW_
    .private_segment_fixed_size: 0
    .sgpr_count:     4
    .sgpr_spill_count: 0
    .symbol:         _ZN7rocprim17ROCPRIM_400000_NS6detail17trampoline_kernelINS0_14default_configENS1_22reduce_config_selectorIlEEZNS1_11reduce_implILb1ES3_N6thrust23THRUST_200600_302600_NS11hip_rocprim26transform_input_iterator_tIlNS8_12zip_iteratorINS8_5tupleINS8_6detail15normal_iteratorINS8_10device_ptrIyEEEESH_NS8_9null_typeESI_SI_SI_SI_SI_SI_SI_EEEENS9_21zip_adj_not_predicateI22is_equal_div_10_uniqueIyEEEEEPllNS8_4plusIlEEEE10hipError_tPvRmT1_T2_T3_mT4_P12ihipStream_tbEUlT_E0_NS1_11comp_targetILNS1_3genE9ELNS1_11target_archE1100ELNS1_3gpuE3ELNS1_3repE0EEENS1_30default_config_static_selectorELNS0_4arch9wavefront6targetE1EEEvSW_.kd
    .uniform_work_group_size: 1
    .uses_dynamic_stack: false
    .vgpr_count:     0
    .vgpr_spill_count: 0
    .wavefront_size: 64
  - .args:
      - .offset:         0
        .size:           80
        .value_kind:     by_value
    .group_segment_fixed_size: 0
    .kernarg_segment_align: 8
    .kernarg_segment_size: 80
    .language:       OpenCL C
    .language_version:
      - 2
      - 0
    .max_flat_workgroup_size: 256
    .name:           _ZN7rocprim17ROCPRIM_400000_NS6detail17trampoline_kernelINS0_14default_configENS1_22reduce_config_selectorIlEEZNS1_11reduce_implILb1ES3_N6thrust23THRUST_200600_302600_NS11hip_rocprim26transform_input_iterator_tIlNS8_12zip_iteratorINS8_5tupleINS8_6detail15normal_iteratorINS8_10device_ptrIyEEEESH_NS8_9null_typeESI_SI_SI_SI_SI_SI_SI_EEEENS9_21zip_adj_not_predicateI22is_equal_div_10_uniqueIyEEEEEPllNS8_4plusIlEEEE10hipError_tPvRmT1_T2_T3_mT4_P12ihipStream_tbEUlT_E0_NS1_11comp_targetILNS1_3genE8ELNS1_11target_archE1030ELNS1_3gpuE2ELNS1_3repE0EEENS1_30default_config_static_selectorELNS0_4arch9wavefront6targetE1EEEvSW_
    .private_segment_fixed_size: 0
    .sgpr_count:     4
    .sgpr_spill_count: 0
    .symbol:         _ZN7rocprim17ROCPRIM_400000_NS6detail17trampoline_kernelINS0_14default_configENS1_22reduce_config_selectorIlEEZNS1_11reduce_implILb1ES3_N6thrust23THRUST_200600_302600_NS11hip_rocprim26transform_input_iterator_tIlNS8_12zip_iteratorINS8_5tupleINS8_6detail15normal_iteratorINS8_10device_ptrIyEEEESH_NS8_9null_typeESI_SI_SI_SI_SI_SI_SI_EEEENS9_21zip_adj_not_predicateI22is_equal_div_10_uniqueIyEEEEEPllNS8_4plusIlEEEE10hipError_tPvRmT1_T2_T3_mT4_P12ihipStream_tbEUlT_E0_NS1_11comp_targetILNS1_3genE8ELNS1_11target_archE1030ELNS1_3gpuE2ELNS1_3repE0EEENS1_30default_config_static_selectorELNS0_4arch9wavefront6targetE1EEEvSW_.kd
    .uniform_work_group_size: 1
    .uses_dynamic_stack: false
    .vgpr_count:     0
    .vgpr_spill_count: 0
    .wavefront_size: 64
  - .args:
      - .offset:         0
        .size:           64
        .value_kind:     by_value
    .group_segment_fixed_size: 0
    .kernarg_segment_align: 8
    .kernarg_segment_size: 64
    .language:       OpenCL C
    .language_version:
      - 2
      - 0
    .max_flat_workgroup_size: 256
    .name:           _ZN7rocprim17ROCPRIM_400000_NS6detail17trampoline_kernelINS0_14default_configENS1_22reduce_config_selectorIlEEZNS1_11reduce_implILb1ES3_N6thrust23THRUST_200600_302600_NS11hip_rocprim26transform_input_iterator_tIlNS8_12zip_iteratorINS8_5tupleINS8_6detail15normal_iteratorINS8_10device_ptrIyEEEESH_NS8_9null_typeESI_SI_SI_SI_SI_SI_SI_EEEENS9_21zip_adj_not_predicateI22is_equal_div_10_uniqueIyEEEEEPllNS8_4plusIlEEEE10hipError_tPvRmT1_T2_T3_mT4_P12ihipStream_tbEUlT_E1_NS1_11comp_targetILNS1_3genE0ELNS1_11target_archE4294967295ELNS1_3gpuE0ELNS1_3repE0EEENS1_30default_config_static_selectorELNS0_4arch9wavefront6targetE1EEEvSW_
    .private_segment_fixed_size: 0
    .sgpr_count:     4
    .sgpr_spill_count: 0
    .symbol:         _ZN7rocprim17ROCPRIM_400000_NS6detail17trampoline_kernelINS0_14default_configENS1_22reduce_config_selectorIlEEZNS1_11reduce_implILb1ES3_N6thrust23THRUST_200600_302600_NS11hip_rocprim26transform_input_iterator_tIlNS8_12zip_iteratorINS8_5tupleINS8_6detail15normal_iteratorINS8_10device_ptrIyEEEESH_NS8_9null_typeESI_SI_SI_SI_SI_SI_SI_EEEENS9_21zip_adj_not_predicateI22is_equal_div_10_uniqueIyEEEEEPllNS8_4plusIlEEEE10hipError_tPvRmT1_T2_T3_mT4_P12ihipStream_tbEUlT_E1_NS1_11comp_targetILNS1_3genE0ELNS1_11target_archE4294967295ELNS1_3gpuE0ELNS1_3repE0EEENS1_30default_config_static_selectorELNS0_4arch9wavefront6targetE1EEEvSW_.kd
    .uniform_work_group_size: 1
    .uses_dynamic_stack: false
    .vgpr_count:     0
    .vgpr_spill_count: 0
    .wavefront_size: 64
  - .args:
      - .offset:         0
        .size:           64
        .value_kind:     by_value
    .group_segment_fixed_size: 0
    .kernarg_segment_align: 8
    .kernarg_segment_size: 64
    .language:       OpenCL C
    .language_version:
      - 2
      - 0
    .max_flat_workgroup_size: 256
    .name:           _ZN7rocprim17ROCPRIM_400000_NS6detail17trampoline_kernelINS0_14default_configENS1_22reduce_config_selectorIlEEZNS1_11reduce_implILb1ES3_N6thrust23THRUST_200600_302600_NS11hip_rocprim26transform_input_iterator_tIlNS8_12zip_iteratorINS8_5tupleINS8_6detail15normal_iteratorINS8_10device_ptrIyEEEESH_NS8_9null_typeESI_SI_SI_SI_SI_SI_SI_EEEENS9_21zip_adj_not_predicateI22is_equal_div_10_uniqueIyEEEEEPllNS8_4plusIlEEEE10hipError_tPvRmT1_T2_T3_mT4_P12ihipStream_tbEUlT_E1_NS1_11comp_targetILNS1_3genE5ELNS1_11target_archE942ELNS1_3gpuE9ELNS1_3repE0EEENS1_30default_config_static_selectorELNS0_4arch9wavefront6targetE1EEEvSW_
    .private_segment_fixed_size: 0
    .sgpr_count:     4
    .sgpr_spill_count: 0
    .symbol:         _ZN7rocprim17ROCPRIM_400000_NS6detail17trampoline_kernelINS0_14default_configENS1_22reduce_config_selectorIlEEZNS1_11reduce_implILb1ES3_N6thrust23THRUST_200600_302600_NS11hip_rocprim26transform_input_iterator_tIlNS8_12zip_iteratorINS8_5tupleINS8_6detail15normal_iteratorINS8_10device_ptrIyEEEESH_NS8_9null_typeESI_SI_SI_SI_SI_SI_SI_EEEENS9_21zip_adj_not_predicateI22is_equal_div_10_uniqueIyEEEEEPllNS8_4plusIlEEEE10hipError_tPvRmT1_T2_T3_mT4_P12ihipStream_tbEUlT_E1_NS1_11comp_targetILNS1_3genE5ELNS1_11target_archE942ELNS1_3gpuE9ELNS1_3repE0EEENS1_30default_config_static_selectorELNS0_4arch9wavefront6targetE1EEEvSW_.kd
    .uniform_work_group_size: 1
    .uses_dynamic_stack: false
    .vgpr_count:     0
    .vgpr_spill_count: 0
    .wavefront_size: 64
  - .args:
      - .offset:         0
        .size:           64
        .value_kind:     by_value
    .group_segment_fixed_size: 0
    .kernarg_segment_align: 8
    .kernarg_segment_size: 64
    .language:       OpenCL C
    .language_version:
      - 2
      - 0
    .max_flat_workgroup_size: 256
    .name:           _ZN7rocprim17ROCPRIM_400000_NS6detail17trampoline_kernelINS0_14default_configENS1_22reduce_config_selectorIlEEZNS1_11reduce_implILb1ES3_N6thrust23THRUST_200600_302600_NS11hip_rocprim26transform_input_iterator_tIlNS8_12zip_iteratorINS8_5tupleINS8_6detail15normal_iteratorINS8_10device_ptrIyEEEESH_NS8_9null_typeESI_SI_SI_SI_SI_SI_SI_EEEENS9_21zip_adj_not_predicateI22is_equal_div_10_uniqueIyEEEEEPllNS8_4plusIlEEEE10hipError_tPvRmT1_T2_T3_mT4_P12ihipStream_tbEUlT_E1_NS1_11comp_targetILNS1_3genE4ELNS1_11target_archE910ELNS1_3gpuE8ELNS1_3repE0EEENS1_30default_config_static_selectorELNS0_4arch9wavefront6targetE1EEEvSW_
    .private_segment_fixed_size: 0
    .sgpr_count:     4
    .sgpr_spill_count: 0
    .symbol:         _ZN7rocprim17ROCPRIM_400000_NS6detail17trampoline_kernelINS0_14default_configENS1_22reduce_config_selectorIlEEZNS1_11reduce_implILb1ES3_N6thrust23THRUST_200600_302600_NS11hip_rocprim26transform_input_iterator_tIlNS8_12zip_iteratorINS8_5tupleINS8_6detail15normal_iteratorINS8_10device_ptrIyEEEESH_NS8_9null_typeESI_SI_SI_SI_SI_SI_SI_EEEENS9_21zip_adj_not_predicateI22is_equal_div_10_uniqueIyEEEEEPllNS8_4plusIlEEEE10hipError_tPvRmT1_T2_T3_mT4_P12ihipStream_tbEUlT_E1_NS1_11comp_targetILNS1_3genE4ELNS1_11target_archE910ELNS1_3gpuE8ELNS1_3repE0EEENS1_30default_config_static_selectorELNS0_4arch9wavefront6targetE1EEEvSW_.kd
    .uniform_work_group_size: 1
    .uses_dynamic_stack: false
    .vgpr_count:     0
    .vgpr_spill_count: 0
    .wavefront_size: 64
  - .args:
      - .offset:         0
        .size:           64
        .value_kind:     by_value
    .group_segment_fixed_size: 0
    .kernarg_segment_align: 8
    .kernarg_segment_size: 64
    .language:       OpenCL C
    .language_version:
      - 2
      - 0
    .max_flat_workgroup_size: 256
    .name:           _ZN7rocprim17ROCPRIM_400000_NS6detail17trampoline_kernelINS0_14default_configENS1_22reduce_config_selectorIlEEZNS1_11reduce_implILb1ES3_N6thrust23THRUST_200600_302600_NS11hip_rocprim26transform_input_iterator_tIlNS8_12zip_iteratorINS8_5tupleINS8_6detail15normal_iteratorINS8_10device_ptrIyEEEESH_NS8_9null_typeESI_SI_SI_SI_SI_SI_SI_EEEENS9_21zip_adj_not_predicateI22is_equal_div_10_uniqueIyEEEEEPllNS8_4plusIlEEEE10hipError_tPvRmT1_T2_T3_mT4_P12ihipStream_tbEUlT_E1_NS1_11comp_targetILNS1_3genE3ELNS1_11target_archE908ELNS1_3gpuE7ELNS1_3repE0EEENS1_30default_config_static_selectorELNS0_4arch9wavefront6targetE1EEEvSW_
    .private_segment_fixed_size: 0
    .sgpr_count:     4
    .sgpr_spill_count: 0
    .symbol:         _ZN7rocprim17ROCPRIM_400000_NS6detail17trampoline_kernelINS0_14default_configENS1_22reduce_config_selectorIlEEZNS1_11reduce_implILb1ES3_N6thrust23THRUST_200600_302600_NS11hip_rocprim26transform_input_iterator_tIlNS8_12zip_iteratorINS8_5tupleINS8_6detail15normal_iteratorINS8_10device_ptrIyEEEESH_NS8_9null_typeESI_SI_SI_SI_SI_SI_SI_EEEENS9_21zip_adj_not_predicateI22is_equal_div_10_uniqueIyEEEEEPllNS8_4plusIlEEEE10hipError_tPvRmT1_T2_T3_mT4_P12ihipStream_tbEUlT_E1_NS1_11comp_targetILNS1_3genE3ELNS1_11target_archE908ELNS1_3gpuE7ELNS1_3repE0EEENS1_30default_config_static_selectorELNS0_4arch9wavefront6targetE1EEEvSW_.kd
    .uniform_work_group_size: 1
    .uses_dynamic_stack: false
    .vgpr_count:     0
    .vgpr_spill_count: 0
    .wavefront_size: 64
  - .args:
      - .offset:         0
        .size:           64
        .value_kind:     by_value
    .group_segment_fixed_size: 192
    .kernarg_segment_align: 8
    .kernarg_segment_size: 64
    .language:       OpenCL C
    .language_version:
      - 2
      - 0
    .max_flat_workgroup_size: 256
    .name:           _ZN7rocprim17ROCPRIM_400000_NS6detail17trampoline_kernelINS0_14default_configENS1_22reduce_config_selectorIlEEZNS1_11reduce_implILb1ES3_N6thrust23THRUST_200600_302600_NS11hip_rocprim26transform_input_iterator_tIlNS8_12zip_iteratorINS8_5tupleINS8_6detail15normal_iteratorINS8_10device_ptrIyEEEESH_NS8_9null_typeESI_SI_SI_SI_SI_SI_SI_EEEENS9_21zip_adj_not_predicateI22is_equal_div_10_uniqueIyEEEEEPllNS8_4plusIlEEEE10hipError_tPvRmT1_T2_T3_mT4_P12ihipStream_tbEUlT_E1_NS1_11comp_targetILNS1_3genE2ELNS1_11target_archE906ELNS1_3gpuE6ELNS1_3repE0EEENS1_30default_config_static_selectorELNS0_4arch9wavefront6targetE1EEEvSW_
    .private_segment_fixed_size: 0
    .sgpr_count:     38
    .sgpr_spill_count: 0
    .symbol:         _ZN7rocprim17ROCPRIM_400000_NS6detail17trampoline_kernelINS0_14default_configENS1_22reduce_config_selectorIlEEZNS1_11reduce_implILb1ES3_N6thrust23THRUST_200600_302600_NS11hip_rocprim26transform_input_iterator_tIlNS8_12zip_iteratorINS8_5tupleINS8_6detail15normal_iteratorINS8_10device_ptrIyEEEESH_NS8_9null_typeESI_SI_SI_SI_SI_SI_SI_EEEENS9_21zip_adj_not_predicateI22is_equal_div_10_uniqueIyEEEEEPllNS8_4plusIlEEEE10hipError_tPvRmT1_T2_T3_mT4_P12ihipStream_tbEUlT_E1_NS1_11comp_targetILNS1_3genE2ELNS1_11target_archE906ELNS1_3gpuE6ELNS1_3repE0EEENS1_30default_config_static_selectorELNS0_4arch9wavefront6targetE1EEEvSW_.kd
    .uniform_work_group_size: 1
    .uses_dynamic_stack: false
    .vgpr_count:     35
    .vgpr_spill_count: 0
    .wavefront_size: 64
  - .args:
      - .offset:         0
        .size:           64
        .value_kind:     by_value
    .group_segment_fixed_size: 0
    .kernarg_segment_align: 8
    .kernarg_segment_size: 64
    .language:       OpenCL C
    .language_version:
      - 2
      - 0
    .max_flat_workgroup_size: 256
    .name:           _ZN7rocprim17ROCPRIM_400000_NS6detail17trampoline_kernelINS0_14default_configENS1_22reduce_config_selectorIlEEZNS1_11reduce_implILb1ES3_N6thrust23THRUST_200600_302600_NS11hip_rocprim26transform_input_iterator_tIlNS8_12zip_iteratorINS8_5tupleINS8_6detail15normal_iteratorINS8_10device_ptrIyEEEESH_NS8_9null_typeESI_SI_SI_SI_SI_SI_SI_EEEENS9_21zip_adj_not_predicateI22is_equal_div_10_uniqueIyEEEEEPllNS8_4plusIlEEEE10hipError_tPvRmT1_T2_T3_mT4_P12ihipStream_tbEUlT_E1_NS1_11comp_targetILNS1_3genE10ELNS1_11target_archE1201ELNS1_3gpuE5ELNS1_3repE0EEENS1_30default_config_static_selectorELNS0_4arch9wavefront6targetE1EEEvSW_
    .private_segment_fixed_size: 0
    .sgpr_count:     4
    .sgpr_spill_count: 0
    .symbol:         _ZN7rocprim17ROCPRIM_400000_NS6detail17trampoline_kernelINS0_14default_configENS1_22reduce_config_selectorIlEEZNS1_11reduce_implILb1ES3_N6thrust23THRUST_200600_302600_NS11hip_rocprim26transform_input_iterator_tIlNS8_12zip_iteratorINS8_5tupleINS8_6detail15normal_iteratorINS8_10device_ptrIyEEEESH_NS8_9null_typeESI_SI_SI_SI_SI_SI_SI_EEEENS9_21zip_adj_not_predicateI22is_equal_div_10_uniqueIyEEEEEPllNS8_4plusIlEEEE10hipError_tPvRmT1_T2_T3_mT4_P12ihipStream_tbEUlT_E1_NS1_11comp_targetILNS1_3genE10ELNS1_11target_archE1201ELNS1_3gpuE5ELNS1_3repE0EEENS1_30default_config_static_selectorELNS0_4arch9wavefront6targetE1EEEvSW_.kd
    .uniform_work_group_size: 1
    .uses_dynamic_stack: false
    .vgpr_count:     0
    .vgpr_spill_count: 0
    .wavefront_size: 64
  - .args:
      - .offset:         0
        .size:           64
        .value_kind:     by_value
    .group_segment_fixed_size: 0
    .kernarg_segment_align: 8
    .kernarg_segment_size: 64
    .language:       OpenCL C
    .language_version:
      - 2
      - 0
    .max_flat_workgroup_size: 256
    .name:           _ZN7rocprim17ROCPRIM_400000_NS6detail17trampoline_kernelINS0_14default_configENS1_22reduce_config_selectorIlEEZNS1_11reduce_implILb1ES3_N6thrust23THRUST_200600_302600_NS11hip_rocprim26transform_input_iterator_tIlNS8_12zip_iteratorINS8_5tupleINS8_6detail15normal_iteratorINS8_10device_ptrIyEEEESH_NS8_9null_typeESI_SI_SI_SI_SI_SI_SI_EEEENS9_21zip_adj_not_predicateI22is_equal_div_10_uniqueIyEEEEEPllNS8_4plusIlEEEE10hipError_tPvRmT1_T2_T3_mT4_P12ihipStream_tbEUlT_E1_NS1_11comp_targetILNS1_3genE10ELNS1_11target_archE1200ELNS1_3gpuE4ELNS1_3repE0EEENS1_30default_config_static_selectorELNS0_4arch9wavefront6targetE1EEEvSW_
    .private_segment_fixed_size: 0
    .sgpr_count:     4
    .sgpr_spill_count: 0
    .symbol:         _ZN7rocprim17ROCPRIM_400000_NS6detail17trampoline_kernelINS0_14default_configENS1_22reduce_config_selectorIlEEZNS1_11reduce_implILb1ES3_N6thrust23THRUST_200600_302600_NS11hip_rocprim26transform_input_iterator_tIlNS8_12zip_iteratorINS8_5tupleINS8_6detail15normal_iteratorINS8_10device_ptrIyEEEESH_NS8_9null_typeESI_SI_SI_SI_SI_SI_SI_EEEENS9_21zip_adj_not_predicateI22is_equal_div_10_uniqueIyEEEEEPllNS8_4plusIlEEEE10hipError_tPvRmT1_T2_T3_mT4_P12ihipStream_tbEUlT_E1_NS1_11comp_targetILNS1_3genE10ELNS1_11target_archE1200ELNS1_3gpuE4ELNS1_3repE0EEENS1_30default_config_static_selectorELNS0_4arch9wavefront6targetE1EEEvSW_.kd
    .uniform_work_group_size: 1
    .uses_dynamic_stack: false
    .vgpr_count:     0
    .vgpr_spill_count: 0
    .wavefront_size: 64
  - .args:
      - .offset:         0
        .size:           64
        .value_kind:     by_value
    .group_segment_fixed_size: 0
    .kernarg_segment_align: 8
    .kernarg_segment_size: 64
    .language:       OpenCL C
    .language_version:
      - 2
      - 0
    .max_flat_workgroup_size: 256
    .name:           _ZN7rocprim17ROCPRIM_400000_NS6detail17trampoline_kernelINS0_14default_configENS1_22reduce_config_selectorIlEEZNS1_11reduce_implILb1ES3_N6thrust23THRUST_200600_302600_NS11hip_rocprim26transform_input_iterator_tIlNS8_12zip_iteratorINS8_5tupleINS8_6detail15normal_iteratorINS8_10device_ptrIyEEEESH_NS8_9null_typeESI_SI_SI_SI_SI_SI_SI_EEEENS9_21zip_adj_not_predicateI22is_equal_div_10_uniqueIyEEEEEPllNS8_4plusIlEEEE10hipError_tPvRmT1_T2_T3_mT4_P12ihipStream_tbEUlT_E1_NS1_11comp_targetILNS1_3genE9ELNS1_11target_archE1100ELNS1_3gpuE3ELNS1_3repE0EEENS1_30default_config_static_selectorELNS0_4arch9wavefront6targetE1EEEvSW_
    .private_segment_fixed_size: 0
    .sgpr_count:     4
    .sgpr_spill_count: 0
    .symbol:         _ZN7rocprim17ROCPRIM_400000_NS6detail17trampoline_kernelINS0_14default_configENS1_22reduce_config_selectorIlEEZNS1_11reduce_implILb1ES3_N6thrust23THRUST_200600_302600_NS11hip_rocprim26transform_input_iterator_tIlNS8_12zip_iteratorINS8_5tupleINS8_6detail15normal_iteratorINS8_10device_ptrIyEEEESH_NS8_9null_typeESI_SI_SI_SI_SI_SI_SI_EEEENS9_21zip_adj_not_predicateI22is_equal_div_10_uniqueIyEEEEEPllNS8_4plusIlEEEE10hipError_tPvRmT1_T2_T3_mT4_P12ihipStream_tbEUlT_E1_NS1_11comp_targetILNS1_3genE9ELNS1_11target_archE1100ELNS1_3gpuE3ELNS1_3repE0EEENS1_30default_config_static_selectorELNS0_4arch9wavefront6targetE1EEEvSW_.kd
    .uniform_work_group_size: 1
    .uses_dynamic_stack: false
    .vgpr_count:     0
    .vgpr_spill_count: 0
    .wavefront_size: 64
  - .args:
      - .offset:         0
        .size:           64
        .value_kind:     by_value
    .group_segment_fixed_size: 0
    .kernarg_segment_align: 8
    .kernarg_segment_size: 64
    .language:       OpenCL C
    .language_version:
      - 2
      - 0
    .max_flat_workgroup_size: 256
    .name:           _ZN7rocprim17ROCPRIM_400000_NS6detail17trampoline_kernelINS0_14default_configENS1_22reduce_config_selectorIlEEZNS1_11reduce_implILb1ES3_N6thrust23THRUST_200600_302600_NS11hip_rocprim26transform_input_iterator_tIlNS8_12zip_iteratorINS8_5tupleINS8_6detail15normal_iteratorINS8_10device_ptrIyEEEESH_NS8_9null_typeESI_SI_SI_SI_SI_SI_SI_EEEENS9_21zip_adj_not_predicateI22is_equal_div_10_uniqueIyEEEEEPllNS8_4plusIlEEEE10hipError_tPvRmT1_T2_T3_mT4_P12ihipStream_tbEUlT_E1_NS1_11comp_targetILNS1_3genE8ELNS1_11target_archE1030ELNS1_3gpuE2ELNS1_3repE0EEENS1_30default_config_static_selectorELNS0_4arch9wavefront6targetE1EEEvSW_
    .private_segment_fixed_size: 0
    .sgpr_count:     4
    .sgpr_spill_count: 0
    .symbol:         _ZN7rocprim17ROCPRIM_400000_NS6detail17trampoline_kernelINS0_14default_configENS1_22reduce_config_selectorIlEEZNS1_11reduce_implILb1ES3_N6thrust23THRUST_200600_302600_NS11hip_rocprim26transform_input_iterator_tIlNS8_12zip_iteratorINS8_5tupleINS8_6detail15normal_iteratorINS8_10device_ptrIyEEEESH_NS8_9null_typeESI_SI_SI_SI_SI_SI_SI_EEEENS9_21zip_adj_not_predicateI22is_equal_div_10_uniqueIyEEEEEPllNS8_4plusIlEEEE10hipError_tPvRmT1_T2_T3_mT4_P12ihipStream_tbEUlT_E1_NS1_11comp_targetILNS1_3genE8ELNS1_11target_archE1030ELNS1_3gpuE2ELNS1_3repE0EEENS1_30default_config_static_selectorELNS0_4arch9wavefront6targetE1EEEvSW_.kd
    .uniform_work_group_size: 1
    .uses_dynamic_stack: false
    .vgpr_count:     0
    .vgpr_spill_count: 0
    .wavefront_size: 64
  - .args:
      - .offset:         0
        .size:           80
        .value_kind:     by_value
    .group_segment_fixed_size: 0
    .kernarg_segment_align: 8
    .kernarg_segment_size: 80
    .language:       OpenCL C
    .language_version:
      - 2
      - 0
    .max_flat_workgroup_size: 256
    .name:           _ZN7rocprim17ROCPRIM_400000_NS6detail17trampoline_kernelINS0_14default_configENS1_22reduce_config_selectorIlEEZNS1_11reduce_implILb1ES3_N6thrust23THRUST_200600_302600_NS11hip_rocprim26transform_input_iterator_tIlNS8_12zip_iteratorINS8_5tupleINS8_6detail15normal_iteratorINS8_10device_ptrIjEEEESH_NS8_9null_typeESI_SI_SI_SI_SI_SI_SI_EEEENS9_21zip_adj_not_predicateINS8_8equal_toIjEEEEEEPllNS8_4plusIlEEEE10hipError_tPvRmT1_T2_T3_mT4_P12ihipStream_tbEUlT_E0_NS1_11comp_targetILNS1_3genE0ELNS1_11target_archE4294967295ELNS1_3gpuE0ELNS1_3repE0EEENS1_30default_config_static_selectorELNS0_4arch9wavefront6targetE1EEEvSW_
    .private_segment_fixed_size: 0
    .sgpr_count:     4
    .sgpr_spill_count: 0
    .symbol:         _ZN7rocprim17ROCPRIM_400000_NS6detail17trampoline_kernelINS0_14default_configENS1_22reduce_config_selectorIlEEZNS1_11reduce_implILb1ES3_N6thrust23THRUST_200600_302600_NS11hip_rocprim26transform_input_iterator_tIlNS8_12zip_iteratorINS8_5tupleINS8_6detail15normal_iteratorINS8_10device_ptrIjEEEESH_NS8_9null_typeESI_SI_SI_SI_SI_SI_SI_EEEENS9_21zip_adj_not_predicateINS8_8equal_toIjEEEEEEPllNS8_4plusIlEEEE10hipError_tPvRmT1_T2_T3_mT4_P12ihipStream_tbEUlT_E0_NS1_11comp_targetILNS1_3genE0ELNS1_11target_archE4294967295ELNS1_3gpuE0ELNS1_3repE0EEENS1_30default_config_static_selectorELNS0_4arch9wavefront6targetE1EEEvSW_.kd
    .uniform_work_group_size: 1
    .uses_dynamic_stack: false
    .vgpr_count:     0
    .vgpr_spill_count: 0
    .wavefront_size: 64
  - .args:
      - .offset:         0
        .size:           80
        .value_kind:     by_value
    .group_segment_fixed_size: 0
    .kernarg_segment_align: 8
    .kernarg_segment_size: 80
    .language:       OpenCL C
    .language_version:
      - 2
      - 0
    .max_flat_workgroup_size: 256
    .name:           _ZN7rocprim17ROCPRIM_400000_NS6detail17trampoline_kernelINS0_14default_configENS1_22reduce_config_selectorIlEEZNS1_11reduce_implILb1ES3_N6thrust23THRUST_200600_302600_NS11hip_rocprim26transform_input_iterator_tIlNS8_12zip_iteratorINS8_5tupleINS8_6detail15normal_iteratorINS8_10device_ptrIjEEEESH_NS8_9null_typeESI_SI_SI_SI_SI_SI_SI_EEEENS9_21zip_adj_not_predicateINS8_8equal_toIjEEEEEEPllNS8_4plusIlEEEE10hipError_tPvRmT1_T2_T3_mT4_P12ihipStream_tbEUlT_E0_NS1_11comp_targetILNS1_3genE5ELNS1_11target_archE942ELNS1_3gpuE9ELNS1_3repE0EEENS1_30default_config_static_selectorELNS0_4arch9wavefront6targetE1EEEvSW_
    .private_segment_fixed_size: 0
    .sgpr_count:     4
    .sgpr_spill_count: 0
    .symbol:         _ZN7rocprim17ROCPRIM_400000_NS6detail17trampoline_kernelINS0_14default_configENS1_22reduce_config_selectorIlEEZNS1_11reduce_implILb1ES3_N6thrust23THRUST_200600_302600_NS11hip_rocprim26transform_input_iterator_tIlNS8_12zip_iteratorINS8_5tupleINS8_6detail15normal_iteratorINS8_10device_ptrIjEEEESH_NS8_9null_typeESI_SI_SI_SI_SI_SI_SI_EEEENS9_21zip_adj_not_predicateINS8_8equal_toIjEEEEEEPllNS8_4plusIlEEEE10hipError_tPvRmT1_T2_T3_mT4_P12ihipStream_tbEUlT_E0_NS1_11comp_targetILNS1_3genE5ELNS1_11target_archE942ELNS1_3gpuE9ELNS1_3repE0EEENS1_30default_config_static_selectorELNS0_4arch9wavefront6targetE1EEEvSW_.kd
    .uniform_work_group_size: 1
    .uses_dynamic_stack: false
    .vgpr_count:     0
    .vgpr_spill_count: 0
    .wavefront_size: 64
  - .args:
      - .offset:         0
        .size:           80
        .value_kind:     by_value
    .group_segment_fixed_size: 0
    .kernarg_segment_align: 8
    .kernarg_segment_size: 80
    .language:       OpenCL C
    .language_version:
      - 2
      - 0
    .max_flat_workgroup_size: 256
    .name:           _ZN7rocprim17ROCPRIM_400000_NS6detail17trampoline_kernelINS0_14default_configENS1_22reduce_config_selectorIlEEZNS1_11reduce_implILb1ES3_N6thrust23THRUST_200600_302600_NS11hip_rocprim26transform_input_iterator_tIlNS8_12zip_iteratorINS8_5tupleINS8_6detail15normal_iteratorINS8_10device_ptrIjEEEESH_NS8_9null_typeESI_SI_SI_SI_SI_SI_SI_EEEENS9_21zip_adj_not_predicateINS8_8equal_toIjEEEEEEPllNS8_4plusIlEEEE10hipError_tPvRmT1_T2_T3_mT4_P12ihipStream_tbEUlT_E0_NS1_11comp_targetILNS1_3genE4ELNS1_11target_archE910ELNS1_3gpuE8ELNS1_3repE0EEENS1_30default_config_static_selectorELNS0_4arch9wavefront6targetE1EEEvSW_
    .private_segment_fixed_size: 0
    .sgpr_count:     4
    .sgpr_spill_count: 0
    .symbol:         _ZN7rocprim17ROCPRIM_400000_NS6detail17trampoline_kernelINS0_14default_configENS1_22reduce_config_selectorIlEEZNS1_11reduce_implILb1ES3_N6thrust23THRUST_200600_302600_NS11hip_rocprim26transform_input_iterator_tIlNS8_12zip_iteratorINS8_5tupleINS8_6detail15normal_iteratorINS8_10device_ptrIjEEEESH_NS8_9null_typeESI_SI_SI_SI_SI_SI_SI_EEEENS9_21zip_adj_not_predicateINS8_8equal_toIjEEEEEEPllNS8_4plusIlEEEE10hipError_tPvRmT1_T2_T3_mT4_P12ihipStream_tbEUlT_E0_NS1_11comp_targetILNS1_3genE4ELNS1_11target_archE910ELNS1_3gpuE8ELNS1_3repE0EEENS1_30default_config_static_selectorELNS0_4arch9wavefront6targetE1EEEvSW_.kd
    .uniform_work_group_size: 1
    .uses_dynamic_stack: false
    .vgpr_count:     0
    .vgpr_spill_count: 0
    .wavefront_size: 64
  - .args:
      - .offset:         0
        .size:           80
        .value_kind:     by_value
    .group_segment_fixed_size: 0
    .kernarg_segment_align: 8
    .kernarg_segment_size: 80
    .language:       OpenCL C
    .language_version:
      - 2
      - 0
    .max_flat_workgroup_size: 256
    .name:           _ZN7rocprim17ROCPRIM_400000_NS6detail17trampoline_kernelINS0_14default_configENS1_22reduce_config_selectorIlEEZNS1_11reduce_implILb1ES3_N6thrust23THRUST_200600_302600_NS11hip_rocprim26transform_input_iterator_tIlNS8_12zip_iteratorINS8_5tupleINS8_6detail15normal_iteratorINS8_10device_ptrIjEEEESH_NS8_9null_typeESI_SI_SI_SI_SI_SI_SI_EEEENS9_21zip_adj_not_predicateINS8_8equal_toIjEEEEEEPllNS8_4plusIlEEEE10hipError_tPvRmT1_T2_T3_mT4_P12ihipStream_tbEUlT_E0_NS1_11comp_targetILNS1_3genE3ELNS1_11target_archE908ELNS1_3gpuE7ELNS1_3repE0EEENS1_30default_config_static_selectorELNS0_4arch9wavefront6targetE1EEEvSW_
    .private_segment_fixed_size: 0
    .sgpr_count:     4
    .sgpr_spill_count: 0
    .symbol:         _ZN7rocprim17ROCPRIM_400000_NS6detail17trampoline_kernelINS0_14default_configENS1_22reduce_config_selectorIlEEZNS1_11reduce_implILb1ES3_N6thrust23THRUST_200600_302600_NS11hip_rocprim26transform_input_iterator_tIlNS8_12zip_iteratorINS8_5tupleINS8_6detail15normal_iteratorINS8_10device_ptrIjEEEESH_NS8_9null_typeESI_SI_SI_SI_SI_SI_SI_EEEENS9_21zip_adj_not_predicateINS8_8equal_toIjEEEEEEPllNS8_4plusIlEEEE10hipError_tPvRmT1_T2_T3_mT4_P12ihipStream_tbEUlT_E0_NS1_11comp_targetILNS1_3genE3ELNS1_11target_archE908ELNS1_3gpuE7ELNS1_3repE0EEENS1_30default_config_static_selectorELNS0_4arch9wavefront6targetE1EEEvSW_.kd
    .uniform_work_group_size: 1
    .uses_dynamic_stack: false
    .vgpr_count:     0
    .vgpr_spill_count: 0
    .wavefront_size: 64
  - .args:
      - .offset:         0
        .size:           80
        .value_kind:     by_value
    .group_segment_fixed_size: 64
    .kernarg_segment_align: 8
    .kernarg_segment_size: 80
    .language:       OpenCL C
    .language_version:
      - 2
      - 0
    .max_flat_workgroup_size: 256
    .name:           _ZN7rocprim17ROCPRIM_400000_NS6detail17trampoline_kernelINS0_14default_configENS1_22reduce_config_selectorIlEEZNS1_11reduce_implILb1ES3_N6thrust23THRUST_200600_302600_NS11hip_rocprim26transform_input_iterator_tIlNS8_12zip_iteratorINS8_5tupleINS8_6detail15normal_iteratorINS8_10device_ptrIjEEEESH_NS8_9null_typeESI_SI_SI_SI_SI_SI_SI_EEEENS9_21zip_adj_not_predicateINS8_8equal_toIjEEEEEEPllNS8_4plusIlEEEE10hipError_tPvRmT1_T2_T3_mT4_P12ihipStream_tbEUlT_E0_NS1_11comp_targetILNS1_3genE2ELNS1_11target_archE906ELNS1_3gpuE6ELNS1_3repE0EEENS1_30default_config_static_selectorELNS0_4arch9wavefront6targetE1EEEvSW_
    .private_segment_fixed_size: 0
    .sgpr_count:     26
    .sgpr_spill_count: 0
    .symbol:         _ZN7rocprim17ROCPRIM_400000_NS6detail17trampoline_kernelINS0_14default_configENS1_22reduce_config_selectorIlEEZNS1_11reduce_implILb1ES3_N6thrust23THRUST_200600_302600_NS11hip_rocprim26transform_input_iterator_tIlNS8_12zip_iteratorINS8_5tupleINS8_6detail15normal_iteratorINS8_10device_ptrIjEEEESH_NS8_9null_typeESI_SI_SI_SI_SI_SI_SI_EEEENS9_21zip_adj_not_predicateINS8_8equal_toIjEEEEEEPllNS8_4plusIlEEEE10hipError_tPvRmT1_T2_T3_mT4_P12ihipStream_tbEUlT_E0_NS1_11comp_targetILNS1_3genE2ELNS1_11target_archE906ELNS1_3gpuE6ELNS1_3repE0EEENS1_30default_config_static_selectorELNS0_4arch9wavefront6targetE1EEEvSW_.kd
    .uniform_work_group_size: 1
    .uses_dynamic_stack: false
    .vgpr_count:     11
    .vgpr_spill_count: 0
    .wavefront_size: 64
  - .args:
      - .offset:         0
        .size:           80
        .value_kind:     by_value
    .group_segment_fixed_size: 0
    .kernarg_segment_align: 8
    .kernarg_segment_size: 80
    .language:       OpenCL C
    .language_version:
      - 2
      - 0
    .max_flat_workgroup_size: 256
    .name:           _ZN7rocprim17ROCPRIM_400000_NS6detail17trampoline_kernelINS0_14default_configENS1_22reduce_config_selectorIlEEZNS1_11reduce_implILb1ES3_N6thrust23THRUST_200600_302600_NS11hip_rocprim26transform_input_iterator_tIlNS8_12zip_iteratorINS8_5tupleINS8_6detail15normal_iteratorINS8_10device_ptrIjEEEESH_NS8_9null_typeESI_SI_SI_SI_SI_SI_SI_EEEENS9_21zip_adj_not_predicateINS8_8equal_toIjEEEEEEPllNS8_4plusIlEEEE10hipError_tPvRmT1_T2_T3_mT4_P12ihipStream_tbEUlT_E0_NS1_11comp_targetILNS1_3genE10ELNS1_11target_archE1201ELNS1_3gpuE5ELNS1_3repE0EEENS1_30default_config_static_selectorELNS0_4arch9wavefront6targetE1EEEvSW_
    .private_segment_fixed_size: 0
    .sgpr_count:     4
    .sgpr_spill_count: 0
    .symbol:         _ZN7rocprim17ROCPRIM_400000_NS6detail17trampoline_kernelINS0_14default_configENS1_22reduce_config_selectorIlEEZNS1_11reduce_implILb1ES3_N6thrust23THRUST_200600_302600_NS11hip_rocprim26transform_input_iterator_tIlNS8_12zip_iteratorINS8_5tupleINS8_6detail15normal_iteratorINS8_10device_ptrIjEEEESH_NS8_9null_typeESI_SI_SI_SI_SI_SI_SI_EEEENS9_21zip_adj_not_predicateINS8_8equal_toIjEEEEEEPllNS8_4plusIlEEEE10hipError_tPvRmT1_T2_T3_mT4_P12ihipStream_tbEUlT_E0_NS1_11comp_targetILNS1_3genE10ELNS1_11target_archE1201ELNS1_3gpuE5ELNS1_3repE0EEENS1_30default_config_static_selectorELNS0_4arch9wavefront6targetE1EEEvSW_.kd
    .uniform_work_group_size: 1
    .uses_dynamic_stack: false
    .vgpr_count:     0
    .vgpr_spill_count: 0
    .wavefront_size: 64
  - .args:
      - .offset:         0
        .size:           80
        .value_kind:     by_value
    .group_segment_fixed_size: 0
    .kernarg_segment_align: 8
    .kernarg_segment_size: 80
    .language:       OpenCL C
    .language_version:
      - 2
      - 0
    .max_flat_workgroup_size: 256
    .name:           _ZN7rocprim17ROCPRIM_400000_NS6detail17trampoline_kernelINS0_14default_configENS1_22reduce_config_selectorIlEEZNS1_11reduce_implILb1ES3_N6thrust23THRUST_200600_302600_NS11hip_rocprim26transform_input_iterator_tIlNS8_12zip_iteratorINS8_5tupleINS8_6detail15normal_iteratorINS8_10device_ptrIjEEEESH_NS8_9null_typeESI_SI_SI_SI_SI_SI_SI_EEEENS9_21zip_adj_not_predicateINS8_8equal_toIjEEEEEEPllNS8_4plusIlEEEE10hipError_tPvRmT1_T2_T3_mT4_P12ihipStream_tbEUlT_E0_NS1_11comp_targetILNS1_3genE10ELNS1_11target_archE1200ELNS1_3gpuE4ELNS1_3repE0EEENS1_30default_config_static_selectorELNS0_4arch9wavefront6targetE1EEEvSW_
    .private_segment_fixed_size: 0
    .sgpr_count:     4
    .sgpr_spill_count: 0
    .symbol:         _ZN7rocprim17ROCPRIM_400000_NS6detail17trampoline_kernelINS0_14default_configENS1_22reduce_config_selectorIlEEZNS1_11reduce_implILb1ES3_N6thrust23THRUST_200600_302600_NS11hip_rocprim26transform_input_iterator_tIlNS8_12zip_iteratorINS8_5tupleINS8_6detail15normal_iteratorINS8_10device_ptrIjEEEESH_NS8_9null_typeESI_SI_SI_SI_SI_SI_SI_EEEENS9_21zip_adj_not_predicateINS8_8equal_toIjEEEEEEPllNS8_4plusIlEEEE10hipError_tPvRmT1_T2_T3_mT4_P12ihipStream_tbEUlT_E0_NS1_11comp_targetILNS1_3genE10ELNS1_11target_archE1200ELNS1_3gpuE4ELNS1_3repE0EEENS1_30default_config_static_selectorELNS0_4arch9wavefront6targetE1EEEvSW_.kd
    .uniform_work_group_size: 1
    .uses_dynamic_stack: false
    .vgpr_count:     0
    .vgpr_spill_count: 0
    .wavefront_size: 64
  - .args:
      - .offset:         0
        .size:           80
        .value_kind:     by_value
    .group_segment_fixed_size: 0
    .kernarg_segment_align: 8
    .kernarg_segment_size: 80
    .language:       OpenCL C
    .language_version:
      - 2
      - 0
    .max_flat_workgroup_size: 256
    .name:           _ZN7rocprim17ROCPRIM_400000_NS6detail17trampoline_kernelINS0_14default_configENS1_22reduce_config_selectorIlEEZNS1_11reduce_implILb1ES3_N6thrust23THRUST_200600_302600_NS11hip_rocprim26transform_input_iterator_tIlNS8_12zip_iteratorINS8_5tupleINS8_6detail15normal_iteratorINS8_10device_ptrIjEEEESH_NS8_9null_typeESI_SI_SI_SI_SI_SI_SI_EEEENS9_21zip_adj_not_predicateINS8_8equal_toIjEEEEEEPllNS8_4plusIlEEEE10hipError_tPvRmT1_T2_T3_mT4_P12ihipStream_tbEUlT_E0_NS1_11comp_targetILNS1_3genE9ELNS1_11target_archE1100ELNS1_3gpuE3ELNS1_3repE0EEENS1_30default_config_static_selectorELNS0_4arch9wavefront6targetE1EEEvSW_
    .private_segment_fixed_size: 0
    .sgpr_count:     4
    .sgpr_spill_count: 0
    .symbol:         _ZN7rocprim17ROCPRIM_400000_NS6detail17trampoline_kernelINS0_14default_configENS1_22reduce_config_selectorIlEEZNS1_11reduce_implILb1ES3_N6thrust23THRUST_200600_302600_NS11hip_rocprim26transform_input_iterator_tIlNS8_12zip_iteratorINS8_5tupleINS8_6detail15normal_iteratorINS8_10device_ptrIjEEEESH_NS8_9null_typeESI_SI_SI_SI_SI_SI_SI_EEEENS9_21zip_adj_not_predicateINS8_8equal_toIjEEEEEEPllNS8_4plusIlEEEE10hipError_tPvRmT1_T2_T3_mT4_P12ihipStream_tbEUlT_E0_NS1_11comp_targetILNS1_3genE9ELNS1_11target_archE1100ELNS1_3gpuE3ELNS1_3repE0EEENS1_30default_config_static_selectorELNS0_4arch9wavefront6targetE1EEEvSW_.kd
    .uniform_work_group_size: 1
    .uses_dynamic_stack: false
    .vgpr_count:     0
    .vgpr_spill_count: 0
    .wavefront_size: 64
  - .args:
      - .offset:         0
        .size:           80
        .value_kind:     by_value
    .group_segment_fixed_size: 0
    .kernarg_segment_align: 8
    .kernarg_segment_size: 80
    .language:       OpenCL C
    .language_version:
      - 2
      - 0
    .max_flat_workgroup_size: 256
    .name:           _ZN7rocprim17ROCPRIM_400000_NS6detail17trampoline_kernelINS0_14default_configENS1_22reduce_config_selectorIlEEZNS1_11reduce_implILb1ES3_N6thrust23THRUST_200600_302600_NS11hip_rocprim26transform_input_iterator_tIlNS8_12zip_iteratorINS8_5tupleINS8_6detail15normal_iteratorINS8_10device_ptrIjEEEESH_NS8_9null_typeESI_SI_SI_SI_SI_SI_SI_EEEENS9_21zip_adj_not_predicateINS8_8equal_toIjEEEEEEPllNS8_4plusIlEEEE10hipError_tPvRmT1_T2_T3_mT4_P12ihipStream_tbEUlT_E0_NS1_11comp_targetILNS1_3genE8ELNS1_11target_archE1030ELNS1_3gpuE2ELNS1_3repE0EEENS1_30default_config_static_selectorELNS0_4arch9wavefront6targetE1EEEvSW_
    .private_segment_fixed_size: 0
    .sgpr_count:     4
    .sgpr_spill_count: 0
    .symbol:         _ZN7rocprim17ROCPRIM_400000_NS6detail17trampoline_kernelINS0_14default_configENS1_22reduce_config_selectorIlEEZNS1_11reduce_implILb1ES3_N6thrust23THRUST_200600_302600_NS11hip_rocprim26transform_input_iterator_tIlNS8_12zip_iteratorINS8_5tupleINS8_6detail15normal_iteratorINS8_10device_ptrIjEEEESH_NS8_9null_typeESI_SI_SI_SI_SI_SI_SI_EEEENS9_21zip_adj_not_predicateINS8_8equal_toIjEEEEEEPllNS8_4plusIlEEEE10hipError_tPvRmT1_T2_T3_mT4_P12ihipStream_tbEUlT_E0_NS1_11comp_targetILNS1_3genE8ELNS1_11target_archE1030ELNS1_3gpuE2ELNS1_3repE0EEENS1_30default_config_static_selectorELNS0_4arch9wavefront6targetE1EEEvSW_.kd
    .uniform_work_group_size: 1
    .uses_dynamic_stack: false
    .vgpr_count:     0
    .vgpr_spill_count: 0
    .wavefront_size: 64
  - .args:
      - .offset:         0
        .size:           64
        .value_kind:     by_value
    .group_segment_fixed_size: 0
    .kernarg_segment_align: 8
    .kernarg_segment_size: 64
    .language:       OpenCL C
    .language_version:
      - 2
      - 0
    .max_flat_workgroup_size: 256
    .name:           _ZN7rocprim17ROCPRIM_400000_NS6detail17trampoline_kernelINS0_14default_configENS1_22reduce_config_selectorIlEEZNS1_11reduce_implILb1ES3_N6thrust23THRUST_200600_302600_NS11hip_rocprim26transform_input_iterator_tIlNS8_12zip_iteratorINS8_5tupleINS8_6detail15normal_iteratorINS8_10device_ptrIjEEEESH_NS8_9null_typeESI_SI_SI_SI_SI_SI_SI_EEEENS9_21zip_adj_not_predicateINS8_8equal_toIjEEEEEEPllNS8_4plusIlEEEE10hipError_tPvRmT1_T2_T3_mT4_P12ihipStream_tbEUlT_E1_NS1_11comp_targetILNS1_3genE0ELNS1_11target_archE4294967295ELNS1_3gpuE0ELNS1_3repE0EEENS1_30default_config_static_selectorELNS0_4arch9wavefront6targetE1EEEvSW_
    .private_segment_fixed_size: 0
    .sgpr_count:     4
    .sgpr_spill_count: 0
    .symbol:         _ZN7rocprim17ROCPRIM_400000_NS6detail17trampoline_kernelINS0_14default_configENS1_22reduce_config_selectorIlEEZNS1_11reduce_implILb1ES3_N6thrust23THRUST_200600_302600_NS11hip_rocprim26transform_input_iterator_tIlNS8_12zip_iteratorINS8_5tupleINS8_6detail15normal_iteratorINS8_10device_ptrIjEEEESH_NS8_9null_typeESI_SI_SI_SI_SI_SI_SI_EEEENS9_21zip_adj_not_predicateINS8_8equal_toIjEEEEEEPllNS8_4plusIlEEEE10hipError_tPvRmT1_T2_T3_mT4_P12ihipStream_tbEUlT_E1_NS1_11comp_targetILNS1_3genE0ELNS1_11target_archE4294967295ELNS1_3gpuE0ELNS1_3repE0EEENS1_30default_config_static_selectorELNS0_4arch9wavefront6targetE1EEEvSW_.kd
    .uniform_work_group_size: 1
    .uses_dynamic_stack: false
    .vgpr_count:     0
    .vgpr_spill_count: 0
    .wavefront_size: 64
  - .args:
      - .offset:         0
        .size:           64
        .value_kind:     by_value
    .group_segment_fixed_size: 0
    .kernarg_segment_align: 8
    .kernarg_segment_size: 64
    .language:       OpenCL C
    .language_version:
      - 2
      - 0
    .max_flat_workgroup_size: 256
    .name:           _ZN7rocprim17ROCPRIM_400000_NS6detail17trampoline_kernelINS0_14default_configENS1_22reduce_config_selectorIlEEZNS1_11reduce_implILb1ES3_N6thrust23THRUST_200600_302600_NS11hip_rocprim26transform_input_iterator_tIlNS8_12zip_iteratorINS8_5tupleINS8_6detail15normal_iteratorINS8_10device_ptrIjEEEESH_NS8_9null_typeESI_SI_SI_SI_SI_SI_SI_EEEENS9_21zip_adj_not_predicateINS8_8equal_toIjEEEEEEPllNS8_4plusIlEEEE10hipError_tPvRmT1_T2_T3_mT4_P12ihipStream_tbEUlT_E1_NS1_11comp_targetILNS1_3genE5ELNS1_11target_archE942ELNS1_3gpuE9ELNS1_3repE0EEENS1_30default_config_static_selectorELNS0_4arch9wavefront6targetE1EEEvSW_
    .private_segment_fixed_size: 0
    .sgpr_count:     4
    .sgpr_spill_count: 0
    .symbol:         _ZN7rocprim17ROCPRIM_400000_NS6detail17trampoline_kernelINS0_14default_configENS1_22reduce_config_selectorIlEEZNS1_11reduce_implILb1ES3_N6thrust23THRUST_200600_302600_NS11hip_rocprim26transform_input_iterator_tIlNS8_12zip_iteratorINS8_5tupleINS8_6detail15normal_iteratorINS8_10device_ptrIjEEEESH_NS8_9null_typeESI_SI_SI_SI_SI_SI_SI_EEEENS9_21zip_adj_not_predicateINS8_8equal_toIjEEEEEEPllNS8_4plusIlEEEE10hipError_tPvRmT1_T2_T3_mT4_P12ihipStream_tbEUlT_E1_NS1_11comp_targetILNS1_3genE5ELNS1_11target_archE942ELNS1_3gpuE9ELNS1_3repE0EEENS1_30default_config_static_selectorELNS0_4arch9wavefront6targetE1EEEvSW_.kd
    .uniform_work_group_size: 1
    .uses_dynamic_stack: false
    .vgpr_count:     0
    .vgpr_spill_count: 0
    .wavefront_size: 64
  - .args:
      - .offset:         0
        .size:           64
        .value_kind:     by_value
    .group_segment_fixed_size: 0
    .kernarg_segment_align: 8
    .kernarg_segment_size: 64
    .language:       OpenCL C
    .language_version:
      - 2
      - 0
    .max_flat_workgroup_size: 256
    .name:           _ZN7rocprim17ROCPRIM_400000_NS6detail17trampoline_kernelINS0_14default_configENS1_22reduce_config_selectorIlEEZNS1_11reduce_implILb1ES3_N6thrust23THRUST_200600_302600_NS11hip_rocprim26transform_input_iterator_tIlNS8_12zip_iteratorINS8_5tupleINS8_6detail15normal_iteratorINS8_10device_ptrIjEEEESH_NS8_9null_typeESI_SI_SI_SI_SI_SI_SI_EEEENS9_21zip_adj_not_predicateINS8_8equal_toIjEEEEEEPllNS8_4plusIlEEEE10hipError_tPvRmT1_T2_T3_mT4_P12ihipStream_tbEUlT_E1_NS1_11comp_targetILNS1_3genE4ELNS1_11target_archE910ELNS1_3gpuE8ELNS1_3repE0EEENS1_30default_config_static_selectorELNS0_4arch9wavefront6targetE1EEEvSW_
    .private_segment_fixed_size: 0
    .sgpr_count:     4
    .sgpr_spill_count: 0
    .symbol:         _ZN7rocprim17ROCPRIM_400000_NS6detail17trampoline_kernelINS0_14default_configENS1_22reduce_config_selectorIlEEZNS1_11reduce_implILb1ES3_N6thrust23THRUST_200600_302600_NS11hip_rocprim26transform_input_iterator_tIlNS8_12zip_iteratorINS8_5tupleINS8_6detail15normal_iteratorINS8_10device_ptrIjEEEESH_NS8_9null_typeESI_SI_SI_SI_SI_SI_SI_EEEENS9_21zip_adj_not_predicateINS8_8equal_toIjEEEEEEPllNS8_4plusIlEEEE10hipError_tPvRmT1_T2_T3_mT4_P12ihipStream_tbEUlT_E1_NS1_11comp_targetILNS1_3genE4ELNS1_11target_archE910ELNS1_3gpuE8ELNS1_3repE0EEENS1_30default_config_static_selectorELNS0_4arch9wavefront6targetE1EEEvSW_.kd
    .uniform_work_group_size: 1
    .uses_dynamic_stack: false
    .vgpr_count:     0
    .vgpr_spill_count: 0
    .wavefront_size: 64
  - .args:
      - .offset:         0
        .size:           64
        .value_kind:     by_value
    .group_segment_fixed_size: 0
    .kernarg_segment_align: 8
    .kernarg_segment_size: 64
    .language:       OpenCL C
    .language_version:
      - 2
      - 0
    .max_flat_workgroup_size: 256
    .name:           _ZN7rocprim17ROCPRIM_400000_NS6detail17trampoline_kernelINS0_14default_configENS1_22reduce_config_selectorIlEEZNS1_11reduce_implILb1ES3_N6thrust23THRUST_200600_302600_NS11hip_rocprim26transform_input_iterator_tIlNS8_12zip_iteratorINS8_5tupleINS8_6detail15normal_iteratorINS8_10device_ptrIjEEEESH_NS8_9null_typeESI_SI_SI_SI_SI_SI_SI_EEEENS9_21zip_adj_not_predicateINS8_8equal_toIjEEEEEEPllNS8_4plusIlEEEE10hipError_tPvRmT1_T2_T3_mT4_P12ihipStream_tbEUlT_E1_NS1_11comp_targetILNS1_3genE3ELNS1_11target_archE908ELNS1_3gpuE7ELNS1_3repE0EEENS1_30default_config_static_selectorELNS0_4arch9wavefront6targetE1EEEvSW_
    .private_segment_fixed_size: 0
    .sgpr_count:     4
    .sgpr_spill_count: 0
    .symbol:         _ZN7rocprim17ROCPRIM_400000_NS6detail17trampoline_kernelINS0_14default_configENS1_22reduce_config_selectorIlEEZNS1_11reduce_implILb1ES3_N6thrust23THRUST_200600_302600_NS11hip_rocprim26transform_input_iterator_tIlNS8_12zip_iteratorINS8_5tupleINS8_6detail15normal_iteratorINS8_10device_ptrIjEEEESH_NS8_9null_typeESI_SI_SI_SI_SI_SI_SI_EEEENS9_21zip_adj_not_predicateINS8_8equal_toIjEEEEEEPllNS8_4plusIlEEEE10hipError_tPvRmT1_T2_T3_mT4_P12ihipStream_tbEUlT_E1_NS1_11comp_targetILNS1_3genE3ELNS1_11target_archE908ELNS1_3gpuE7ELNS1_3repE0EEENS1_30default_config_static_selectorELNS0_4arch9wavefront6targetE1EEEvSW_.kd
    .uniform_work_group_size: 1
    .uses_dynamic_stack: false
    .vgpr_count:     0
    .vgpr_spill_count: 0
    .wavefront_size: 64
  - .args:
      - .offset:         0
        .size:           64
        .value_kind:     by_value
    .group_segment_fixed_size: 192
    .kernarg_segment_align: 8
    .kernarg_segment_size: 64
    .language:       OpenCL C
    .language_version:
      - 2
      - 0
    .max_flat_workgroup_size: 256
    .name:           _ZN7rocprim17ROCPRIM_400000_NS6detail17trampoline_kernelINS0_14default_configENS1_22reduce_config_selectorIlEEZNS1_11reduce_implILb1ES3_N6thrust23THRUST_200600_302600_NS11hip_rocprim26transform_input_iterator_tIlNS8_12zip_iteratorINS8_5tupleINS8_6detail15normal_iteratorINS8_10device_ptrIjEEEESH_NS8_9null_typeESI_SI_SI_SI_SI_SI_SI_EEEENS9_21zip_adj_not_predicateINS8_8equal_toIjEEEEEEPllNS8_4plusIlEEEE10hipError_tPvRmT1_T2_T3_mT4_P12ihipStream_tbEUlT_E1_NS1_11comp_targetILNS1_3genE2ELNS1_11target_archE906ELNS1_3gpuE6ELNS1_3repE0EEENS1_30default_config_static_selectorELNS0_4arch9wavefront6targetE1EEEvSW_
    .private_segment_fixed_size: 0
    .sgpr_count:     38
    .sgpr_spill_count: 0
    .symbol:         _ZN7rocprim17ROCPRIM_400000_NS6detail17trampoline_kernelINS0_14default_configENS1_22reduce_config_selectorIlEEZNS1_11reduce_implILb1ES3_N6thrust23THRUST_200600_302600_NS11hip_rocprim26transform_input_iterator_tIlNS8_12zip_iteratorINS8_5tupleINS8_6detail15normal_iteratorINS8_10device_ptrIjEEEESH_NS8_9null_typeESI_SI_SI_SI_SI_SI_SI_EEEENS9_21zip_adj_not_predicateINS8_8equal_toIjEEEEEEPllNS8_4plusIlEEEE10hipError_tPvRmT1_T2_T3_mT4_P12ihipStream_tbEUlT_E1_NS1_11comp_targetILNS1_3genE2ELNS1_11target_archE906ELNS1_3gpuE6ELNS1_3repE0EEENS1_30default_config_static_selectorELNS0_4arch9wavefront6targetE1EEEvSW_.kd
    .uniform_work_group_size: 1
    .uses_dynamic_stack: false
    .vgpr_count:     34
    .vgpr_spill_count: 0
    .wavefront_size: 64
  - .args:
      - .offset:         0
        .size:           64
        .value_kind:     by_value
    .group_segment_fixed_size: 0
    .kernarg_segment_align: 8
    .kernarg_segment_size: 64
    .language:       OpenCL C
    .language_version:
      - 2
      - 0
    .max_flat_workgroup_size: 256
    .name:           _ZN7rocprim17ROCPRIM_400000_NS6detail17trampoline_kernelINS0_14default_configENS1_22reduce_config_selectorIlEEZNS1_11reduce_implILb1ES3_N6thrust23THRUST_200600_302600_NS11hip_rocprim26transform_input_iterator_tIlNS8_12zip_iteratorINS8_5tupleINS8_6detail15normal_iteratorINS8_10device_ptrIjEEEESH_NS8_9null_typeESI_SI_SI_SI_SI_SI_SI_EEEENS9_21zip_adj_not_predicateINS8_8equal_toIjEEEEEEPllNS8_4plusIlEEEE10hipError_tPvRmT1_T2_T3_mT4_P12ihipStream_tbEUlT_E1_NS1_11comp_targetILNS1_3genE10ELNS1_11target_archE1201ELNS1_3gpuE5ELNS1_3repE0EEENS1_30default_config_static_selectorELNS0_4arch9wavefront6targetE1EEEvSW_
    .private_segment_fixed_size: 0
    .sgpr_count:     4
    .sgpr_spill_count: 0
    .symbol:         _ZN7rocprim17ROCPRIM_400000_NS6detail17trampoline_kernelINS0_14default_configENS1_22reduce_config_selectorIlEEZNS1_11reduce_implILb1ES3_N6thrust23THRUST_200600_302600_NS11hip_rocprim26transform_input_iterator_tIlNS8_12zip_iteratorINS8_5tupleINS8_6detail15normal_iteratorINS8_10device_ptrIjEEEESH_NS8_9null_typeESI_SI_SI_SI_SI_SI_SI_EEEENS9_21zip_adj_not_predicateINS8_8equal_toIjEEEEEEPllNS8_4plusIlEEEE10hipError_tPvRmT1_T2_T3_mT4_P12ihipStream_tbEUlT_E1_NS1_11comp_targetILNS1_3genE10ELNS1_11target_archE1201ELNS1_3gpuE5ELNS1_3repE0EEENS1_30default_config_static_selectorELNS0_4arch9wavefront6targetE1EEEvSW_.kd
    .uniform_work_group_size: 1
    .uses_dynamic_stack: false
    .vgpr_count:     0
    .vgpr_spill_count: 0
    .wavefront_size: 64
  - .args:
      - .offset:         0
        .size:           64
        .value_kind:     by_value
    .group_segment_fixed_size: 0
    .kernarg_segment_align: 8
    .kernarg_segment_size: 64
    .language:       OpenCL C
    .language_version:
      - 2
      - 0
    .max_flat_workgroup_size: 256
    .name:           _ZN7rocprim17ROCPRIM_400000_NS6detail17trampoline_kernelINS0_14default_configENS1_22reduce_config_selectorIlEEZNS1_11reduce_implILb1ES3_N6thrust23THRUST_200600_302600_NS11hip_rocprim26transform_input_iterator_tIlNS8_12zip_iteratorINS8_5tupleINS8_6detail15normal_iteratorINS8_10device_ptrIjEEEESH_NS8_9null_typeESI_SI_SI_SI_SI_SI_SI_EEEENS9_21zip_adj_not_predicateINS8_8equal_toIjEEEEEEPllNS8_4plusIlEEEE10hipError_tPvRmT1_T2_T3_mT4_P12ihipStream_tbEUlT_E1_NS1_11comp_targetILNS1_3genE10ELNS1_11target_archE1200ELNS1_3gpuE4ELNS1_3repE0EEENS1_30default_config_static_selectorELNS0_4arch9wavefront6targetE1EEEvSW_
    .private_segment_fixed_size: 0
    .sgpr_count:     4
    .sgpr_spill_count: 0
    .symbol:         _ZN7rocprim17ROCPRIM_400000_NS6detail17trampoline_kernelINS0_14default_configENS1_22reduce_config_selectorIlEEZNS1_11reduce_implILb1ES3_N6thrust23THRUST_200600_302600_NS11hip_rocprim26transform_input_iterator_tIlNS8_12zip_iteratorINS8_5tupleINS8_6detail15normal_iteratorINS8_10device_ptrIjEEEESH_NS8_9null_typeESI_SI_SI_SI_SI_SI_SI_EEEENS9_21zip_adj_not_predicateINS8_8equal_toIjEEEEEEPllNS8_4plusIlEEEE10hipError_tPvRmT1_T2_T3_mT4_P12ihipStream_tbEUlT_E1_NS1_11comp_targetILNS1_3genE10ELNS1_11target_archE1200ELNS1_3gpuE4ELNS1_3repE0EEENS1_30default_config_static_selectorELNS0_4arch9wavefront6targetE1EEEvSW_.kd
    .uniform_work_group_size: 1
    .uses_dynamic_stack: false
    .vgpr_count:     0
    .vgpr_spill_count: 0
    .wavefront_size: 64
  - .args:
      - .offset:         0
        .size:           64
        .value_kind:     by_value
    .group_segment_fixed_size: 0
    .kernarg_segment_align: 8
    .kernarg_segment_size: 64
    .language:       OpenCL C
    .language_version:
      - 2
      - 0
    .max_flat_workgroup_size: 256
    .name:           _ZN7rocprim17ROCPRIM_400000_NS6detail17trampoline_kernelINS0_14default_configENS1_22reduce_config_selectorIlEEZNS1_11reduce_implILb1ES3_N6thrust23THRUST_200600_302600_NS11hip_rocprim26transform_input_iterator_tIlNS8_12zip_iteratorINS8_5tupleINS8_6detail15normal_iteratorINS8_10device_ptrIjEEEESH_NS8_9null_typeESI_SI_SI_SI_SI_SI_SI_EEEENS9_21zip_adj_not_predicateINS8_8equal_toIjEEEEEEPllNS8_4plusIlEEEE10hipError_tPvRmT1_T2_T3_mT4_P12ihipStream_tbEUlT_E1_NS1_11comp_targetILNS1_3genE9ELNS1_11target_archE1100ELNS1_3gpuE3ELNS1_3repE0EEENS1_30default_config_static_selectorELNS0_4arch9wavefront6targetE1EEEvSW_
    .private_segment_fixed_size: 0
    .sgpr_count:     4
    .sgpr_spill_count: 0
    .symbol:         _ZN7rocprim17ROCPRIM_400000_NS6detail17trampoline_kernelINS0_14default_configENS1_22reduce_config_selectorIlEEZNS1_11reduce_implILb1ES3_N6thrust23THRUST_200600_302600_NS11hip_rocprim26transform_input_iterator_tIlNS8_12zip_iteratorINS8_5tupleINS8_6detail15normal_iteratorINS8_10device_ptrIjEEEESH_NS8_9null_typeESI_SI_SI_SI_SI_SI_SI_EEEENS9_21zip_adj_not_predicateINS8_8equal_toIjEEEEEEPllNS8_4plusIlEEEE10hipError_tPvRmT1_T2_T3_mT4_P12ihipStream_tbEUlT_E1_NS1_11comp_targetILNS1_3genE9ELNS1_11target_archE1100ELNS1_3gpuE3ELNS1_3repE0EEENS1_30default_config_static_selectorELNS0_4arch9wavefront6targetE1EEEvSW_.kd
    .uniform_work_group_size: 1
    .uses_dynamic_stack: false
    .vgpr_count:     0
    .vgpr_spill_count: 0
    .wavefront_size: 64
  - .args:
      - .offset:         0
        .size:           64
        .value_kind:     by_value
    .group_segment_fixed_size: 0
    .kernarg_segment_align: 8
    .kernarg_segment_size: 64
    .language:       OpenCL C
    .language_version:
      - 2
      - 0
    .max_flat_workgroup_size: 256
    .name:           _ZN7rocprim17ROCPRIM_400000_NS6detail17trampoline_kernelINS0_14default_configENS1_22reduce_config_selectorIlEEZNS1_11reduce_implILb1ES3_N6thrust23THRUST_200600_302600_NS11hip_rocprim26transform_input_iterator_tIlNS8_12zip_iteratorINS8_5tupleINS8_6detail15normal_iteratorINS8_10device_ptrIjEEEESH_NS8_9null_typeESI_SI_SI_SI_SI_SI_SI_EEEENS9_21zip_adj_not_predicateINS8_8equal_toIjEEEEEEPllNS8_4plusIlEEEE10hipError_tPvRmT1_T2_T3_mT4_P12ihipStream_tbEUlT_E1_NS1_11comp_targetILNS1_3genE8ELNS1_11target_archE1030ELNS1_3gpuE2ELNS1_3repE0EEENS1_30default_config_static_selectorELNS0_4arch9wavefront6targetE1EEEvSW_
    .private_segment_fixed_size: 0
    .sgpr_count:     4
    .sgpr_spill_count: 0
    .symbol:         _ZN7rocprim17ROCPRIM_400000_NS6detail17trampoline_kernelINS0_14default_configENS1_22reduce_config_selectorIlEEZNS1_11reduce_implILb1ES3_N6thrust23THRUST_200600_302600_NS11hip_rocprim26transform_input_iterator_tIlNS8_12zip_iteratorINS8_5tupleINS8_6detail15normal_iteratorINS8_10device_ptrIjEEEESH_NS8_9null_typeESI_SI_SI_SI_SI_SI_SI_EEEENS9_21zip_adj_not_predicateINS8_8equal_toIjEEEEEEPllNS8_4plusIlEEEE10hipError_tPvRmT1_T2_T3_mT4_P12ihipStream_tbEUlT_E1_NS1_11comp_targetILNS1_3genE8ELNS1_11target_archE1030ELNS1_3gpuE2ELNS1_3repE0EEENS1_30default_config_static_selectorELNS0_4arch9wavefront6targetE1EEEvSW_.kd
    .uniform_work_group_size: 1
    .uses_dynamic_stack: false
    .vgpr_count:     0
    .vgpr_spill_count: 0
    .wavefront_size: 64
  - .args:
      - .offset:         0
        .size:           80
        .value_kind:     by_value
    .group_segment_fixed_size: 0
    .kernarg_segment_align: 8
    .kernarg_segment_size: 80
    .language:       OpenCL C
    .language_version:
      - 2
      - 0
    .max_flat_workgroup_size: 256
    .name:           _ZN7rocprim17ROCPRIM_400000_NS6detail17trampoline_kernelINS0_14default_configENS1_22reduce_config_selectorIlEEZNS1_11reduce_implILb1ES3_N6thrust23THRUST_200600_302600_NS11hip_rocprim26transform_input_iterator_tIlNS8_12zip_iteratorINS8_5tupleINS8_6detail15normal_iteratorINS8_10device_ptrIjEEEESH_NS8_9null_typeESI_SI_SI_SI_SI_SI_SI_EEEENS9_21zip_adj_not_predicateI22is_equal_div_10_uniqueIjEEEEEPllNS8_4plusIlEEEE10hipError_tPvRmT1_T2_T3_mT4_P12ihipStream_tbEUlT_E0_NS1_11comp_targetILNS1_3genE0ELNS1_11target_archE4294967295ELNS1_3gpuE0ELNS1_3repE0EEENS1_30default_config_static_selectorELNS0_4arch9wavefront6targetE1EEEvSW_
    .private_segment_fixed_size: 0
    .sgpr_count:     4
    .sgpr_spill_count: 0
    .symbol:         _ZN7rocprim17ROCPRIM_400000_NS6detail17trampoline_kernelINS0_14default_configENS1_22reduce_config_selectorIlEEZNS1_11reduce_implILb1ES3_N6thrust23THRUST_200600_302600_NS11hip_rocprim26transform_input_iterator_tIlNS8_12zip_iteratorINS8_5tupleINS8_6detail15normal_iteratorINS8_10device_ptrIjEEEESH_NS8_9null_typeESI_SI_SI_SI_SI_SI_SI_EEEENS9_21zip_adj_not_predicateI22is_equal_div_10_uniqueIjEEEEEPllNS8_4plusIlEEEE10hipError_tPvRmT1_T2_T3_mT4_P12ihipStream_tbEUlT_E0_NS1_11comp_targetILNS1_3genE0ELNS1_11target_archE4294967295ELNS1_3gpuE0ELNS1_3repE0EEENS1_30default_config_static_selectorELNS0_4arch9wavefront6targetE1EEEvSW_.kd
    .uniform_work_group_size: 1
    .uses_dynamic_stack: false
    .vgpr_count:     0
    .vgpr_spill_count: 0
    .wavefront_size: 64
  - .args:
      - .offset:         0
        .size:           80
        .value_kind:     by_value
    .group_segment_fixed_size: 0
    .kernarg_segment_align: 8
    .kernarg_segment_size: 80
    .language:       OpenCL C
    .language_version:
      - 2
      - 0
    .max_flat_workgroup_size: 256
    .name:           _ZN7rocprim17ROCPRIM_400000_NS6detail17trampoline_kernelINS0_14default_configENS1_22reduce_config_selectorIlEEZNS1_11reduce_implILb1ES3_N6thrust23THRUST_200600_302600_NS11hip_rocprim26transform_input_iterator_tIlNS8_12zip_iteratorINS8_5tupleINS8_6detail15normal_iteratorINS8_10device_ptrIjEEEESH_NS8_9null_typeESI_SI_SI_SI_SI_SI_SI_EEEENS9_21zip_adj_not_predicateI22is_equal_div_10_uniqueIjEEEEEPllNS8_4plusIlEEEE10hipError_tPvRmT1_T2_T3_mT4_P12ihipStream_tbEUlT_E0_NS1_11comp_targetILNS1_3genE5ELNS1_11target_archE942ELNS1_3gpuE9ELNS1_3repE0EEENS1_30default_config_static_selectorELNS0_4arch9wavefront6targetE1EEEvSW_
    .private_segment_fixed_size: 0
    .sgpr_count:     4
    .sgpr_spill_count: 0
    .symbol:         _ZN7rocprim17ROCPRIM_400000_NS6detail17trampoline_kernelINS0_14default_configENS1_22reduce_config_selectorIlEEZNS1_11reduce_implILb1ES3_N6thrust23THRUST_200600_302600_NS11hip_rocprim26transform_input_iterator_tIlNS8_12zip_iteratorINS8_5tupleINS8_6detail15normal_iteratorINS8_10device_ptrIjEEEESH_NS8_9null_typeESI_SI_SI_SI_SI_SI_SI_EEEENS9_21zip_adj_not_predicateI22is_equal_div_10_uniqueIjEEEEEPllNS8_4plusIlEEEE10hipError_tPvRmT1_T2_T3_mT4_P12ihipStream_tbEUlT_E0_NS1_11comp_targetILNS1_3genE5ELNS1_11target_archE942ELNS1_3gpuE9ELNS1_3repE0EEENS1_30default_config_static_selectorELNS0_4arch9wavefront6targetE1EEEvSW_.kd
    .uniform_work_group_size: 1
    .uses_dynamic_stack: false
    .vgpr_count:     0
    .vgpr_spill_count: 0
    .wavefront_size: 64
  - .args:
      - .offset:         0
        .size:           80
        .value_kind:     by_value
    .group_segment_fixed_size: 0
    .kernarg_segment_align: 8
    .kernarg_segment_size: 80
    .language:       OpenCL C
    .language_version:
      - 2
      - 0
    .max_flat_workgroup_size: 256
    .name:           _ZN7rocprim17ROCPRIM_400000_NS6detail17trampoline_kernelINS0_14default_configENS1_22reduce_config_selectorIlEEZNS1_11reduce_implILb1ES3_N6thrust23THRUST_200600_302600_NS11hip_rocprim26transform_input_iterator_tIlNS8_12zip_iteratorINS8_5tupleINS8_6detail15normal_iteratorINS8_10device_ptrIjEEEESH_NS8_9null_typeESI_SI_SI_SI_SI_SI_SI_EEEENS9_21zip_adj_not_predicateI22is_equal_div_10_uniqueIjEEEEEPllNS8_4plusIlEEEE10hipError_tPvRmT1_T2_T3_mT4_P12ihipStream_tbEUlT_E0_NS1_11comp_targetILNS1_3genE4ELNS1_11target_archE910ELNS1_3gpuE8ELNS1_3repE0EEENS1_30default_config_static_selectorELNS0_4arch9wavefront6targetE1EEEvSW_
    .private_segment_fixed_size: 0
    .sgpr_count:     4
    .sgpr_spill_count: 0
    .symbol:         _ZN7rocprim17ROCPRIM_400000_NS6detail17trampoline_kernelINS0_14default_configENS1_22reduce_config_selectorIlEEZNS1_11reduce_implILb1ES3_N6thrust23THRUST_200600_302600_NS11hip_rocprim26transform_input_iterator_tIlNS8_12zip_iteratorINS8_5tupleINS8_6detail15normal_iteratorINS8_10device_ptrIjEEEESH_NS8_9null_typeESI_SI_SI_SI_SI_SI_SI_EEEENS9_21zip_adj_not_predicateI22is_equal_div_10_uniqueIjEEEEEPllNS8_4plusIlEEEE10hipError_tPvRmT1_T2_T3_mT4_P12ihipStream_tbEUlT_E0_NS1_11comp_targetILNS1_3genE4ELNS1_11target_archE910ELNS1_3gpuE8ELNS1_3repE0EEENS1_30default_config_static_selectorELNS0_4arch9wavefront6targetE1EEEvSW_.kd
    .uniform_work_group_size: 1
    .uses_dynamic_stack: false
    .vgpr_count:     0
    .vgpr_spill_count: 0
    .wavefront_size: 64
  - .args:
      - .offset:         0
        .size:           80
        .value_kind:     by_value
    .group_segment_fixed_size: 0
    .kernarg_segment_align: 8
    .kernarg_segment_size: 80
    .language:       OpenCL C
    .language_version:
      - 2
      - 0
    .max_flat_workgroup_size: 256
    .name:           _ZN7rocprim17ROCPRIM_400000_NS6detail17trampoline_kernelINS0_14default_configENS1_22reduce_config_selectorIlEEZNS1_11reduce_implILb1ES3_N6thrust23THRUST_200600_302600_NS11hip_rocprim26transform_input_iterator_tIlNS8_12zip_iteratorINS8_5tupleINS8_6detail15normal_iteratorINS8_10device_ptrIjEEEESH_NS8_9null_typeESI_SI_SI_SI_SI_SI_SI_EEEENS9_21zip_adj_not_predicateI22is_equal_div_10_uniqueIjEEEEEPllNS8_4plusIlEEEE10hipError_tPvRmT1_T2_T3_mT4_P12ihipStream_tbEUlT_E0_NS1_11comp_targetILNS1_3genE3ELNS1_11target_archE908ELNS1_3gpuE7ELNS1_3repE0EEENS1_30default_config_static_selectorELNS0_4arch9wavefront6targetE1EEEvSW_
    .private_segment_fixed_size: 0
    .sgpr_count:     4
    .sgpr_spill_count: 0
    .symbol:         _ZN7rocprim17ROCPRIM_400000_NS6detail17trampoline_kernelINS0_14default_configENS1_22reduce_config_selectorIlEEZNS1_11reduce_implILb1ES3_N6thrust23THRUST_200600_302600_NS11hip_rocprim26transform_input_iterator_tIlNS8_12zip_iteratorINS8_5tupleINS8_6detail15normal_iteratorINS8_10device_ptrIjEEEESH_NS8_9null_typeESI_SI_SI_SI_SI_SI_SI_EEEENS9_21zip_adj_not_predicateI22is_equal_div_10_uniqueIjEEEEEPllNS8_4plusIlEEEE10hipError_tPvRmT1_T2_T3_mT4_P12ihipStream_tbEUlT_E0_NS1_11comp_targetILNS1_3genE3ELNS1_11target_archE908ELNS1_3gpuE7ELNS1_3repE0EEENS1_30default_config_static_selectorELNS0_4arch9wavefront6targetE1EEEvSW_.kd
    .uniform_work_group_size: 1
    .uses_dynamic_stack: false
    .vgpr_count:     0
    .vgpr_spill_count: 0
    .wavefront_size: 64
  - .args:
      - .offset:         0
        .size:           80
        .value_kind:     by_value
    .group_segment_fixed_size: 64
    .kernarg_segment_align: 8
    .kernarg_segment_size: 80
    .language:       OpenCL C
    .language_version:
      - 2
      - 0
    .max_flat_workgroup_size: 256
    .name:           _ZN7rocprim17ROCPRIM_400000_NS6detail17trampoline_kernelINS0_14default_configENS1_22reduce_config_selectorIlEEZNS1_11reduce_implILb1ES3_N6thrust23THRUST_200600_302600_NS11hip_rocprim26transform_input_iterator_tIlNS8_12zip_iteratorINS8_5tupleINS8_6detail15normal_iteratorINS8_10device_ptrIjEEEESH_NS8_9null_typeESI_SI_SI_SI_SI_SI_SI_EEEENS9_21zip_adj_not_predicateI22is_equal_div_10_uniqueIjEEEEEPllNS8_4plusIlEEEE10hipError_tPvRmT1_T2_T3_mT4_P12ihipStream_tbEUlT_E0_NS1_11comp_targetILNS1_3genE2ELNS1_11target_archE906ELNS1_3gpuE6ELNS1_3repE0EEENS1_30default_config_static_selectorELNS0_4arch9wavefront6targetE1EEEvSW_
    .private_segment_fixed_size: 0
    .sgpr_count:     26
    .sgpr_spill_count: 0
    .symbol:         _ZN7rocprim17ROCPRIM_400000_NS6detail17trampoline_kernelINS0_14default_configENS1_22reduce_config_selectorIlEEZNS1_11reduce_implILb1ES3_N6thrust23THRUST_200600_302600_NS11hip_rocprim26transform_input_iterator_tIlNS8_12zip_iteratorINS8_5tupleINS8_6detail15normal_iteratorINS8_10device_ptrIjEEEESH_NS8_9null_typeESI_SI_SI_SI_SI_SI_SI_EEEENS9_21zip_adj_not_predicateI22is_equal_div_10_uniqueIjEEEEEPllNS8_4plusIlEEEE10hipError_tPvRmT1_T2_T3_mT4_P12ihipStream_tbEUlT_E0_NS1_11comp_targetILNS1_3genE2ELNS1_11target_archE906ELNS1_3gpuE6ELNS1_3repE0EEENS1_30default_config_static_selectorELNS0_4arch9wavefront6targetE1EEEvSW_.kd
    .uniform_work_group_size: 1
    .uses_dynamic_stack: false
    .vgpr_count:     15
    .vgpr_spill_count: 0
    .wavefront_size: 64
  - .args:
      - .offset:         0
        .size:           80
        .value_kind:     by_value
    .group_segment_fixed_size: 0
    .kernarg_segment_align: 8
    .kernarg_segment_size: 80
    .language:       OpenCL C
    .language_version:
      - 2
      - 0
    .max_flat_workgroup_size: 256
    .name:           _ZN7rocprim17ROCPRIM_400000_NS6detail17trampoline_kernelINS0_14default_configENS1_22reduce_config_selectorIlEEZNS1_11reduce_implILb1ES3_N6thrust23THRUST_200600_302600_NS11hip_rocprim26transform_input_iterator_tIlNS8_12zip_iteratorINS8_5tupleINS8_6detail15normal_iteratorINS8_10device_ptrIjEEEESH_NS8_9null_typeESI_SI_SI_SI_SI_SI_SI_EEEENS9_21zip_adj_not_predicateI22is_equal_div_10_uniqueIjEEEEEPllNS8_4plusIlEEEE10hipError_tPvRmT1_T2_T3_mT4_P12ihipStream_tbEUlT_E0_NS1_11comp_targetILNS1_3genE10ELNS1_11target_archE1201ELNS1_3gpuE5ELNS1_3repE0EEENS1_30default_config_static_selectorELNS0_4arch9wavefront6targetE1EEEvSW_
    .private_segment_fixed_size: 0
    .sgpr_count:     4
    .sgpr_spill_count: 0
    .symbol:         _ZN7rocprim17ROCPRIM_400000_NS6detail17trampoline_kernelINS0_14default_configENS1_22reduce_config_selectorIlEEZNS1_11reduce_implILb1ES3_N6thrust23THRUST_200600_302600_NS11hip_rocprim26transform_input_iterator_tIlNS8_12zip_iteratorINS8_5tupleINS8_6detail15normal_iteratorINS8_10device_ptrIjEEEESH_NS8_9null_typeESI_SI_SI_SI_SI_SI_SI_EEEENS9_21zip_adj_not_predicateI22is_equal_div_10_uniqueIjEEEEEPllNS8_4plusIlEEEE10hipError_tPvRmT1_T2_T3_mT4_P12ihipStream_tbEUlT_E0_NS1_11comp_targetILNS1_3genE10ELNS1_11target_archE1201ELNS1_3gpuE5ELNS1_3repE0EEENS1_30default_config_static_selectorELNS0_4arch9wavefront6targetE1EEEvSW_.kd
    .uniform_work_group_size: 1
    .uses_dynamic_stack: false
    .vgpr_count:     0
    .vgpr_spill_count: 0
    .wavefront_size: 64
  - .args:
      - .offset:         0
        .size:           80
        .value_kind:     by_value
    .group_segment_fixed_size: 0
    .kernarg_segment_align: 8
    .kernarg_segment_size: 80
    .language:       OpenCL C
    .language_version:
      - 2
      - 0
    .max_flat_workgroup_size: 256
    .name:           _ZN7rocprim17ROCPRIM_400000_NS6detail17trampoline_kernelINS0_14default_configENS1_22reduce_config_selectorIlEEZNS1_11reduce_implILb1ES3_N6thrust23THRUST_200600_302600_NS11hip_rocprim26transform_input_iterator_tIlNS8_12zip_iteratorINS8_5tupleINS8_6detail15normal_iteratorINS8_10device_ptrIjEEEESH_NS8_9null_typeESI_SI_SI_SI_SI_SI_SI_EEEENS9_21zip_adj_not_predicateI22is_equal_div_10_uniqueIjEEEEEPllNS8_4plusIlEEEE10hipError_tPvRmT1_T2_T3_mT4_P12ihipStream_tbEUlT_E0_NS1_11comp_targetILNS1_3genE10ELNS1_11target_archE1200ELNS1_3gpuE4ELNS1_3repE0EEENS1_30default_config_static_selectorELNS0_4arch9wavefront6targetE1EEEvSW_
    .private_segment_fixed_size: 0
    .sgpr_count:     4
    .sgpr_spill_count: 0
    .symbol:         _ZN7rocprim17ROCPRIM_400000_NS6detail17trampoline_kernelINS0_14default_configENS1_22reduce_config_selectorIlEEZNS1_11reduce_implILb1ES3_N6thrust23THRUST_200600_302600_NS11hip_rocprim26transform_input_iterator_tIlNS8_12zip_iteratorINS8_5tupleINS8_6detail15normal_iteratorINS8_10device_ptrIjEEEESH_NS8_9null_typeESI_SI_SI_SI_SI_SI_SI_EEEENS9_21zip_adj_not_predicateI22is_equal_div_10_uniqueIjEEEEEPllNS8_4plusIlEEEE10hipError_tPvRmT1_T2_T3_mT4_P12ihipStream_tbEUlT_E0_NS1_11comp_targetILNS1_3genE10ELNS1_11target_archE1200ELNS1_3gpuE4ELNS1_3repE0EEENS1_30default_config_static_selectorELNS0_4arch9wavefront6targetE1EEEvSW_.kd
    .uniform_work_group_size: 1
    .uses_dynamic_stack: false
    .vgpr_count:     0
    .vgpr_spill_count: 0
    .wavefront_size: 64
  - .args:
      - .offset:         0
        .size:           80
        .value_kind:     by_value
    .group_segment_fixed_size: 0
    .kernarg_segment_align: 8
    .kernarg_segment_size: 80
    .language:       OpenCL C
    .language_version:
      - 2
      - 0
    .max_flat_workgroup_size: 256
    .name:           _ZN7rocprim17ROCPRIM_400000_NS6detail17trampoline_kernelINS0_14default_configENS1_22reduce_config_selectorIlEEZNS1_11reduce_implILb1ES3_N6thrust23THRUST_200600_302600_NS11hip_rocprim26transform_input_iterator_tIlNS8_12zip_iteratorINS8_5tupleINS8_6detail15normal_iteratorINS8_10device_ptrIjEEEESH_NS8_9null_typeESI_SI_SI_SI_SI_SI_SI_EEEENS9_21zip_adj_not_predicateI22is_equal_div_10_uniqueIjEEEEEPllNS8_4plusIlEEEE10hipError_tPvRmT1_T2_T3_mT4_P12ihipStream_tbEUlT_E0_NS1_11comp_targetILNS1_3genE9ELNS1_11target_archE1100ELNS1_3gpuE3ELNS1_3repE0EEENS1_30default_config_static_selectorELNS0_4arch9wavefront6targetE1EEEvSW_
    .private_segment_fixed_size: 0
    .sgpr_count:     4
    .sgpr_spill_count: 0
    .symbol:         _ZN7rocprim17ROCPRIM_400000_NS6detail17trampoline_kernelINS0_14default_configENS1_22reduce_config_selectorIlEEZNS1_11reduce_implILb1ES3_N6thrust23THRUST_200600_302600_NS11hip_rocprim26transform_input_iterator_tIlNS8_12zip_iteratorINS8_5tupleINS8_6detail15normal_iteratorINS8_10device_ptrIjEEEESH_NS8_9null_typeESI_SI_SI_SI_SI_SI_SI_EEEENS9_21zip_adj_not_predicateI22is_equal_div_10_uniqueIjEEEEEPllNS8_4plusIlEEEE10hipError_tPvRmT1_T2_T3_mT4_P12ihipStream_tbEUlT_E0_NS1_11comp_targetILNS1_3genE9ELNS1_11target_archE1100ELNS1_3gpuE3ELNS1_3repE0EEENS1_30default_config_static_selectorELNS0_4arch9wavefront6targetE1EEEvSW_.kd
    .uniform_work_group_size: 1
    .uses_dynamic_stack: false
    .vgpr_count:     0
    .vgpr_spill_count: 0
    .wavefront_size: 64
  - .args:
      - .offset:         0
        .size:           80
        .value_kind:     by_value
    .group_segment_fixed_size: 0
    .kernarg_segment_align: 8
    .kernarg_segment_size: 80
    .language:       OpenCL C
    .language_version:
      - 2
      - 0
    .max_flat_workgroup_size: 256
    .name:           _ZN7rocprim17ROCPRIM_400000_NS6detail17trampoline_kernelINS0_14default_configENS1_22reduce_config_selectorIlEEZNS1_11reduce_implILb1ES3_N6thrust23THRUST_200600_302600_NS11hip_rocprim26transform_input_iterator_tIlNS8_12zip_iteratorINS8_5tupleINS8_6detail15normal_iteratorINS8_10device_ptrIjEEEESH_NS8_9null_typeESI_SI_SI_SI_SI_SI_SI_EEEENS9_21zip_adj_not_predicateI22is_equal_div_10_uniqueIjEEEEEPllNS8_4plusIlEEEE10hipError_tPvRmT1_T2_T3_mT4_P12ihipStream_tbEUlT_E0_NS1_11comp_targetILNS1_3genE8ELNS1_11target_archE1030ELNS1_3gpuE2ELNS1_3repE0EEENS1_30default_config_static_selectorELNS0_4arch9wavefront6targetE1EEEvSW_
    .private_segment_fixed_size: 0
    .sgpr_count:     4
    .sgpr_spill_count: 0
    .symbol:         _ZN7rocprim17ROCPRIM_400000_NS6detail17trampoline_kernelINS0_14default_configENS1_22reduce_config_selectorIlEEZNS1_11reduce_implILb1ES3_N6thrust23THRUST_200600_302600_NS11hip_rocprim26transform_input_iterator_tIlNS8_12zip_iteratorINS8_5tupleINS8_6detail15normal_iteratorINS8_10device_ptrIjEEEESH_NS8_9null_typeESI_SI_SI_SI_SI_SI_SI_EEEENS9_21zip_adj_not_predicateI22is_equal_div_10_uniqueIjEEEEEPllNS8_4plusIlEEEE10hipError_tPvRmT1_T2_T3_mT4_P12ihipStream_tbEUlT_E0_NS1_11comp_targetILNS1_3genE8ELNS1_11target_archE1030ELNS1_3gpuE2ELNS1_3repE0EEENS1_30default_config_static_selectorELNS0_4arch9wavefront6targetE1EEEvSW_.kd
    .uniform_work_group_size: 1
    .uses_dynamic_stack: false
    .vgpr_count:     0
    .vgpr_spill_count: 0
    .wavefront_size: 64
  - .args:
      - .offset:         0
        .size:           64
        .value_kind:     by_value
    .group_segment_fixed_size: 0
    .kernarg_segment_align: 8
    .kernarg_segment_size: 64
    .language:       OpenCL C
    .language_version:
      - 2
      - 0
    .max_flat_workgroup_size: 256
    .name:           _ZN7rocprim17ROCPRIM_400000_NS6detail17trampoline_kernelINS0_14default_configENS1_22reduce_config_selectorIlEEZNS1_11reduce_implILb1ES3_N6thrust23THRUST_200600_302600_NS11hip_rocprim26transform_input_iterator_tIlNS8_12zip_iteratorINS8_5tupleINS8_6detail15normal_iteratorINS8_10device_ptrIjEEEESH_NS8_9null_typeESI_SI_SI_SI_SI_SI_SI_EEEENS9_21zip_adj_not_predicateI22is_equal_div_10_uniqueIjEEEEEPllNS8_4plusIlEEEE10hipError_tPvRmT1_T2_T3_mT4_P12ihipStream_tbEUlT_E1_NS1_11comp_targetILNS1_3genE0ELNS1_11target_archE4294967295ELNS1_3gpuE0ELNS1_3repE0EEENS1_30default_config_static_selectorELNS0_4arch9wavefront6targetE1EEEvSW_
    .private_segment_fixed_size: 0
    .sgpr_count:     4
    .sgpr_spill_count: 0
    .symbol:         _ZN7rocprim17ROCPRIM_400000_NS6detail17trampoline_kernelINS0_14default_configENS1_22reduce_config_selectorIlEEZNS1_11reduce_implILb1ES3_N6thrust23THRUST_200600_302600_NS11hip_rocprim26transform_input_iterator_tIlNS8_12zip_iteratorINS8_5tupleINS8_6detail15normal_iteratorINS8_10device_ptrIjEEEESH_NS8_9null_typeESI_SI_SI_SI_SI_SI_SI_EEEENS9_21zip_adj_not_predicateI22is_equal_div_10_uniqueIjEEEEEPllNS8_4plusIlEEEE10hipError_tPvRmT1_T2_T3_mT4_P12ihipStream_tbEUlT_E1_NS1_11comp_targetILNS1_3genE0ELNS1_11target_archE4294967295ELNS1_3gpuE0ELNS1_3repE0EEENS1_30default_config_static_selectorELNS0_4arch9wavefront6targetE1EEEvSW_.kd
    .uniform_work_group_size: 1
    .uses_dynamic_stack: false
    .vgpr_count:     0
    .vgpr_spill_count: 0
    .wavefront_size: 64
  - .args:
      - .offset:         0
        .size:           64
        .value_kind:     by_value
    .group_segment_fixed_size: 0
    .kernarg_segment_align: 8
    .kernarg_segment_size: 64
    .language:       OpenCL C
    .language_version:
      - 2
      - 0
    .max_flat_workgroup_size: 256
    .name:           _ZN7rocprim17ROCPRIM_400000_NS6detail17trampoline_kernelINS0_14default_configENS1_22reduce_config_selectorIlEEZNS1_11reduce_implILb1ES3_N6thrust23THRUST_200600_302600_NS11hip_rocprim26transform_input_iterator_tIlNS8_12zip_iteratorINS8_5tupleINS8_6detail15normal_iteratorINS8_10device_ptrIjEEEESH_NS8_9null_typeESI_SI_SI_SI_SI_SI_SI_EEEENS9_21zip_adj_not_predicateI22is_equal_div_10_uniqueIjEEEEEPllNS8_4plusIlEEEE10hipError_tPvRmT1_T2_T3_mT4_P12ihipStream_tbEUlT_E1_NS1_11comp_targetILNS1_3genE5ELNS1_11target_archE942ELNS1_3gpuE9ELNS1_3repE0EEENS1_30default_config_static_selectorELNS0_4arch9wavefront6targetE1EEEvSW_
    .private_segment_fixed_size: 0
    .sgpr_count:     4
    .sgpr_spill_count: 0
    .symbol:         _ZN7rocprim17ROCPRIM_400000_NS6detail17trampoline_kernelINS0_14default_configENS1_22reduce_config_selectorIlEEZNS1_11reduce_implILb1ES3_N6thrust23THRUST_200600_302600_NS11hip_rocprim26transform_input_iterator_tIlNS8_12zip_iteratorINS8_5tupleINS8_6detail15normal_iteratorINS8_10device_ptrIjEEEESH_NS8_9null_typeESI_SI_SI_SI_SI_SI_SI_EEEENS9_21zip_adj_not_predicateI22is_equal_div_10_uniqueIjEEEEEPllNS8_4plusIlEEEE10hipError_tPvRmT1_T2_T3_mT4_P12ihipStream_tbEUlT_E1_NS1_11comp_targetILNS1_3genE5ELNS1_11target_archE942ELNS1_3gpuE9ELNS1_3repE0EEENS1_30default_config_static_selectorELNS0_4arch9wavefront6targetE1EEEvSW_.kd
    .uniform_work_group_size: 1
    .uses_dynamic_stack: false
    .vgpr_count:     0
    .vgpr_spill_count: 0
    .wavefront_size: 64
  - .args:
      - .offset:         0
        .size:           64
        .value_kind:     by_value
    .group_segment_fixed_size: 0
    .kernarg_segment_align: 8
    .kernarg_segment_size: 64
    .language:       OpenCL C
    .language_version:
      - 2
      - 0
    .max_flat_workgroup_size: 256
    .name:           _ZN7rocprim17ROCPRIM_400000_NS6detail17trampoline_kernelINS0_14default_configENS1_22reduce_config_selectorIlEEZNS1_11reduce_implILb1ES3_N6thrust23THRUST_200600_302600_NS11hip_rocprim26transform_input_iterator_tIlNS8_12zip_iteratorINS8_5tupleINS8_6detail15normal_iteratorINS8_10device_ptrIjEEEESH_NS8_9null_typeESI_SI_SI_SI_SI_SI_SI_EEEENS9_21zip_adj_not_predicateI22is_equal_div_10_uniqueIjEEEEEPllNS8_4plusIlEEEE10hipError_tPvRmT1_T2_T3_mT4_P12ihipStream_tbEUlT_E1_NS1_11comp_targetILNS1_3genE4ELNS1_11target_archE910ELNS1_3gpuE8ELNS1_3repE0EEENS1_30default_config_static_selectorELNS0_4arch9wavefront6targetE1EEEvSW_
    .private_segment_fixed_size: 0
    .sgpr_count:     4
    .sgpr_spill_count: 0
    .symbol:         _ZN7rocprim17ROCPRIM_400000_NS6detail17trampoline_kernelINS0_14default_configENS1_22reduce_config_selectorIlEEZNS1_11reduce_implILb1ES3_N6thrust23THRUST_200600_302600_NS11hip_rocprim26transform_input_iterator_tIlNS8_12zip_iteratorINS8_5tupleINS8_6detail15normal_iteratorINS8_10device_ptrIjEEEESH_NS8_9null_typeESI_SI_SI_SI_SI_SI_SI_EEEENS9_21zip_adj_not_predicateI22is_equal_div_10_uniqueIjEEEEEPllNS8_4plusIlEEEE10hipError_tPvRmT1_T2_T3_mT4_P12ihipStream_tbEUlT_E1_NS1_11comp_targetILNS1_3genE4ELNS1_11target_archE910ELNS1_3gpuE8ELNS1_3repE0EEENS1_30default_config_static_selectorELNS0_4arch9wavefront6targetE1EEEvSW_.kd
    .uniform_work_group_size: 1
    .uses_dynamic_stack: false
    .vgpr_count:     0
    .vgpr_spill_count: 0
    .wavefront_size: 64
  - .args:
      - .offset:         0
        .size:           64
        .value_kind:     by_value
    .group_segment_fixed_size: 0
    .kernarg_segment_align: 8
    .kernarg_segment_size: 64
    .language:       OpenCL C
    .language_version:
      - 2
      - 0
    .max_flat_workgroup_size: 256
    .name:           _ZN7rocprim17ROCPRIM_400000_NS6detail17trampoline_kernelINS0_14default_configENS1_22reduce_config_selectorIlEEZNS1_11reduce_implILb1ES3_N6thrust23THRUST_200600_302600_NS11hip_rocprim26transform_input_iterator_tIlNS8_12zip_iteratorINS8_5tupleINS8_6detail15normal_iteratorINS8_10device_ptrIjEEEESH_NS8_9null_typeESI_SI_SI_SI_SI_SI_SI_EEEENS9_21zip_adj_not_predicateI22is_equal_div_10_uniqueIjEEEEEPllNS8_4plusIlEEEE10hipError_tPvRmT1_T2_T3_mT4_P12ihipStream_tbEUlT_E1_NS1_11comp_targetILNS1_3genE3ELNS1_11target_archE908ELNS1_3gpuE7ELNS1_3repE0EEENS1_30default_config_static_selectorELNS0_4arch9wavefront6targetE1EEEvSW_
    .private_segment_fixed_size: 0
    .sgpr_count:     4
    .sgpr_spill_count: 0
    .symbol:         _ZN7rocprim17ROCPRIM_400000_NS6detail17trampoline_kernelINS0_14default_configENS1_22reduce_config_selectorIlEEZNS1_11reduce_implILb1ES3_N6thrust23THRUST_200600_302600_NS11hip_rocprim26transform_input_iterator_tIlNS8_12zip_iteratorINS8_5tupleINS8_6detail15normal_iteratorINS8_10device_ptrIjEEEESH_NS8_9null_typeESI_SI_SI_SI_SI_SI_SI_EEEENS9_21zip_adj_not_predicateI22is_equal_div_10_uniqueIjEEEEEPllNS8_4plusIlEEEE10hipError_tPvRmT1_T2_T3_mT4_P12ihipStream_tbEUlT_E1_NS1_11comp_targetILNS1_3genE3ELNS1_11target_archE908ELNS1_3gpuE7ELNS1_3repE0EEENS1_30default_config_static_selectorELNS0_4arch9wavefront6targetE1EEEvSW_.kd
    .uniform_work_group_size: 1
    .uses_dynamic_stack: false
    .vgpr_count:     0
    .vgpr_spill_count: 0
    .wavefront_size: 64
  - .args:
      - .offset:         0
        .size:           64
        .value_kind:     by_value
    .group_segment_fixed_size: 192
    .kernarg_segment_align: 8
    .kernarg_segment_size: 64
    .language:       OpenCL C
    .language_version:
      - 2
      - 0
    .max_flat_workgroup_size: 256
    .name:           _ZN7rocprim17ROCPRIM_400000_NS6detail17trampoline_kernelINS0_14default_configENS1_22reduce_config_selectorIlEEZNS1_11reduce_implILb1ES3_N6thrust23THRUST_200600_302600_NS11hip_rocprim26transform_input_iterator_tIlNS8_12zip_iteratorINS8_5tupleINS8_6detail15normal_iteratorINS8_10device_ptrIjEEEESH_NS8_9null_typeESI_SI_SI_SI_SI_SI_SI_EEEENS9_21zip_adj_not_predicateI22is_equal_div_10_uniqueIjEEEEEPllNS8_4plusIlEEEE10hipError_tPvRmT1_T2_T3_mT4_P12ihipStream_tbEUlT_E1_NS1_11comp_targetILNS1_3genE2ELNS1_11target_archE906ELNS1_3gpuE6ELNS1_3repE0EEENS1_30default_config_static_selectorELNS0_4arch9wavefront6targetE1EEEvSW_
    .private_segment_fixed_size: 0
    .sgpr_count:     38
    .sgpr_spill_count: 0
    .symbol:         _ZN7rocprim17ROCPRIM_400000_NS6detail17trampoline_kernelINS0_14default_configENS1_22reduce_config_selectorIlEEZNS1_11reduce_implILb1ES3_N6thrust23THRUST_200600_302600_NS11hip_rocprim26transform_input_iterator_tIlNS8_12zip_iteratorINS8_5tupleINS8_6detail15normal_iteratorINS8_10device_ptrIjEEEESH_NS8_9null_typeESI_SI_SI_SI_SI_SI_SI_EEEENS9_21zip_adj_not_predicateI22is_equal_div_10_uniqueIjEEEEEPllNS8_4plusIlEEEE10hipError_tPvRmT1_T2_T3_mT4_P12ihipStream_tbEUlT_E1_NS1_11comp_targetILNS1_3genE2ELNS1_11target_archE906ELNS1_3gpuE6ELNS1_3repE0EEENS1_30default_config_static_selectorELNS0_4arch9wavefront6targetE1EEEvSW_.kd
    .uniform_work_group_size: 1
    .uses_dynamic_stack: false
    .vgpr_count:     36
    .vgpr_spill_count: 0
    .wavefront_size: 64
  - .args:
      - .offset:         0
        .size:           64
        .value_kind:     by_value
    .group_segment_fixed_size: 0
    .kernarg_segment_align: 8
    .kernarg_segment_size: 64
    .language:       OpenCL C
    .language_version:
      - 2
      - 0
    .max_flat_workgroup_size: 256
    .name:           _ZN7rocprim17ROCPRIM_400000_NS6detail17trampoline_kernelINS0_14default_configENS1_22reduce_config_selectorIlEEZNS1_11reduce_implILb1ES3_N6thrust23THRUST_200600_302600_NS11hip_rocprim26transform_input_iterator_tIlNS8_12zip_iteratorINS8_5tupleINS8_6detail15normal_iteratorINS8_10device_ptrIjEEEESH_NS8_9null_typeESI_SI_SI_SI_SI_SI_SI_EEEENS9_21zip_adj_not_predicateI22is_equal_div_10_uniqueIjEEEEEPllNS8_4plusIlEEEE10hipError_tPvRmT1_T2_T3_mT4_P12ihipStream_tbEUlT_E1_NS1_11comp_targetILNS1_3genE10ELNS1_11target_archE1201ELNS1_3gpuE5ELNS1_3repE0EEENS1_30default_config_static_selectorELNS0_4arch9wavefront6targetE1EEEvSW_
    .private_segment_fixed_size: 0
    .sgpr_count:     4
    .sgpr_spill_count: 0
    .symbol:         _ZN7rocprim17ROCPRIM_400000_NS6detail17trampoline_kernelINS0_14default_configENS1_22reduce_config_selectorIlEEZNS1_11reduce_implILb1ES3_N6thrust23THRUST_200600_302600_NS11hip_rocprim26transform_input_iterator_tIlNS8_12zip_iteratorINS8_5tupleINS8_6detail15normal_iteratorINS8_10device_ptrIjEEEESH_NS8_9null_typeESI_SI_SI_SI_SI_SI_SI_EEEENS9_21zip_adj_not_predicateI22is_equal_div_10_uniqueIjEEEEEPllNS8_4plusIlEEEE10hipError_tPvRmT1_T2_T3_mT4_P12ihipStream_tbEUlT_E1_NS1_11comp_targetILNS1_3genE10ELNS1_11target_archE1201ELNS1_3gpuE5ELNS1_3repE0EEENS1_30default_config_static_selectorELNS0_4arch9wavefront6targetE1EEEvSW_.kd
    .uniform_work_group_size: 1
    .uses_dynamic_stack: false
    .vgpr_count:     0
    .vgpr_spill_count: 0
    .wavefront_size: 64
  - .args:
      - .offset:         0
        .size:           64
        .value_kind:     by_value
    .group_segment_fixed_size: 0
    .kernarg_segment_align: 8
    .kernarg_segment_size: 64
    .language:       OpenCL C
    .language_version:
      - 2
      - 0
    .max_flat_workgroup_size: 256
    .name:           _ZN7rocprim17ROCPRIM_400000_NS6detail17trampoline_kernelINS0_14default_configENS1_22reduce_config_selectorIlEEZNS1_11reduce_implILb1ES3_N6thrust23THRUST_200600_302600_NS11hip_rocprim26transform_input_iterator_tIlNS8_12zip_iteratorINS8_5tupleINS8_6detail15normal_iteratorINS8_10device_ptrIjEEEESH_NS8_9null_typeESI_SI_SI_SI_SI_SI_SI_EEEENS9_21zip_adj_not_predicateI22is_equal_div_10_uniqueIjEEEEEPllNS8_4plusIlEEEE10hipError_tPvRmT1_T2_T3_mT4_P12ihipStream_tbEUlT_E1_NS1_11comp_targetILNS1_3genE10ELNS1_11target_archE1200ELNS1_3gpuE4ELNS1_3repE0EEENS1_30default_config_static_selectorELNS0_4arch9wavefront6targetE1EEEvSW_
    .private_segment_fixed_size: 0
    .sgpr_count:     4
    .sgpr_spill_count: 0
    .symbol:         _ZN7rocprim17ROCPRIM_400000_NS6detail17trampoline_kernelINS0_14default_configENS1_22reduce_config_selectorIlEEZNS1_11reduce_implILb1ES3_N6thrust23THRUST_200600_302600_NS11hip_rocprim26transform_input_iterator_tIlNS8_12zip_iteratorINS8_5tupleINS8_6detail15normal_iteratorINS8_10device_ptrIjEEEESH_NS8_9null_typeESI_SI_SI_SI_SI_SI_SI_EEEENS9_21zip_adj_not_predicateI22is_equal_div_10_uniqueIjEEEEEPllNS8_4plusIlEEEE10hipError_tPvRmT1_T2_T3_mT4_P12ihipStream_tbEUlT_E1_NS1_11comp_targetILNS1_3genE10ELNS1_11target_archE1200ELNS1_3gpuE4ELNS1_3repE0EEENS1_30default_config_static_selectorELNS0_4arch9wavefront6targetE1EEEvSW_.kd
    .uniform_work_group_size: 1
    .uses_dynamic_stack: false
    .vgpr_count:     0
    .vgpr_spill_count: 0
    .wavefront_size: 64
  - .args:
      - .offset:         0
        .size:           64
        .value_kind:     by_value
    .group_segment_fixed_size: 0
    .kernarg_segment_align: 8
    .kernarg_segment_size: 64
    .language:       OpenCL C
    .language_version:
      - 2
      - 0
    .max_flat_workgroup_size: 256
    .name:           _ZN7rocprim17ROCPRIM_400000_NS6detail17trampoline_kernelINS0_14default_configENS1_22reduce_config_selectorIlEEZNS1_11reduce_implILb1ES3_N6thrust23THRUST_200600_302600_NS11hip_rocprim26transform_input_iterator_tIlNS8_12zip_iteratorINS8_5tupleINS8_6detail15normal_iteratorINS8_10device_ptrIjEEEESH_NS8_9null_typeESI_SI_SI_SI_SI_SI_SI_EEEENS9_21zip_adj_not_predicateI22is_equal_div_10_uniqueIjEEEEEPllNS8_4plusIlEEEE10hipError_tPvRmT1_T2_T3_mT4_P12ihipStream_tbEUlT_E1_NS1_11comp_targetILNS1_3genE9ELNS1_11target_archE1100ELNS1_3gpuE3ELNS1_3repE0EEENS1_30default_config_static_selectorELNS0_4arch9wavefront6targetE1EEEvSW_
    .private_segment_fixed_size: 0
    .sgpr_count:     4
    .sgpr_spill_count: 0
    .symbol:         _ZN7rocprim17ROCPRIM_400000_NS6detail17trampoline_kernelINS0_14default_configENS1_22reduce_config_selectorIlEEZNS1_11reduce_implILb1ES3_N6thrust23THRUST_200600_302600_NS11hip_rocprim26transform_input_iterator_tIlNS8_12zip_iteratorINS8_5tupleINS8_6detail15normal_iteratorINS8_10device_ptrIjEEEESH_NS8_9null_typeESI_SI_SI_SI_SI_SI_SI_EEEENS9_21zip_adj_not_predicateI22is_equal_div_10_uniqueIjEEEEEPllNS8_4plusIlEEEE10hipError_tPvRmT1_T2_T3_mT4_P12ihipStream_tbEUlT_E1_NS1_11comp_targetILNS1_3genE9ELNS1_11target_archE1100ELNS1_3gpuE3ELNS1_3repE0EEENS1_30default_config_static_selectorELNS0_4arch9wavefront6targetE1EEEvSW_.kd
    .uniform_work_group_size: 1
    .uses_dynamic_stack: false
    .vgpr_count:     0
    .vgpr_spill_count: 0
    .wavefront_size: 64
  - .args:
      - .offset:         0
        .size:           64
        .value_kind:     by_value
    .group_segment_fixed_size: 0
    .kernarg_segment_align: 8
    .kernarg_segment_size: 64
    .language:       OpenCL C
    .language_version:
      - 2
      - 0
    .max_flat_workgroup_size: 256
    .name:           _ZN7rocprim17ROCPRIM_400000_NS6detail17trampoline_kernelINS0_14default_configENS1_22reduce_config_selectorIlEEZNS1_11reduce_implILb1ES3_N6thrust23THRUST_200600_302600_NS11hip_rocprim26transform_input_iterator_tIlNS8_12zip_iteratorINS8_5tupleINS8_6detail15normal_iteratorINS8_10device_ptrIjEEEESH_NS8_9null_typeESI_SI_SI_SI_SI_SI_SI_EEEENS9_21zip_adj_not_predicateI22is_equal_div_10_uniqueIjEEEEEPllNS8_4plusIlEEEE10hipError_tPvRmT1_T2_T3_mT4_P12ihipStream_tbEUlT_E1_NS1_11comp_targetILNS1_3genE8ELNS1_11target_archE1030ELNS1_3gpuE2ELNS1_3repE0EEENS1_30default_config_static_selectorELNS0_4arch9wavefront6targetE1EEEvSW_
    .private_segment_fixed_size: 0
    .sgpr_count:     4
    .sgpr_spill_count: 0
    .symbol:         _ZN7rocprim17ROCPRIM_400000_NS6detail17trampoline_kernelINS0_14default_configENS1_22reduce_config_selectorIlEEZNS1_11reduce_implILb1ES3_N6thrust23THRUST_200600_302600_NS11hip_rocprim26transform_input_iterator_tIlNS8_12zip_iteratorINS8_5tupleINS8_6detail15normal_iteratorINS8_10device_ptrIjEEEESH_NS8_9null_typeESI_SI_SI_SI_SI_SI_SI_EEEENS9_21zip_adj_not_predicateI22is_equal_div_10_uniqueIjEEEEEPllNS8_4plusIlEEEE10hipError_tPvRmT1_T2_T3_mT4_P12ihipStream_tbEUlT_E1_NS1_11comp_targetILNS1_3genE8ELNS1_11target_archE1030ELNS1_3gpuE2ELNS1_3repE0EEENS1_30default_config_static_selectorELNS0_4arch9wavefront6targetE1EEEvSW_.kd
    .uniform_work_group_size: 1
    .uses_dynamic_stack: false
    .vgpr_count:     0
    .vgpr_spill_count: 0
    .wavefront_size: 64
  - .args:
      - .offset:         0
        .size:           80
        .value_kind:     by_value
    .group_segment_fixed_size: 0
    .kernarg_segment_align: 8
    .kernarg_segment_size: 80
    .language:       OpenCL C
    .language_version:
      - 2
      - 0
    .max_flat_workgroup_size: 256
    .name:           _ZN7rocprim17ROCPRIM_400000_NS6detail17trampoline_kernelINS0_14default_configENS1_22reduce_config_selectorIlEEZNS1_11reduce_implILb1ES3_N6thrust23THRUST_200600_302600_NS11hip_rocprim26transform_input_iterator_tIlNS8_12zip_iteratorINS8_5tupleINS8_6detail15normal_iteratorINS8_10device_ptrItEEEESH_NS8_9null_typeESI_SI_SI_SI_SI_SI_SI_EEEENS9_21zip_adj_not_predicateINS8_8equal_toItEEEEEEPllNS8_4plusIlEEEE10hipError_tPvRmT1_T2_T3_mT4_P12ihipStream_tbEUlT_E0_NS1_11comp_targetILNS1_3genE0ELNS1_11target_archE4294967295ELNS1_3gpuE0ELNS1_3repE0EEENS1_30default_config_static_selectorELNS0_4arch9wavefront6targetE1EEEvSW_
    .private_segment_fixed_size: 0
    .sgpr_count:     4
    .sgpr_spill_count: 0
    .symbol:         _ZN7rocprim17ROCPRIM_400000_NS6detail17trampoline_kernelINS0_14default_configENS1_22reduce_config_selectorIlEEZNS1_11reduce_implILb1ES3_N6thrust23THRUST_200600_302600_NS11hip_rocprim26transform_input_iterator_tIlNS8_12zip_iteratorINS8_5tupleINS8_6detail15normal_iteratorINS8_10device_ptrItEEEESH_NS8_9null_typeESI_SI_SI_SI_SI_SI_SI_EEEENS9_21zip_adj_not_predicateINS8_8equal_toItEEEEEEPllNS8_4plusIlEEEE10hipError_tPvRmT1_T2_T3_mT4_P12ihipStream_tbEUlT_E0_NS1_11comp_targetILNS1_3genE0ELNS1_11target_archE4294967295ELNS1_3gpuE0ELNS1_3repE0EEENS1_30default_config_static_selectorELNS0_4arch9wavefront6targetE1EEEvSW_.kd
    .uniform_work_group_size: 1
    .uses_dynamic_stack: false
    .vgpr_count:     0
    .vgpr_spill_count: 0
    .wavefront_size: 64
  - .args:
      - .offset:         0
        .size:           80
        .value_kind:     by_value
    .group_segment_fixed_size: 0
    .kernarg_segment_align: 8
    .kernarg_segment_size: 80
    .language:       OpenCL C
    .language_version:
      - 2
      - 0
    .max_flat_workgroup_size: 256
    .name:           _ZN7rocprim17ROCPRIM_400000_NS6detail17trampoline_kernelINS0_14default_configENS1_22reduce_config_selectorIlEEZNS1_11reduce_implILb1ES3_N6thrust23THRUST_200600_302600_NS11hip_rocprim26transform_input_iterator_tIlNS8_12zip_iteratorINS8_5tupleINS8_6detail15normal_iteratorINS8_10device_ptrItEEEESH_NS8_9null_typeESI_SI_SI_SI_SI_SI_SI_EEEENS9_21zip_adj_not_predicateINS8_8equal_toItEEEEEEPllNS8_4plusIlEEEE10hipError_tPvRmT1_T2_T3_mT4_P12ihipStream_tbEUlT_E0_NS1_11comp_targetILNS1_3genE5ELNS1_11target_archE942ELNS1_3gpuE9ELNS1_3repE0EEENS1_30default_config_static_selectorELNS0_4arch9wavefront6targetE1EEEvSW_
    .private_segment_fixed_size: 0
    .sgpr_count:     4
    .sgpr_spill_count: 0
    .symbol:         _ZN7rocprim17ROCPRIM_400000_NS6detail17trampoline_kernelINS0_14default_configENS1_22reduce_config_selectorIlEEZNS1_11reduce_implILb1ES3_N6thrust23THRUST_200600_302600_NS11hip_rocprim26transform_input_iterator_tIlNS8_12zip_iteratorINS8_5tupleINS8_6detail15normal_iteratorINS8_10device_ptrItEEEESH_NS8_9null_typeESI_SI_SI_SI_SI_SI_SI_EEEENS9_21zip_adj_not_predicateINS8_8equal_toItEEEEEEPllNS8_4plusIlEEEE10hipError_tPvRmT1_T2_T3_mT4_P12ihipStream_tbEUlT_E0_NS1_11comp_targetILNS1_3genE5ELNS1_11target_archE942ELNS1_3gpuE9ELNS1_3repE0EEENS1_30default_config_static_selectorELNS0_4arch9wavefront6targetE1EEEvSW_.kd
    .uniform_work_group_size: 1
    .uses_dynamic_stack: false
    .vgpr_count:     0
    .vgpr_spill_count: 0
    .wavefront_size: 64
  - .args:
      - .offset:         0
        .size:           80
        .value_kind:     by_value
    .group_segment_fixed_size: 0
    .kernarg_segment_align: 8
    .kernarg_segment_size: 80
    .language:       OpenCL C
    .language_version:
      - 2
      - 0
    .max_flat_workgroup_size: 256
    .name:           _ZN7rocprim17ROCPRIM_400000_NS6detail17trampoline_kernelINS0_14default_configENS1_22reduce_config_selectorIlEEZNS1_11reduce_implILb1ES3_N6thrust23THRUST_200600_302600_NS11hip_rocprim26transform_input_iterator_tIlNS8_12zip_iteratorINS8_5tupleINS8_6detail15normal_iteratorINS8_10device_ptrItEEEESH_NS8_9null_typeESI_SI_SI_SI_SI_SI_SI_EEEENS9_21zip_adj_not_predicateINS8_8equal_toItEEEEEEPllNS8_4plusIlEEEE10hipError_tPvRmT1_T2_T3_mT4_P12ihipStream_tbEUlT_E0_NS1_11comp_targetILNS1_3genE4ELNS1_11target_archE910ELNS1_3gpuE8ELNS1_3repE0EEENS1_30default_config_static_selectorELNS0_4arch9wavefront6targetE1EEEvSW_
    .private_segment_fixed_size: 0
    .sgpr_count:     4
    .sgpr_spill_count: 0
    .symbol:         _ZN7rocprim17ROCPRIM_400000_NS6detail17trampoline_kernelINS0_14default_configENS1_22reduce_config_selectorIlEEZNS1_11reduce_implILb1ES3_N6thrust23THRUST_200600_302600_NS11hip_rocprim26transform_input_iterator_tIlNS8_12zip_iteratorINS8_5tupleINS8_6detail15normal_iteratorINS8_10device_ptrItEEEESH_NS8_9null_typeESI_SI_SI_SI_SI_SI_SI_EEEENS9_21zip_adj_not_predicateINS8_8equal_toItEEEEEEPllNS8_4plusIlEEEE10hipError_tPvRmT1_T2_T3_mT4_P12ihipStream_tbEUlT_E0_NS1_11comp_targetILNS1_3genE4ELNS1_11target_archE910ELNS1_3gpuE8ELNS1_3repE0EEENS1_30default_config_static_selectorELNS0_4arch9wavefront6targetE1EEEvSW_.kd
    .uniform_work_group_size: 1
    .uses_dynamic_stack: false
    .vgpr_count:     0
    .vgpr_spill_count: 0
    .wavefront_size: 64
  - .args:
      - .offset:         0
        .size:           80
        .value_kind:     by_value
    .group_segment_fixed_size: 0
    .kernarg_segment_align: 8
    .kernarg_segment_size: 80
    .language:       OpenCL C
    .language_version:
      - 2
      - 0
    .max_flat_workgroup_size: 256
    .name:           _ZN7rocprim17ROCPRIM_400000_NS6detail17trampoline_kernelINS0_14default_configENS1_22reduce_config_selectorIlEEZNS1_11reduce_implILb1ES3_N6thrust23THRUST_200600_302600_NS11hip_rocprim26transform_input_iterator_tIlNS8_12zip_iteratorINS8_5tupleINS8_6detail15normal_iteratorINS8_10device_ptrItEEEESH_NS8_9null_typeESI_SI_SI_SI_SI_SI_SI_EEEENS9_21zip_adj_not_predicateINS8_8equal_toItEEEEEEPllNS8_4plusIlEEEE10hipError_tPvRmT1_T2_T3_mT4_P12ihipStream_tbEUlT_E0_NS1_11comp_targetILNS1_3genE3ELNS1_11target_archE908ELNS1_3gpuE7ELNS1_3repE0EEENS1_30default_config_static_selectorELNS0_4arch9wavefront6targetE1EEEvSW_
    .private_segment_fixed_size: 0
    .sgpr_count:     4
    .sgpr_spill_count: 0
    .symbol:         _ZN7rocprim17ROCPRIM_400000_NS6detail17trampoline_kernelINS0_14default_configENS1_22reduce_config_selectorIlEEZNS1_11reduce_implILb1ES3_N6thrust23THRUST_200600_302600_NS11hip_rocprim26transform_input_iterator_tIlNS8_12zip_iteratorINS8_5tupleINS8_6detail15normal_iteratorINS8_10device_ptrItEEEESH_NS8_9null_typeESI_SI_SI_SI_SI_SI_SI_EEEENS9_21zip_adj_not_predicateINS8_8equal_toItEEEEEEPllNS8_4plusIlEEEE10hipError_tPvRmT1_T2_T3_mT4_P12ihipStream_tbEUlT_E0_NS1_11comp_targetILNS1_3genE3ELNS1_11target_archE908ELNS1_3gpuE7ELNS1_3repE0EEENS1_30default_config_static_selectorELNS0_4arch9wavefront6targetE1EEEvSW_.kd
    .uniform_work_group_size: 1
    .uses_dynamic_stack: false
    .vgpr_count:     0
    .vgpr_spill_count: 0
    .wavefront_size: 64
  - .args:
      - .offset:         0
        .size:           80
        .value_kind:     by_value
    .group_segment_fixed_size: 64
    .kernarg_segment_align: 8
    .kernarg_segment_size: 80
    .language:       OpenCL C
    .language_version:
      - 2
      - 0
    .max_flat_workgroup_size: 256
    .name:           _ZN7rocprim17ROCPRIM_400000_NS6detail17trampoline_kernelINS0_14default_configENS1_22reduce_config_selectorIlEEZNS1_11reduce_implILb1ES3_N6thrust23THRUST_200600_302600_NS11hip_rocprim26transform_input_iterator_tIlNS8_12zip_iteratorINS8_5tupleINS8_6detail15normal_iteratorINS8_10device_ptrItEEEESH_NS8_9null_typeESI_SI_SI_SI_SI_SI_SI_EEEENS9_21zip_adj_not_predicateINS8_8equal_toItEEEEEEPllNS8_4plusIlEEEE10hipError_tPvRmT1_T2_T3_mT4_P12ihipStream_tbEUlT_E0_NS1_11comp_targetILNS1_3genE2ELNS1_11target_archE906ELNS1_3gpuE6ELNS1_3repE0EEENS1_30default_config_static_selectorELNS0_4arch9wavefront6targetE1EEEvSW_
    .private_segment_fixed_size: 0
    .sgpr_count:     26
    .sgpr_spill_count: 0
    .symbol:         _ZN7rocprim17ROCPRIM_400000_NS6detail17trampoline_kernelINS0_14default_configENS1_22reduce_config_selectorIlEEZNS1_11reduce_implILb1ES3_N6thrust23THRUST_200600_302600_NS11hip_rocprim26transform_input_iterator_tIlNS8_12zip_iteratorINS8_5tupleINS8_6detail15normal_iteratorINS8_10device_ptrItEEEESH_NS8_9null_typeESI_SI_SI_SI_SI_SI_SI_EEEENS9_21zip_adj_not_predicateINS8_8equal_toItEEEEEEPllNS8_4plusIlEEEE10hipError_tPvRmT1_T2_T3_mT4_P12ihipStream_tbEUlT_E0_NS1_11comp_targetILNS1_3genE2ELNS1_11target_archE906ELNS1_3gpuE6ELNS1_3repE0EEENS1_30default_config_static_selectorELNS0_4arch9wavefront6targetE1EEEvSW_.kd
    .uniform_work_group_size: 1
    .uses_dynamic_stack: false
    .vgpr_count:     11
    .vgpr_spill_count: 0
    .wavefront_size: 64
  - .args:
      - .offset:         0
        .size:           80
        .value_kind:     by_value
    .group_segment_fixed_size: 0
    .kernarg_segment_align: 8
    .kernarg_segment_size: 80
    .language:       OpenCL C
    .language_version:
      - 2
      - 0
    .max_flat_workgroup_size: 256
    .name:           _ZN7rocprim17ROCPRIM_400000_NS6detail17trampoline_kernelINS0_14default_configENS1_22reduce_config_selectorIlEEZNS1_11reduce_implILb1ES3_N6thrust23THRUST_200600_302600_NS11hip_rocprim26transform_input_iterator_tIlNS8_12zip_iteratorINS8_5tupleINS8_6detail15normal_iteratorINS8_10device_ptrItEEEESH_NS8_9null_typeESI_SI_SI_SI_SI_SI_SI_EEEENS9_21zip_adj_not_predicateINS8_8equal_toItEEEEEEPllNS8_4plusIlEEEE10hipError_tPvRmT1_T2_T3_mT4_P12ihipStream_tbEUlT_E0_NS1_11comp_targetILNS1_3genE10ELNS1_11target_archE1201ELNS1_3gpuE5ELNS1_3repE0EEENS1_30default_config_static_selectorELNS0_4arch9wavefront6targetE1EEEvSW_
    .private_segment_fixed_size: 0
    .sgpr_count:     4
    .sgpr_spill_count: 0
    .symbol:         _ZN7rocprim17ROCPRIM_400000_NS6detail17trampoline_kernelINS0_14default_configENS1_22reduce_config_selectorIlEEZNS1_11reduce_implILb1ES3_N6thrust23THRUST_200600_302600_NS11hip_rocprim26transform_input_iterator_tIlNS8_12zip_iteratorINS8_5tupleINS8_6detail15normal_iteratorINS8_10device_ptrItEEEESH_NS8_9null_typeESI_SI_SI_SI_SI_SI_SI_EEEENS9_21zip_adj_not_predicateINS8_8equal_toItEEEEEEPllNS8_4plusIlEEEE10hipError_tPvRmT1_T2_T3_mT4_P12ihipStream_tbEUlT_E0_NS1_11comp_targetILNS1_3genE10ELNS1_11target_archE1201ELNS1_3gpuE5ELNS1_3repE0EEENS1_30default_config_static_selectorELNS0_4arch9wavefront6targetE1EEEvSW_.kd
    .uniform_work_group_size: 1
    .uses_dynamic_stack: false
    .vgpr_count:     0
    .vgpr_spill_count: 0
    .wavefront_size: 64
  - .args:
      - .offset:         0
        .size:           80
        .value_kind:     by_value
    .group_segment_fixed_size: 0
    .kernarg_segment_align: 8
    .kernarg_segment_size: 80
    .language:       OpenCL C
    .language_version:
      - 2
      - 0
    .max_flat_workgroup_size: 256
    .name:           _ZN7rocprim17ROCPRIM_400000_NS6detail17trampoline_kernelINS0_14default_configENS1_22reduce_config_selectorIlEEZNS1_11reduce_implILb1ES3_N6thrust23THRUST_200600_302600_NS11hip_rocprim26transform_input_iterator_tIlNS8_12zip_iteratorINS8_5tupleINS8_6detail15normal_iteratorINS8_10device_ptrItEEEESH_NS8_9null_typeESI_SI_SI_SI_SI_SI_SI_EEEENS9_21zip_adj_not_predicateINS8_8equal_toItEEEEEEPllNS8_4plusIlEEEE10hipError_tPvRmT1_T2_T3_mT4_P12ihipStream_tbEUlT_E0_NS1_11comp_targetILNS1_3genE10ELNS1_11target_archE1200ELNS1_3gpuE4ELNS1_3repE0EEENS1_30default_config_static_selectorELNS0_4arch9wavefront6targetE1EEEvSW_
    .private_segment_fixed_size: 0
    .sgpr_count:     4
    .sgpr_spill_count: 0
    .symbol:         _ZN7rocprim17ROCPRIM_400000_NS6detail17trampoline_kernelINS0_14default_configENS1_22reduce_config_selectorIlEEZNS1_11reduce_implILb1ES3_N6thrust23THRUST_200600_302600_NS11hip_rocprim26transform_input_iterator_tIlNS8_12zip_iteratorINS8_5tupleINS8_6detail15normal_iteratorINS8_10device_ptrItEEEESH_NS8_9null_typeESI_SI_SI_SI_SI_SI_SI_EEEENS9_21zip_adj_not_predicateINS8_8equal_toItEEEEEEPllNS8_4plusIlEEEE10hipError_tPvRmT1_T2_T3_mT4_P12ihipStream_tbEUlT_E0_NS1_11comp_targetILNS1_3genE10ELNS1_11target_archE1200ELNS1_3gpuE4ELNS1_3repE0EEENS1_30default_config_static_selectorELNS0_4arch9wavefront6targetE1EEEvSW_.kd
    .uniform_work_group_size: 1
    .uses_dynamic_stack: false
    .vgpr_count:     0
    .vgpr_spill_count: 0
    .wavefront_size: 64
  - .args:
      - .offset:         0
        .size:           80
        .value_kind:     by_value
    .group_segment_fixed_size: 0
    .kernarg_segment_align: 8
    .kernarg_segment_size: 80
    .language:       OpenCL C
    .language_version:
      - 2
      - 0
    .max_flat_workgroup_size: 256
    .name:           _ZN7rocprim17ROCPRIM_400000_NS6detail17trampoline_kernelINS0_14default_configENS1_22reduce_config_selectorIlEEZNS1_11reduce_implILb1ES3_N6thrust23THRUST_200600_302600_NS11hip_rocprim26transform_input_iterator_tIlNS8_12zip_iteratorINS8_5tupleINS8_6detail15normal_iteratorINS8_10device_ptrItEEEESH_NS8_9null_typeESI_SI_SI_SI_SI_SI_SI_EEEENS9_21zip_adj_not_predicateINS8_8equal_toItEEEEEEPllNS8_4plusIlEEEE10hipError_tPvRmT1_T2_T3_mT4_P12ihipStream_tbEUlT_E0_NS1_11comp_targetILNS1_3genE9ELNS1_11target_archE1100ELNS1_3gpuE3ELNS1_3repE0EEENS1_30default_config_static_selectorELNS0_4arch9wavefront6targetE1EEEvSW_
    .private_segment_fixed_size: 0
    .sgpr_count:     4
    .sgpr_spill_count: 0
    .symbol:         _ZN7rocprim17ROCPRIM_400000_NS6detail17trampoline_kernelINS0_14default_configENS1_22reduce_config_selectorIlEEZNS1_11reduce_implILb1ES3_N6thrust23THRUST_200600_302600_NS11hip_rocprim26transform_input_iterator_tIlNS8_12zip_iteratorINS8_5tupleINS8_6detail15normal_iteratorINS8_10device_ptrItEEEESH_NS8_9null_typeESI_SI_SI_SI_SI_SI_SI_EEEENS9_21zip_adj_not_predicateINS8_8equal_toItEEEEEEPllNS8_4plusIlEEEE10hipError_tPvRmT1_T2_T3_mT4_P12ihipStream_tbEUlT_E0_NS1_11comp_targetILNS1_3genE9ELNS1_11target_archE1100ELNS1_3gpuE3ELNS1_3repE0EEENS1_30default_config_static_selectorELNS0_4arch9wavefront6targetE1EEEvSW_.kd
    .uniform_work_group_size: 1
    .uses_dynamic_stack: false
    .vgpr_count:     0
    .vgpr_spill_count: 0
    .wavefront_size: 64
  - .args:
      - .offset:         0
        .size:           80
        .value_kind:     by_value
    .group_segment_fixed_size: 0
    .kernarg_segment_align: 8
    .kernarg_segment_size: 80
    .language:       OpenCL C
    .language_version:
      - 2
      - 0
    .max_flat_workgroup_size: 256
    .name:           _ZN7rocprim17ROCPRIM_400000_NS6detail17trampoline_kernelINS0_14default_configENS1_22reduce_config_selectorIlEEZNS1_11reduce_implILb1ES3_N6thrust23THRUST_200600_302600_NS11hip_rocprim26transform_input_iterator_tIlNS8_12zip_iteratorINS8_5tupleINS8_6detail15normal_iteratorINS8_10device_ptrItEEEESH_NS8_9null_typeESI_SI_SI_SI_SI_SI_SI_EEEENS9_21zip_adj_not_predicateINS8_8equal_toItEEEEEEPllNS8_4plusIlEEEE10hipError_tPvRmT1_T2_T3_mT4_P12ihipStream_tbEUlT_E0_NS1_11comp_targetILNS1_3genE8ELNS1_11target_archE1030ELNS1_3gpuE2ELNS1_3repE0EEENS1_30default_config_static_selectorELNS0_4arch9wavefront6targetE1EEEvSW_
    .private_segment_fixed_size: 0
    .sgpr_count:     4
    .sgpr_spill_count: 0
    .symbol:         _ZN7rocprim17ROCPRIM_400000_NS6detail17trampoline_kernelINS0_14default_configENS1_22reduce_config_selectorIlEEZNS1_11reduce_implILb1ES3_N6thrust23THRUST_200600_302600_NS11hip_rocprim26transform_input_iterator_tIlNS8_12zip_iteratorINS8_5tupleINS8_6detail15normal_iteratorINS8_10device_ptrItEEEESH_NS8_9null_typeESI_SI_SI_SI_SI_SI_SI_EEEENS9_21zip_adj_not_predicateINS8_8equal_toItEEEEEEPllNS8_4plusIlEEEE10hipError_tPvRmT1_T2_T3_mT4_P12ihipStream_tbEUlT_E0_NS1_11comp_targetILNS1_3genE8ELNS1_11target_archE1030ELNS1_3gpuE2ELNS1_3repE0EEENS1_30default_config_static_selectorELNS0_4arch9wavefront6targetE1EEEvSW_.kd
    .uniform_work_group_size: 1
    .uses_dynamic_stack: false
    .vgpr_count:     0
    .vgpr_spill_count: 0
    .wavefront_size: 64
  - .args:
      - .offset:         0
        .size:           64
        .value_kind:     by_value
    .group_segment_fixed_size: 0
    .kernarg_segment_align: 8
    .kernarg_segment_size: 64
    .language:       OpenCL C
    .language_version:
      - 2
      - 0
    .max_flat_workgroup_size: 256
    .name:           _ZN7rocprim17ROCPRIM_400000_NS6detail17trampoline_kernelINS0_14default_configENS1_22reduce_config_selectorIlEEZNS1_11reduce_implILb1ES3_N6thrust23THRUST_200600_302600_NS11hip_rocprim26transform_input_iterator_tIlNS8_12zip_iteratorINS8_5tupleINS8_6detail15normal_iteratorINS8_10device_ptrItEEEESH_NS8_9null_typeESI_SI_SI_SI_SI_SI_SI_EEEENS9_21zip_adj_not_predicateINS8_8equal_toItEEEEEEPllNS8_4plusIlEEEE10hipError_tPvRmT1_T2_T3_mT4_P12ihipStream_tbEUlT_E1_NS1_11comp_targetILNS1_3genE0ELNS1_11target_archE4294967295ELNS1_3gpuE0ELNS1_3repE0EEENS1_30default_config_static_selectorELNS0_4arch9wavefront6targetE1EEEvSW_
    .private_segment_fixed_size: 0
    .sgpr_count:     4
    .sgpr_spill_count: 0
    .symbol:         _ZN7rocprim17ROCPRIM_400000_NS6detail17trampoline_kernelINS0_14default_configENS1_22reduce_config_selectorIlEEZNS1_11reduce_implILb1ES3_N6thrust23THRUST_200600_302600_NS11hip_rocprim26transform_input_iterator_tIlNS8_12zip_iteratorINS8_5tupleINS8_6detail15normal_iteratorINS8_10device_ptrItEEEESH_NS8_9null_typeESI_SI_SI_SI_SI_SI_SI_EEEENS9_21zip_adj_not_predicateINS8_8equal_toItEEEEEEPllNS8_4plusIlEEEE10hipError_tPvRmT1_T2_T3_mT4_P12ihipStream_tbEUlT_E1_NS1_11comp_targetILNS1_3genE0ELNS1_11target_archE4294967295ELNS1_3gpuE0ELNS1_3repE0EEENS1_30default_config_static_selectorELNS0_4arch9wavefront6targetE1EEEvSW_.kd
    .uniform_work_group_size: 1
    .uses_dynamic_stack: false
    .vgpr_count:     0
    .vgpr_spill_count: 0
    .wavefront_size: 64
  - .args:
      - .offset:         0
        .size:           64
        .value_kind:     by_value
    .group_segment_fixed_size: 0
    .kernarg_segment_align: 8
    .kernarg_segment_size: 64
    .language:       OpenCL C
    .language_version:
      - 2
      - 0
    .max_flat_workgroup_size: 256
    .name:           _ZN7rocprim17ROCPRIM_400000_NS6detail17trampoline_kernelINS0_14default_configENS1_22reduce_config_selectorIlEEZNS1_11reduce_implILb1ES3_N6thrust23THRUST_200600_302600_NS11hip_rocprim26transform_input_iterator_tIlNS8_12zip_iteratorINS8_5tupleINS8_6detail15normal_iteratorINS8_10device_ptrItEEEESH_NS8_9null_typeESI_SI_SI_SI_SI_SI_SI_EEEENS9_21zip_adj_not_predicateINS8_8equal_toItEEEEEEPllNS8_4plusIlEEEE10hipError_tPvRmT1_T2_T3_mT4_P12ihipStream_tbEUlT_E1_NS1_11comp_targetILNS1_3genE5ELNS1_11target_archE942ELNS1_3gpuE9ELNS1_3repE0EEENS1_30default_config_static_selectorELNS0_4arch9wavefront6targetE1EEEvSW_
    .private_segment_fixed_size: 0
    .sgpr_count:     4
    .sgpr_spill_count: 0
    .symbol:         _ZN7rocprim17ROCPRIM_400000_NS6detail17trampoline_kernelINS0_14default_configENS1_22reduce_config_selectorIlEEZNS1_11reduce_implILb1ES3_N6thrust23THRUST_200600_302600_NS11hip_rocprim26transform_input_iterator_tIlNS8_12zip_iteratorINS8_5tupleINS8_6detail15normal_iteratorINS8_10device_ptrItEEEESH_NS8_9null_typeESI_SI_SI_SI_SI_SI_SI_EEEENS9_21zip_adj_not_predicateINS8_8equal_toItEEEEEEPllNS8_4plusIlEEEE10hipError_tPvRmT1_T2_T3_mT4_P12ihipStream_tbEUlT_E1_NS1_11comp_targetILNS1_3genE5ELNS1_11target_archE942ELNS1_3gpuE9ELNS1_3repE0EEENS1_30default_config_static_selectorELNS0_4arch9wavefront6targetE1EEEvSW_.kd
    .uniform_work_group_size: 1
    .uses_dynamic_stack: false
    .vgpr_count:     0
    .vgpr_spill_count: 0
    .wavefront_size: 64
  - .args:
      - .offset:         0
        .size:           64
        .value_kind:     by_value
    .group_segment_fixed_size: 0
    .kernarg_segment_align: 8
    .kernarg_segment_size: 64
    .language:       OpenCL C
    .language_version:
      - 2
      - 0
    .max_flat_workgroup_size: 256
    .name:           _ZN7rocprim17ROCPRIM_400000_NS6detail17trampoline_kernelINS0_14default_configENS1_22reduce_config_selectorIlEEZNS1_11reduce_implILb1ES3_N6thrust23THRUST_200600_302600_NS11hip_rocprim26transform_input_iterator_tIlNS8_12zip_iteratorINS8_5tupleINS8_6detail15normal_iteratorINS8_10device_ptrItEEEESH_NS8_9null_typeESI_SI_SI_SI_SI_SI_SI_EEEENS9_21zip_adj_not_predicateINS8_8equal_toItEEEEEEPllNS8_4plusIlEEEE10hipError_tPvRmT1_T2_T3_mT4_P12ihipStream_tbEUlT_E1_NS1_11comp_targetILNS1_3genE4ELNS1_11target_archE910ELNS1_3gpuE8ELNS1_3repE0EEENS1_30default_config_static_selectorELNS0_4arch9wavefront6targetE1EEEvSW_
    .private_segment_fixed_size: 0
    .sgpr_count:     4
    .sgpr_spill_count: 0
    .symbol:         _ZN7rocprim17ROCPRIM_400000_NS6detail17trampoline_kernelINS0_14default_configENS1_22reduce_config_selectorIlEEZNS1_11reduce_implILb1ES3_N6thrust23THRUST_200600_302600_NS11hip_rocprim26transform_input_iterator_tIlNS8_12zip_iteratorINS8_5tupleINS8_6detail15normal_iteratorINS8_10device_ptrItEEEESH_NS8_9null_typeESI_SI_SI_SI_SI_SI_SI_EEEENS9_21zip_adj_not_predicateINS8_8equal_toItEEEEEEPllNS8_4plusIlEEEE10hipError_tPvRmT1_T2_T3_mT4_P12ihipStream_tbEUlT_E1_NS1_11comp_targetILNS1_3genE4ELNS1_11target_archE910ELNS1_3gpuE8ELNS1_3repE0EEENS1_30default_config_static_selectorELNS0_4arch9wavefront6targetE1EEEvSW_.kd
    .uniform_work_group_size: 1
    .uses_dynamic_stack: false
    .vgpr_count:     0
    .vgpr_spill_count: 0
    .wavefront_size: 64
  - .args:
      - .offset:         0
        .size:           64
        .value_kind:     by_value
    .group_segment_fixed_size: 0
    .kernarg_segment_align: 8
    .kernarg_segment_size: 64
    .language:       OpenCL C
    .language_version:
      - 2
      - 0
    .max_flat_workgroup_size: 256
    .name:           _ZN7rocprim17ROCPRIM_400000_NS6detail17trampoline_kernelINS0_14default_configENS1_22reduce_config_selectorIlEEZNS1_11reduce_implILb1ES3_N6thrust23THRUST_200600_302600_NS11hip_rocprim26transform_input_iterator_tIlNS8_12zip_iteratorINS8_5tupleINS8_6detail15normal_iteratorINS8_10device_ptrItEEEESH_NS8_9null_typeESI_SI_SI_SI_SI_SI_SI_EEEENS9_21zip_adj_not_predicateINS8_8equal_toItEEEEEEPllNS8_4plusIlEEEE10hipError_tPvRmT1_T2_T3_mT4_P12ihipStream_tbEUlT_E1_NS1_11comp_targetILNS1_3genE3ELNS1_11target_archE908ELNS1_3gpuE7ELNS1_3repE0EEENS1_30default_config_static_selectorELNS0_4arch9wavefront6targetE1EEEvSW_
    .private_segment_fixed_size: 0
    .sgpr_count:     4
    .sgpr_spill_count: 0
    .symbol:         _ZN7rocprim17ROCPRIM_400000_NS6detail17trampoline_kernelINS0_14default_configENS1_22reduce_config_selectorIlEEZNS1_11reduce_implILb1ES3_N6thrust23THRUST_200600_302600_NS11hip_rocprim26transform_input_iterator_tIlNS8_12zip_iteratorINS8_5tupleINS8_6detail15normal_iteratorINS8_10device_ptrItEEEESH_NS8_9null_typeESI_SI_SI_SI_SI_SI_SI_EEEENS9_21zip_adj_not_predicateINS8_8equal_toItEEEEEEPllNS8_4plusIlEEEE10hipError_tPvRmT1_T2_T3_mT4_P12ihipStream_tbEUlT_E1_NS1_11comp_targetILNS1_3genE3ELNS1_11target_archE908ELNS1_3gpuE7ELNS1_3repE0EEENS1_30default_config_static_selectorELNS0_4arch9wavefront6targetE1EEEvSW_.kd
    .uniform_work_group_size: 1
    .uses_dynamic_stack: false
    .vgpr_count:     0
    .vgpr_spill_count: 0
    .wavefront_size: 64
  - .args:
      - .offset:         0
        .size:           64
        .value_kind:     by_value
    .group_segment_fixed_size: 192
    .kernarg_segment_align: 8
    .kernarg_segment_size: 64
    .language:       OpenCL C
    .language_version:
      - 2
      - 0
    .max_flat_workgroup_size: 256
    .name:           _ZN7rocprim17ROCPRIM_400000_NS6detail17trampoline_kernelINS0_14default_configENS1_22reduce_config_selectorIlEEZNS1_11reduce_implILb1ES3_N6thrust23THRUST_200600_302600_NS11hip_rocprim26transform_input_iterator_tIlNS8_12zip_iteratorINS8_5tupleINS8_6detail15normal_iteratorINS8_10device_ptrItEEEESH_NS8_9null_typeESI_SI_SI_SI_SI_SI_SI_EEEENS9_21zip_adj_not_predicateINS8_8equal_toItEEEEEEPllNS8_4plusIlEEEE10hipError_tPvRmT1_T2_T3_mT4_P12ihipStream_tbEUlT_E1_NS1_11comp_targetILNS1_3genE2ELNS1_11target_archE906ELNS1_3gpuE6ELNS1_3repE0EEENS1_30default_config_static_selectorELNS0_4arch9wavefront6targetE1EEEvSW_
    .private_segment_fixed_size: 0
    .sgpr_count:     38
    .sgpr_spill_count: 0
    .symbol:         _ZN7rocprim17ROCPRIM_400000_NS6detail17trampoline_kernelINS0_14default_configENS1_22reduce_config_selectorIlEEZNS1_11reduce_implILb1ES3_N6thrust23THRUST_200600_302600_NS11hip_rocprim26transform_input_iterator_tIlNS8_12zip_iteratorINS8_5tupleINS8_6detail15normal_iteratorINS8_10device_ptrItEEEESH_NS8_9null_typeESI_SI_SI_SI_SI_SI_SI_EEEENS9_21zip_adj_not_predicateINS8_8equal_toItEEEEEEPllNS8_4plusIlEEEE10hipError_tPvRmT1_T2_T3_mT4_P12ihipStream_tbEUlT_E1_NS1_11comp_targetILNS1_3genE2ELNS1_11target_archE906ELNS1_3gpuE6ELNS1_3repE0EEENS1_30default_config_static_selectorELNS0_4arch9wavefront6targetE1EEEvSW_.kd
    .uniform_work_group_size: 1
    .uses_dynamic_stack: false
    .vgpr_count:     36
    .vgpr_spill_count: 0
    .wavefront_size: 64
  - .args:
      - .offset:         0
        .size:           64
        .value_kind:     by_value
    .group_segment_fixed_size: 0
    .kernarg_segment_align: 8
    .kernarg_segment_size: 64
    .language:       OpenCL C
    .language_version:
      - 2
      - 0
    .max_flat_workgroup_size: 256
    .name:           _ZN7rocprim17ROCPRIM_400000_NS6detail17trampoline_kernelINS0_14default_configENS1_22reduce_config_selectorIlEEZNS1_11reduce_implILb1ES3_N6thrust23THRUST_200600_302600_NS11hip_rocprim26transform_input_iterator_tIlNS8_12zip_iteratorINS8_5tupleINS8_6detail15normal_iteratorINS8_10device_ptrItEEEESH_NS8_9null_typeESI_SI_SI_SI_SI_SI_SI_EEEENS9_21zip_adj_not_predicateINS8_8equal_toItEEEEEEPllNS8_4plusIlEEEE10hipError_tPvRmT1_T2_T3_mT4_P12ihipStream_tbEUlT_E1_NS1_11comp_targetILNS1_3genE10ELNS1_11target_archE1201ELNS1_3gpuE5ELNS1_3repE0EEENS1_30default_config_static_selectorELNS0_4arch9wavefront6targetE1EEEvSW_
    .private_segment_fixed_size: 0
    .sgpr_count:     4
    .sgpr_spill_count: 0
    .symbol:         _ZN7rocprim17ROCPRIM_400000_NS6detail17trampoline_kernelINS0_14default_configENS1_22reduce_config_selectorIlEEZNS1_11reduce_implILb1ES3_N6thrust23THRUST_200600_302600_NS11hip_rocprim26transform_input_iterator_tIlNS8_12zip_iteratorINS8_5tupleINS8_6detail15normal_iteratorINS8_10device_ptrItEEEESH_NS8_9null_typeESI_SI_SI_SI_SI_SI_SI_EEEENS9_21zip_adj_not_predicateINS8_8equal_toItEEEEEEPllNS8_4plusIlEEEE10hipError_tPvRmT1_T2_T3_mT4_P12ihipStream_tbEUlT_E1_NS1_11comp_targetILNS1_3genE10ELNS1_11target_archE1201ELNS1_3gpuE5ELNS1_3repE0EEENS1_30default_config_static_selectorELNS0_4arch9wavefront6targetE1EEEvSW_.kd
    .uniform_work_group_size: 1
    .uses_dynamic_stack: false
    .vgpr_count:     0
    .vgpr_spill_count: 0
    .wavefront_size: 64
  - .args:
      - .offset:         0
        .size:           64
        .value_kind:     by_value
    .group_segment_fixed_size: 0
    .kernarg_segment_align: 8
    .kernarg_segment_size: 64
    .language:       OpenCL C
    .language_version:
      - 2
      - 0
    .max_flat_workgroup_size: 256
    .name:           _ZN7rocprim17ROCPRIM_400000_NS6detail17trampoline_kernelINS0_14default_configENS1_22reduce_config_selectorIlEEZNS1_11reduce_implILb1ES3_N6thrust23THRUST_200600_302600_NS11hip_rocprim26transform_input_iterator_tIlNS8_12zip_iteratorINS8_5tupleINS8_6detail15normal_iteratorINS8_10device_ptrItEEEESH_NS8_9null_typeESI_SI_SI_SI_SI_SI_SI_EEEENS9_21zip_adj_not_predicateINS8_8equal_toItEEEEEEPllNS8_4plusIlEEEE10hipError_tPvRmT1_T2_T3_mT4_P12ihipStream_tbEUlT_E1_NS1_11comp_targetILNS1_3genE10ELNS1_11target_archE1200ELNS1_3gpuE4ELNS1_3repE0EEENS1_30default_config_static_selectorELNS0_4arch9wavefront6targetE1EEEvSW_
    .private_segment_fixed_size: 0
    .sgpr_count:     4
    .sgpr_spill_count: 0
    .symbol:         _ZN7rocprim17ROCPRIM_400000_NS6detail17trampoline_kernelINS0_14default_configENS1_22reduce_config_selectorIlEEZNS1_11reduce_implILb1ES3_N6thrust23THRUST_200600_302600_NS11hip_rocprim26transform_input_iterator_tIlNS8_12zip_iteratorINS8_5tupleINS8_6detail15normal_iteratorINS8_10device_ptrItEEEESH_NS8_9null_typeESI_SI_SI_SI_SI_SI_SI_EEEENS9_21zip_adj_not_predicateINS8_8equal_toItEEEEEEPllNS8_4plusIlEEEE10hipError_tPvRmT1_T2_T3_mT4_P12ihipStream_tbEUlT_E1_NS1_11comp_targetILNS1_3genE10ELNS1_11target_archE1200ELNS1_3gpuE4ELNS1_3repE0EEENS1_30default_config_static_selectorELNS0_4arch9wavefront6targetE1EEEvSW_.kd
    .uniform_work_group_size: 1
    .uses_dynamic_stack: false
    .vgpr_count:     0
    .vgpr_spill_count: 0
    .wavefront_size: 64
  - .args:
      - .offset:         0
        .size:           64
        .value_kind:     by_value
    .group_segment_fixed_size: 0
    .kernarg_segment_align: 8
    .kernarg_segment_size: 64
    .language:       OpenCL C
    .language_version:
      - 2
      - 0
    .max_flat_workgroup_size: 256
    .name:           _ZN7rocprim17ROCPRIM_400000_NS6detail17trampoline_kernelINS0_14default_configENS1_22reduce_config_selectorIlEEZNS1_11reduce_implILb1ES3_N6thrust23THRUST_200600_302600_NS11hip_rocprim26transform_input_iterator_tIlNS8_12zip_iteratorINS8_5tupleINS8_6detail15normal_iteratorINS8_10device_ptrItEEEESH_NS8_9null_typeESI_SI_SI_SI_SI_SI_SI_EEEENS9_21zip_adj_not_predicateINS8_8equal_toItEEEEEEPllNS8_4plusIlEEEE10hipError_tPvRmT1_T2_T3_mT4_P12ihipStream_tbEUlT_E1_NS1_11comp_targetILNS1_3genE9ELNS1_11target_archE1100ELNS1_3gpuE3ELNS1_3repE0EEENS1_30default_config_static_selectorELNS0_4arch9wavefront6targetE1EEEvSW_
    .private_segment_fixed_size: 0
    .sgpr_count:     4
    .sgpr_spill_count: 0
    .symbol:         _ZN7rocprim17ROCPRIM_400000_NS6detail17trampoline_kernelINS0_14default_configENS1_22reduce_config_selectorIlEEZNS1_11reduce_implILb1ES3_N6thrust23THRUST_200600_302600_NS11hip_rocprim26transform_input_iterator_tIlNS8_12zip_iteratorINS8_5tupleINS8_6detail15normal_iteratorINS8_10device_ptrItEEEESH_NS8_9null_typeESI_SI_SI_SI_SI_SI_SI_EEEENS9_21zip_adj_not_predicateINS8_8equal_toItEEEEEEPllNS8_4plusIlEEEE10hipError_tPvRmT1_T2_T3_mT4_P12ihipStream_tbEUlT_E1_NS1_11comp_targetILNS1_3genE9ELNS1_11target_archE1100ELNS1_3gpuE3ELNS1_3repE0EEENS1_30default_config_static_selectorELNS0_4arch9wavefront6targetE1EEEvSW_.kd
    .uniform_work_group_size: 1
    .uses_dynamic_stack: false
    .vgpr_count:     0
    .vgpr_spill_count: 0
    .wavefront_size: 64
  - .args:
      - .offset:         0
        .size:           64
        .value_kind:     by_value
    .group_segment_fixed_size: 0
    .kernarg_segment_align: 8
    .kernarg_segment_size: 64
    .language:       OpenCL C
    .language_version:
      - 2
      - 0
    .max_flat_workgroup_size: 256
    .name:           _ZN7rocprim17ROCPRIM_400000_NS6detail17trampoline_kernelINS0_14default_configENS1_22reduce_config_selectorIlEEZNS1_11reduce_implILb1ES3_N6thrust23THRUST_200600_302600_NS11hip_rocprim26transform_input_iterator_tIlNS8_12zip_iteratorINS8_5tupleINS8_6detail15normal_iteratorINS8_10device_ptrItEEEESH_NS8_9null_typeESI_SI_SI_SI_SI_SI_SI_EEEENS9_21zip_adj_not_predicateINS8_8equal_toItEEEEEEPllNS8_4plusIlEEEE10hipError_tPvRmT1_T2_T3_mT4_P12ihipStream_tbEUlT_E1_NS1_11comp_targetILNS1_3genE8ELNS1_11target_archE1030ELNS1_3gpuE2ELNS1_3repE0EEENS1_30default_config_static_selectorELNS0_4arch9wavefront6targetE1EEEvSW_
    .private_segment_fixed_size: 0
    .sgpr_count:     4
    .sgpr_spill_count: 0
    .symbol:         _ZN7rocprim17ROCPRIM_400000_NS6detail17trampoline_kernelINS0_14default_configENS1_22reduce_config_selectorIlEEZNS1_11reduce_implILb1ES3_N6thrust23THRUST_200600_302600_NS11hip_rocprim26transform_input_iterator_tIlNS8_12zip_iteratorINS8_5tupleINS8_6detail15normal_iteratorINS8_10device_ptrItEEEESH_NS8_9null_typeESI_SI_SI_SI_SI_SI_SI_EEEENS9_21zip_adj_not_predicateINS8_8equal_toItEEEEEEPllNS8_4plusIlEEEE10hipError_tPvRmT1_T2_T3_mT4_P12ihipStream_tbEUlT_E1_NS1_11comp_targetILNS1_3genE8ELNS1_11target_archE1030ELNS1_3gpuE2ELNS1_3repE0EEENS1_30default_config_static_selectorELNS0_4arch9wavefront6targetE1EEEvSW_.kd
    .uniform_work_group_size: 1
    .uses_dynamic_stack: false
    .vgpr_count:     0
    .vgpr_spill_count: 0
    .wavefront_size: 64
  - .args:
      - .offset:         0
        .size:           80
        .value_kind:     by_value
    .group_segment_fixed_size: 0
    .kernarg_segment_align: 8
    .kernarg_segment_size: 80
    .language:       OpenCL C
    .language_version:
      - 2
      - 0
    .max_flat_workgroup_size: 256
    .name:           _ZN7rocprim17ROCPRIM_400000_NS6detail17trampoline_kernelINS0_14default_configENS1_22reduce_config_selectorIlEEZNS1_11reduce_implILb1ES3_N6thrust23THRUST_200600_302600_NS11hip_rocprim26transform_input_iterator_tIlNS8_12zip_iteratorINS8_5tupleINS8_6detail15normal_iteratorINS8_10device_ptrItEEEESH_NS8_9null_typeESI_SI_SI_SI_SI_SI_SI_EEEENS9_21zip_adj_not_predicateI22is_equal_div_10_uniqueItEEEEEPllNS8_4plusIlEEEE10hipError_tPvRmT1_T2_T3_mT4_P12ihipStream_tbEUlT_E0_NS1_11comp_targetILNS1_3genE0ELNS1_11target_archE4294967295ELNS1_3gpuE0ELNS1_3repE0EEENS1_30default_config_static_selectorELNS0_4arch9wavefront6targetE1EEEvSW_
    .private_segment_fixed_size: 0
    .sgpr_count:     4
    .sgpr_spill_count: 0
    .symbol:         _ZN7rocprim17ROCPRIM_400000_NS6detail17trampoline_kernelINS0_14default_configENS1_22reduce_config_selectorIlEEZNS1_11reduce_implILb1ES3_N6thrust23THRUST_200600_302600_NS11hip_rocprim26transform_input_iterator_tIlNS8_12zip_iteratorINS8_5tupleINS8_6detail15normal_iteratorINS8_10device_ptrItEEEESH_NS8_9null_typeESI_SI_SI_SI_SI_SI_SI_EEEENS9_21zip_adj_not_predicateI22is_equal_div_10_uniqueItEEEEEPllNS8_4plusIlEEEE10hipError_tPvRmT1_T2_T3_mT4_P12ihipStream_tbEUlT_E0_NS1_11comp_targetILNS1_3genE0ELNS1_11target_archE4294967295ELNS1_3gpuE0ELNS1_3repE0EEENS1_30default_config_static_selectorELNS0_4arch9wavefront6targetE1EEEvSW_.kd
    .uniform_work_group_size: 1
    .uses_dynamic_stack: false
    .vgpr_count:     0
    .vgpr_spill_count: 0
    .wavefront_size: 64
  - .args:
      - .offset:         0
        .size:           80
        .value_kind:     by_value
    .group_segment_fixed_size: 0
    .kernarg_segment_align: 8
    .kernarg_segment_size: 80
    .language:       OpenCL C
    .language_version:
      - 2
      - 0
    .max_flat_workgroup_size: 256
    .name:           _ZN7rocprim17ROCPRIM_400000_NS6detail17trampoline_kernelINS0_14default_configENS1_22reduce_config_selectorIlEEZNS1_11reduce_implILb1ES3_N6thrust23THRUST_200600_302600_NS11hip_rocprim26transform_input_iterator_tIlNS8_12zip_iteratorINS8_5tupleINS8_6detail15normal_iteratorINS8_10device_ptrItEEEESH_NS8_9null_typeESI_SI_SI_SI_SI_SI_SI_EEEENS9_21zip_adj_not_predicateI22is_equal_div_10_uniqueItEEEEEPllNS8_4plusIlEEEE10hipError_tPvRmT1_T2_T3_mT4_P12ihipStream_tbEUlT_E0_NS1_11comp_targetILNS1_3genE5ELNS1_11target_archE942ELNS1_3gpuE9ELNS1_3repE0EEENS1_30default_config_static_selectorELNS0_4arch9wavefront6targetE1EEEvSW_
    .private_segment_fixed_size: 0
    .sgpr_count:     4
    .sgpr_spill_count: 0
    .symbol:         _ZN7rocprim17ROCPRIM_400000_NS6detail17trampoline_kernelINS0_14default_configENS1_22reduce_config_selectorIlEEZNS1_11reduce_implILb1ES3_N6thrust23THRUST_200600_302600_NS11hip_rocprim26transform_input_iterator_tIlNS8_12zip_iteratorINS8_5tupleINS8_6detail15normal_iteratorINS8_10device_ptrItEEEESH_NS8_9null_typeESI_SI_SI_SI_SI_SI_SI_EEEENS9_21zip_adj_not_predicateI22is_equal_div_10_uniqueItEEEEEPllNS8_4plusIlEEEE10hipError_tPvRmT1_T2_T3_mT4_P12ihipStream_tbEUlT_E0_NS1_11comp_targetILNS1_3genE5ELNS1_11target_archE942ELNS1_3gpuE9ELNS1_3repE0EEENS1_30default_config_static_selectorELNS0_4arch9wavefront6targetE1EEEvSW_.kd
    .uniform_work_group_size: 1
    .uses_dynamic_stack: false
    .vgpr_count:     0
    .vgpr_spill_count: 0
    .wavefront_size: 64
  - .args:
      - .offset:         0
        .size:           80
        .value_kind:     by_value
    .group_segment_fixed_size: 0
    .kernarg_segment_align: 8
    .kernarg_segment_size: 80
    .language:       OpenCL C
    .language_version:
      - 2
      - 0
    .max_flat_workgroup_size: 256
    .name:           _ZN7rocprim17ROCPRIM_400000_NS6detail17trampoline_kernelINS0_14default_configENS1_22reduce_config_selectorIlEEZNS1_11reduce_implILb1ES3_N6thrust23THRUST_200600_302600_NS11hip_rocprim26transform_input_iterator_tIlNS8_12zip_iteratorINS8_5tupleINS8_6detail15normal_iteratorINS8_10device_ptrItEEEESH_NS8_9null_typeESI_SI_SI_SI_SI_SI_SI_EEEENS9_21zip_adj_not_predicateI22is_equal_div_10_uniqueItEEEEEPllNS8_4plusIlEEEE10hipError_tPvRmT1_T2_T3_mT4_P12ihipStream_tbEUlT_E0_NS1_11comp_targetILNS1_3genE4ELNS1_11target_archE910ELNS1_3gpuE8ELNS1_3repE0EEENS1_30default_config_static_selectorELNS0_4arch9wavefront6targetE1EEEvSW_
    .private_segment_fixed_size: 0
    .sgpr_count:     4
    .sgpr_spill_count: 0
    .symbol:         _ZN7rocprim17ROCPRIM_400000_NS6detail17trampoline_kernelINS0_14default_configENS1_22reduce_config_selectorIlEEZNS1_11reduce_implILb1ES3_N6thrust23THRUST_200600_302600_NS11hip_rocprim26transform_input_iterator_tIlNS8_12zip_iteratorINS8_5tupleINS8_6detail15normal_iteratorINS8_10device_ptrItEEEESH_NS8_9null_typeESI_SI_SI_SI_SI_SI_SI_EEEENS9_21zip_adj_not_predicateI22is_equal_div_10_uniqueItEEEEEPllNS8_4plusIlEEEE10hipError_tPvRmT1_T2_T3_mT4_P12ihipStream_tbEUlT_E0_NS1_11comp_targetILNS1_3genE4ELNS1_11target_archE910ELNS1_3gpuE8ELNS1_3repE0EEENS1_30default_config_static_selectorELNS0_4arch9wavefront6targetE1EEEvSW_.kd
    .uniform_work_group_size: 1
    .uses_dynamic_stack: false
    .vgpr_count:     0
    .vgpr_spill_count: 0
    .wavefront_size: 64
  - .args:
      - .offset:         0
        .size:           80
        .value_kind:     by_value
    .group_segment_fixed_size: 0
    .kernarg_segment_align: 8
    .kernarg_segment_size: 80
    .language:       OpenCL C
    .language_version:
      - 2
      - 0
    .max_flat_workgroup_size: 256
    .name:           _ZN7rocprim17ROCPRIM_400000_NS6detail17trampoline_kernelINS0_14default_configENS1_22reduce_config_selectorIlEEZNS1_11reduce_implILb1ES3_N6thrust23THRUST_200600_302600_NS11hip_rocprim26transform_input_iterator_tIlNS8_12zip_iteratorINS8_5tupleINS8_6detail15normal_iteratorINS8_10device_ptrItEEEESH_NS8_9null_typeESI_SI_SI_SI_SI_SI_SI_EEEENS9_21zip_adj_not_predicateI22is_equal_div_10_uniqueItEEEEEPllNS8_4plusIlEEEE10hipError_tPvRmT1_T2_T3_mT4_P12ihipStream_tbEUlT_E0_NS1_11comp_targetILNS1_3genE3ELNS1_11target_archE908ELNS1_3gpuE7ELNS1_3repE0EEENS1_30default_config_static_selectorELNS0_4arch9wavefront6targetE1EEEvSW_
    .private_segment_fixed_size: 0
    .sgpr_count:     4
    .sgpr_spill_count: 0
    .symbol:         _ZN7rocprim17ROCPRIM_400000_NS6detail17trampoline_kernelINS0_14default_configENS1_22reduce_config_selectorIlEEZNS1_11reduce_implILb1ES3_N6thrust23THRUST_200600_302600_NS11hip_rocprim26transform_input_iterator_tIlNS8_12zip_iteratorINS8_5tupleINS8_6detail15normal_iteratorINS8_10device_ptrItEEEESH_NS8_9null_typeESI_SI_SI_SI_SI_SI_SI_EEEENS9_21zip_adj_not_predicateI22is_equal_div_10_uniqueItEEEEEPllNS8_4plusIlEEEE10hipError_tPvRmT1_T2_T3_mT4_P12ihipStream_tbEUlT_E0_NS1_11comp_targetILNS1_3genE3ELNS1_11target_archE908ELNS1_3gpuE7ELNS1_3repE0EEENS1_30default_config_static_selectorELNS0_4arch9wavefront6targetE1EEEvSW_.kd
    .uniform_work_group_size: 1
    .uses_dynamic_stack: false
    .vgpr_count:     0
    .vgpr_spill_count: 0
    .wavefront_size: 64
  - .args:
      - .offset:         0
        .size:           80
        .value_kind:     by_value
    .group_segment_fixed_size: 64
    .kernarg_segment_align: 8
    .kernarg_segment_size: 80
    .language:       OpenCL C
    .language_version:
      - 2
      - 0
    .max_flat_workgroup_size: 256
    .name:           _ZN7rocprim17ROCPRIM_400000_NS6detail17trampoline_kernelINS0_14default_configENS1_22reduce_config_selectorIlEEZNS1_11reduce_implILb1ES3_N6thrust23THRUST_200600_302600_NS11hip_rocprim26transform_input_iterator_tIlNS8_12zip_iteratorINS8_5tupleINS8_6detail15normal_iteratorINS8_10device_ptrItEEEESH_NS8_9null_typeESI_SI_SI_SI_SI_SI_SI_EEEENS9_21zip_adj_not_predicateI22is_equal_div_10_uniqueItEEEEEPllNS8_4plusIlEEEE10hipError_tPvRmT1_T2_T3_mT4_P12ihipStream_tbEUlT_E0_NS1_11comp_targetILNS1_3genE2ELNS1_11target_archE906ELNS1_3gpuE6ELNS1_3repE0EEENS1_30default_config_static_selectorELNS0_4arch9wavefront6targetE1EEEvSW_
    .private_segment_fixed_size: 0
    .sgpr_count:     26
    .sgpr_spill_count: 0
    .symbol:         _ZN7rocprim17ROCPRIM_400000_NS6detail17trampoline_kernelINS0_14default_configENS1_22reduce_config_selectorIlEEZNS1_11reduce_implILb1ES3_N6thrust23THRUST_200600_302600_NS11hip_rocprim26transform_input_iterator_tIlNS8_12zip_iteratorINS8_5tupleINS8_6detail15normal_iteratorINS8_10device_ptrItEEEESH_NS8_9null_typeESI_SI_SI_SI_SI_SI_SI_EEEENS9_21zip_adj_not_predicateI22is_equal_div_10_uniqueItEEEEEPllNS8_4plusIlEEEE10hipError_tPvRmT1_T2_T3_mT4_P12ihipStream_tbEUlT_E0_NS1_11comp_targetILNS1_3genE2ELNS1_11target_archE906ELNS1_3gpuE6ELNS1_3repE0EEENS1_30default_config_static_selectorELNS0_4arch9wavefront6targetE1EEEvSW_.kd
    .uniform_work_group_size: 1
    .uses_dynamic_stack: false
    .vgpr_count:     11
    .vgpr_spill_count: 0
    .wavefront_size: 64
  - .args:
      - .offset:         0
        .size:           80
        .value_kind:     by_value
    .group_segment_fixed_size: 0
    .kernarg_segment_align: 8
    .kernarg_segment_size: 80
    .language:       OpenCL C
    .language_version:
      - 2
      - 0
    .max_flat_workgroup_size: 256
    .name:           _ZN7rocprim17ROCPRIM_400000_NS6detail17trampoline_kernelINS0_14default_configENS1_22reduce_config_selectorIlEEZNS1_11reduce_implILb1ES3_N6thrust23THRUST_200600_302600_NS11hip_rocprim26transform_input_iterator_tIlNS8_12zip_iteratorINS8_5tupleINS8_6detail15normal_iteratorINS8_10device_ptrItEEEESH_NS8_9null_typeESI_SI_SI_SI_SI_SI_SI_EEEENS9_21zip_adj_not_predicateI22is_equal_div_10_uniqueItEEEEEPllNS8_4plusIlEEEE10hipError_tPvRmT1_T2_T3_mT4_P12ihipStream_tbEUlT_E0_NS1_11comp_targetILNS1_3genE10ELNS1_11target_archE1201ELNS1_3gpuE5ELNS1_3repE0EEENS1_30default_config_static_selectorELNS0_4arch9wavefront6targetE1EEEvSW_
    .private_segment_fixed_size: 0
    .sgpr_count:     4
    .sgpr_spill_count: 0
    .symbol:         _ZN7rocprim17ROCPRIM_400000_NS6detail17trampoline_kernelINS0_14default_configENS1_22reduce_config_selectorIlEEZNS1_11reduce_implILb1ES3_N6thrust23THRUST_200600_302600_NS11hip_rocprim26transform_input_iterator_tIlNS8_12zip_iteratorINS8_5tupleINS8_6detail15normal_iteratorINS8_10device_ptrItEEEESH_NS8_9null_typeESI_SI_SI_SI_SI_SI_SI_EEEENS9_21zip_adj_not_predicateI22is_equal_div_10_uniqueItEEEEEPllNS8_4plusIlEEEE10hipError_tPvRmT1_T2_T3_mT4_P12ihipStream_tbEUlT_E0_NS1_11comp_targetILNS1_3genE10ELNS1_11target_archE1201ELNS1_3gpuE5ELNS1_3repE0EEENS1_30default_config_static_selectorELNS0_4arch9wavefront6targetE1EEEvSW_.kd
    .uniform_work_group_size: 1
    .uses_dynamic_stack: false
    .vgpr_count:     0
    .vgpr_spill_count: 0
    .wavefront_size: 64
  - .args:
      - .offset:         0
        .size:           80
        .value_kind:     by_value
    .group_segment_fixed_size: 0
    .kernarg_segment_align: 8
    .kernarg_segment_size: 80
    .language:       OpenCL C
    .language_version:
      - 2
      - 0
    .max_flat_workgroup_size: 256
    .name:           _ZN7rocprim17ROCPRIM_400000_NS6detail17trampoline_kernelINS0_14default_configENS1_22reduce_config_selectorIlEEZNS1_11reduce_implILb1ES3_N6thrust23THRUST_200600_302600_NS11hip_rocprim26transform_input_iterator_tIlNS8_12zip_iteratorINS8_5tupleINS8_6detail15normal_iteratorINS8_10device_ptrItEEEESH_NS8_9null_typeESI_SI_SI_SI_SI_SI_SI_EEEENS9_21zip_adj_not_predicateI22is_equal_div_10_uniqueItEEEEEPllNS8_4plusIlEEEE10hipError_tPvRmT1_T2_T3_mT4_P12ihipStream_tbEUlT_E0_NS1_11comp_targetILNS1_3genE10ELNS1_11target_archE1200ELNS1_3gpuE4ELNS1_3repE0EEENS1_30default_config_static_selectorELNS0_4arch9wavefront6targetE1EEEvSW_
    .private_segment_fixed_size: 0
    .sgpr_count:     4
    .sgpr_spill_count: 0
    .symbol:         _ZN7rocprim17ROCPRIM_400000_NS6detail17trampoline_kernelINS0_14default_configENS1_22reduce_config_selectorIlEEZNS1_11reduce_implILb1ES3_N6thrust23THRUST_200600_302600_NS11hip_rocprim26transform_input_iterator_tIlNS8_12zip_iteratorINS8_5tupleINS8_6detail15normal_iteratorINS8_10device_ptrItEEEESH_NS8_9null_typeESI_SI_SI_SI_SI_SI_SI_EEEENS9_21zip_adj_not_predicateI22is_equal_div_10_uniqueItEEEEEPllNS8_4plusIlEEEE10hipError_tPvRmT1_T2_T3_mT4_P12ihipStream_tbEUlT_E0_NS1_11comp_targetILNS1_3genE10ELNS1_11target_archE1200ELNS1_3gpuE4ELNS1_3repE0EEENS1_30default_config_static_selectorELNS0_4arch9wavefront6targetE1EEEvSW_.kd
    .uniform_work_group_size: 1
    .uses_dynamic_stack: false
    .vgpr_count:     0
    .vgpr_spill_count: 0
    .wavefront_size: 64
  - .args:
      - .offset:         0
        .size:           80
        .value_kind:     by_value
    .group_segment_fixed_size: 0
    .kernarg_segment_align: 8
    .kernarg_segment_size: 80
    .language:       OpenCL C
    .language_version:
      - 2
      - 0
    .max_flat_workgroup_size: 256
    .name:           _ZN7rocprim17ROCPRIM_400000_NS6detail17trampoline_kernelINS0_14default_configENS1_22reduce_config_selectorIlEEZNS1_11reduce_implILb1ES3_N6thrust23THRUST_200600_302600_NS11hip_rocprim26transform_input_iterator_tIlNS8_12zip_iteratorINS8_5tupleINS8_6detail15normal_iteratorINS8_10device_ptrItEEEESH_NS8_9null_typeESI_SI_SI_SI_SI_SI_SI_EEEENS9_21zip_adj_not_predicateI22is_equal_div_10_uniqueItEEEEEPllNS8_4plusIlEEEE10hipError_tPvRmT1_T2_T3_mT4_P12ihipStream_tbEUlT_E0_NS1_11comp_targetILNS1_3genE9ELNS1_11target_archE1100ELNS1_3gpuE3ELNS1_3repE0EEENS1_30default_config_static_selectorELNS0_4arch9wavefront6targetE1EEEvSW_
    .private_segment_fixed_size: 0
    .sgpr_count:     4
    .sgpr_spill_count: 0
    .symbol:         _ZN7rocprim17ROCPRIM_400000_NS6detail17trampoline_kernelINS0_14default_configENS1_22reduce_config_selectorIlEEZNS1_11reduce_implILb1ES3_N6thrust23THRUST_200600_302600_NS11hip_rocprim26transform_input_iterator_tIlNS8_12zip_iteratorINS8_5tupleINS8_6detail15normal_iteratorINS8_10device_ptrItEEEESH_NS8_9null_typeESI_SI_SI_SI_SI_SI_SI_EEEENS9_21zip_adj_not_predicateI22is_equal_div_10_uniqueItEEEEEPllNS8_4plusIlEEEE10hipError_tPvRmT1_T2_T3_mT4_P12ihipStream_tbEUlT_E0_NS1_11comp_targetILNS1_3genE9ELNS1_11target_archE1100ELNS1_3gpuE3ELNS1_3repE0EEENS1_30default_config_static_selectorELNS0_4arch9wavefront6targetE1EEEvSW_.kd
    .uniform_work_group_size: 1
    .uses_dynamic_stack: false
    .vgpr_count:     0
    .vgpr_spill_count: 0
    .wavefront_size: 64
  - .args:
      - .offset:         0
        .size:           80
        .value_kind:     by_value
    .group_segment_fixed_size: 0
    .kernarg_segment_align: 8
    .kernarg_segment_size: 80
    .language:       OpenCL C
    .language_version:
      - 2
      - 0
    .max_flat_workgroup_size: 256
    .name:           _ZN7rocprim17ROCPRIM_400000_NS6detail17trampoline_kernelINS0_14default_configENS1_22reduce_config_selectorIlEEZNS1_11reduce_implILb1ES3_N6thrust23THRUST_200600_302600_NS11hip_rocprim26transform_input_iterator_tIlNS8_12zip_iteratorINS8_5tupleINS8_6detail15normal_iteratorINS8_10device_ptrItEEEESH_NS8_9null_typeESI_SI_SI_SI_SI_SI_SI_EEEENS9_21zip_adj_not_predicateI22is_equal_div_10_uniqueItEEEEEPllNS8_4plusIlEEEE10hipError_tPvRmT1_T2_T3_mT4_P12ihipStream_tbEUlT_E0_NS1_11comp_targetILNS1_3genE8ELNS1_11target_archE1030ELNS1_3gpuE2ELNS1_3repE0EEENS1_30default_config_static_selectorELNS0_4arch9wavefront6targetE1EEEvSW_
    .private_segment_fixed_size: 0
    .sgpr_count:     4
    .sgpr_spill_count: 0
    .symbol:         _ZN7rocprim17ROCPRIM_400000_NS6detail17trampoline_kernelINS0_14default_configENS1_22reduce_config_selectorIlEEZNS1_11reduce_implILb1ES3_N6thrust23THRUST_200600_302600_NS11hip_rocprim26transform_input_iterator_tIlNS8_12zip_iteratorINS8_5tupleINS8_6detail15normal_iteratorINS8_10device_ptrItEEEESH_NS8_9null_typeESI_SI_SI_SI_SI_SI_SI_EEEENS9_21zip_adj_not_predicateI22is_equal_div_10_uniqueItEEEEEPllNS8_4plusIlEEEE10hipError_tPvRmT1_T2_T3_mT4_P12ihipStream_tbEUlT_E0_NS1_11comp_targetILNS1_3genE8ELNS1_11target_archE1030ELNS1_3gpuE2ELNS1_3repE0EEENS1_30default_config_static_selectorELNS0_4arch9wavefront6targetE1EEEvSW_.kd
    .uniform_work_group_size: 1
    .uses_dynamic_stack: false
    .vgpr_count:     0
    .vgpr_spill_count: 0
    .wavefront_size: 64
  - .args:
      - .offset:         0
        .size:           64
        .value_kind:     by_value
    .group_segment_fixed_size: 0
    .kernarg_segment_align: 8
    .kernarg_segment_size: 64
    .language:       OpenCL C
    .language_version:
      - 2
      - 0
    .max_flat_workgroup_size: 256
    .name:           _ZN7rocprim17ROCPRIM_400000_NS6detail17trampoline_kernelINS0_14default_configENS1_22reduce_config_selectorIlEEZNS1_11reduce_implILb1ES3_N6thrust23THRUST_200600_302600_NS11hip_rocprim26transform_input_iterator_tIlNS8_12zip_iteratorINS8_5tupleINS8_6detail15normal_iteratorINS8_10device_ptrItEEEESH_NS8_9null_typeESI_SI_SI_SI_SI_SI_SI_EEEENS9_21zip_adj_not_predicateI22is_equal_div_10_uniqueItEEEEEPllNS8_4plusIlEEEE10hipError_tPvRmT1_T2_T3_mT4_P12ihipStream_tbEUlT_E1_NS1_11comp_targetILNS1_3genE0ELNS1_11target_archE4294967295ELNS1_3gpuE0ELNS1_3repE0EEENS1_30default_config_static_selectorELNS0_4arch9wavefront6targetE1EEEvSW_
    .private_segment_fixed_size: 0
    .sgpr_count:     4
    .sgpr_spill_count: 0
    .symbol:         _ZN7rocprim17ROCPRIM_400000_NS6detail17trampoline_kernelINS0_14default_configENS1_22reduce_config_selectorIlEEZNS1_11reduce_implILb1ES3_N6thrust23THRUST_200600_302600_NS11hip_rocprim26transform_input_iterator_tIlNS8_12zip_iteratorINS8_5tupleINS8_6detail15normal_iteratorINS8_10device_ptrItEEEESH_NS8_9null_typeESI_SI_SI_SI_SI_SI_SI_EEEENS9_21zip_adj_not_predicateI22is_equal_div_10_uniqueItEEEEEPllNS8_4plusIlEEEE10hipError_tPvRmT1_T2_T3_mT4_P12ihipStream_tbEUlT_E1_NS1_11comp_targetILNS1_3genE0ELNS1_11target_archE4294967295ELNS1_3gpuE0ELNS1_3repE0EEENS1_30default_config_static_selectorELNS0_4arch9wavefront6targetE1EEEvSW_.kd
    .uniform_work_group_size: 1
    .uses_dynamic_stack: false
    .vgpr_count:     0
    .vgpr_spill_count: 0
    .wavefront_size: 64
  - .args:
      - .offset:         0
        .size:           64
        .value_kind:     by_value
    .group_segment_fixed_size: 0
    .kernarg_segment_align: 8
    .kernarg_segment_size: 64
    .language:       OpenCL C
    .language_version:
      - 2
      - 0
    .max_flat_workgroup_size: 256
    .name:           _ZN7rocprim17ROCPRIM_400000_NS6detail17trampoline_kernelINS0_14default_configENS1_22reduce_config_selectorIlEEZNS1_11reduce_implILb1ES3_N6thrust23THRUST_200600_302600_NS11hip_rocprim26transform_input_iterator_tIlNS8_12zip_iteratorINS8_5tupleINS8_6detail15normal_iteratorINS8_10device_ptrItEEEESH_NS8_9null_typeESI_SI_SI_SI_SI_SI_SI_EEEENS9_21zip_adj_not_predicateI22is_equal_div_10_uniqueItEEEEEPllNS8_4plusIlEEEE10hipError_tPvRmT1_T2_T3_mT4_P12ihipStream_tbEUlT_E1_NS1_11comp_targetILNS1_3genE5ELNS1_11target_archE942ELNS1_3gpuE9ELNS1_3repE0EEENS1_30default_config_static_selectorELNS0_4arch9wavefront6targetE1EEEvSW_
    .private_segment_fixed_size: 0
    .sgpr_count:     4
    .sgpr_spill_count: 0
    .symbol:         _ZN7rocprim17ROCPRIM_400000_NS6detail17trampoline_kernelINS0_14default_configENS1_22reduce_config_selectorIlEEZNS1_11reduce_implILb1ES3_N6thrust23THRUST_200600_302600_NS11hip_rocprim26transform_input_iterator_tIlNS8_12zip_iteratorINS8_5tupleINS8_6detail15normal_iteratorINS8_10device_ptrItEEEESH_NS8_9null_typeESI_SI_SI_SI_SI_SI_SI_EEEENS9_21zip_adj_not_predicateI22is_equal_div_10_uniqueItEEEEEPllNS8_4plusIlEEEE10hipError_tPvRmT1_T2_T3_mT4_P12ihipStream_tbEUlT_E1_NS1_11comp_targetILNS1_3genE5ELNS1_11target_archE942ELNS1_3gpuE9ELNS1_3repE0EEENS1_30default_config_static_selectorELNS0_4arch9wavefront6targetE1EEEvSW_.kd
    .uniform_work_group_size: 1
    .uses_dynamic_stack: false
    .vgpr_count:     0
    .vgpr_spill_count: 0
    .wavefront_size: 64
  - .args:
      - .offset:         0
        .size:           64
        .value_kind:     by_value
    .group_segment_fixed_size: 0
    .kernarg_segment_align: 8
    .kernarg_segment_size: 64
    .language:       OpenCL C
    .language_version:
      - 2
      - 0
    .max_flat_workgroup_size: 256
    .name:           _ZN7rocprim17ROCPRIM_400000_NS6detail17trampoline_kernelINS0_14default_configENS1_22reduce_config_selectorIlEEZNS1_11reduce_implILb1ES3_N6thrust23THRUST_200600_302600_NS11hip_rocprim26transform_input_iterator_tIlNS8_12zip_iteratorINS8_5tupleINS8_6detail15normal_iteratorINS8_10device_ptrItEEEESH_NS8_9null_typeESI_SI_SI_SI_SI_SI_SI_EEEENS9_21zip_adj_not_predicateI22is_equal_div_10_uniqueItEEEEEPllNS8_4plusIlEEEE10hipError_tPvRmT1_T2_T3_mT4_P12ihipStream_tbEUlT_E1_NS1_11comp_targetILNS1_3genE4ELNS1_11target_archE910ELNS1_3gpuE8ELNS1_3repE0EEENS1_30default_config_static_selectorELNS0_4arch9wavefront6targetE1EEEvSW_
    .private_segment_fixed_size: 0
    .sgpr_count:     4
    .sgpr_spill_count: 0
    .symbol:         _ZN7rocprim17ROCPRIM_400000_NS6detail17trampoline_kernelINS0_14default_configENS1_22reduce_config_selectorIlEEZNS1_11reduce_implILb1ES3_N6thrust23THRUST_200600_302600_NS11hip_rocprim26transform_input_iterator_tIlNS8_12zip_iteratorINS8_5tupleINS8_6detail15normal_iteratorINS8_10device_ptrItEEEESH_NS8_9null_typeESI_SI_SI_SI_SI_SI_SI_EEEENS9_21zip_adj_not_predicateI22is_equal_div_10_uniqueItEEEEEPllNS8_4plusIlEEEE10hipError_tPvRmT1_T2_T3_mT4_P12ihipStream_tbEUlT_E1_NS1_11comp_targetILNS1_3genE4ELNS1_11target_archE910ELNS1_3gpuE8ELNS1_3repE0EEENS1_30default_config_static_selectorELNS0_4arch9wavefront6targetE1EEEvSW_.kd
    .uniform_work_group_size: 1
    .uses_dynamic_stack: false
    .vgpr_count:     0
    .vgpr_spill_count: 0
    .wavefront_size: 64
  - .args:
      - .offset:         0
        .size:           64
        .value_kind:     by_value
    .group_segment_fixed_size: 0
    .kernarg_segment_align: 8
    .kernarg_segment_size: 64
    .language:       OpenCL C
    .language_version:
      - 2
      - 0
    .max_flat_workgroup_size: 256
    .name:           _ZN7rocprim17ROCPRIM_400000_NS6detail17trampoline_kernelINS0_14default_configENS1_22reduce_config_selectorIlEEZNS1_11reduce_implILb1ES3_N6thrust23THRUST_200600_302600_NS11hip_rocprim26transform_input_iterator_tIlNS8_12zip_iteratorINS8_5tupleINS8_6detail15normal_iteratorINS8_10device_ptrItEEEESH_NS8_9null_typeESI_SI_SI_SI_SI_SI_SI_EEEENS9_21zip_adj_not_predicateI22is_equal_div_10_uniqueItEEEEEPllNS8_4plusIlEEEE10hipError_tPvRmT1_T2_T3_mT4_P12ihipStream_tbEUlT_E1_NS1_11comp_targetILNS1_3genE3ELNS1_11target_archE908ELNS1_3gpuE7ELNS1_3repE0EEENS1_30default_config_static_selectorELNS0_4arch9wavefront6targetE1EEEvSW_
    .private_segment_fixed_size: 0
    .sgpr_count:     4
    .sgpr_spill_count: 0
    .symbol:         _ZN7rocprim17ROCPRIM_400000_NS6detail17trampoline_kernelINS0_14default_configENS1_22reduce_config_selectorIlEEZNS1_11reduce_implILb1ES3_N6thrust23THRUST_200600_302600_NS11hip_rocprim26transform_input_iterator_tIlNS8_12zip_iteratorINS8_5tupleINS8_6detail15normal_iteratorINS8_10device_ptrItEEEESH_NS8_9null_typeESI_SI_SI_SI_SI_SI_SI_EEEENS9_21zip_adj_not_predicateI22is_equal_div_10_uniqueItEEEEEPllNS8_4plusIlEEEE10hipError_tPvRmT1_T2_T3_mT4_P12ihipStream_tbEUlT_E1_NS1_11comp_targetILNS1_3genE3ELNS1_11target_archE908ELNS1_3gpuE7ELNS1_3repE0EEENS1_30default_config_static_selectorELNS0_4arch9wavefront6targetE1EEEvSW_.kd
    .uniform_work_group_size: 1
    .uses_dynamic_stack: false
    .vgpr_count:     0
    .vgpr_spill_count: 0
    .wavefront_size: 64
  - .args:
      - .offset:         0
        .size:           64
        .value_kind:     by_value
    .group_segment_fixed_size: 192
    .kernarg_segment_align: 8
    .kernarg_segment_size: 64
    .language:       OpenCL C
    .language_version:
      - 2
      - 0
    .max_flat_workgroup_size: 256
    .name:           _ZN7rocprim17ROCPRIM_400000_NS6detail17trampoline_kernelINS0_14default_configENS1_22reduce_config_selectorIlEEZNS1_11reduce_implILb1ES3_N6thrust23THRUST_200600_302600_NS11hip_rocprim26transform_input_iterator_tIlNS8_12zip_iteratorINS8_5tupleINS8_6detail15normal_iteratorINS8_10device_ptrItEEEESH_NS8_9null_typeESI_SI_SI_SI_SI_SI_SI_EEEENS9_21zip_adj_not_predicateI22is_equal_div_10_uniqueItEEEEEPllNS8_4plusIlEEEE10hipError_tPvRmT1_T2_T3_mT4_P12ihipStream_tbEUlT_E1_NS1_11comp_targetILNS1_3genE2ELNS1_11target_archE906ELNS1_3gpuE6ELNS1_3repE0EEENS1_30default_config_static_selectorELNS0_4arch9wavefront6targetE1EEEvSW_
    .private_segment_fixed_size: 0
    .sgpr_count:     38
    .sgpr_spill_count: 0
    .symbol:         _ZN7rocprim17ROCPRIM_400000_NS6detail17trampoline_kernelINS0_14default_configENS1_22reduce_config_selectorIlEEZNS1_11reduce_implILb1ES3_N6thrust23THRUST_200600_302600_NS11hip_rocprim26transform_input_iterator_tIlNS8_12zip_iteratorINS8_5tupleINS8_6detail15normal_iteratorINS8_10device_ptrItEEEESH_NS8_9null_typeESI_SI_SI_SI_SI_SI_SI_EEEENS9_21zip_adj_not_predicateI22is_equal_div_10_uniqueItEEEEEPllNS8_4plusIlEEEE10hipError_tPvRmT1_T2_T3_mT4_P12ihipStream_tbEUlT_E1_NS1_11comp_targetILNS1_3genE2ELNS1_11target_archE906ELNS1_3gpuE6ELNS1_3repE0EEENS1_30default_config_static_selectorELNS0_4arch9wavefront6targetE1EEEvSW_.kd
    .uniform_work_group_size: 1
    .uses_dynamic_stack: false
    .vgpr_count:     35
    .vgpr_spill_count: 0
    .wavefront_size: 64
  - .args:
      - .offset:         0
        .size:           64
        .value_kind:     by_value
    .group_segment_fixed_size: 0
    .kernarg_segment_align: 8
    .kernarg_segment_size: 64
    .language:       OpenCL C
    .language_version:
      - 2
      - 0
    .max_flat_workgroup_size: 256
    .name:           _ZN7rocprim17ROCPRIM_400000_NS6detail17trampoline_kernelINS0_14default_configENS1_22reduce_config_selectorIlEEZNS1_11reduce_implILb1ES3_N6thrust23THRUST_200600_302600_NS11hip_rocprim26transform_input_iterator_tIlNS8_12zip_iteratorINS8_5tupleINS8_6detail15normal_iteratorINS8_10device_ptrItEEEESH_NS8_9null_typeESI_SI_SI_SI_SI_SI_SI_EEEENS9_21zip_adj_not_predicateI22is_equal_div_10_uniqueItEEEEEPllNS8_4plusIlEEEE10hipError_tPvRmT1_T2_T3_mT4_P12ihipStream_tbEUlT_E1_NS1_11comp_targetILNS1_3genE10ELNS1_11target_archE1201ELNS1_3gpuE5ELNS1_3repE0EEENS1_30default_config_static_selectorELNS0_4arch9wavefront6targetE1EEEvSW_
    .private_segment_fixed_size: 0
    .sgpr_count:     4
    .sgpr_spill_count: 0
    .symbol:         _ZN7rocprim17ROCPRIM_400000_NS6detail17trampoline_kernelINS0_14default_configENS1_22reduce_config_selectorIlEEZNS1_11reduce_implILb1ES3_N6thrust23THRUST_200600_302600_NS11hip_rocprim26transform_input_iterator_tIlNS8_12zip_iteratorINS8_5tupleINS8_6detail15normal_iteratorINS8_10device_ptrItEEEESH_NS8_9null_typeESI_SI_SI_SI_SI_SI_SI_EEEENS9_21zip_adj_not_predicateI22is_equal_div_10_uniqueItEEEEEPllNS8_4plusIlEEEE10hipError_tPvRmT1_T2_T3_mT4_P12ihipStream_tbEUlT_E1_NS1_11comp_targetILNS1_3genE10ELNS1_11target_archE1201ELNS1_3gpuE5ELNS1_3repE0EEENS1_30default_config_static_selectorELNS0_4arch9wavefront6targetE1EEEvSW_.kd
    .uniform_work_group_size: 1
    .uses_dynamic_stack: false
    .vgpr_count:     0
    .vgpr_spill_count: 0
    .wavefront_size: 64
  - .args:
      - .offset:         0
        .size:           64
        .value_kind:     by_value
    .group_segment_fixed_size: 0
    .kernarg_segment_align: 8
    .kernarg_segment_size: 64
    .language:       OpenCL C
    .language_version:
      - 2
      - 0
    .max_flat_workgroup_size: 256
    .name:           _ZN7rocprim17ROCPRIM_400000_NS6detail17trampoline_kernelINS0_14default_configENS1_22reduce_config_selectorIlEEZNS1_11reduce_implILb1ES3_N6thrust23THRUST_200600_302600_NS11hip_rocprim26transform_input_iterator_tIlNS8_12zip_iteratorINS8_5tupleINS8_6detail15normal_iteratorINS8_10device_ptrItEEEESH_NS8_9null_typeESI_SI_SI_SI_SI_SI_SI_EEEENS9_21zip_adj_not_predicateI22is_equal_div_10_uniqueItEEEEEPllNS8_4plusIlEEEE10hipError_tPvRmT1_T2_T3_mT4_P12ihipStream_tbEUlT_E1_NS1_11comp_targetILNS1_3genE10ELNS1_11target_archE1200ELNS1_3gpuE4ELNS1_3repE0EEENS1_30default_config_static_selectorELNS0_4arch9wavefront6targetE1EEEvSW_
    .private_segment_fixed_size: 0
    .sgpr_count:     4
    .sgpr_spill_count: 0
    .symbol:         _ZN7rocprim17ROCPRIM_400000_NS6detail17trampoline_kernelINS0_14default_configENS1_22reduce_config_selectorIlEEZNS1_11reduce_implILb1ES3_N6thrust23THRUST_200600_302600_NS11hip_rocprim26transform_input_iterator_tIlNS8_12zip_iteratorINS8_5tupleINS8_6detail15normal_iteratorINS8_10device_ptrItEEEESH_NS8_9null_typeESI_SI_SI_SI_SI_SI_SI_EEEENS9_21zip_adj_not_predicateI22is_equal_div_10_uniqueItEEEEEPllNS8_4plusIlEEEE10hipError_tPvRmT1_T2_T3_mT4_P12ihipStream_tbEUlT_E1_NS1_11comp_targetILNS1_3genE10ELNS1_11target_archE1200ELNS1_3gpuE4ELNS1_3repE0EEENS1_30default_config_static_selectorELNS0_4arch9wavefront6targetE1EEEvSW_.kd
    .uniform_work_group_size: 1
    .uses_dynamic_stack: false
    .vgpr_count:     0
    .vgpr_spill_count: 0
    .wavefront_size: 64
  - .args:
      - .offset:         0
        .size:           64
        .value_kind:     by_value
    .group_segment_fixed_size: 0
    .kernarg_segment_align: 8
    .kernarg_segment_size: 64
    .language:       OpenCL C
    .language_version:
      - 2
      - 0
    .max_flat_workgroup_size: 256
    .name:           _ZN7rocprim17ROCPRIM_400000_NS6detail17trampoline_kernelINS0_14default_configENS1_22reduce_config_selectorIlEEZNS1_11reduce_implILb1ES3_N6thrust23THRUST_200600_302600_NS11hip_rocprim26transform_input_iterator_tIlNS8_12zip_iteratorINS8_5tupleINS8_6detail15normal_iteratorINS8_10device_ptrItEEEESH_NS8_9null_typeESI_SI_SI_SI_SI_SI_SI_EEEENS9_21zip_adj_not_predicateI22is_equal_div_10_uniqueItEEEEEPllNS8_4plusIlEEEE10hipError_tPvRmT1_T2_T3_mT4_P12ihipStream_tbEUlT_E1_NS1_11comp_targetILNS1_3genE9ELNS1_11target_archE1100ELNS1_3gpuE3ELNS1_3repE0EEENS1_30default_config_static_selectorELNS0_4arch9wavefront6targetE1EEEvSW_
    .private_segment_fixed_size: 0
    .sgpr_count:     4
    .sgpr_spill_count: 0
    .symbol:         _ZN7rocprim17ROCPRIM_400000_NS6detail17trampoline_kernelINS0_14default_configENS1_22reduce_config_selectorIlEEZNS1_11reduce_implILb1ES3_N6thrust23THRUST_200600_302600_NS11hip_rocprim26transform_input_iterator_tIlNS8_12zip_iteratorINS8_5tupleINS8_6detail15normal_iteratorINS8_10device_ptrItEEEESH_NS8_9null_typeESI_SI_SI_SI_SI_SI_SI_EEEENS9_21zip_adj_not_predicateI22is_equal_div_10_uniqueItEEEEEPllNS8_4plusIlEEEE10hipError_tPvRmT1_T2_T3_mT4_P12ihipStream_tbEUlT_E1_NS1_11comp_targetILNS1_3genE9ELNS1_11target_archE1100ELNS1_3gpuE3ELNS1_3repE0EEENS1_30default_config_static_selectorELNS0_4arch9wavefront6targetE1EEEvSW_.kd
    .uniform_work_group_size: 1
    .uses_dynamic_stack: false
    .vgpr_count:     0
    .vgpr_spill_count: 0
    .wavefront_size: 64
  - .args:
      - .offset:         0
        .size:           64
        .value_kind:     by_value
    .group_segment_fixed_size: 0
    .kernarg_segment_align: 8
    .kernarg_segment_size: 64
    .language:       OpenCL C
    .language_version:
      - 2
      - 0
    .max_flat_workgroup_size: 256
    .name:           _ZN7rocprim17ROCPRIM_400000_NS6detail17trampoline_kernelINS0_14default_configENS1_22reduce_config_selectorIlEEZNS1_11reduce_implILb1ES3_N6thrust23THRUST_200600_302600_NS11hip_rocprim26transform_input_iterator_tIlNS8_12zip_iteratorINS8_5tupleINS8_6detail15normal_iteratorINS8_10device_ptrItEEEESH_NS8_9null_typeESI_SI_SI_SI_SI_SI_SI_EEEENS9_21zip_adj_not_predicateI22is_equal_div_10_uniqueItEEEEEPllNS8_4plusIlEEEE10hipError_tPvRmT1_T2_T3_mT4_P12ihipStream_tbEUlT_E1_NS1_11comp_targetILNS1_3genE8ELNS1_11target_archE1030ELNS1_3gpuE2ELNS1_3repE0EEENS1_30default_config_static_selectorELNS0_4arch9wavefront6targetE1EEEvSW_
    .private_segment_fixed_size: 0
    .sgpr_count:     4
    .sgpr_spill_count: 0
    .symbol:         _ZN7rocprim17ROCPRIM_400000_NS6detail17trampoline_kernelINS0_14default_configENS1_22reduce_config_selectorIlEEZNS1_11reduce_implILb1ES3_N6thrust23THRUST_200600_302600_NS11hip_rocprim26transform_input_iterator_tIlNS8_12zip_iteratorINS8_5tupleINS8_6detail15normal_iteratorINS8_10device_ptrItEEEESH_NS8_9null_typeESI_SI_SI_SI_SI_SI_SI_EEEENS9_21zip_adj_not_predicateI22is_equal_div_10_uniqueItEEEEEPllNS8_4plusIlEEEE10hipError_tPvRmT1_T2_T3_mT4_P12ihipStream_tbEUlT_E1_NS1_11comp_targetILNS1_3genE8ELNS1_11target_archE1030ELNS1_3gpuE2ELNS1_3repE0EEENS1_30default_config_static_selectorELNS0_4arch9wavefront6targetE1EEEvSW_.kd
    .uniform_work_group_size: 1
    .uses_dynamic_stack: false
    .vgpr_count:     0
    .vgpr_spill_count: 0
    .wavefront_size: 64
  - .args:
      - .offset:         0
        .size:           80
        .value_kind:     by_value
    .group_segment_fixed_size: 0
    .kernarg_segment_align: 8
    .kernarg_segment_size: 80
    .language:       OpenCL C
    .language_version:
      - 2
      - 0
    .max_flat_workgroup_size: 256
    .name:           _ZN7rocprim17ROCPRIM_400000_NS6detail17trampoline_kernelINS0_14default_configENS1_22reduce_config_selectorIlEEZNS1_11reduce_implILb1ES3_N6thrust23THRUST_200600_302600_NS11hip_rocprim26transform_input_iterator_tIlNS8_12zip_iteratorINS8_5tupleINS8_6detail15normal_iteratorINS8_10device_ptrIxEEEESH_NS8_9null_typeESI_SI_SI_SI_SI_SI_SI_EEEENS9_21zip_adj_not_predicateINS8_8equal_toIxEEEEEEPllNS8_4plusIlEEEE10hipError_tPvRmT1_T2_T3_mT4_P12ihipStream_tbEUlT_E0_NS1_11comp_targetILNS1_3genE0ELNS1_11target_archE4294967295ELNS1_3gpuE0ELNS1_3repE0EEENS1_30default_config_static_selectorELNS0_4arch9wavefront6targetE1EEEvSW_
    .private_segment_fixed_size: 0
    .sgpr_count:     4
    .sgpr_spill_count: 0
    .symbol:         _ZN7rocprim17ROCPRIM_400000_NS6detail17trampoline_kernelINS0_14default_configENS1_22reduce_config_selectorIlEEZNS1_11reduce_implILb1ES3_N6thrust23THRUST_200600_302600_NS11hip_rocprim26transform_input_iterator_tIlNS8_12zip_iteratorINS8_5tupleINS8_6detail15normal_iteratorINS8_10device_ptrIxEEEESH_NS8_9null_typeESI_SI_SI_SI_SI_SI_SI_EEEENS9_21zip_adj_not_predicateINS8_8equal_toIxEEEEEEPllNS8_4plusIlEEEE10hipError_tPvRmT1_T2_T3_mT4_P12ihipStream_tbEUlT_E0_NS1_11comp_targetILNS1_3genE0ELNS1_11target_archE4294967295ELNS1_3gpuE0ELNS1_3repE0EEENS1_30default_config_static_selectorELNS0_4arch9wavefront6targetE1EEEvSW_.kd
    .uniform_work_group_size: 1
    .uses_dynamic_stack: false
    .vgpr_count:     0
    .vgpr_spill_count: 0
    .wavefront_size: 64
  - .args:
      - .offset:         0
        .size:           80
        .value_kind:     by_value
    .group_segment_fixed_size: 0
    .kernarg_segment_align: 8
    .kernarg_segment_size: 80
    .language:       OpenCL C
    .language_version:
      - 2
      - 0
    .max_flat_workgroup_size: 256
    .name:           _ZN7rocprim17ROCPRIM_400000_NS6detail17trampoline_kernelINS0_14default_configENS1_22reduce_config_selectorIlEEZNS1_11reduce_implILb1ES3_N6thrust23THRUST_200600_302600_NS11hip_rocprim26transform_input_iterator_tIlNS8_12zip_iteratorINS8_5tupleINS8_6detail15normal_iteratorINS8_10device_ptrIxEEEESH_NS8_9null_typeESI_SI_SI_SI_SI_SI_SI_EEEENS9_21zip_adj_not_predicateINS8_8equal_toIxEEEEEEPllNS8_4plusIlEEEE10hipError_tPvRmT1_T2_T3_mT4_P12ihipStream_tbEUlT_E0_NS1_11comp_targetILNS1_3genE5ELNS1_11target_archE942ELNS1_3gpuE9ELNS1_3repE0EEENS1_30default_config_static_selectorELNS0_4arch9wavefront6targetE1EEEvSW_
    .private_segment_fixed_size: 0
    .sgpr_count:     4
    .sgpr_spill_count: 0
    .symbol:         _ZN7rocprim17ROCPRIM_400000_NS6detail17trampoline_kernelINS0_14default_configENS1_22reduce_config_selectorIlEEZNS1_11reduce_implILb1ES3_N6thrust23THRUST_200600_302600_NS11hip_rocprim26transform_input_iterator_tIlNS8_12zip_iteratorINS8_5tupleINS8_6detail15normal_iteratorINS8_10device_ptrIxEEEESH_NS8_9null_typeESI_SI_SI_SI_SI_SI_SI_EEEENS9_21zip_adj_not_predicateINS8_8equal_toIxEEEEEEPllNS8_4plusIlEEEE10hipError_tPvRmT1_T2_T3_mT4_P12ihipStream_tbEUlT_E0_NS1_11comp_targetILNS1_3genE5ELNS1_11target_archE942ELNS1_3gpuE9ELNS1_3repE0EEENS1_30default_config_static_selectorELNS0_4arch9wavefront6targetE1EEEvSW_.kd
    .uniform_work_group_size: 1
    .uses_dynamic_stack: false
    .vgpr_count:     0
    .vgpr_spill_count: 0
    .wavefront_size: 64
  - .args:
      - .offset:         0
        .size:           80
        .value_kind:     by_value
    .group_segment_fixed_size: 0
    .kernarg_segment_align: 8
    .kernarg_segment_size: 80
    .language:       OpenCL C
    .language_version:
      - 2
      - 0
    .max_flat_workgroup_size: 256
    .name:           _ZN7rocprim17ROCPRIM_400000_NS6detail17trampoline_kernelINS0_14default_configENS1_22reduce_config_selectorIlEEZNS1_11reduce_implILb1ES3_N6thrust23THRUST_200600_302600_NS11hip_rocprim26transform_input_iterator_tIlNS8_12zip_iteratorINS8_5tupleINS8_6detail15normal_iteratorINS8_10device_ptrIxEEEESH_NS8_9null_typeESI_SI_SI_SI_SI_SI_SI_EEEENS9_21zip_adj_not_predicateINS8_8equal_toIxEEEEEEPllNS8_4plusIlEEEE10hipError_tPvRmT1_T2_T3_mT4_P12ihipStream_tbEUlT_E0_NS1_11comp_targetILNS1_3genE4ELNS1_11target_archE910ELNS1_3gpuE8ELNS1_3repE0EEENS1_30default_config_static_selectorELNS0_4arch9wavefront6targetE1EEEvSW_
    .private_segment_fixed_size: 0
    .sgpr_count:     4
    .sgpr_spill_count: 0
    .symbol:         _ZN7rocprim17ROCPRIM_400000_NS6detail17trampoline_kernelINS0_14default_configENS1_22reduce_config_selectorIlEEZNS1_11reduce_implILb1ES3_N6thrust23THRUST_200600_302600_NS11hip_rocprim26transform_input_iterator_tIlNS8_12zip_iteratorINS8_5tupleINS8_6detail15normal_iteratorINS8_10device_ptrIxEEEESH_NS8_9null_typeESI_SI_SI_SI_SI_SI_SI_EEEENS9_21zip_adj_not_predicateINS8_8equal_toIxEEEEEEPllNS8_4plusIlEEEE10hipError_tPvRmT1_T2_T3_mT4_P12ihipStream_tbEUlT_E0_NS1_11comp_targetILNS1_3genE4ELNS1_11target_archE910ELNS1_3gpuE8ELNS1_3repE0EEENS1_30default_config_static_selectorELNS0_4arch9wavefront6targetE1EEEvSW_.kd
    .uniform_work_group_size: 1
    .uses_dynamic_stack: false
    .vgpr_count:     0
    .vgpr_spill_count: 0
    .wavefront_size: 64
  - .args:
      - .offset:         0
        .size:           80
        .value_kind:     by_value
    .group_segment_fixed_size: 0
    .kernarg_segment_align: 8
    .kernarg_segment_size: 80
    .language:       OpenCL C
    .language_version:
      - 2
      - 0
    .max_flat_workgroup_size: 256
    .name:           _ZN7rocprim17ROCPRIM_400000_NS6detail17trampoline_kernelINS0_14default_configENS1_22reduce_config_selectorIlEEZNS1_11reduce_implILb1ES3_N6thrust23THRUST_200600_302600_NS11hip_rocprim26transform_input_iterator_tIlNS8_12zip_iteratorINS8_5tupleINS8_6detail15normal_iteratorINS8_10device_ptrIxEEEESH_NS8_9null_typeESI_SI_SI_SI_SI_SI_SI_EEEENS9_21zip_adj_not_predicateINS8_8equal_toIxEEEEEEPllNS8_4plusIlEEEE10hipError_tPvRmT1_T2_T3_mT4_P12ihipStream_tbEUlT_E0_NS1_11comp_targetILNS1_3genE3ELNS1_11target_archE908ELNS1_3gpuE7ELNS1_3repE0EEENS1_30default_config_static_selectorELNS0_4arch9wavefront6targetE1EEEvSW_
    .private_segment_fixed_size: 0
    .sgpr_count:     4
    .sgpr_spill_count: 0
    .symbol:         _ZN7rocprim17ROCPRIM_400000_NS6detail17trampoline_kernelINS0_14default_configENS1_22reduce_config_selectorIlEEZNS1_11reduce_implILb1ES3_N6thrust23THRUST_200600_302600_NS11hip_rocprim26transform_input_iterator_tIlNS8_12zip_iteratorINS8_5tupleINS8_6detail15normal_iteratorINS8_10device_ptrIxEEEESH_NS8_9null_typeESI_SI_SI_SI_SI_SI_SI_EEEENS9_21zip_adj_not_predicateINS8_8equal_toIxEEEEEEPllNS8_4plusIlEEEE10hipError_tPvRmT1_T2_T3_mT4_P12ihipStream_tbEUlT_E0_NS1_11comp_targetILNS1_3genE3ELNS1_11target_archE908ELNS1_3gpuE7ELNS1_3repE0EEENS1_30default_config_static_selectorELNS0_4arch9wavefront6targetE1EEEvSW_.kd
    .uniform_work_group_size: 1
    .uses_dynamic_stack: false
    .vgpr_count:     0
    .vgpr_spill_count: 0
    .wavefront_size: 64
  - .args:
      - .offset:         0
        .size:           80
        .value_kind:     by_value
    .group_segment_fixed_size: 64
    .kernarg_segment_align: 8
    .kernarg_segment_size: 80
    .language:       OpenCL C
    .language_version:
      - 2
      - 0
    .max_flat_workgroup_size: 256
    .name:           _ZN7rocprim17ROCPRIM_400000_NS6detail17trampoline_kernelINS0_14default_configENS1_22reduce_config_selectorIlEEZNS1_11reduce_implILb1ES3_N6thrust23THRUST_200600_302600_NS11hip_rocprim26transform_input_iterator_tIlNS8_12zip_iteratorINS8_5tupleINS8_6detail15normal_iteratorINS8_10device_ptrIxEEEESH_NS8_9null_typeESI_SI_SI_SI_SI_SI_SI_EEEENS9_21zip_adj_not_predicateINS8_8equal_toIxEEEEEEPllNS8_4plusIlEEEE10hipError_tPvRmT1_T2_T3_mT4_P12ihipStream_tbEUlT_E0_NS1_11comp_targetILNS1_3genE2ELNS1_11target_archE906ELNS1_3gpuE6ELNS1_3repE0EEENS1_30default_config_static_selectorELNS0_4arch9wavefront6targetE1EEEvSW_
    .private_segment_fixed_size: 0
    .sgpr_count:     26
    .sgpr_spill_count: 0
    .symbol:         _ZN7rocprim17ROCPRIM_400000_NS6detail17trampoline_kernelINS0_14default_configENS1_22reduce_config_selectorIlEEZNS1_11reduce_implILb1ES3_N6thrust23THRUST_200600_302600_NS11hip_rocprim26transform_input_iterator_tIlNS8_12zip_iteratorINS8_5tupleINS8_6detail15normal_iteratorINS8_10device_ptrIxEEEESH_NS8_9null_typeESI_SI_SI_SI_SI_SI_SI_EEEENS9_21zip_adj_not_predicateINS8_8equal_toIxEEEEEEPllNS8_4plusIlEEEE10hipError_tPvRmT1_T2_T3_mT4_P12ihipStream_tbEUlT_E0_NS1_11comp_targetILNS1_3genE2ELNS1_11target_archE906ELNS1_3gpuE6ELNS1_3repE0EEENS1_30default_config_static_selectorELNS0_4arch9wavefront6targetE1EEEvSW_.kd
    .uniform_work_group_size: 1
    .uses_dynamic_stack: false
    .vgpr_count:     15
    .vgpr_spill_count: 0
    .wavefront_size: 64
  - .args:
      - .offset:         0
        .size:           80
        .value_kind:     by_value
    .group_segment_fixed_size: 0
    .kernarg_segment_align: 8
    .kernarg_segment_size: 80
    .language:       OpenCL C
    .language_version:
      - 2
      - 0
    .max_flat_workgroup_size: 256
    .name:           _ZN7rocprim17ROCPRIM_400000_NS6detail17trampoline_kernelINS0_14default_configENS1_22reduce_config_selectorIlEEZNS1_11reduce_implILb1ES3_N6thrust23THRUST_200600_302600_NS11hip_rocprim26transform_input_iterator_tIlNS8_12zip_iteratorINS8_5tupleINS8_6detail15normal_iteratorINS8_10device_ptrIxEEEESH_NS8_9null_typeESI_SI_SI_SI_SI_SI_SI_EEEENS9_21zip_adj_not_predicateINS8_8equal_toIxEEEEEEPllNS8_4plusIlEEEE10hipError_tPvRmT1_T2_T3_mT4_P12ihipStream_tbEUlT_E0_NS1_11comp_targetILNS1_3genE10ELNS1_11target_archE1201ELNS1_3gpuE5ELNS1_3repE0EEENS1_30default_config_static_selectorELNS0_4arch9wavefront6targetE1EEEvSW_
    .private_segment_fixed_size: 0
    .sgpr_count:     4
    .sgpr_spill_count: 0
    .symbol:         _ZN7rocprim17ROCPRIM_400000_NS6detail17trampoline_kernelINS0_14default_configENS1_22reduce_config_selectorIlEEZNS1_11reduce_implILb1ES3_N6thrust23THRUST_200600_302600_NS11hip_rocprim26transform_input_iterator_tIlNS8_12zip_iteratorINS8_5tupleINS8_6detail15normal_iteratorINS8_10device_ptrIxEEEESH_NS8_9null_typeESI_SI_SI_SI_SI_SI_SI_EEEENS9_21zip_adj_not_predicateINS8_8equal_toIxEEEEEEPllNS8_4plusIlEEEE10hipError_tPvRmT1_T2_T3_mT4_P12ihipStream_tbEUlT_E0_NS1_11comp_targetILNS1_3genE10ELNS1_11target_archE1201ELNS1_3gpuE5ELNS1_3repE0EEENS1_30default_config_static_selectorELNS0_4arch9wavefront6targetE1EEEvSW_.kd
    .uniform_work_group_size: 1
    .uses_dynamic_stack: false
    .vgpr_count:     0
    .vgpr_spill_count: 0
    .wavefront_size: 64
  - .args:
      - .offset:         0
        .size:           80
        .value_kind:     by_value
    .group_segment_fixed_size: 0
    .kernarg_segment_align: 8
    .kernarg_segment_size: 80
    .language:       OpenCL C
    .language_version:
      - 2
      - 0
    .max_flat_workgroup_size: 256
    .name:           _ZN7rocprim17ROCPRIM_400000_NS6detail17trampoline_kernelINS0_14default_configENS1_22reduce_config_selectorIlEEZNS1_11reduce_implILb1ES3_N6thrust23THRUST_200600_302600_NS11hip_rocprim26transform_input_iterator_tIlNS8_12zip_iteratorINS8_5tupleINS8_6detail15normal_iteratorINS8_10device_ptrIxEEEESH_NS8_9null_typeESI_SI_SI_SI_SI_SI_SI_EEEENS9_21zip_adj_not_predicateINS8_8equal_toIxEEEEEEPllNS8_4plusIlEEEE10hipError_tPvRmT1_T2_T3_mT4_P12ihipStream_tbEUlT_E0_NS1_11comp_targetILNS1_3genE10ELNS1_11target_archE1200ELNS1_3gpuE4ELNS1_3repE0EEENS1_30default_config_static_selectorELNS0_4arch9wavefront6targetE1EEEvSW_
    .private_segment_fixed_size: 0
    .sgpr_count:     4
    .sgpr_spill_count: 0
    .symbol:         _ZN7rocprim17ROCPRIM_400000_NS6detail17trampoline_kernelINS0_14default_configENS1_22reduce_config_selectorIlEEZNS1_11reduce_implILb1ES3_N6thrust23THRUST_200600_302600_NS11hip_rocprim26transform_input_iterator_tIlNS8_12zip_iteratorINS8_5tupleINS8_6detail15normal_iteratorINS8_10device_ptrIxEEEESH_NS8_9null_typeESI_SI_SI_SI_SI_SI_SI_EEEENS9_21zip_adj_not_predicateINS8_8equal_toIxEEEEEEPllNS8_4plusIlEEEE10hipError_tPvRmT1_T2_T3_mT4_P12ihipStream_tbEUlT_E0_NS1_11comp_targetILNS1_3genE10ELNS1_11target_archE1200ELNS1_3gpuE4ELNS1_3repE0EEENS1_30default_config_static_selectorELNS0_4arch9wavefront6targetE1EEEvSW_.kd
    .uniform_work_group_size: 1
    .uses_dynamic_stack: false
    .vgpr_count:     0
    .vgpr_spill_count: 0
    .wavefront_size: 64
  - .args:
      - .offset:         0
        .size:           80
        .value_kind:     by_value
    .group_segment_fixed_size: 0
    .kernarg_segment_align: 8
    .kernarg_segment_size: 80
    .language:       OpenCL C
    .language_version:
      - 2
      - 0
    .max_flat_workgroup_size: 256
    .name:           _ZN7rocprim17ROCPRIM_400000_NS6detail17trampoline_kernelINS0_14default_configENS1_22reduce_config_selectorIlEEZNS1_11reduce_implILb1ES3_N6thrust23THRUST_200600_302600_NS11hip_rocprim26transform_input_iterator_tIlNS8_12zip_iteratorINS8_5tupleINS8_6detail15normal_iteratorINS8_10device_ptrIxEEEESH_NS8_9null_typeESI_SI_SI_SI_SI_SI_SI_EEEENS9_21zip_adj_not_predicateINS8_8equal_toIxEEEEEEPllNS8_4plusIlEEEE10hipError_tPvRmT1_T2_T3_mT4_P12ihipStream_tbEUlT_E0_NS1_11comp_targetILNS1_3genE9ELNS1_11target_archE1100ELNS1_3gpuE3ELNS1_3repE0EEENS1_30default_config_static_selectorELNS0_4arch9wavefront6targetE1EEEvSW_
    .private_segment_fixed_size: 0
    .sgpr_count:     4
    .sgpr_spill_count: 0
    .symbol:         _ZN7rocprim17ROCPRIM_400000_NS6detail17trampoline_kernelINS0_14default_configENS1_22reduce_config_selectorIlEEZNS1_11reduce_implILb1ES3_N6thrust23THRUST_200600_302600_NS11hip_rocprim26transform_input_iterator_tIlNS8_12zip_iteratorINS8_5tupleINS8_6detail15normal_iteratorINS8_10device_ptrIxEEEESH_NS8_9null_typeESI_SI_SI_SI_SI_SI_SI_EEEENS9_21zip_adj_not_predicateINS8_8equal_toIxEEEEEEPllNS8_4plusIlEEEE10hipError_tPvRmT1_T2_T3_mT4_P12ihipStream_tbEUlT_E0_NS1_11comp_targetILNS1_3genE9ELNS1_11target_archE1100ELNS1_3gpuE3ELNS1_3repE0EEENS1_30default_config_static_selectorELNS0_4arch9wavefront6targetE1EEEvSW_.kd
    .uniform_work_group_size: 1
    .uses_dynamic_stack: false
    .vgpr_count:     0
    .vgpr_spill_count: 0
    .wavefront_size: 64
  - .args:
      - .offset:         0
        .size:           80
        .value_kind:     by_value
    .group_segment_fixed_size: 0
    .kernarg_segment_align: 8
    .kernarg_segment_size: 80
    .language:       OpenCL C
    .language_version:
      - 2
      - 0
    .max_flat_workgroup_size: 256
    .name:           _ZN7rocprim17ROCPRIM_400000_NS6detail17trampoline_kernelINS0_14default_configENS1_22reduce_config_selectorIlEEZNS1_11reduce_implILb1ES3_N6thrust23THRUST_200600_302600_NS11hip_rocprim26transform_input_iterator_tIlNS8_12zip_iteratorINS8_5tupleINS8_6detail15normal_iteratorINS8_10device_ptrIxEEEESH_NS8_9null_typeESI_SI_SI_SI_SI_SI_SI_EEEENS9_21zip_adj_not_predicateINS8_8equal_toIxEEEEEEPllNS8_4plusIlEEEE10hipError_tPvRmT1_T2_T3_mT4_P12ihipStream_tbEUlT_E0_NS1_11comp_targetILNS1_3genE8ELNS1_11target_archE1030ELNS1_3gpuE2ELNS1_3repE0EEENS1_30default_config_static_selectorELNS0_4arch9wavefront6targetE1EEEvSW_
    .private_segment_fixed_size: 0
    .sgpr_count:     4
    .sgpr_spill_count: 0
    .symbol:         _ZN7rocprim17ROCPRIM_400000_NS6detail17trampoline_kernelINS0_14default_configENS1_22reduce_config_selectorIlEEZNS1_11reduce_implILb1ES3_N6thrust23THRUST_200600_302600_NS11hip_rocprim26transform_input_iterator_tIlNS8_12zip_iteratorINS8_5tupleINS8_6detail15normal_iteratorINS8_10device_ptrIxEEEESH_NS8_9null_typeESI_SI_SI_SI_SI_SI_SI_EEEENS9_21zip_adj_not_predicateINS8_8equal_toIxEEEEEEPllNS8_4plusIlEEEE10hipError_tPvRmT1_T2_T3_mT4_P12ihipStream_tbEUlT_E0_NS1_11comp_targetILNS1_3genE8ELNS1_11target_archE1030ELNS1_3gpuE2ELNS1_3repE0EEENS1_30default_config_static_selectorELNS0_4arch9wavefront6targetE1EEEvSW_.kd
    .uniform_work_group_size: 1
    .uses_dynamic_stack: false
    .vgpr_count:     0
    .vgpr_spill_count: 0
    .wavefront_size: 64
  - .args:
      - .offset:         0
        .size:           64
        .value_kind:     by_value
    .group_segment_fixed_size: 0
    .kernarg_segment_align: 8
    .kernarg_segment_size: 64
    .language:       OpenCL C
    .language_version:
      - 2
      - 0
    .max_flat_workgroup_size: 256
    .name:           _ZN7rocprim17ROCPRIM_400000_NS6detail17trampoline_kernelINS0_14default_configENS1_22reduce_config_selectorIlEEZNS1_11reduce_implILb1ES3_N6thrust23THRUST_200600_302600_NS11hip_rocprim26transform_input_iterator_tIlNS8_12zip_iteratorINS8_5tupleINS8_6detail15normal_iteratorINS8_10device_ptrIxEEEESH_NS8_9null_typeESI_SI_SI_SI_SI_SI_SI_EEEENS9_21zip_adj_not_predicateINS8_8equal_toIxEEEEEEPllNS8_4plusIlEEEE10hipError_tPvRmT1_T2_T3_mT4_P12ihipStream_tbEUlT_E1_NS1_11comp_targetILNS1_3genE0ELNS1_11target_archE4294967295ELNS1_3gpuE0ELNS1_3repE0EEENS1_30default_config_static_selectorELNS0_4arch9wavefront6targetE1EEEvSW_
    .private_segment_fixed_size: 0
    .sgpr_count:     4
    .sgpr_spill_count: 0
    .symbol:         _ZN7rocprim17ROCPRIM_400000_NS6detail17trampoline_kernelINS0_14default_configENS1_22reduce_config_selectorIlEEZNS1_11reduce_implILb1ES3_N6thrust23THRUST_200600_302600_NS11hip_rocprim26transform_input_iterator_tIlNS8_12zip_iteratorINS8_5tupleINS8_6detail15normal_iteratorINS8_10device_ptrIxEEEESH_NS8_9null_typeESI_SI_SI_SI_SI_SI_SI_EEEENS9_21zip_adj_not_predicateINS8_8equal_toIxEEEEEEPllNS8_4plusIlEEEE10hipError_tPvRmT1_T2_T3_mT4_P12ihipStream_tbEUlT_E1_NS1_11comp_targetILNS1_3genE0ELNS1_11target_archE4294967295ELNS1_3gpuE0ELNS1_3repE0EEENS1_30default_config_static_selectorELNS0_4arch9wavefront6targetE1EEEvSW_.kd
    .uniform_work_group_size: 1
    .uses_dynamic_stack: false
    .vgpr_count:     0
    .vgpr_spill_count: 0
    .wavefront_size: 64
  - .args:
      - .offset:         0
        .size:           64
        .value_kind:     by_value
    .group_segment_fixed_size: 0
    .kernarg_segment_align: 8
    .kernarg_segment_size: 64
    .language:       OpenCL C
    .language_version:
      - 2
      - 0
    .max_flat_workgroup_size: 256
    .name:           _ZN7rocprim17ROCPRIM_400000_NS6detail17trampoline_kernelINS0_14default_configENS1_22reduce_config_selectorIlEEZNS1_11reduce_implILb1ES3_N6thrust23THRUST_200600_302600_NS11hip_rocprim26transform_input_iterator_tIlNS8_12zip_iteratorINS8_5tupleINS8_6detail15normal_iteratorINS8_10device_ptrIxEEEESH_NS8_9null_typeESI_SI_SI_SI_SI_SI_SI_EEEENS9_21zip_adj_not_predicateINS8_8equal_toIxEEEEEEPllNS8_4plusIlEEEE10hipError_tPvRmT1_T2_T3_mT4_P12ihipStream_tbEUlT_E1_NS1_11comp_targetILNS1_3genE5ELNS1_11target_archE942ELNS1_3gpuE9ELNS1_3repE0EEENS1_30default_config_static_selectorELNS0_4arch9wavefront6targetE1EEEvSW_
    .private_segment_fixed_size: 0
    .sgpr_count:     4
    .sgpr_spill_count: 0
    .symbol:         _ZN7rocprim17ROCPRIM_400000_NS6detail17trampoline_kernelINS0_14default_configENS1_22reduce_config_selectorIlEEZNS1_11reduce_implILb1ES3_N6thrust23THRUST_200600_302600_NS11hip_rocprim26transform_input_iterator_tIlNS8_12zip_iteratorINS8_5tupleINS8_6detail15normal_iteratorINS8_10device_ptrIxEEEESH_NS8_9null_typeESI_SI_SI_SI_SI_SI_SI_EEEENS9_21zip_adj_not_predicateINS8_8equal_toIxEEEEEEPllNS8_4plusIlEEEE10hipError_tPvRmT1_T2_T3_mT4_P12ihipStream_tbEUlT_E1_NS1_11comp_targetILNS1_3genE5ELNS1_11target_archE942ELNS1_3gpuE9ELNS1_3repE0EEENS1_30default_config_static_selectorELNS0_4arch9wavefront6targetE1EEEvSW_.kd
    .uniform_work_group_size: 1
    .uses_dynamic_stack: false
    .vgpr_count:     0
    .vgpr_spill_count: 0
    .wavefront_size: 64
  - .args:
      - .offset:         0
        .size:           64
        .value_kind:     by_value
    .group_segment_fixed_size: 0
    .kernarg_segment_align: 8
    .kernarg_segment_size: 64
    .language:       OpenCL C
    .language_version:
      - 2
      - 0
    .max_flat_workgroup_size: 256
    .name:           _ZN7rocprim17ROCPRIM_400000_NS6detail17trampoline_kernelINS0_14default_configENS1_22reduce_config_selectorIlEEZNS1_11reduce_implILb1ES3_N6thrust23THRUST_200600_302600_NS11hip_rocprim26transform_input_iterator_tIlNS8_12zip_iteratorINS8_5tupleINS8_6detail15normal_iteratorINS8_10device_ptrIxEEEESH_NS8_9null_typeESI_SI_SI_SI_SI_SI_SI_EEEENS9_21zip_adj_not_predicateINS8_8equal_toIxEEEEEEPllNS8_4plusIlEEEE10hipError_tPvRmT1_T2_T3_mT4_P12ihipStream_tbEUlT_E1_NS1_11comp_targetILNS1_3genE4ELNS1_11target_archE910ELNS1_3gpuE8ELNS1_3repE0EEENS1_30default_config_static_selectorELNS0_4arch9wavefront6targetE1EEEvSW_
    .private_segment_fixed_size: 0
    .sgpr_count:     4
    .sgpr_spill_count: 0
    .symbol:         _ZN7rocprim17ROCPRIM_400000_NS6detail17trampoline_kernelINS0_14default_configENS1_22reduce_config_selectorIlEEZNS1_11reduce_implILb1ES3_N6thrust23THRUST_200600_302600_NS11hip_rocprim26transform_input_iterator_tIlNS8_12zip_iteratorINS8_5tupleINS8_6detail15normal_iteratorINS8_10device_ptrIxEEEESH_NS8_9null_typeESI_SI_SI_SI_SI_SI_SI_EEEENS9_21zip_adj_not_predicateINS8_8equal_toIxEEEEEEPllNS8_4plusIlEEEE10hipError_tPvRmT1_T2_T3_mT4_P12ihipStream_tbEUlT_E1_NS1_11comp_targetILNS1_3genE4ELNS1_11target_archE910ELNS1_3gpuE8ELNS1_3repE0EEENS1_30default_config_static_selectorELNS0_4arch9wavefront6targetE1EEEvSW_.kd
    .uniform_work_group_size: 1
    .uses_dynamic_stack: false
    .vgpr_count:     0
    .vgpr_spill_count: 0
    .wavefront_size: 64
  - .args:
      - .offset:         0
        .size:           64
        .value_kind:     by_value
    .group_segment_fixed_size: 0
    .kernarg_segment_align: 8
    .kernarg_segment_size: 64
    .language:       OpenCL C
    .language_version:
      - 2
      - 0
    .max_flat_workgroup_size: 256
    .name:           _ZN7rocprim17ROCPRIM_400000_NS6detail17trampoline_kernelINS0_14default_configENS1_22reduce_config_selectorIlEEZNS1_11reduce_implILb1ES3_N6thrust23THRUST_200600_302600_NS11hip_rocprim26transform_input_iterator_tIlNS8_12zip_iteratorINS8_5tupleINS8_6detail15normal_iteratorINS8_10device_ptrIxEEEESH_NS8_9null_typeESI_SI_SI_SI_SI_SI_SI_EEEENS9_21zip_adj_not_predicateINS8_8equal_toIxEEEEEEPllNS8_4plusIlEEEE10hipError_tPvRmT1_T2_T3_mT4_P12ihipStream_tbEUlT_E1_NS1_11comp_targetILNS1_3genE3ELNS1_11target_archE908ELNS1_3gpuE7ELNS1_3repE0EEENS1_30default_config_static_selectorELNS0_4arch9wavefront6targetE1EEEvSW_
    .private_segment_fixed_size: 0
    .sgpr_count:     4
    .sgpr_spill_count: 0
    .symbol:         _ZN7rocprim17ROCPRIM_400000_NS6detail17trampoline_kernelINS0_14default_configENS1_22reduce_config_selectorIlEEZNS1_11reduce_implILb1ES3_N6thrust23THRUST_200600_302600_NS11hip_rocprim26transform_input_iterator_tIlNS8_12zip_iteratorINS8_5tupleINS8_6detail15normal_iteratorINS8_10device_ptrIxEEEESH_NS8_9null_typeESI_SI_SI_SI_SI_SI_SI_EEEENS9_21zip_adj_not_predicateINS8_8equal_toIxEEEEEEPllNS8_4plusIlEEEE10hipError_tPvRmT1_T2_T3_mT4_P12ihipStream_tbEUlT_E1_NS1_11comp_targetILNS1_3genE3ELNS1_11target_archE908ELNS1_3gpuE7ELNS1_3repE0EEENS1_30default_config_static_selectorELNS0_4arch9wavefront6targetE1EEEvSW_.kd
    .uniform_work_group_size: 1
    .uses_dynamic_stack: false
    .vgpr_count:     0
    .vgpr_spill_count: 0
    .wavefront_size: 64
  - .args:
      - .offset:         0
        .size:           64
        .value_kind:     by_value
    .group_segment_fixed_size: 192
    .kernarg_segment_align: 8
    .kernarg_segment_size: 64
    .language:       OpenCL C
    .language_version:
      - 2
      - 0
    .max_flat_workgroup_size: 256
    .name:           _ZN7rocprim17ROCPRIM_400000_NS6detail17trampoline_kernelINS0_14default_configENS1_22reduce_config_selectorIlEEZNS1_11reduce_implILb1ES3_N6thrust23THRUST_200600_302600_NS11hip_rocprim26transform_input_iterator_tIlNS8_12zip_iteratorINS8_5tupleINS8_6detail15normal_iteratorINS8_10device_ptrIxEEEESH_NS8_9null_typeESI_SI_SI_SI_SI_SI_SI_EEEENS9_21zip_adj_not_predicateINS8_8equal_toIxEEEEEEPllNS8_4plusIlEEEE10hipError_tPvRmT1_T2_T3_mT4_P12ihipStream_tbEUlT_E1_NS1_11comp_targetILNS1_3genE2ELNS1_11target_archE906ELNS1_3gpuE6ELNS1_3repE0EEENS1_30default_config_static_selectorELNS0_4arch9wavefront6targetE1EEEvSW_
    .private_segment_fixed_size: 0
    .sgpr_count:     42
    .sgpr_spill_count: 0
    .symbol:         _ZN7rocprim17ROCPRIM_400000_NS6detail17trampoline_kernelINS0_14default_configENS1_22reduce_config_selectorIlEEZNS1_11reduce_implILb1ES3_N6thrust23THRUST_200600_302600_NS11hip_rocprim26transform_input_iterator_tIlNS8_12zip_iteratorINS8_5tupleINS8_6detail15normal_iteratorINS8_10device_ptrIxEEEESH_NS8_9null_typeESI_SI_SI_SI_SI_SI_SI_EEEENS9_21zip_adj_not_predicateINS8_8equal_toIxEEEEEEPllNS8_4plusIlEEEE10hipError_tPvRmT1_T2_T3_mT4_P12ihipStream_tbEUlT_E1_NS1_11comp_targetILNS1_3genE2ELNS1_11target_archE906ELNS1_3gpuE6ELNS1_3repE0EEENS1_30default_config_static_selectorELNS0_4arch9wavefront6targetE1EEEvSW_.kd
    .uniform_work_group_size: 1
    .uses_dynamic_stack: false
    .vgpr_count:     36
    .vgpr_spill_count: 0
    .wavefront_size: 64
  - .args:
      - .offset:         0
        .size:           64
        .value_kind:     by_value
    .group_segment_fixed_size: 0
    .kernarg_segment_align: 8
    .kernarg_segment_size: 64
    .language:       OpenCL C
    .language_version:
      - 2
      - 0
    .max_flat_workgroup_size: 256
    .name:           _ZN7rocprim17ROCPRIM_400000_NS6detail17trampoline_kernelINS0_14default_configENS1_22reduce_config_selectorIlEEZNS1_11reduce_implILb1ES3_N6thrust23THRUST_200600_302600_NS11hip_rocprim26transform_input_iterator_tIlNS8_12zip_iteratorINS8_5tupleINS8_6detail15normal_iteratorINS8_10device_ptrIxEEEESH_NS8_9null_typeESI_SI_SI_SI_SI_SI_SI_EEEENS9_21zip_adj_not_predicateINS8_8equal_toIxEEEEEEPllNS8_4plusIlEEEE10hipError_tPvRmT1_T2_T3_mT4_P12ihipStream_tbEUlT_E1_NS1_11comp_targetILNS1_3genE10ELNS1_11target_archE1201ELNS1_3gpuE5ELNS1_3repE0EEENS1_30default_config_static_selectorELNS0_4arch9wavefront6targetE1EEEvSW_
    .private_segment_fixed_size: 0
    .sgpr_count:     4
    .sgpr_spill_count: 0
    .symbol:         _ZN7rocprim17ROCPRIM_400000_NS6detail17trampoline_kernelINS0_14default_configENS1_22reduce_config_selectorIlEEZNS1_11reduce_implILb1ES3_N6thrust23THRUST_200600_302600_NS11hip_rocprim26transform_input_iterator_tIlNS8_12zip_iteratorINS8_5tupleINS8_6detail15normal_iteratorINS8_10device_ptrIxEEEESH_NS8_9null_typeESI_SI_SI_SI_SI_SI_SI_EEEENS9_21zip_adj_not_predicateINS8_8equal_toIxEEEEEEPllNS8_4plusIlEEEE10hipError_tPvRmT1_T2_T3_mT4_P12ihipStream_tbEUlT_E1_NS1_11comp_targetILNS1_3genE10ELNS1_11target_archE1201ELNS1_3gpuE5ELNS1_3repE0EEENS1_30default_config_static_selectorELNS0_4arch9wavefront6targetE1EEEvSW_.kd
    .uniform_work_group_size: 1
    .uses_dynamic_stack: false
    .vgpr_count:     0
    .vgpr_spill_count: 0
    .wavefront_size: 64
  - .args:
      - .offset:         0
        .size:           64
        .value_kind:     by_value
    .group_segment_fixed_size: 0
    .kernarg_segment_align: 8
    .kernarg_segment_size: 64
    .language:       OpenCL C
    .language_version:
      - 2
      - 0
    .max_flat_workgroup_size: 256
    .name:           _ZN7rocprim17ROCPRIM_400000_NS6detail17trampoline_kernelINS0_14default_configENS1_22reduce_config_selectorIlEEZNS1_11reduce_implILb1ES3_N6thrust23THRUST_200600_302600_NS11hip_rocprim26transform_input_iterator_tIlNS8_12zip_iteratorINS8_5tupleINS8_6detail15normal_iteratorINS8_10device_ptrIxEEEESH_NS8_9null_typeESI_SI_SI_SI_SI_SI_SI_EEEENS9_21zip_adj_not_predicateINS8_8equal_toIxEEEEEEPllNS8_4plusIlEEEE10hipError_tPvRmT1_T2_T3_mT4_P12ihipStream_tbEUlT_E1_NS1_11comp_targetILNS1_3genE10ELNS1_11target_archE1200ELNS1_3gpuE4ELNS1_3repE0EEENS1_30default_config_static_selectorELNS0_4arch9wavefront6targetE1EEEvSW_
    .private_segment_fixed_size: 0
    .sgpr_count:     4
    .sgpr_spill_count: 0
    .symbol:         _ZN7rocprim17ROCPRIM_400000_NS6detail17trampoline_kernelINS0_14default_configENS1_22reduce_config_selectorIlEEZNS1_11reduce_implILb1ES3_N6thrust23THRUST_200600_302600_NS11hip_rocprim26transform_input_iterator_tIlNS8_12zip_iteratorINS8_5tupleINS8_6detail15normal_iteratorINS8_10device_ptrIxEEEESH_NS8_9null_typeESI_SI_SI_SI_SI_SI_SI_EEEENS9_21zip_adj_not_predicateINS8_8equal_toIxEEEEEEPllNS8_4plusIlEEEE10hipError_tPvRmT1_T2_T3_mT4_P12ihipStream_tbEUlT_E1_NS1_11comp_targetILNS1_3genE10ELNS1_11target_archE1200ELNS1_3gpuE4ELNS1_3repE0EEENS1_30default_config_static_selectorELNS0_4arch9wavefront6targetE1EEEvSW_.kd
    .uniform_work_group_size: 1
    .uses_dynamic_stack: false
    .vgpr_count:     0
    .vgpr_spill_count: 0
    .wavefront_size: 64
  - .args:
      - .offset:         0
        .size:           64
        .value_kind:     by_value
    .group_segment_fixed_size: 0
    .kernarg_segment_align: 8
    .kernarg_segment_size: 64
    .language:       OpenCL C
    .language_version:
      - 2
      - 0
    .max_flat_workgroup_size: 256
    .name:           _ZN7rocprim17ROCPRIM_400000_NS6detail17trampoline_kernelINS0_14default_configENS1_22reduce_config_selectorIlEEZNS1_11reduce_implILb1ES3_N6thrust23THRUST_200600_302600_NS11hip_rocprim26transform_input_iterator_tIlNS8_12zip_iteratorINS8_5tupleINS8_6detail15normal_iteratorINS8_10device_ptrIxEEEESH_NS8_9null_typeESI_SI_SI_SI_SI_SI_SI_EEEENS9_21zip_adj_not_predicateINS8_8equal_toIxEEEEEEPllNS8_4plusIlEEEE10hipError_tPvRmT1_T2_T3_mT4_P12ihipStream_tbEUlT_E1_NS1_11comp_targetILNS1_3genE9ELNS1_11target_archE1100ELNS1_3gpuE3ELNS1_3repE0EEENS1_30default_config_static_selectorELNS0_4arch9wavefront6targetE1EEEvSW_
    .private_segment_fixed_size: 0
    .sgpr_count:     4
    .sgpr_spill_count: 0
    .symbol:         _ZN7rocprim17ROCPRIM_400000_NS6detail17trampoline_kernelINS0_14default_configENS1_22reduce_config_selectorIlEEZNS1_11reduce_implILb1ES3_N6thrust23THRUST_200600_302600_NS11hip_rocprim26transform_input_iterator_tIlNS8_12zip_iteratorINS8_5tupleINS8_6detail15normal_iteratorINS8_10device_ptrIxEEEESH_NS8_9null_typeESI_SI_SI_SI_SI_SI_SI_EEEENS9_21zip_adj_not_predicateINS8_8equal_toIxEEEEEEPllNS8_4plusIlEEEE10hipError_tPvRmT1_T2_T3_mT4_P12ihipStream_tbEUlT_E1_NS1_11comp_targetILNS1_3genE9ELNS1_11target_archE1100ELNS1_3gpuE3ELNS1_3repE0EEENS1_30default_config_static_selectorELNS0_4arch9wavefront6targetE1EEEvSW_.kd
    .uniform_work_group_size: 1
    .uses_dynamic_stack: false
    .vgpr_count:     0
    .vgpr_spill_count: 0
    .wavefront_size: 64
  - .args:
      - .offset:         0
        .size:           64
        .value_kind:     by_value
    .group_segment_fixed_size: 0
    .kernarg_segment_align: 8
    .kernarg_segment_size: 64
    .language:       OpenCL C
    .language_version:
      - 2
      - 0
    .max_flat_workgroup_size: 256
    .name:           _ZN7rocprim17ROCPRIM_400000_NS6detail17trampoline_kernelINS0_14default_configENS1_22reduce_config_selectorIlEEZNS1_11reduce_implILb1ES3_N6thrust23THRUST_200600_302600_NS11hip_rocprim26transform_input_iterator_tIlNS8_12zip_iteratorINS8_5tupleINS8_6detail15normal_iteratorINS8_10device_ptrIxEEEESH_NS8_9null_typeESI_SI_SI_SI_SI_SI_SI_EEEENS9_21zip_adj_not_predicateINS8_8equal_toIxEEEEEEPllNS8_4plusIlEEEE10hipError_tPvRmT1_T2_T3_mT4_P12ihipStream_tbEUlT_E1_NS1_11comp_targetILNS1_3genE8ELNS1_11target_archE1030ELNS1_3gpuE2ELNS1_3repE0EEENS1_30default_config_static_selectorELNS0_4arch9wavefront6targetE1EEEvSW_
    .private_segment_fixed_size: 0
    .sgpr_count:     4
    .sgpr_spill_count: 0
    .symbol:         _ZN7rocprim17ROCPRIM_400000_NS6detail17trampoline_kernelINS0_14default_configENS1_22reduce_config_selectorIlEEZNS1_11reduce_implILb1ES3_N6thrust23THRUST_200600_302600_NS11hip_rocprim26transform_input_iterator_tIlNS8_12zip_iteratorINS8_5tupleINS8_6detail15normal_iteratorINS8_10device_ptrIxEEEESH_NS8_9null_typeESI_SI_SI_SI_SI_SI_SI_EEEENS9_21zip_adj_not_predicateINS8_8equal_toIxEEEEEEPllNS8_4plusIlEEEE10hipError_tPvRmT1_T2_T3_mT4_P12ihipStream_tbEUlT_E1_NS1_11comp_targetILNS1_3genE8ELNS1_11target_archE1030ELNS1_3gpuE2ELNS1_3repE0EEENS1_30default_config_static_selectorELNS0_4arch9wavefront6targetE1EEEvSW_.kd
    .uniform_work_group_size: 1
    .uses_dynamic_stack: false
    .vgpr_count:     0
    .vgpr_spill_count: 0
    .wavefront_size: 64
  - .args:
      - .offset:         0
        .size:           80
        .value_kind:     by_value
    .group_segment_fixed_size: 0
    .kernarg_segment_align: 8
    .kernarg_segment_size: 80
    .language:       OpenCL C
    .language_version:
      - 2
      - 0
    .max_flat_workgroup_size: 256
    .name:           _ZN7rocprim17ROCPRIM_400000_NS6detail17trampoline_kernelINS0_14default_configENS1_22reduce_config_selectorIlEEZNS1_11reduce_implILb1ES3_N6thrust23THRUST_200600_302600_NS11hip_rocprim26transform_input_iterator_tIlNS8_12zip_iteratorINS8_5tupleINS8_6detail15normal_iteratorINS8_10device_ptrIxEEEESH_NS8_9null_typeESI_SI_SI_SI_SI_SI_SI_EEEENS9_21zip_adj_not_predicateI22is_equal_div_10_uniqueIxEEEEEPllNS8_4plusIlEEEE10hipError_tPvRmT1_T2_T3_mT4_P12ihipStream_tbEUlT_E0_NS1_11comp_targetILNS1_3genE0ELNS1_11target_archE4294967295ELNS1_3gpuE0ELNS1_3repE0EEENS1_30default_config_static_selectorELNS0_4arch9wavefront6targetE1EEEvSW_
    .private_segment_fixed_size: 0
    .sgpr_count:     4
    .sgpr_spill_count: 0
    .symbol:         _ZN7rocprim17ROCPRIM_400000_NS6detail17trampoline_kernelINS0_14default_configENS1_22reduce_config_selectorIlEEZNS1_11reduce_implILb1ES3_N6thrust23THRUST_200600_302600_NS11hip_rocprim26transform_input_iterator_tIlNS8_12zip_iteratorINS8_5tupleINS8_6detail15normal_iteratorINS8_10device_ptrIxEEEESH_NS8_9null_typeESI_SI_SI_SI_SI_SI_SI_EEEENS9_21zip_adj_not_predicateI22is_equal_div_10_uniqueIxEEEEEPllNS8_4plusIlEEEE10hipError_tPvRmT1_T2_T3_mT4_P12ihipStream_tbEUlT_E0_NS1_11comp_targetILNS1_3genE0ELNS1_11target_archE4294967295ELNS1_3gpuE0ELNS1_3repE0EEENS1_30default_config_static_selectorELNS0_4arch9wavefront6targetE1EEEvSW_.kd
    .uniform_work_group_size: 1
    .uses_dynamic_stack: false
    .vgpr_count:     0
    .vgpr_spill_count: 0
    .wavefront_size: 64
  - .args:
      - .offset:         0
        .size:           80
        .value_kind:     by_value
    .group_segment_fixed_size: 0
    .kernarg_segment_align: 8
    .kernarg_segment_size: 80
    .language:       OpenCL C
    .language_version:
      - 2
      - 0
    .max_flat_workgroup_size: 256
    .name:           _ZN7rocprim17ROCPRIM_400000_NS6detail17trampoline_kernelINS0_14default_configENS1_22reduce_config_selectorIlEEZNS1_11reduce_implILb1ES3_N6thrust23THRUST_200600_302600_NS11hip_rocprim26transform_input_iterator_tIlNS8_12zip_iteratorINS8_5tupleINS8_6detail15normal_iteratorINS8_10device_ptrIxEEEESH_NS8_9null_typeESI_SI_SI_SI_SI_SI_SI_EEEENS9_21zip_adj_not_predicateI22is_equal_div_10_uniqueIxEEEEEPllNS8_4plusIlEEEE10hipError_tPvRmT1_T2_T3_mT4_P12ihipStream_tbEUlT_E0_NS1_11comp_targetILNS1_3genE5ELNS1_11target_archE942ELNS1_3gpuE9ELNS1_3repE0EEENS1_30default_config_static_selectorELNS0_4arch9wavefront6targetE1EEEvSW_
    .private_segment_fixed_size: 0
    .sgpr_count:     4
    .sgpr_spill_count: 0
    .symbol:         _ZN7rocprim17ROCPRIM_400000_NS6detail17trampoline_kernelINS0_14default_configENS1_22reduce_config_selectorIlEEZNS1_11reduce_implILb1ES3_N6thrust23THRUST_200600_302600_NS11hip_rocprim26transform_input_iterator_tIlNS8_12zip_iteratorINS8_5tupleINS8_6detail15normal_iteratorINS8_10device_ptrIxEEEESH_NS8_9null_typeESI_SI_SI_SI_SI_SI_SI_EEEENS9_21zip_adj_not_predicateI22is_equal_div_10_uniqueIxEEEEEPllNS8_4plusIlEEEE10hipError_tPvRmT1_T2_T3_mT4_P12ihipStream_tbEUlT_E0_NS1_11comp_targetILNS1_3genE5ELNS1_11target_archE942ELNS1_3gpuE9ELNS1_3repE0EEENS1_30default_config_static_selectorELNS0_4arch9wavefront6targetE1EEEvSW_.kd
    .uniform_work_group_size: 1
    .uses_dynamic_stack: false
    .vgpr_count:     0
    .vgpr_spill_count: 0
    .wavefront_size: 64
  - .args:
      - .offset:         0
        .size:           80
        .value_kind:     by_value
    .group_segment_fixed_size: 0
    .kernarg_segment_align: 8
    .kernarg_segment_size: 80
    .language:       OpenCL C
    .language_version:
      - 2
      - 0
    .max_flat_workgroup_size: 256
    .name:           _ZN7rocprim17ROCPRIM_400000_NS6detail17trampoline_kernelINS0_14default_configENS1_22reduce_config_selectorIlEEZNS1_11reduce_implILb1ES3_N6thrust23THRUST_200600_302600_NS11hip_rocprim26transform_input_iterator_tIlNS8_12zip_iteratorINS8_5tupleINS8_6detail15normal_iteratorINS8_10device_ptrIxEEEESH_NS8_9null_typeESI_SI_SI_SI_SI_SI_SI_EEEENS9_21zip_adj_not_predicateI22is_equal_div_10_uniqueIxEEEEEPllNS8_4plusIlEEEE10hipError_tPvRmT1_T2_T3_mT4_P12ihipStream_tbEUlT_E0_NS1_11comp_targetILNS1_3genE4ELNS1_11target_archE910ELNS1_3gpuE8ELNS1_3repE0EEENS1_30default_config_static_selectorELNS0_4arch9wavefront6targetE1EEEvSW_
    .private_segment_fixed_size: 0
    .sgpr_count:     4
    .sgpr_spill_count: 0
    .symbol:         _ZN7rocprim17ROCPRIM_400000_NS6detail17trampoline_kernelINS0_14default_configENS1_22reduce_config_selectorIlEEZNS1_11reduce_implILb1ES3_N6thrust23THRUST_200600_302600_NS11hip_rocprim26transform_input_iterator_tIlNS8_12zip_iteratorINS8_5tupleINS8_6detail15normal_iteratorINS8_10device_ptrIxEEEESH_NS8_9null_typeESI_SI_SI_SI_SI_SI_SI_EEEENS9_21zip_adj_not_predicateI22is_equal_div_10_uniqueIxEEEEEPllNS8_4plusIlEEEE10hipError_tPvRmT1_T2_T3_mT4_P12ihipStream_tbEUlT_E0_NS1_11comp_targetILNS1_3genE4ELNS1_11target_archE910ELNS1_3gpuE8ELNS1_3repE0EEENS1_30default_config_static_selectorELNS0_4arch9wavefront6targetE1EEEvSW_.kd
    .uniform_work_group_size: 1
    .uses_dynamic_stack: false
    .vgpr_count:     0
    .vgpr_spill_count: 0
    .wavefront_size: 64
  - .args:
      - .offset:         0
        .size:           80
        .value_kind:     by_value
    .group_segment_fixed_size: 0
    .kernarg_segment_align: 8
    .kernarg_segment_size: 80
    .language:       OpenCL C
    .language_version:
      - 2
      - 0
    .max_flat_workgroup_size: 256
    .name:           _ZN7rocprim17ROCPRIM_400000_NS6detail17trampoline_kernelINS0_14default_configENS1_22reduce_config_selectorIlEEZNS1_11reduce_implILb1ES3_N6thrust23THRUST_200600_302600_NS11hip_rocprim26transform_input_iterator_tIlNS8_12zip_iteratorINS8_5tupleINS8_6detail15normal_iteratorINS8_10device_ptrIxEEEESH_NS8_9null_typeESI_SI_SI_SI_SI_SI_SI_EEEENS9_21zip_adj_not_predicateI22is_equal_div_10_uniqueIxEEEEEPllNS8_4plusIlEEEE10hipError_tPvRmT1_T2_T3_mT4_P12ihipStream_tbEUlT_E0_NS1_11comp_targetILNS1_3genE3ELNS1_11target_archE908ELNS1_3gpuE7ELNS1_3repE0EEENS1_30default_config_static_selectorELNS0_4arch9wavefront6targetE1EEEvSW_
    .private_segment_fixed_size: 0
    .sgpr_count:     4
    .sgpr_spill_count: 0
    .symbol:         _ZN7rocprim17ROCPRIM_400000_NS6detail17trampoline_kernelINS0_14default_configENS1_22reduce_config_selectorIlEEZNS1_11reduce_implILb1ES3_N6thrust23THRUST_200600_302600_NS11hip_rocprim26transform_input_iterator_tIlNS8_12zip_iteratorINS8_5tupleINS8_6detail15normal_iteratorINS8_10device_ptrIxEEEESH_NS8_9null_typeESI_SI_SI_SI_SI_SI_SI_EEEENS9_21zip_adj_not_predicateI22is_equal_div_10_uniqueIxEEEEEPllNS8_4plusIlEEEE10hipError_tPvRmT1_T2_T3_mT4_P12ihipStream_tbEUlT_E0_NS1_11comp_targetILNS1_3genE3ELNS1_11target_archE908ELNS1_3gpuE7ELNS1_3repE0EEENS1_30default_config_static_selectorELNS0_4arch9wavefront6targetE1EEEvSW_.kd
    .uniform_work_group_size: 1
    .uses_dynamic_stack: false
    .vgpr_count:     0
    .vgpr_spill_count: 0
    .wavefront_size: 64
  - .args:
      - .offset:         0
        .size:           80
        .value_kind:     by_value
    .group_segment_fixed_size: 64
    .kernarg_segment_align: 8
    .kernarg_segment_size: 80
    .language:       OpenCL C
    .language_version:
      - 2
      - 0
    .max_flat_workgroup_size: 256
    .name:           _ZN7rocprim17ROCPRIM_400000_NS6detail17trampoline_kernelINS0_14default_configENS1_22reduce_config_selectorIlEEZNS1_11reduce_implILb1ES3_N6thrust23THRUST_200600_302600_NS11hip_rocprim26transform_input_iterator_tIlNS8_12zip_iteratorINS8_5tupleINS8_6detail15normal_iteratorINS8_10device_ptrIxEEEESH_NS8_9null_typeESI_SI_SI_SI_SI_SI_SI_EEEENS9_21zip_adj_not_predicateI22is_equal_div_10_uniqueIxEEEEEPllNS8_4plusIlEEEE10hipError_tPvRmT1_T2_T3_mT4_P12ihipStream_tbEUlT_E0_NS1_11comp_targetILNS1_3genE2ELNS1_11target_archE906ELNS1_3gpuE6ELNS1_3repE0EEENS1_30default_config_static_selectorELNS0_4arch9wavefront6targetE1EEEvSW_
    .private_segment_fixed_size: 0
    .sgpr_count:     26
    .sgpr_spill_count: 0
    .symbol:         _ZN7rocprim17ROCPRIM_400000_NS6detail17trampoline_kernelINS0_14default_configENS1_22reduce_config_selectorIlEEZNS1_11reduce_implILb1ES3_N6thrust23THRUST_200600_302600_NS11hip_rocprim26transform_input_iterator_tIlNS8_12zip_iteratorINS8_5tupleINS8_6detail15normal_iteratorINS8_10device_ptrIxEEEESH_NS8_9null_typeESI_SI_SI_SI_SI_SI_SI_EEEENS9_21zip_adj_not_predicateI22is_equal_div_10_uniqueIxEEEEEPllNS8_4plusIlEEEE10hipError_tPvRmT1_T2_T3_mT4_P12ihipStream_tbEUlT_E0_NS1_11comp_targetILNS1_3genE2ELNS1_11target_archE906ELNS1_3gpuE6ELNS1_3repE0EEENS1_30default_config_static_selectorELNS0_4arch9wavefront6targetE1EEEvSW_.kd
    .uniform_work_group_size: 1
    .uses_dynamic_stack: false
    .vgpr_count:     15
    .vgpr_spill_count: 0
    .wavefront_size: 64
  - .args:
      - .offset:         0
        .size:           80
        .value_kind:     by_value
    .group_segment_fixed_size: 0
    .kernarg_segment_align: 8
    .kernarg_segment_size: 80
    .language:       OpenCL C
    .language_version:
      - 2
      - 0
    .max_flat_workgroup_size: 256
    .name:           _ZN7rocprim17ROCPRIM_400000_NS6detail17trampoline_kernelINS0_14default_configENS1_22reduce_config_selectorIlEEZNS1_11reduce_implILb1ES3_N6thrust23THRUST_200600_302600_NS11hip_rocprim26transform_input_iterator_tIlNS8_12zip_iteratorINS8_5tupleINS8_6detail15normal_iteratorINS8_10device_ptrIxEEEESH_NS8_9null_typeESI_SI_SI_SI_SI_SI_SI_EEEENS9_21zip_adj_not_predicateI22is_equal_div_10_uniqueIxEEEEEPllNS8_4plusIlEEEE10hipError_tPvRmT1_T2_T3_mT4_P12ihipStream_tbEUlT_E0_NS1_11comp_targetILNS1_3genE10ELNS1_11target_archE1201ELNS1_3gpuE5ELNS1_3repE0EEENS1_30default_config_static_selectorELNS0_4arch9wavefront6targetE1EEEvSW_
    .private_segment_fixed_size: 0
    .sgpr_count:     4
    .sgpr_spill_count: 0
    .symbol:         _ZN7rocprim17ROCPRIM_400000_NS6detail17trampoline_kernelINS0_14default_configENS1_22reduce_config_selectorIlEEZNS1_11reduce_implILb1ES3_N6thrust23THRUST_200600_302600_NS11hip_rocprim26transform_input_iterator_tIlNS8_12zip_iteratorINS8_5tupleINS8_6detail15normal_iteratorINS8_10device_ptrIxEEEESH_NS8_9null_typeESI_SI_SI_SI_SI_SI_SI_EEEENS9_21zip_adj_not_predicateI22is_equal_div_10_uniqueIxEEEEEPllNS8_4plusIlEEEE10hipError_tPvRmT1_T2_T3_mT4_P12ihipStream_tbEUlT_E0_NS1_11comp_targetILNS1_3genE10ELNS1_11target_archE1201ELNS1_3gpuE5ELNS1_3repE0EEENS1_30default_config_static_selectorELNS0_4arch9wavefront6targetE1EEEvSW_.kd
    .uniform_work_group_size: 1
    .uses_dynamic_stack: false
    .vgpr_count:     0
    .vgpr_spill_count: 0
    .wavefront_size: 64
  - .args:
      - .offset:         0
        .size:           80
        .value_kind:     by_value
    .group_segment_fixed_size: 0
    .kernarg_segment_align: 8
    .kernarg_segment_size: 80
    .language:       OpenCL C
    .language_version:
      - 2
      - 0
    .max_flat_workgroup_size: 256
    .name:           _ZN7rocprim17ROCPRIM_400000_NS6detail17trampoline_kernelINS0_14default_configENS1_22reduce_config_selectorIlEEZNS1_11reduce_implILb1ES3_N6thrust23THRUST_200600_302600_NS11hip_rocprim26transform_input_iterator_tIlNS8_12zip_iteratorINS8_5tupleINS8_6detail15normal_iteratorINS8_10device_ptrIxEEEESH_NS8_9null_typeESI_SI_SI_SI_SI_SI_SI_EEEENS9_21zip_adj_not_predicateI22is_equal_div_10_uniqueIxEEEEEPllNS8_4plusIlEEEE10hipError_tPvRmT1_T2_T3_mT4_P12ihipStream_tbEUlT_E0_NS1_11comp_targetILNS1_3genE10ELNS1_11target_archE1200ELNS1_3gpuE4ELNS1_3repE0EEENS1_30default_config_static_selectorELNS0_4arch9wavefront6targetE1EEEvSW_
    .private_segment_fixed_size: 0
    .sgpr_count:     4
    .sgpr_spill_count: 0
    .symbol:         _ZN7rocprim17ROCPRIM_400000_NS6detail17trampoline_kernelINS0_14default_configENS1_22reduce_config_selectorIlEEZNS1_11reduce_implILb1ES3_N6thrust23THRUST_200600_302600_NS11hip_rocprim26transform_input_iterator_tIlNS8_12zip_iteratorINS8_5tupleINS8_6detail15normal_iteratorINS8_10device_ptrIxEEEESH_NS8_9null_typeESI_SI_SI_SI_SI_SI_SI_EEEENS9_21zip_adj_not_predicateI22is_equal_div_10_uniqueIxEEEEEPllNS8_4plusIlEEEE10hipError_tPvRmT1_T2_T3_mT4_P12ihipStream_tbEUlT_E0_NS1_11comp_targetILNS1_3genE10ELNS1_11target_archE1200ELNS1_3gpuE4ELNS1_3repE0EEENS1_30default_config_static_selectorELNS0_4arch9wavefront6targetE1EEEvSW_.kd
    .uniform_work_group_size: 1
    .uses_dynamic_stack: false
    .vgpr_count:     0
    .vgpr_spill_count: 0
    .wavefront_size: 64
  - .args:
      - .offset:         0
        .size:           80
        .value_kind:     by_value
    .group_segment_fixed_size: 0
    .kernarg_segment_align: 8
    .kernarg_segment_size: 80
    .language:       OpenCL C
    .language_version:
      - 2
      - 0
    .max_flat_workgroup_size: 256
    .name:           _ZN7rocprim17ROCPRIM_400000_NS6detail17trampoline_kernelINS0_14default_configENS1_22reduce_config_selectorIlEEZNS1_11reduce_implILb1ES3_N6thrust23THRUST_200600_302600_NS11hip_rocprim26transform_input_iterator_tIlNS8_12zip_iteratorINS8_5tupleINS8_6detail15normal_iteratorINS8_10device_ptrIxEEEESH_NS8_9null_typeESI_SI_SI_SI_SI_SI_SI_EEEENS9_21zip_adj_not_predicateI22is_equal_div_10_uniqueIxEEEEEPllNS8_4plusIlEEEE10hipError_tPvRmT1_T2_T3_mT4_P12ihipStream_tbEUlT_E0_NS1_11comp_targetILNS1_3genE9ELNS1_11target_archE1100ELNS1_3gpuE3ELNS1_3repE0EEENS1_30default_config_static_selectorELNS0_4arch9wavefront6targetE1EEEvSW_
    .private_segment_fixed_size: 0
    .sgpr_count:     4
    .sgpr_spill_count: 0
    .symbol:         _ZN7rocprim17ROCPRIM_400000_NS6detail17trampoline_kernelINS0_14default_configENS1_22reduce_config_selectorIlEEZNS1_11reduce_implILb1ES3_N6thrust23THRUST_200600_302600_NS11hip_rocprim26transform_input_iterator_tIlNS8_12zip_iteratorINS8_5tupleINS8_6detail15normal_iteratorINS8_10device_ptrIxEEEESH_NS8_9null_typeESI_SI_SI_SI_SI_SI_SI_EEEENS9_21zip_adj_not_predicateI22is_equal_div_10_uniqueIxEEEEEPllNS8_4plusIlEEEE10hipError_tPvRmT1_T2_T3_mT4_P12ihipStream_tbEUlT_E0_NS1_11comp_targetILNS1_3genE9ELNS1_11target_archE1100ELNS1_3gpuE3ELNS1_3repE0EEENS1_30default_config_static_selectorELNS0_4arch9wavefront6targetE1EEEvSW_.kd
    .uniform_work_group_size: 1
    .uses_dynamic_stack: false
    .vgpr_count:     0
    .vgpr_spill_count: 0
    .wavefront_size: 64
  - .args:
      - .offset:         0
        .size:           80
        .value_kind:     by_value
    .group_segment_fixed_size: 0
    .kernarg_segment_align: 8
    .kernarg_segment_size: 80
    .language:       OpenCL C
    .language_version:
      - 2
      - 0
    .max_flat_workgroup_size: 256
    .name:           _ZN7rocprim17ROCPRIM_400000_NS6detail17trampoline_kernelINS0_14default_configENS1_22reduce_config_selectorIlEEZNS1_11reduce_implILb1ES3_N6thrust23THRUST_200600_302600_NS11hip_rocprim26transform_input_iterator_tIlNS8_12zip_iteratorINS8_5tupleINS8_6detail15normal_iteratorINS8_10device_ptrIxEEEESH_NS8_9null_typeESI_SI_SI_SI_SI_SI_SI_EEEENS9_21zip_adj_not_predicateI22is_equal_div_10_uniqueIxEEEEEPllNS8_4plusIlEEEE10hipError_tPvRmT1_T2_T3_mT4_P12ihipStream_tbEUlT_E0_NS1_11comp_targetILNS1_3genE8ELNS1_11target_archE1030ELNS1_3gpuE2ELNS1_3repE0EEENS1_30default_config_static_selectorELNS0_4arch9wavefront6targetE1EEEvSW_
    .private_segment_fixed_size: 0
    .sgpr_count:     4
    .sgpr_spill_count: 0
    .symbol:         _ZN7rocprim17ROCPRIM_400000_NS6detail17trampoline_kernelINS0_14default_configENS1_22reduce_config_selectorIlEEZNS1_11reduce_implILb1ES3_N6thrust23THRUST_200600_302600_NS11hip_rocprim26transform_input_iterator_tIlNS8_12zip_iteratorINS8_5tupleINS8_6detail15normal_iteratorINS8_10device_ptrIxEEEESH_NS8_9null_typeESI_SI_SI_SI_SI_SI_SI_EEEENS9_21zip_adj_not_predicateI22is_equal_div_10_uniqueIxEEEEEPllNS8_4plusIlEEEE10hipError_tPvRmT1_T2_T3_mT4_P12ihipStream_tbEUlT_E0_NS1_11comp_targetILNS1_3genE8ELNS1_11target_archE1030ELNS1_3gpuE2ELNS1_3repE0EEENS1_30default_config_static_selectorELNS0_4arch9wavefront6targetE1EEEvSW_.kd
    .uniform_work_group_size: 1
    .uses_dynamic_stack: false
    .vgpr_count:     0
    .vgpr_spill_count: 0
    .wavefront_size: 64
  - .args:
      - .offset:         0
        .size:           64
        .value_kind:     by_value
    .group_segment_fixed_size: 0
    .kernarg_segment_align: 8
    .kernarg_segment_size: 64
    .language:       OpenCL C
    .language_version:
      - 2
      - 0
    .max_flat_workgroup_size: 256
    .name:           _ZN7rocprim17ROCPRIM_400000_NS6detail17trampoline_kernelINS0_14default_configENS1_22reduce_config_selectorIlEEZNS1_11reduce_implILb1ES3_N6thrust23THRUST_200600_302600_NS11hip_rocprim26transform_input_iterator_tIlNS8_12zip_iteratorINS8_5tupleINS8_6detail15normal_iteratorINS8_10device_ptrIxEEEESH_NS8_9null_typeESI_SI_SI_SI_SI_SI_SI_EEEENS9_21zip_adj_not_predicateI22is_equal_div_10_uniqueIxEEEEEPllNS8_4plusIlEEEE10hipError_tPvRmT1_T2_T3_mT4_P12ihipStream_tbEUlT_E1_NS1_11comp_targetILNS1_3genE0ELNS1_11target_archE4294967295ELNS1_3gpuE0ELNS1_3repE0EEENS1_30default_config_static_selectorELNS0_4arch9wavefront6targetE1EEEvSW_
    .private_segment_fixed_size: 0
    .sgpr_count:     4
    .sgpr_spill_count: 0
    .symbol:         _ZN7rocprim17ROCPRIM_400000_NS6detail17trampoline_kernelINS0_14default_configENS1_22reduce_config_selectorIlEEZNS1_11reduce_implILb1ES3_N6thrust23THRUST_200600_302600_NS11hip_rocprim26transform_input_iterator_tIlNS8_12zip_iteratorINS8_5tupleINS8_6detail15normal_iteratorINS8_10device_ptrIxEEEESH_NS8_9null_typeESI_SI_SI_SI_SI_SI_SI_EEEENS9_21zip_adj_not_predicateI22is_equal_div_10_uniqueIxEEEEEPllNS8_4plusIlEEEE10hipError_tPvRmT1_T2_T3_mT4_P12ihipStream_tbEUlT_E1_NS1_11comp_targetILNS1_3genE0ELNS1_11target_archE4294967295ELNS1_3gpuE0ELNS1_3repE0EEENS1_30default_config_static_selectorELNS0_4arch9wavefront6targetE1EEEvSW_.kd
    .uniform_work_group_size: 1
    .uses_dynamic_stack: false
    .vgpr_count:     0
    .vgpr_spill_count: 0
    .wavefront_size: 64
  - .args:
      - .offset:         0
        .size:           64
        .value_kind:     by_value
    .group_segment_fixed_size: 0
    .kernarg_segment_align: 8
    .kernarg_segment_size: 64
    .language:       OpenCL C
    .language_version:
      - 2
      - 0
    .max_flat_workgroup_size: 256
    .name:           _ZN7rocprim17ROCPRIM_400000_NS6detail17trampoline_kernelINS0_14default_configENS1_22reduce_config_selectorIlEEZNS1_11reduce_implILb1ES3_N6thrust23THRUST_200600_302600_NS11hip_rocprim26transform_input_iterator_tIlNS8_12zip_iteratorINS8_5tupleINS8_6detail15normal_iteratorINS8_10device_ptrIxEEEESH_NS8_9null_typeESI_SI_SI_SI_SI_SI_SI_EEEENS9_21zip_adj_not_predicateI22is_equal_div_10_uniqueIxEEEEEPllNS8_4plusIlEEEE10hipError_tPvRmT1_T2_T3_mT4_P12ihipStream_tbEUlT_E1_NS1_11comp_targetILNS1_3genE5ELNS1_11target_archE942ELNS1_3gpuE9ELNS1_3repE0EEENS1_30default_config_static_selectorELNS0_4arch9wavefront6targetE1EEEvSW_
    .private_segment_fixed_size: 0
    .sgpr_count:     4
    .sgpr_spill_count: 0
    .symbol:         _ZN7rocprim17ROCPRIM_400000_NS6detail17trampoline_kernelINS0_14default_configENS1_22reduce_config_selectorIlEEZNS1_11reduce_implILb1ES3_N6thrust23THRUST_200600_302600_NS11hip_rocprim26transform_input_iterator_tIlNS8_12zip_iteratorINS8_5tupleINS8_6detail15normal_iteratorINS8_10device_ptrIxEEEESH_NS8_9null_typeESI_SI_SI_SI_SI_SI_SI_EEEENS9_21zip_adj_not_predicateI22is_equal_div_10_uniqueIxEEEEEPllNS8_4plusIlEEEE10hipError_tPvRmT1_T2_T3_mT4_P12ihipStream_tbEUlT_E1_NS1_11comp_targetILNS1_3genE5ELNS1_11target_archE942ELNS1_3gpuE9ELNS1_3repE0EEENS1_30default_config_static_selectorELNS0_4arch9wavefront6targetE1EEEvSW_.kd
    .uniform_work_group_size: 1
    .uses_dynamic_stack: false
    .vgpr_count:     0
    .vgpr_spill_count: 0
    .wavefront_size: 64
  - .args:
      - .offset:         0
        .size:           64
        .value_kind:     by_value
    .group_segment_fixed_size: 0
    .kernarg_segment_align: 8
    .kernarg_segment_size: 64
    .language:       OpenCL C
    .language_version:
      - 2
      - 0
    .max_flat_workgroup_size: 256
    .name:           _ZN7rocprim17ROCPRIM_400000_NS6detail17trampoline_kernelINS0_14default_configENS1_22reduce_config_selectorIlEEZNS1_11reduce_implILb1ES3_N6thrust23THRUST_200600_302600_NS11hip_rocprim26transform_input_iterator_tIlNS8_12zip_iteratorINS8_5tupleINS8_6detail15normal_iteratorINS8_10device_ptrIxEEEESH_NS8_9null_typeESI_SI_SI_SI_SI_SI_SI_EEEENS9_21zip_adj_not_predicateI22is_equal_div_10_uniqueIxEEEEEPllNS8_4plusIlEEEE10hipError_tPvRmT1_T2_T3_mT4_P12ihipStream_tbEUlT_E1_NS1_11comp_targetILNS1_3genE4ELNS1_11target_archE910ELNS1_3gpuE8ELNS1_3repE0EEENS1_30default_config_static_selectorELNS0_4arch9wavefront6targetE1EEEvSW_
    .private_segment_fixed_size: 0
    .sgpr_count:     4
    .sgpr_spill_count: 0
    .symbol:         _ZN7rocprim17ROCPRIM_400000_NS6detail17trampoline_kernelINS0_14default_configENS1_22reduce_config_selectorIlEEZNS1_11reduce_implILb1ES3_N6thrust23THRUST_200600_302600_NS11hip_rocprim26transform_input_iterator_tIlNS8_12zip_iteratorINS8_5tupleINS8_6detail15normal_iteratorINS8_10device_ptrIxEEEESH_NS8_9null_typeESI_SI_SI_SI_SI_SI_SI_EEEENS9_21zip_adj_not_predicateI22is_equal_div_10_uniqueIxEEEEEPllNS8_4plusIlEEEE10hipError_tPvRmT1_T2_T3_mT4_P12ihipStream_tbEUlT_E1_NS1_11comp_targetILNS1_3genE4ELNS1_11target_archE910ELNS1_3gpuE8ELNS1_3repE0EEENS1_30default_config_static_selectorELNS0_4arch9wavefront6targetE1EEEvSW_.kd
    .uniform_work_group_size: 1
    .uses_dynamic_stack: false
    .vgpr_count:     0
    .vgpr_spill_count: 0
    .wavefront_size: 64
  - .args:
      - .offset:         0
        .size:           64
        .value_kind:     by_value
    .group_segment_fixed_size: 0
    .kernarg_segment_align: 8
    .kernarg_segment_size: 64
    .language:       OpenCL C
    .language_version:
      - 2
      - 0
    .max_flat_workgroup_size: 256
    .name:           _ZN7rocprim17ROCPRIM_400000_NS6detail17trampoline_kernelINS0_14default_configENS1_22reduce_config_selectorIlEEZNS1_11reduce_implILb1ES3_N6thrust23THRUST_200600_302600_NS11hip_rocprim26transform_input_iterator_tIlNS8_12zip_iteratorINS8_5tupleINS8_6detail15normal_iteratorINS8_10device_ptrIxEEEESH_NS8_9null_typeESI_SI_SI_SI_SI_SI_SI_EEEENS9_21zip_adj_not_predicateI22is_equal_div_10_uniqueIxEEEEEPllNS8_4plusIlEEEE10hipError_tPvRmT1_T2_T3_mT4_P12ihipStream_tbEUlT_E1_NS1_11comp_targetILNS1_3genE3ELNS1_11target_archE908ELNS1_3gpuE7ELNS1_3repE0EEENS1_30default_config_static_selectorELNS0_4arch9wavefront6targetE1EEEvSW_
    .private_segment_fixed_size: 0
    .sgpr_count:     4
    .sgpr_spill_count: 0
    .symbol:         _ZN7rocprim17ROCPRIM_400000_NS6detail17trampoline_kernelINS0_14default_configENS1_22reduce_config_selectorIlEEZNS1_11reduce_implILb1ES3_N6thrust23THRUST_200600_302600_NS11hip_rocprim26transform_input_iterator_tIlNS8_12zip_iteratorINS8_5tupleINS8_6detail15normal_iteratorINS8_10device_ptrIxEEEESH_NS8_9null_typeESI_SI_SI_SI_SI_SI_SI_EEEENS9_21zip_adj_not_predicateI22is_equal_div_10_uniqueIxEEEEEPllNS8_4plusIlEEEE10hipError_tPvRmT1_T2_T3_mT4_P12ihipStream_tbEUlT_E1_NS1_11comp_targetILNS1_3genE3ELNS1_11target_archE908ELNS1_3gpuE7ELNS1_3repE0EEENS1_30default_config_static_selectorELNS0_4arch9wavefront6targetE1EEEvSW_.kd
    .uniform_work_group_size: 1
    .uses_dynamic_stack: false
    .vgpr_count:     0
    .vgpr_spill_count: 0
    .wavefront_size: 64
  - .args:
      - .offset:         0
        .size:           64
        .value_kind:     by_value
    .group_segment_fixed_size: 192
    .kernarg_segment_align: 8
    .kernarg_segment_size: 64
    .language:       OpenCL C
    .language_version:
      - 2
      - 0
    .max_flat_workgroup_size: 256
    .name:           _ZN7rocprim17ROCPRIM_400000_NS6detail17trampoline_kernelINS0_14default_configENS1_22reduce_config_selectorIlEEZNS1_11reduce_implILb1ES3_N6thrust23THRUST_200600_302600_NS11hip_rocprim26transform_input_iterator_tIlNS8_12zip_iteratorINS8_5tupleINS8_6detail15normal_iteratorINS8_10device_ptrIxEEEESH_NS8_9null_typeESI_SI_SI_SI_SI_SI_SI_EEEENS9_21zip_adj_not_predicateI22is_equal_div_10_uniqueIxEEEEEPllNS8_4plusIlEEEE10hipError_tPvRmT1_T2_T3_mT4_P12ihipStream_tbEUlT_E1_NS1_11comp_targetILNS1_3genE2ELNS1_11target_archE906ELNS1_3gpuE6ELNS1_3repE0EEENS1_30default_config_static_selectorELNS0_4arch9wavefront6targetE1EEEvSW_
    .private_segment_fixed_size: 0
    .sgpr_count:     38
    .sgpr_spill_count: 0
    .symbol:         _ZN7rocprim17ROCPRIM_400000_NS6detail17trampoline_kernelINS0_14default_configENS1_22reduce_config_selectorIlEEZNS1_11reduce_implILb1ES3_N6thrust23THRUST_200600_302600_NS11hip_rocprim26transform_input_iterator_tIlNS8_12zip_iteratorINS8_5tupleINS8_6detail15normal_iteratorINS8_10device_ptrIxEEEESH_NS8_9null_typeESI_SI_SI_SI_SI_SI_SI_EEEENS9_21zip_adj_not_predicateI22is_equal_div_10_uniqueIxEEEEEPllNS8_4plusIlEEEE10hipError_tPvRmT1_T2_T3_mT4_P12ihipStream_tbEUlT_E1_NS1_11comp_targetILNS1_3genE2ELNS1_11target_archE906ELNS1_3gpuE6ELNS1_3repE0EEENS1_30default_config_static_selectorELNS0_4arch9wavefront6targetE1EEEvSW_.kd
    .uniform_work_group_size: 1
    .uses_dynamic_stack: false
    .vgpr_count:     35
    .vgpr_spill_count: 0
    .wavefront_size: 64
  - .args:
      - .offset:         0
        .size:           64
        .value_kind:     by_value
    .group_segment_fixed_size: 0
    .kernarg_segment_align: 8
    .kernarg_segment_size: 64
    .language:       OpenCL C
    .language_version:
      - 2
      - 0
    .max_flat_workgroup_size: 256
    .name:           _ZN7rocprim17ROCPRIM_400000_NS6detail17trampoline_kernelINS0_14default_configENS1_22reduce_config_selectorIlEEZNS1_11reduce_implILb1ES3_N6thrust23THRUST_200600_302600_NS11hip_rocprim26transform_input_iterator_tIlNS8_12zip_iteratorINS8_5tupleINS8_6detail15normal_iteratorINS8_10device_ptrIxEEEESH_NS8_9null_typeESI_SI_SI_SI_SI_SI_SI_EEEENS9_21zip_adj_not_predicateI22is_equal_div_10_uniqueIxEEEEEPllNS8_4plusIlEEEE10hipError_tPvRmT1_T2_T3_mT4_P12ihipStream_tbEUlT_E1_NS1_11comp_targetILNS1_3genE10ELNS1_11target_archE1201ELNS1_3gpuE5ELNS1_3repE0EEENS1_30default_config_static_selectorELNS0_4arch9wavefront6targetE1EEEvSW_
    .private_segment_fixed_size: 0
    .sgpr_count:     4
    .sgpr_spill_count: 0
    .symbol:         _ZN7rocprim17ROCPRIM_400000_NS6detail17trampoline_kernelINS0_14default_configENS1_22reduce_config_selectorIlEEZNS1_11reduce_implILb1ES3_N6thrust23THRUST_200600_302600_NS11hip_rocprim26transform_input_iterator_tIlNS8_12zip_iteratorINS8_5tupleINS8_6detail15normal_iteratorINS8_10device_ptrIxEEEESH_NS8_9null_typeESI_SI_SI_SI_SI_SI_SI_EEEENS9_21zip_adj_not_predicateI22is_equal_div_10_uniqueIxEEEEEPllNS8_4plusIlEEEE10hipError_tPvRmT1_T2_T3_mT4_P12ihipStream_tbEUlT_E1_NS1_11comp_targetILNS1_3genE10ELNS1_11target_archE1201ELNS1_3gpuE5ELNS1_3repE0EEENS1_30default_config_static_selectorELNS0_4arch9wavefront6targetE1EEEvSW_.kd
    .uniform_work_group_size: 1
    .uses_dynamic_stack: false
    .vgpr_count:     0
    .vgpr_spill_count: 0
    .wavefront_size: 64
  - .args:
      - .offset:         0
        .size:           64
        .value_kind:     by_value
    .group_segment_fixed_size: 0
    .kernarg_segment_align: 8
    .kernarg_segment_size: 64
    .language:       OpenCL C
    .language_version:
      - 2
      - 0
    .max_flat_workgroup_size: 256
    .name:           _ZN7rocprim17ROCPRIM_400000_NS6detail17trampoline_kernelINS0_14default_configENS1_22reduce_config_selectorIlEEZNS1_11reduce_implILb1ES3_N6thrust23THRUST_200600_302600_NS11hip_rocprim26transform_input_iterator_tIlNS8_12zip_iteratorINS8_5tupleINS8_6detail15normal_iteratorINS8_10device_ptrIxEEEESH_NS8_9null_typeESI_SI_SI_SI_SI_SI_SI_EEEENS9_21zip_adj_not_predicateI22is_equal_div_10_uniqueIxEEEEEPllNS8_4plusIlEEEE10hipError_tPvRmT1_T2_T3_mT4_P12ihipStream_tbEUlT_E1_NS1_11comp_targetILNS1_3genE10ELNS1_11target_archE1200ELNS1_3gpuE4ELNS1_3repE0EEENS1_30default_config_static_selectorELNS0_4arch9wavefront6targetE1EEEvSW_
    .private_segment_fixed_size: 0
    .sgpr_count:     4
    .sgpr_spill_count: 0
    .symbol:         _ZN7rocprim17ROCPRIM_400000_NS6detail17trampoline_kernelINS0_14default_configENS1_22reduce_config_selectorIlEEZNS1_11reduce_implILb1ES3_N6thrust23THRUST_200600_302600_NS11hip_rocprim26transform_input_iterator_tIlNS8_12zip_iteratorINS8_5tupleINS8_6detail15normal_iteratorINS8_10device_ptrIxEEEESH_NS8_9null_typeESI_SI_SI_SI_SI_SI_SI_EEEENS9_21zip_adj_not_predicateI22is_equal_div_10_uniqueIxEEEEEPllNS8_4plusIlEEEE10hipError_tPvRmT1_T2_T3_mT4_P12ihipStream_tbEUlT_E1_NS1_11comp_targetILNS1_3genE10ELNS1_11target_archE1200ELNS1_3gpuE4ELNS1_3repE0EEENS1_30default_config_static_selectorELNS0_4arch9wavefront6targetE1EEEvSW_.kd
    .uniform_work_group_size: 1
    .uses_dynamic_stack: false
    .vgpr_count:     0
    .vgpr_spill_count: 0
    .wavefront_size: 64
  - .args:
      - .offset:         0
        .size:           64
        .value_kind:     by_value
    .group_segment_fixed_size: 0
    .kernarg_segment_align: 8
    .kernarg_segment_size: 64
    .language:       OpenCL C
    .language_version:
      - 2
      - 0
    .max_flat_workgroup_size: 256
    .name:           _ZN7rocprim17ROCPRIM_400000_NS6detail17trampoline_kernelINS0_14default_configENS1_22reduce_config_selectorIlEEZNS1_11reduce_implILb1ES3_N6thrust23THRUST_200600_302600_NS11hip_rocprim26transform_input_iterator_tIlNS8_12zip_iteratorINS8_5tupleINS8_6detail15normal_iteratorINS8_10device_ptrIxEEEESH_NS8_9null_typeESI_SI_SI_SI_SI_SI_SI_EEEENS9_21zip_adj_not_predicateI22is_equal_div_10_uniqueIxEEEEEPllNS8_4plusIlEEEE10hipError_tPvRmT1_T2_T3_mT4_P12ihipStream_tbEUlT_E1_NS1_11comp_targetILNS1_3genE9ELNS1_11target_archE1100ELNS1_3gpuE3ELNS1_3repE0EEENS1_30default_config_static_selectorELNS0_4arch9wavefront6targetE1EEEvSW_
    .private_segment_fixed_size: 0
    .sgpr_count:     4
    .sgpr_spill_count: 0
    .symbol:         _ZN7rocprim17ROCPRIM_400000_NS6detail17trampoline_kernelINS0_14default_configENS1_22reduce_config_selectorIlEEZNS1_11reduce_implILb1ES3_N6thrust23THRUST_200600_302600_NS11hip_rocprim26transform_input_iterator_tIlNS8_12zip_iteratorINS8_5tupleINS8_6detail15normal_iteratorINS8_10device_ptrIxEEEESH_NS8_9null_typeESI_SI_SI_SI_SI_SI_SI_EEEENS9_21zip_adj_not_predicateI22is_equal_div_10_uniqueIxEEEEEPllNS8_4plusIlEEEE10hipError_tPvRmT1_T2_T3_mT4_P12ihipStream_tbEUlT_E1_NS1_11comp_targetILNS1_3genE9ELNS1_11target_archE1100ELNS1_3gpuE3ELNS1_3repE0EEENS1_30default_config_static_selectorELNS0_4arch9wavefront6targetE1EEEvSW_.kd
    .uniform_work_group_size: 1
    .uses_dynamic_stack: false
    .vgpr_count:     0
    .vgpr_spill_count: 0
    .wavefront_size: 64
  - .args:
      - .offset:         0
        .size:           64
        .value_kind:     by_value
    .group_segment_fixed_size: 0
    .kernarg_segment_align: 8
    .kernarg_segment_size: 64
    .language:       OpenCL C
    .language_version:
      - 2
      - 0
    .max_flat_workgroup_size: 256
    .name:           _ZN7rocprim17ROCPRIM_400000_NS6detail17trampoline_kernelINS0_14default_configENS1_22reduce_config_selectorIlEEZNS1_11reduce_implILb1ES3_N6thrust23THRUST_200600_302600_NS11hip_rocprim26transform_input_iterator_tIlNS8_12zip_iteratorINS8_5tupleINS8_6detail15normal_iteratorINS8_10device_ptrIxEEEESH_NS8_9null_typeESI_SI_SI_SI_SI_SI_SI_EEEENS9_21zip_adj_not_predicateI22is_equal_div_10_uniqueIxEEEEEPllNS8_4plusIlEEEE10hipError_tPvRmT1_T2_T3_mT4_P12ihipStream_tbEUlT_E1_NS1_11comp_targetILNS1_3genE8ELNS1_11target_archE1030ELNS1_3gpuE2ELNS1_3repE0EEENS1_30default_config_static_selectorELNS0_4arch9wavefront6targetE1EEEvSW_
    .private_segment_fixed_size: 0
    .sgpr_count:     4
    .sgpr_spill_count: 0
    .symbol:         _ZN7rocprim17ROCPRIM_400000_NS6detail17trampoline_kernelINS0_14default_configENS1_22reduce_config_selectorIlEEZNS1_11reduce_implILb1ES3_N6thrust23THRUST_200600_302600_NS11hip_rocprim26transform_input_iterator_tIlNS8_12zip_iteratorINS8_5tupleINS8_6detail15normal_iteratorINS8_10device_ptrIxEEEESH_NS8_9null_typeESI_SI_SI_SI_SI_SI_SI_EEEENS9_21zip_adj_not_predicateI22is_equal_div_10_uniqueIxEEEEEPllNS8_4plusIlEEEE10hipError_tPvRmT1_T2_T3_mT4_P12ihipStream_tbEUlT_E1_NS1_11comp_targetILNS1_3genE8ELNS1_11target_archE1030ELNS1_3gpuE2ELNS1_3repE0EEENS1_30default_config_static_selectorELNS0_4arch9wavefront6targetE1EEEvSW_.kd
    .uniform_work_group_size: 1
    .uses_dynamic_stack: false
    .vgpr_count:     0
    .vgpr_spill_count: 0
    .wavefront_size: 64
  - .args:
      - .offset:         0
        .size:           80
        .value_kind:     by_value
    .group_segment_fixed_size: 0
    .kernarg_segment_align: 8
    .kernarg_segment_size: 80
    .language:       OpenCL C
    .language_version:
      - 2
      - 0
    .max_flat_workgroup_size: 256
    .name:           _ZN7rocprim17ROCPRIM_400000_NS6detail17trampoline_kernelINS0_14default_configENS1_22reduce_config_selectorIlEEZNS1_11reduce_implILb1ES3_N6thrust23THRUST_200600_302600_NS11hip_rocprim26transform_input_iterator_tIlNS8_12zip_iteratorINS8_5tupleINS8_6detail15normal_iteratorINS8_10device_ptrIiEEEESH_NS8_9null_typeESI_SI_SI_SI_SI_SI_SI_EEEENS9_21zip_adj_not_predicateINS8_8equal_toIiEEEEEEPllNS8_4plusIlEEEE10hipError_tPvRmT1_T2_T3_mT4_P12ihipStream_tbEUlT_E0_NS1_11comp_targetILNS1_3genE0ELNS1_11target_archE4294967295ELNS1_3gpuE0ELNS1_3repE0EEENS1_30default_config_static_selectorELNS0_4arch9wavefront6targetE1EEEvSW_
    .private_segment_fixed_size: 0
    .sgpr_count:     4
    .sgpr_spill_count: 0
    .symbol:         _ZN7rocprim17ROCPRIM_400000_NS6detail17trampoline_kernelINS0_14default_configENS1_22reduce_config_selectorIlEEZNS1_11reduce_implILb1ES3_N6thrust23THRUST_200600_302600_NS11hip_rocprim26transform_input_iterator_tIlNS8_12zip_iteratorINS8_5tupleINS8_6detail15normal_iteratorINS8_10device_ptrIiEEEESH_NS8_9null_typeESI_SI_SI_SI_SI_SI_SI_EEEENS9_21zip_adj_not_predicateINS8_8equal_toIiEEEEEEPllNS8_4plusIlEEEE10hipError_tPvRmT1_T2_T3_mT4_P12ihipStream_tbEUlT_E0_NS1_11comp_targetILNS1_3genE0ELNS1_11target_archE4294967295ELNS1_3gpuE0ELNS1_3repE0EEENS1_30default_config_static_selectorELNS0_4arch9wavefront6targetE1EEEvSW_.kd
    .uniform_work_group_size: 1
    .uses_dynamic_stack: false
    .vgpr_count:     0
    .vgpr_spill_count: 0
    .wavefront_size: 64
  - .args:
      - .offset:         0
        .size:           80
        .value_kind:     by_value
    .group_segment_fixed_size: 0
    .kernarg_segment_align: 8
    .kernarg_segment_size: 80
    .language:       OpenCL C
    .language_version:
      - 2
      - 0
    .max_flat_workgroup_size: 256
    .name:           _ZN7rocprim17ROCPRIM_400000_NS6detail17trampoline_kernelINS0_14default_configENS1_22reduce_config_selectorIlEEZNS1_11reduce_implILb1ES3_N6thrust23THRUST_200600_302600_NS11hip_rocprim26transform_input_iterator_tIlNS8_12zip_iteratorINS8_5tupleINS8_6detail15normal_iteratorINS8_10device_ptrIiEEEESH_NS8_9null_typeESI_SI_SI_SI_SI_SI_SI_EEEENS9_21zip_adj_not_predicateINS8_8equal_toIiEEEEEEPllNS8_4plusIlEEEE10hipError_tPvRmT1_T2_T3_mT4_P12ihipStream_tbEUlT_E0_NS1_11comp_targetILNS1_3genE5ELNS1_11target_archE942ELNS1_3gpuE9ELNS1_3repE0EEENS1_30default_config_static_selectorELNS0_4arch9wavefront6targetE1EEEvSW_
    .private_segment_fixed_size: 0
    .sgpr_count:     4
    .sgpr_spill_count: 0
    .symbol:         _ZN7rocprim17ROCPRIM_400000_NS6detail17trampoline_kernelINS0_14default_configENS1_22reduce_config_selectorIlEEZNS1_11reduce_implILb1ES3_N6thrust23THRUST_200600_302600_NS11hip_rocprim26transform_input_iterator_tIlNS8_12zip_iteratorINS8_5tupleINS8_6detail15normal_iteratorINS8_10device_ptrIiEEEESH_NS8_9null_typeESI_SI_SI_SI_SI_SI_SI_EEEENS9_21zip_adj_not_predicateINS8_8equal_toIiEEEEEEPllNS8_4plusIlEEEE10hipError_tPvRmT1_T2_T3_mT4_P12ihipStream_tbEUlT_E0_NS1_11comp_targetILNS1_3genE5ELNS1_11target_archE942ELNS1_3gpuE9ELNS1_3repE0EEENS1_30default_config_static_selectorELNS0_4arch9wavefront6targetE1EEEvSW_.kd
    .uniform_work_group_size: 1
    .uses_dynamic_stack: false
    .vgpr_count:     0
    .vgpr_spill_count: 0
    .wavefront_size: 64
  - .args:
      - .offset:         0
        .size:           80
        .value_kind:     by_value
    .group_segment_fixed_size: 0
    .kernarg_segment_align: 8
    .kernarg_segment_size: 80
    .language:       OpenCL C
    .language_version:
      - 2
      - 0
    .max_flat_workgroup_size: 256
    .name:           _ZN7rocprim17ROCPRIM_400000_NS6detail17trampoline_kernelINS0_14default_configENS1_22reduce_config_selectorIlEEZNS1_11reduce_implILb1ES3_N6thrust23THRUST_200600_302600_NS11hip_rocprim26transform_input_iterator_tIlNS8_12zip_iteratorINS8_5tupleINS8_6detail15normal_iteratorINS8_10device_ptrIiEEEESH_NS8_9null_typeESI_SI_SI_SI_SI_SI_SI_EEEENS9_21zip_adj_not_predicateINS8_8equal_toIiEEEEEEPllNS8_4plusIlEEEE10hipError_tPvRmT1_T2_T3_mT4_P12ihipStream_tbEUlT_E0_NS1_11comp_targetILNS1_3genE4ELNS1_11target_archE910ELNS1_3gpuE8ELNS1_3repE0EEENS1_30default_config_static_selectorELNS0_4arch9wavefront6targetE1EEEvSW_
    .private_segment_fixed_size: 0
    .sgpr_count:     4
    .sgpr_spill_count: 0
    .symbol:         _ZN7rocprim17ROCPRIM_400000_NS6detail17trampoline_kernelINS0_14default_configENS1_22reduce_config_selectorIlEEZNS1_11reduce_implILb1ES3_N6thrust23THRUST_200600_302600_NS11hip_rocprim26transform_input_iterator_tIlNS8_12zip_iteratorINS8_5tupleINS8_6detail15normal_iteratorINS8_10device_ptrIiEEEESH_NS8_9null_typeESI_SI_SI_SI_SI_SI_SI_EEEENS9_21zip_adj_not_predicateINS8_8equal_toIiEEEEEEPllNS8_4plusIlEEEE10hipError_tPvRmT1_T2_T3_mT4_P12ihipStream_tbEUlT_E0_NS1_11comp_targetILNS1_3genE4ELNS1_11target_archE910ELNS1_3gpuE8ELNS1_3repE0EEENS1_30default_config_static_selectorELNS0_4arch9wavefront6targetE1EEEvSW_.kd
    .uniform_work_group_size: 1
    .uses_dynamic_stack: false
    .vgpr_count:     0
    .vgpr_spill_count: 0
    .wavefront_size: 64
  - .args:
      - .offset:         0
        .size:           80
        .value_kind:     by_value
    .group_segment_fixed_size: 0
    .kernarg_segment_align: 8
    .kernarg_segment_size: 80
    .language:       OpenCL C
    .language_version:
      - 2
      - 0
    .max_flat_workgroup_size: 256
    .name:           _ZN7rocprim17ROCPRIM_400000_NS6detail17trampoline_kernelINS0_14default_configENS1_22reduce_config_selectorIlEEZNS1_11reduce_implILb1ES3_N6thrust23THRUST_200600_302600_NS11hip_rocprim26transform_input_iterator_tIlNS8_12zip_iteratorINS8_5tupleINS8_6detail15normal_iteratorINS8_10device_ptrIiEEEESH_NS8_9null_typeESI_SI_SI_SI_SI_SI_SI_EEEENS9_21zip_adj_not_predicateINS8_8equal_toIiEEEEEEPllNS8_4plusIlEEEE10hipError_tPvRmT1_T2_T3_mT4_P12ihipStream_tbEUlT_E0_NS1_11comp_targetILNS1_3genE3ELNS1_11target_archE908ELNS1_3gpuE7ELNS1_3repE0EEENS1_30default_config_static_selectorELNS0_4arch9wavefront6targetE1EEEvSW_
    .private_segment_fixed_size: 0
    .sgpr_count:     4
    .sgpr_spill_count: 0
    .symbol:         _ZN7rocprim17ROCPRIM_400000_NS6detail17trampoline_kernelINS0_14default_configENS1_22reduce_config_selectorIlEEZNS1_11reduce_implILb1ES3_N6thrust23THRUST_200600_302600_NS11hip_rocprim26transform_input_iterator_tIlNS8_12zip_iteratorINS8_5tupleINS8_6detail15normal_iteratorINS8_10device_ptrIiEEEESH_NS8_9null_typeESI_SI_SI_SI_SI_SI_SI_EEEENS9_21zip_adj_not_predicateINS8_8equal_toIiEEEEEEPllNS8_4plusIlEEEE10hipError_tPvRmT1_T2_T3_mT4_P12ihipStream_tbEUlT_E0_NS1_11comp_targetILNS1_3genE3ELNS1_11target_archE908ELNS1_3gpuE7ELNS1_3repE0EEENS1_30default_config_static_selectorELNS0_4arch9wavefront6targetE1EEEvSW_.kd
    .uniform_work_group_size: 1
    .uses_dynamic_stack: false
    .vgpr_count:     0
    .vgpr_spill_count: 0
    .wavefront_size: 64
  - .args:
      - .offset:         0
        .size:           80
        .value_kind:     by_value
    .group_segment_fixed_size: 64
    .kernarg_segment_align: 8
    .kernarg_segment_size: 80
    .language:       OpenCL C
    .language_version:
      - 2
      - 0
    .max_flat_workgroup_size: 256
    .name:           _ZN7rocprim17ROCPRIM_400000_NS6detail17trampoline_kernelINS0_14default_configENS1_22reduce_config_selectorIlEEZNS1_11reduce_implILb1ES3_N6thrust23THRUST_200600_302600_NS11hip_rocprim26transform_input_iterator_tIlNS8_12zip_iteratorINS8_5tupleINS8_6detail15normal_iteratorINS8_10device_ptrIiEEEESH_NS8_9null_typeESI_SI_SI_SI_SI_SI_SI_EEEENS9_21zip_adj_not_predicateINS8_8equal_toIiEEEEEEPllNS8_4plusIlEEEE10hipError_tPvRmT1_T2_T3_mT4_P12ihipStream_tbEUlT_E0_NS1_11comp_targetILNS1_3genE2ELNS1_11target_archE906ELNS1_3gpuE6ELNS1_3repE0EEENS1_30default_config_static_selectorELNS0_4arch9wavefront6targetE1EEEvSW_
    .private_segment_fixed_size: 0
    .sgpr_count:     26
    .sgpr_spill_count: 0
    .symbol:         _ZN7rocprim17ROCPRIM_400000_NS6detail17trampoline_kernelINS0_14default_configENS1_22reduce_config_selectorIlEEZNS1_11reduce_implILb1ES3_N6thrust23THRUST_200600_302600_NS11hip_rocprim26transform_input_iterator_tIlNS8_12zip_iteratorINS8_5tupleINS8_6detail15normal_iteratorINS8_10device_ptrIiEEEESH_NS8_9null_typeESI_SI_SI_SI_SI_SI_SI_EEEENS9_21zip_adj_not_predicateINS8_8equal_toIiEEEEEEPllNS8_4plusIlEEEE10hipError_tPvRmT1_T2_T3_mT4_P12ihipStream_tbEUlT_E0_NS1_11comp_targetILNS1_3genE2ELNS1_11target_archE906ELNS1_3gpuE6ELNS1_3repE0EEENS1_30default_config_static_selectorELNS0_4arch9wavefront6targetE1EEEvSW_.kd
    .uniform_work_group_size: 1
    .uses_dynamic_stack: false
    .vgpr_count:     11
    .vgpr_spill_count: 0
    .wavefront_size: 64
  - .args:
      - .offset:         0
        .size:           80
        .value_kind:     by_value
    .group_segment_fixed_size: 0
    .kernarg_segment_align: 8
    .kernarg_segment_size: 80
    .language:       OpenCL C
    .language_version:
      - 2
      - 0
    .max_flat_workgroup_size: 256
    .name:           _ZN7rocprim17ROCPRIM_400000_NS6detail17trampoline_kernelINS0_14default_configENS1_22reduce_config_selectorIlEEZNS1_11reduce_implILb1ES3_N6thrust23THRUST_200600_302600_NS11hip_rocprim26transform_input_iterator_tIlNS8_12zip_iteratorINS8_5tupleINS8_6detail15normal_iteratorINS8_10device_ptrIiEEEESH_NS8_9null_typeESI_SI_SI_SI_SI_SI_SI_EEEENS9_21zip_adj_not_predicateINS8_8equal_toIiEEEEEEPllNS8_4plusIlEEEE10hipError_tPvRmT1_T2_T3_mT4_P12ihipStream_tbEUlT_E0_NS1_11comp_targetILNS1_3genE10ELNS1_11target_archE1201ELNS1_3gpuE5ELNS1_3repE0EEENS1_30default_config_static_selectorELNS0_4arch9wavefront6targetE1EEEvSW_
    .private_segment_fixed_size: 0
    .sgpr_count:     4
    .sgpr_spill_count: 0
    .symbol:         _ZN7rocprim17ROCPRIM_400000_NS6detail17trampoline_kernelINS0_14default_configENS1_22reduce_config_selectorIlEEZNS1_11reduce_implILb1ES3_N6thrust23THRUST_200600_302600_NS11hip_rocprim26transform_input_iterator_tIlNS8_12zip_iteratorINS8_5tupleINS8_6detail15normal_iteratorINS8_10device_ptrIiEEEESH_NS8_9null_typeESI_SI_SI_SI_SI_SI_SI_EEEENS9_21zip_adj_not_predicateINS8_8equal_toIiEEEEEEPllNS8_4plusIlEEEE10hipError_tPvRmT1_T2_T3_mT4_P12ihipStream_tbEUlT_E0_NS1_11comp_targetILNS1_3genE10ELNS1_11target_archE1201ELNS1_3gpuE5ELNS1_3repE0EEENS1_30default_config_static_selectorELNS0_4arch9wavefront6targetE1EEEvSW_.kd
    .uniform_work_group_size: 1
    .uses_dynamic_stack: false
    .vgpr_count:     0
    .vgpr_spill_count: 0
    .wavefront_size: 64
  - .args:
      - .offset:         0
        .size:           80
        .value_kind:     by_value
    .group_segment_fixed_size: 0
    .kernarg_segment_align: 8
    .kernarg_segment_size: 80
    .language:       OpenCL C
    .language_version:
      - 2
      - 0
    .max_flat_workgroup_size: 256
    .name:           _ZN7rocprim17ROCPRIM_400000_NS6detail17trampoline_kernelINS0_14default_configENS1_22reduce_config_selectorIlEEZNS1_11reduce_implILb1ES3_N6thrust23THRUST_200600_302600_NS11hip_rocprim26transform_input_iterator_tIlNS8_12zip_iteratorINS8_5tupleINS8_6detail15normal_iteratorINS8_10device_ptrIiEEEESH_NS8_9null_typeESI_SI_SI_SI_SI_SI_SI_EEEENS9_21zip_adj_not_predicateINS8_8equal_toIiEEEEEEPllNS8_4plusIlEEEE10hipError_tPvRmT1_T2_T3_mT4_P12ihipStream_tbEUlT_E0_NS1_11comp_targetILNS1_3genE10ELNS1_11target_archE1200ELNS1_3gpuE4ELNS1_3repE0EEENS1_30default_config_static_selectorELNS0_4arch9wavefront6targetE1EEEvSW_
    .private_segment_fixed_size: 0
    .sgpr_count:     4
    .sgpr_spill_count: 0
    .symbol:         _ZN7rocprim17ROCPRIM_400000_NS6detail17trampoline_kernelINS0_14default_configENS1_22reduce_config_selectorIlEEZNS1_11reduce_implILb1ES3_N6thrust23THRUST_200600_302600_NS11hip_rocprim26transform_input_iterator_tIlNS8_12zip_iteratorINS8_5tupleINS8_6detail15normal_iteratorINS8_10device_ptrIiEEEESH_NS8_9null_typeESI_SI_SI_SI_SI_SI_SI_EEEENS9_21zip_adj_not_predicateINS8_8equal_toIiEEEEEEPllNS8_4plusIlEEEE10hipError_tPvRmT1_T2_T3_mT4_P12ihipStream_tbEUlT_E0_NS1_11comp_targetILNS1_3genE10ELNS1_11target_archE1200ELNS1_3gpuE4ELNS1_3repE0EEENS1_30default_config_static_selectorELNS0_4arch9wavefront6targetE1EEEvSW_.kd
    .uniform_work_group_size: 1
    .uses_dynamic_stack: false
    .vgpr_count:     0
    .vgpr_spill_count: 0
    .wavefront_size: 64
  - .args:
      - .offset:         0
        .size:           80
        .value_kind:     by_value
    .group_segment_fixed_size: 0
    .kernarg_segment_align: 8
    .kernarg_segment_size: 80
    .language:       OpenCL C
    .language_version:
      - 2
      - 0
    .max_flat_workgroup_size: 256
    .name:           _ZN7rocprim17ROCPRIM_400000_NS6detail17trampoline_kernelINS0_14default_configENS1_22reduce_config_selectorIlEEZNS1_11reduce_implILb1ES3_N6thrust23THRUST_200600_302600_NS11hip_rocprim26transform_input_iterator_tIlNS8_12zip_iteratorINS8_5tupleINS8_6detail15normal_iteratorINS8_10device_ptrIiEEEESH_NS8_9null_typeESI_SI_SI_SI_SI_SI_SI_EEEENS9_21zip_adj_not_predicateINS8_8equal_toIiEEEEEEPllNS8_4plusIlEEEE10hipError_tPvRmT1_T2_T3_mT4_P12ihipStream_tbEUlT_E0_NS1_11comp_targetILNS1_3genE9ELNS1_11target_archE1100ELNS1_3gpuE3ELNS1_3repE0EEENS1_30default_config_static_selectorELNS0_4arch9wavefront6targetE1EEEvSW_
    .private_segment_fixed_size: 0
    .sgpr_count:     4
    .sgpr_spill_count: 0
    .symbol:         _ZN7rocprim17ROCPRIM_400000_NS6detail17trampoline_kernelINS0_14default_configENS1_22reduce_config_selectorIlEEZNS1_11reduce_implILb1ES3_N6thrust23THRUST_200600_302600_NS11hip_rocprim26transform_input_iterator_tIlNS8_12zip_iteratorINS8_5tupleINS8_6detail15normal_iteratorINS8_10device_ptrIiEEEESH_NS8_9null_typeESI_SI_SI_SI_SI_SI_SI_EEEENS9_21zip_adj_not_predicateINS8_8equal_toIiEEEEEEPllNS8_4plusIlEEEE10hipError_tPvRmT1_T2_T3_mT4_P12ihipStream_tbEUlT_E0_NS1_11comp_targetILNS1_3genE9ELNS1_11target_archE1100ELNS1_3gpuE3ELNS1_3repE0EEENS1_30default_config_static_selectorELNS0_4arch9wavefront6targetE1EEEvSW_.kd
    .uniform_work_group_size: 1
    .uses_dynamic_stack: false
    .vgpr_count:     0
    .vgpr_spill_count: 0
    .wavefront_size: 64
  - .args:
      - .offset:         0
        .size:           80
        .value_kind:     by_value
    .group_segment_fixed_size: 0
    .kernarg_segment_align: 8
    .kernarg_segment_size: 80
    .language:       OpenCL C
    .language_version:
      - 2
      - 0
    .max_flat_workgroup_size: 256
    .name:           _ZN7rocprim17ROCPRIM_400000_NS6detail17trampoline_kernelINS0_14default_configENS1_22reduce_config_selectorIlEEZNS1_11reduce_implILb1ES3_N6thrust23THRUST_200600_302600_NS11hip_rocprim26transform_input_iterator_tIlNS8_12zip_iteratorINS8_5tupleINS8_6detail15normal_iteratorINS8_10device_ptrIiEEEESH_NS8_9null_typeESI_SI_SI_SI_SI_SI_SI_EEEENS9_21zip_adj_not_predicateINS8_8equal_toIiEEEEEEPllNS8_4plusIlEEEE10hipError_tPvRmT1_T2_T3_mT4_P12ihipStream_tbEUlT_E0_NS1_11comp_targetILNS1_3genE8ELNS1_11target_archE1030ELNS1_3gpuE2ELNS1_3repE0EEENS1_30default_config_static_selectorELNS0_4arch9wavefront6targetE1EEEvSW_
    .private_segment_fixed_size: 0
    .sgpr_count:     4
    .sgpr_spill_count: 0
    .symbol:         _ZN7rocprim17ROCPRIM_400000_NS6detail17trampoline_kernelINS0_14default_configENS1_22reduce_config_selectorIlEEZNS1_11reduce_implILb1ES3_N6thrust23THRUST_200600_302600_NS11hip_rocprim26transform_input_iterator_tIlNS8_12zip_iteratorINS8_5tupleINS8_6detail15normal_iteratorINS8_10device_ptrIiEEEESH_NS8_9null_typeESI_SI_SI_SI_SI_SI_SI_EEEENS9_21zip_adj_not_predicateINS8_8equal_toIiEEEEEEPllNS8_4plusIlEEEE10hipError_tPvRmT1_T2_T3_mT4_P12ihipStream_tbEUlT_E0_NS1_11comp_targetILNS1_3genE8ELNS1_11target_archE1030ELNS1_3gpuE2ELNS1_3repE0EEENS1_30default_config_static_selectorELNS0_4arch9wavefront6targetE1EEEvSW_.kd
    .uniform_work_group_size: 1
    .uses_dynamic_stack: false
    .vgpr_count:     0
    .vgpr_spill_count: 0
    .wavefront_size: 64
  - .args:
      - .offset:         0
        .size:           64
        .value_kind:     by_value
    .group_segment_fixed_size: 0
    .kernarg_segment_align: 8
    .kernarg_segment_size: 64
    .language:       OpenCL C
    .language_version:
      - 2
      - 0
    .max_flat_workgroup_size: 256
    .name:           _ZN7rocprim17ROCPRIM_400000_NS6detail17trampoline_kernelINS0_14default_configENS1_22reduce_config_selectorIlEEZNS1_11reduce_implILb1ES3_N6thrust23THRUST_200600_302600_NS11hip_rocprim26transform_input_iterator_tIlNS8_12zip_iteratorINS8_5tupleINS8_6detail15normal_iteratorINS8_10device_ptrIiEEEESH_NS8_9null_typeESI_SI_SI_SI_SI_SI_SI_EEEENS9_21zip_adj_not_predicateINS8_8equal_toIiEEEEEEPllNS8_4plusIlEEEE10hipError_tPvRmT1_T2_T3_mT4_P12ihipStream_tbEUlT_E1_NS1_11comp_targetILNS1_3genE0ELNS1_11target_archE4294967295ELNS1_3gpuE0ELNS1_3repE0EEENS1_30default_config_static_selectorELNS0_4arch9wavefront6targetE1EEEvSW_
    .private_segment_fixed_size: 0
    .sgpr_count:     4
    .sgpr_spill_count: 0
    .symbol:         _ZN7rocprim17ROCPRIM_400000_NS6detail17trampoline_kernelINS0_14default_configENS1_22reduce_config_selectorIlEEZNS1_11reduce_implILb1ES3_N6thrust23THRUST_200600_302600_NS11hip_rocprim26transform_input_iterator_tIlNS8_12zip_iteratorINS8_5tupleINS8_6detail15normal_iteratorINS8_10device_ptrIiEEEESH_NS8_9null_typeESI_SI_SI_SI_SI_SI_SI_EEEENS9_21zip_adj_not_predicateINS8_8equal_toIiEEEEEEPllNS8_4plusIlEEEE10hipError_tPvRmT1_T2_T3_mT4_P12ihipStream_tbEUlT_E1_NS1_11comp_targetILNS1_3genE0ELNS1_11target_archE4294967295ELNS1_3gpuE0ELNS1_3repE0EEENS1_30default_config_static_selectorELNS0_4arch9wavefront6targetE1EEEvSW_.kd
    .uniform_work_group_size: 1
    .uses_dynamic_stack: false
    .vgpr_count:     0
    .vgpr_spill_count: 0
    .wavefront_size: 64
  - .args:
      - .offset:         0
        .size:           64
        .value_kind:     by_value
    .group_segment_fixed_size: 0
    .kernarg_segment_align: 8
    .kernarg_segment_size: 64
    .language:       OpenCL C
    .language_version:
      - 2
      - 0
    .max_flat_workgroup_size: 256
    .name:           _ZN7rocprim17ROCPRIM_400000_NS6detail17trampoline_kernelINS0_14default_configENS1_22reduce_config_selectorIlEEZNS1_11reduce_implILb1ES3_N6thrust23THRUST_200600_302600_NS11hip_rocprim26transform_input_iterator_tIlNS8_12zip_iteratorINS8_5tupleINS8_6detail15normal_iteratorINS8_10device_ptrIiEEEESH_NS8_9null_typeESI_SI_SI_SI_SI_SI_SI_EEEENS9_21zip_adj_not_predicateINS8_8equal_toIiEEEEEEPllNS8_4plusIlEEEE10hipError_tPvRmT1_T2_T3_mT4_P12ihipStream_tbEUlT_E1_NS1_11comp_targetILNS1_3genE5ELNS1_11target_archE942ELNS1_3gpuE9ELNS1_3repE0EEENS1_30default_config_static_selectorELNS0_4arch9wavefront6targetE1EEEvSW_
    .private_segment_fixed_size: 0
    .sgpr_count:     4
    .sgpr_spill_count: 0
    .symbol:         _ZN7rocprim17ROCPRIM_400000_NS6detail17trampoline_kernelINS0_14default_configENS1_22reduce_config_selectorIlEEZNS1_11reduce_implILb1ES3_N6thrust23THRUST_200600_302600_NS11hip_rocprim26transform_input_iterator_tIlNS8_12zip_iteratorINS8_5tupleINS8_6detail15normal_iteratorINS8_10device_ptrIiEEEESH_NS8_9null_typeESI_SI_SI_SI_SI_SI_SI_EEEENS9_21zip_adj_not_predicateINS8_8equal_toIiEEEEEEPllNS8_4plusIlEEEE10hipError_tPvRmT1_T2_T3_mT4_P12ihipStream_tbEUlT_E1_NS1_11comp_targetILNS1_3genE5ELNS1_11target_archE942ELNS1_3gpuE9ELNS1_3repE0EEENS1_30default_config_static_selectorELNS0_4arch9wavefront6targetE1EEEvSW_.kd
    .uniform_work_group_size: 1
    .uses_dynamic_stack: false
    .vgpr_count:     0
    .vgpr_spill_count: 0
    .wavefront_size: 64
  - .args:
      - .offset:         0
        .size:           64
        .value_kind:     by_value
    .group_segment_fixed_size: 0
    .kernarg_segment_align: 8
    .kernarg_segment_size: 64
    .language:       OpenCL C
    .language_version:
      - 2
      - 0
    .max_flat_workgroup_size: 256
    .name:           _ZN7rocprim17ROCPRIM_400000_NS6detail17trampoline_kernelINS0_14default_configENS1_22reduce_config_selectorIlEEZNS1_11reduce_implILb1ES3_N6thrust23THRUST_200600_302600_NS11hip_rocprim26transform_input_iterator_tIlNS8_12zip_iteratorINS8_5tupleINS8_6detail15normal_iteratorINS8_10device_ptrIiEEEESH_NS8_9null_typeESI_SI_SI_SI_SI_SI_SI_EEEENS9_21zip_adj_not_predicateINS8_8equal_toIiEEEEEEPllNS8_4plusIlEEEE10hipError_tPvRmT1_T2_T3_mT4_P12ihipStream_tbEUlT_E1_NS1_11comp_targetILNS1_3genE4ELNS1_11target_archE910ELNS1_3gpuE8ELNS1_3repE0EEENS1_30default_config_static_selectorELNS0_4arch9wavefront6targetE1EEEvSW_
    .private_segment_fixed_size: 0
    .sgpr_count:     4
    .sgpr_spill_count: 0
    .symbol:         _ZN7rocprim17ROCPRIM_400000_NS6detail17trampoline_kernelINS0_14default_configENS1_22reduce_config_selectorIlEEZNS1_11reduce_implILb1ES3_N6thrust23THRUST_200600_302600_NS11hip_rocprim26transform_input_iterator_tIlNS8_12zip_iteratorINS8_5tupleINS8_6detail15normal_iteratorINS8_10device_ptrIiEEEESH_NS8_9null_typeESI_SI_SI_SI_SI_SI_SI_EEEENS9_21zip_adj_not_predicateINS8_8equal_toIiEEEEEEPllNS8_4plusIlEEEE10hipError_tPvRmT1_T2_T3_mT4_P12ihipStream_tbEUlT_E1_NS1_11comp_targetILNS1_3genE4ELNS1_11target_archE910ELNS1_3gpuE8ELNS1_3repE0EEENS1_30default_config_static_selectorELNS0_4arch9wavefront6targetE1EEEvSW_.kd
    .uniform_work_group_size: 1
    .uses_dynamic_stack: false
    .vgpr_count:     0
    .vgpr_spill_count: 0
    .wavefront_size: 64
  - .args:
      - .offset:         0
        .size:           64
        .value_kind:     by_value
    .group_segment_fixed_size: 0
    .kernarg_segment_align: 8
    .kernarg_segment_size: 64
    .language:       OpenCL C
    .language_version:
      - 2
      - 0
    .max_flat_workgroup_size: 256
    .name:           _ZN7rocprim17ROCPRIM_400000_NS6detail17trampoline_kernelINS0_14default_configENS1_22reduce_config_selectorIlEEZNS1_11reduce_implILb1ES3_N6thrust23THRUST_200600_302600_NS11hip_rocprim26transform_input_iterator_tIlNS8_12zip_iteratorINS8_5tupleINS8_6detail15normal_iteratorINS8_10device_ptrIiEEEESH_NS8_9null_typeESI_SI_SI_SI_SI_SI_SI_EEEENS9_21zip_adj_not_predicateINS8_8equal_toIiEEEEEEPllNS8_4plusIlEEEE10hipError_tPvRmT1_T2_T3_mT4_P12ihipStream_tbEUlT_E1_NS1_11comp_targetILNS1_3genE3ELNS1_11target_archE908ELNS1_3gpuE7ELNS1_3repE0EEENS1_30default_config_static_selectorELNS0_4arch9wavefront6targetE1EEEvSW_
    .private_segment_fixed_size: 0
    .sgpr_count:     4
    .sgpr_spill_count: 0
    .symbol:         _ZN7rocprim17ROCPRIM_400000_NS6detail17trampoline_kernelINS0_14default_configENS1_22reduce_config_selectorIlEEZNS1_11reduce_implILb1ES3_N6thrust23THRUST_200600_302600_NS11hip_rocprim26transform_input_iterator_tIlNS8_12zip_iteratorINS8_5tupleINS8_6detail15normal_iteratorINS8_10device_ptrIiEEEESH_NS8_9null_typeESI_SI_SI_SI_SI_SI_SI_EEEENS9_21zip_adj_not_predicateINS8_8equal_toIiEEEEEEPllNS8_4plusIlEEEE10hipError_tPvRmT1_T2_T3_mT4_P12ihipStream_tbEUlT_E1_NS1_11comp_targetILNS1_3genE3ELNS1_11target_archE908ELNS1_3gpuE7ELNS1_3repE0EEENS1_30default_config_static_selectorELNS0_4arch9wavefront6targetE1EEEvSW_.kd
    .uniform_work_group_size: 1
    .uses_dynamic_stack: false
    .vgpr_count:     0
    .vgpr_spill_count: 0
    .wavefront_size: 64
  - .args:
      - .offset:         0
        .size:           64
        .value_kind:     by_value
    .group_segment_fixed_size: 192
    .kernarg_segment_align: 8
    .kernarg_segment_size: 64
    .language:       OpenCL C
    .language_version:
      - 2
      - 0
    .max_flat_workgroup_size: 256
    .name:           _ZN7rocprim17ROCPRIM_400000_NS6detail17trampoline_kernelINS0_14default_configENS1_22reduce_config_selectorIlEEZNS1_11reduce_implILb1ES3_N6thrust23THRUST_200600_302600_NS11hip_rocprim26transform_input_iterator_tIlNS8_12zip_iteratorINS8_5tupleINS8_6detail15normal_iteratorINS8_10device_ptrIiEEEESH_NS8_9null_typeESI_SI_SI_SI_SI_SI_SI_EEEENS9_21zip_adj_not_predicateINS8_8equal_toIiEEEEEEPllNS8_4plusIlEEEE10hipError_tPvRmT1_T2_T3_mT4_P12ihipStream_tbEUlT_E1_NS1_11comp_targetILNS1_3genE2ELNS1_11target_archE906ELNS1_3gpuE6ELNS1_3repE0EEENS1_30default_config_static_selectorELNS0_4arch9wavefront6targetE1EEEvSW_
    .private_segment_fixed_size: 0
    .sgpr_count:     38
    .sgpr_spill_count: 0
    .symbol:         _ZN7rocprim17ROCPRIM_400000_NS6detail17trampoline_kernelINS0_14default_configENS1_22reduce_config_selectorIlEEZNS1_11reduce_implILb1ES3_N6thrust23THRUST_200600_302600_NS11hip_rocprim26transform_input_iterator_tIlNS8_12zip_iteratorINS8_5tupleINS8_6detail15normal_iteratorINS8_10device_ptrIiEEEESH_NS8_9null_typeESI_SI_SI_SI_SI_SI_SI_EEEENS9_21zip_adj_not_predicateINS8_8equal_toIiEEEEEEPllNS8_4plusIlEEEE10hipError_tPvRmT1_T2_T3_mT4_P12ihipStream_tbEUlT_E1_NS1_11comp_targetILNS1_3genE2ELNS1_11target_archE906ELNS1_3gpuE6ELNS1_3repE0EEENS1_30default_config_static_selectorELNS0_4arch9wavefront6targetE1EEEvSW_.kd
    .uniform_work_group_size: 1
    .uses_dynamic_stack: false
    .vgpr_count:     34
    .vgpr_spill_count: 0
    .wavefront_size: 64
  - .args:
      - .offset:         0
        .size:           64
        .value_kind:     by_value
    .group_segment_fixed_size: 0
    .kernarg_segment_align: 8
    .kernarg_segment_size: 64
    .language:       OpenCL C
    .language_version:
      - 2
      - 0
    .max_flat_workgroup_size: 256
    .name:           _ZN7rocprim17ROCPRIM_400000_NS6detail17trampoline_kernelINS0_14default_configENS1_22reduce_config_selectorIlEEZNS1_11reduce_implILb1ES3_N6thrust23THRUST_200600_302600_NS11hip_rocprim26transform_input_iterator_tIlNS8_12zip_iteratorINS8_5tupleINS8_6detail15normal_iteratorINS8_10device_ptrIiEEEESH_NS8_9null_typeESI_SI_SI_SI_SI_SI_SI_EEEENS9_21zip_adj_not_predicateINS8_8equal_toIiEEEEEEPllNS8_4plusIlEEEE10hipError_tPvRmT1_T2_T3_mT4_P12ihipStream_tbEUlT_E1_NS1_11comp_targetILNS1_3genE10ELNS1_11target_archE1201ELNS1_3gpuE5ELNS1_3repE0EEENS1_30default_config_static_selectorELNS0_4arch9wavefront6targetE1EEEvSW_
    .private_segment_fixed_size: 0
    .sgpr_count:     4
    .sgpr_spill_count: 0
    .symbol:         _ZN7rocprim17ROCPRIM_400000_NS6detail17trampoline_kernelINS0_14default_configENS1_22reduce_config_selectorIlEEZNS1_11reduce_implILb1ES3_N6thrust23THRUST_200600_302600_NS11hip_rocprim26transform_input_iterator_tIlNS8_12zip_iteratorINS8_5tupleINS8_6detail15normal_iteratorINS8_10device_ptrIiEEEESH_NS8_9null_typeESI_SI_SI_SI_SI_SI_SI_EEEENS9_21zip_adj_not_predicateINS8_8equal_toIiEEEEEEPllNS8_4plusIlEEEE10hipError_tPvRmT1_T2_T3_mT4_P12ihipStream_tbEUlT_E1_NS1_11comp_targetILNS1_3genE10ELNS1_11target_archE1201ELNS1_3gpuE5ELNS1_3repE0EEENS1_30default_config_static_selectorELNS0_4arch9wavefront6targetE1EEEvSW_.kd
    .uniform_work_group_size: 1
    .uses_dynamic_stack: false
    .vgpr_count:     0
    .vgpr_spill_count: 0
    .wavefront_size: 64
  - .args:
      - .offset:         0
        .size:           64
        .value_kind:     by_value
    .group_segment_fixed_size: 0
    .kernarg_segment_align: 8
    .kernarg_segment_size: 64
    .language:       OpenCL C
    .language_version:
      - 2
      - 0
    .max_flat_workgroup_size: 256
    .name:           _ZN7rocprim17ROCPRIM_400000_NS6detail17trampoline_kernelINS0_14default_configENS1_22reduce_config_selectorIlEEZNS1_11reduce_implILb1ES3_N6thrust23THRUST_200600_302600_NS11hip_rocprim26transform_input_iterator_tIlNS8_12zip_iteratorINS8_5tupleINS8_6detail15normal_iteratorINS8_10device_ptrIiEEEESH_NS8_9null_typeESI_SI_SI_SI_SI_SI_SI_EEEENS9_21zip_adj_not_predicateINS8_8equal_toIiEEEEEEPllNS8_4plusIlEEEE10hipError_tPvRmT1_T2_T3_mT4_P12ihipStream_tbEUlT_E1_NS1_11comp_targetILNS1_3genE10ELNS1_11target_archE1200ELNS1_3gpuE4ELNS1_3repE0EEENS1_30default_config_static_selectorELNS0_4arch9wavefront6targetE1EEEvSW_
    .private_segment_fixed_size: 0
    .sgpr_count:     4
    .sgpr_spill_count: 0
    .symbol:         _ZN7rocprim17ROCPRIM_400000_NS6detail17trampoline_kernelINS0_14default_configENS1_22reduce_config_selectorIlEEZNS1_11reduce_implILb1ES3_N6thrust23THRUST_200600_302600_NS11hip_rocprim26transform_input_iterator_tIlNS8_12zip_iteratorINS8_5tupleINS8_6detail15normal_iteratorINS8_10device_ptrIiEEEESH_NS8_9null_typeESI_SI_SI_SI_SI_SI_SI_EEEENS9_21zip_adj_not_predicateINS8_8equal_toIiEEEEEEPllNS8_4plusIlEEEE10hipError_tPvRmT1_T2_T3_mT4_P12ihipStream_tbEUlT_E1_NS1_11comp_targetILNS1_3genE10ELNS1_11target_archE1200ELNS1_3gpuE4ELNS1_3repE0EEENS1_30default_config_static_selectorELNS0_4arch9wavefront6targetE1EEEvSW_.kd
    .uniform_work_group_size: 1
    .uses_dynamic_stack: false
    .vgpr_count:     0
    .vgpr_spill_count: 0
    .wavefront_size: 64
  - .args:
      - .offset:         0
        .size:           64
        .value_kind:     by_value
    .group_segment_fixed_size: 0
    .kernarg_segment_align: 8
    .kernarg_segment_size: 64
    .language:       OpenCL C
    .language_version:
      - 2
      - 0
    .max_flat_workgroup_size: 256
    .name:           _ZN7rocprim17ROCPRIM_400000_NS6detail17trampoline_kernelINS0_14default_configENS1_22reduce_config_selectorIlEEZNS1_11reduce_implILb1ES3_N6thrust23THRUST_200600_302600_NS11hip_rocprim26transform_input_iterator_tIlNS8_12zip_iteratorINS8_5tupleINS8_6detail15normal_iteratorINS8_10device_ptrIiEEEESH_NS8_9null_typeESI_SI_SI_SI_SI_SI_SI_EEEENS9_21zip_adj_not_predicateINS8_8equal_toIiEEEEEEPllNS8_4plusIlEEEE10hipError_tPvRmT1_T2_T3_mT4_P12ihipStream_tbEUlT_E1_NS1_11comp_targetILNS1_3genE9ELNS1_11target_archE1100ELNS1_3gpuE3ELNS1_3repE0EEENS1_30default_config_static_selectorELNS0_4arch9wavefront6targetE1EEEvSW_
    .private_segment_fixed_size: 0
    .sgpr_count:     4
    .sgpr_spill_count: 0
    .symbol:         _ZN7rocprim17ROCPRIM_400000_NS6detail17trampoline_kernelINS0_14default_configENS1_22reduce_config_selectorIlEEZNS1_11reduce_implILb1ES3_N6thrust23THRUST_200600_302600_NS11hip_rocprim26transform_input_iterator_tIlNS8_12zip_iteratorINS8_5tupleINS8_6detail15normal_iteratorINS8_10device_ptrIiEEEESH_NS8_9null_typeESI_SI_SI_SI_SI_SI_SI_EEEENS9_21zip_adj_not_predicateINS8_8equal_toIiEEEEEEPllNS8_4plusIlEEEE10hipError_tPvRmT1_T2_T3_mT4_P12ihipStream_tbEUlT_E1_NS1_11comp_targetILNS1_3genE9ELNS1_11target_archE1100ELNS1_3gpuE3ELNS1_3repE0EEENS1_30default_config_static_selectorELNS0_4arch9wavefront6targetE1EEEvSW_.kd
    .uniform_work_group_size: 1
    .uses_dynamic_stack: false
    .vgpr_count:     0
    .vgpr_spill_count: 0
    .wavefront_size: 64
  - .args:
      - .offset:         0
        .size:           64
        .value_kind:     by_value
    .group_segment_fixed_size: 0
    .kernarg_segment_align: 8
    .kernarg_segment_size: 64
    .language:       OpenCL C
    .language_version:
      - 2
      - 0
    .max_flat_workgroup_size: 256
    .name:           _ZN7rocprim17ROCPRIM_400000_NS6detail17trampoline_kernelINS0_14default_configENS1_22reduce_config_selectorIlEEZNS1_11reduce_implILb1ES3_N6thrust23THRUST_200600_302600_NS11hip_rocprim26transform_input_iterator_tIlNS8_12zip_iteratorINS8_5tupleINS8_6detail15normal_iteratorINS8_10device_ptrIiEEEESH_NS8_9null_typeESI_SI_SI_SI_SI_SI_SI_EEEENS9_21zip_adj_not_predicateINS8_8equal_toIiEEEEEEPllNS8_4plusIlEEEE10hipError_tPvRmT1_T2_T3_mT4_P12ihipStream_tbEUlT_E1_NS1_11comp_targetILNS1_3genE8ELNS1_11target_archE1030ELNS1_3gpuE2ELNS1_3repE0EEENS1_30default_config_static_selectorELNS0_4arch9wavefront6targetE1EEEvSW_
    .private_segment_fixed_size: 0
    .sgpr_count:     4
    .sgpr_spill_count: 0
    .symbol:         _ZN7rocprim17ROCPRIM_400000_NS6detail17trampoline_kernelINS0_14default_configENS1_22reduce_config_selectorIlEEZNS1_11reduce_implILb1ES3_N6thrust23THRUST_200600_302600_NS11hip_rocprim26transform_input_iterator_tIlNS8_12zip_iteratorINS8_5tupleINS8_6detail15normal_iteratorINS8_10device_ptrIiEEEESH_NS8_9null_typeESI_SI_SI_SI_SI_SI_SI_EEEENS9_21zip_adj_not_predicateINS8_8equal_toIiEEEEEEPllNS8_4plusIlEEEE10hipError_tPvRmT1_T2_T3_mT4_P12ihipStream_tbEUlT_E1_NS1_11comp_targetILNS1_3genE8ELNS1_11target_archE1030ELNS1_3gpuE2ELNS1_3repE0EEENS1_30default_config_static_selectorELNS0_4arch9wavefront6targetE1EEEvSW_.kd
    .uniform_work_group_size: 1
    .uses_dynamic_stack: false
    .vgpr_count:     0
    .vgpr_spill_count: 0
    .wavefront_size: 64
  - .args:
      - .offset:         0
        .size:           80
        .value_kind:     by_value
    .group_segment_fixed_size: 0
    .kernarg_segment_align: 8
    .kernarg_segment_size: 80
    .language:       OpenCL C
    .language_version:
      - 2
      - 0
    .max_flat_workgroup_size: 256
    .name:           _ZN7rocprim17ROCPRIM_400000_NS6detail17trampoline_kernelINS0_14default_configENS1_22reduce_config_selectorIlEEZNS1_11reduce_implILb1ES3_N6thrust23THRUST_200600_302600_NS11hip_rocprim26transform_input_iterator_tIlNS8_12zip_iteratorINS8_5tupleINS8_6detail15normal_iteratorINS8_10device_ptrIiEEEESH_NS8_9null_typeESI_SI_SI_SI_SI_SI_SI_EEEENS9_21zip_adj_not_predicateI22is_equal_div_10_uniqueIiEEEEEPllNS8_4plusIlEEEE10hipError_tPvRmT1_T2_T3_mT4_P12ihipStream_tbEUlT_E0_NS1_11comp_targetILNS1_3genE0ELNS1_11target_archE4294967295ELNS1_3gpuE0ELNS1_3repE0EEENS1_30default_config_static_selectorELNS0_4arch9wavefront6targetE1EEEvSW_
    .private_segment_fixed_size: 0
    .sgpr_count:     4
    .sgpr_spill_count: 0
    .symbol:         _ZN7rocprim17ROCPRIM_400000_NS6detail17trampoline_kernelINS0_14default_configENS1_22reduce_config_selectorIlEEZNS1_11reduce_implILb1ES3_N6thrust23THRUST_200600_302600_NS11hip_rocprim26transform_input_iterator_tIlNS8_12zip_iteratorINS8_5tupleINS8_6detail15normal_iteratorINS8_10device_ptrIiEEEESH_NS8_9null_typeESI_SI_SI_SI_SI_SI_SI_EEEENS9_21zip_adj_not_predicateI22is_equal_div_10_uniqueIiEEEEEPllNS8_4plusIlEEEE10hipError_tPvRmT1_T2_T3_mT4_P12ihipStream_tbEUlT_E0_NS1_11comp_targetILNS1_3genE0ELNS1_11target_archE4294967295ELNS1_3gpuE0ELNS1_3repE0EEENS1_30default_config_static_selectorELNS0_4arch9wavefront6targetE1EEEvSW_.kd
    .uniform_work_group_size: 1
    .uses_dynamic_stack: false
    .vgpr_count:     0
    .vgpr_spill_count: 0
    .wavefront_size: 64
  - .args:
      - .offset:         0
        .size:           80
        .value_kind:     by_value
    .group_segment_fixed_size: 0
    .kernarg_segment_align: 8
    .kernarg_segment_size: 80
    .language:       OpenCL C
    .language_version:
      - 2
      - 0
    .max_flat_workgroup_size: 256
    .name:           _ZN7rocprim17ROCPRIM_400000_NS6detail17trampoline_kernelINS0_14default_configENS1_22reduce_config_selectorIlEEZNS1_11reduce_implILb1ES3_N6thrust23THRUST_200600_302600_NS11hip_rocprim26transform_input_iterator_tIlNS8_12zip_iteratorINS8_5tupleINS8_6detail15normal_iteratorINS8_10device_ptrIiEEEESH_NS8_9null_typeESI_SI_SI_SI_SI_SI_SI_EEEENS9_21zip_adj_not_predicateI22is_equal_div_10_uniqueIiEEEEEPllNS8_4plusIlEEEE10hipError_tPvRmT1_T2_T3_mT4_P12ihipStream_tbEUlT_E0_NS1_11comp_targetILNS1_3genE5ELNS1_11target_archE942ELNS1_3gpuE9ELNS1_3repE0EEENS1_30default_config_static_selectorELNS0_4arch9wavefront6targetE1EEEvSW_
    .private_segment_fixed_size: 0
    .sgpr_count:     4
    .sgpr_spill_count: 0
    .symbol:         _ZN7rocprim17ROCPRIM_400000_NS6detail17trampoline_kernelINS0_14default_configENS1_22reduce_config_selectorIlEEZNS1_11reduce_implILb1ES3_N6thrust23THRUST_200600_302600_NS11hip_rocprim26transform_input_iterator_tIlNS8_12zip_iteratorINS8_5tupleINS8_6detail15normal_iteratorINS8_10device_ptrIiEEEESH_NS8_9null_typeESI_SI_SI_SI_SI_SI_SI_EEEENS9_21zip_adj_not_predicateI22is_equal_div_10_uniqueIiEEEEEPllNS8_4plusIlEEEE10hipError_tPvRmT1_T2_T3_mT4_P12ihipStream_tbEUlT_E0_NS1_11comp_targetILNS1_3genE5ELNS1_11target_archE942ELNS1_3gpuE9ELNS1_3repE0EEENS1_30default_config_static_selectorELNS0_4arch9wavefront6targetE1EEEvSW_.kd
    .uniform_work_group_size: 1
    .uses_dynamic_stack: false
    .vgpr_count:     0
    .vgpr_spill_count: 0
    .wavefront_size: 64
  - .args:
      - .offset:         0
        .size:           80
        .value_kind:     by_value
    .group_segment_fixed_size: 0
    .kernarg_segment_align: 8
    .kernarg_segment_size: 80
    .language:       OpenCL C
    .language_version:
      - 2
      - 0
    .max_flat_workgroup_size: 256
    .name:           _ZN7rocprim17ROCPRIM_400000_NS6detail17trampoline_kernelINS0_14default_configENS1_22reduce_config_selectorIlEEZNS1_11reduce_implILb1ES3_N6thrust23THRUST_200600_302600_NS11hip_rocprim26transform_input_iterator_tIlNS8_12zip_iteratorINS8_5tupleINS8_6detail15normal_iteratorINS8_10device_ptrIiEEEESH_NS8_9null_typeESI_SI_SI_SI_SI_SI_SI_EEEENS9_21zip_adj_not_predicateI22is_equal_div_10_uniqueIiEEEEEPllNS8_4plusIlEEEE10hipError_tPvRmT1_T2_T3_mT4_P12ihipStream_tbEUlT_E0_NS1_11comp_targetILNS1_3genE4ELNS1_11target_archE910ELNS1_3gpuE8ELNS1_3repE0EEENS1_30default_config_static_selectorELNS0_4arch9wavefront6targetE1EEEvSW_
    .private_segment_fixed_size: 0
    .sgpr_count:     4
    .sgpr_spill_count: 0
    .symbol:         _ZN7rocprim17ROCPRIM_400000_NS6detail17trampoline_kernelINS0_14default_configENS1_22reduce_config_selectorIlEEZNS1_11reduce_implILb1ES3_N6thrust23THRUST_200600_302600_NS11hip_rocprim26transform_input_iterator_tIlNS8_12zip_iteratorINS8_5tupleINS8_6detail15normal_iteratorINS8_10device_ptrIiEEEESH_NS8_9null_typeESI_SI_SI_SI_SI_SI_SI_EEEENS9_21zip_adj_not_predicateI22is_equal_div_10_uniqueIiEEEEEPllNS8_4plusIlEEEE10hipError_tPvRmT1_T2_T3_mT4_P12ihipStream_tbEUlT_E0_NS1_11comp_targetILNS1_3genE4ELNS1_11target_archE910ELNS1_3gpuE8ELNS1_3repE0EEENS1_30default_config_static_selectorELNS0_4arch9wavefront6targetE1EEEvSW_.kd
    .uniform_work_group_size: 1
    .uses_dynamic_stack: false
    .vgpr_count:     0
    .vgpr_spill_count: 0
    .wavefront_size: 64
  - .args:
      - .offset:         0
        .size:           80
        .value_kind:     by_value
    .group_segment_fixed_size: 0
    .kernarg_segment_align: 8
    .kernarg_segment_size: 80
    .language:       OpenCL C
    .language_version:
      - 2
      - 0
    .max_flat_workgroup_size: 256
    .name:           _ZN7rocprim17ROCPRIM_400000_NS6detail17trampoline_kernelINS0_14default_configENS1_22reduce_config_selectorIlEEZNS1_11reduce_implILb1ES3_N6thrust23THRUST_200600_302600_NS11hip_rocprim26transform_input_iterator_tIlNS8_12zip_iteratorINS8_5tupleINS8_6detail15normal_iteratorINS8_10device_ptrIiEEEESH_NS8_9null_typeESI_SI_SI_SI_SI_SI_SI_EEEENS9_21zip_adj_not_predicateI22is_equal_div_10_uniqueIiEEEEEPllNS8_4plusIlEEEE10hipError_tPvRmT1_T2_T3_mT4_P12ihipStream_tbEUlT_E0_NS1_11comp_targetILNS1_3genE3ELNS1_11target_archE908ELNS1_3gpuE7ELNS1_3repE0EEENS1_30default_config_static_selectorELNS0_4arch9wavefront6targetE1EEEvSW_
    .private_segment_fixed_size: 0
    .sgpr_count:     4
    .sgpr_spill_count: 0
    .symbol:         _ZN7rocprim17ROCPRIM_400000_NS6detail17trampoline_kernelINS0_14default_configENS1_22reduce_config_selectorIlEEZNS1_11reduce_implILb1ES3_N6thrust23THRUST_200600_302600_NS11hip_rocprim26transform_input_iterator_tIlNS8_12zip_iteratorINS8_5tupleINS8_6detail15normal_iteratorINS8_10device_ptrIiEEEESH_NS8_9null_typeESI_SI_SI_SI_SI_SI_SI_EEEENS9_21zip_adj_not_predicateI22is_equal_div_10_uniqueIiEEEEEPllNS8_4plusIlEEEE10hipError_tPvRmT1_T2_T3_mT4_P12ihipStream_tbEUlT_E0_NS1_11comp_targetILNS1_3genE3ELNS1_11target_archE908ELNS1_3gpuE7ELNS1_3repE0EEENS1_30default_config_static_selectorELNS0_4arch9wavefront6targetE1EEEvSW_.kd
    .uniform_work_group_size: 1
    .uses_dynamic_stack: false
    .vgpr_count:     0
    .vgpr_spill_count: 0
    .wavefront_size: 64
  - .args:
      - .offset:         0
        .size:           80
        .value_kind:     by_value
    .group_segment_fixed_size: 64
    .kernarg_segment_align: 8
    .kernarg_segment_size: 80
    .language:       OpenCL C
    .language_version:
      - 2
      - 0
    .max_flat_workgroup_size: 256
    .name:           _ZN7rocprim17ROCPRIM_400000_NS6detail17trampoline_kernelINS0_14default_configENS1_22reduce_config_selectorIlEEZNS1_11reduce_implILb1ES3_N6thrust23THRUST_200600_302600_NS11hip_rocprim26transform_input_iterator_tIlNS8_12zip_iteratorINS8_5tupleINS8_6detail15normal_iteratorINS8_10device_ptrIiEEEESH_NS8_9null_typeESI_SI_SI_SI_SI_SI_SI_EEEENS9_21zip_adj_not_predicateI22is_equal_div_10_uniqueIiEEEEEPllNS8_4plusIlEEEE10hipError_tPvRmT1_T2_T3_mT4_P12ihipStream_tbEUlT_E0_NS1_11comp_targetILNS1_3genE2ELNS1_11target_archE906ELNS1_3gpuE6ELNS1_3repE0EEENS1_30default_config_static_selectorELNS0_4arch9wavefront6targetE1EEEvSW_
    .private_segment_fixed_size: 0
    .sgpr_count:     26
    .sgpr_spill_count: 0
    .symbol:         _ZN7rocprim17ROCPRIM_400000_NS6detail17trampoline_kernelINS0_14default_configENS1_22reduce_config_selectorIlEEZNS1_11reduce_implILb1ES3_N6thrust23THRUST_200600_302600_NS11hip_rocprim26transform_input_iterator_tIlNS8_12zip_iteratorINS8_5tupleINS8_6detail15normal_iteratorINS8_10device_ptrIiEEEESH_NS8_9null_typeESI_SI_SI_SI_SI_SI_SI_EEEENS9_21zip_adj_not_predicateI22is_equal_div_10_uniqueIiEEEEEPllNS8_4plusIlEEEE10hipError_tPvRmT1_T2_T3_mT4_P12ihipStream_tbEUlT_E0_NS1_11comp_targetILNS1_3genE2ELNS1_11target_archE906ELNS1_3gpuE6ELNS1_3repE0EEENS1_30default_config_static_selectorELNS0_4arch9wavefront6targetE1EEEvSW_.kd
    .uniform_work_group_size: 1
    .uses_dynamic_stack: false
    .vgpr_count:     15
    .vgpr_spill_count: 0
    .wavefront_size: 64
  - .args:
      - .offset:         0
        .size:           80
        .value_kind:     by_value
    .group_segment_fixed_size: 0
    .kernarg_segment_align: 8
    .kernarg_segment_size: 80
    .language:       OpenCL C
    .language_version:
      - 2
      - 0
    .max_flat_workgroup_size: 256
    .name:           _ZN7rocprim17ROCPRIM_400000_NS6detail17trampoline_kernelINS0_14default_configENS1_22reduce_config_selectorIlEEZNS1_11reduce_implILb1ES3_N6thrust23THRUST_200600_302600_NS11hip_rocprim26transform_input_iterator_tIlNS8_12zip_iteratorINS8_5tupleINS8_6detail15normal_iteratorINS8_10device_ptrIiEEEESH_NS8_9null_typeESI_SI_SI_SI_SI_SI_SI_EEEENS9_21zip_adj_not_predicateI22is_equal_div_10_uniqueIiEEEEEPllNS8_4plusIlEEEE10hipError_tPvRmT1_T2_T3_mT4_P12ihipStream_tbEUlT_E0_NS1_11comp_targetILNS1_3genE10ELNS1_11target_archE1201ELNS1_3gpuE5ELNS1_3repE0EEENS1_30default_config_static_selectorELNS0_4arch9wavefront6targetE1EEEvSW_
    .private_segment_fixed_size: 0
    .sgpr_count:     4
    .sgpr_spill_count: 0
    .symbol:         _ZN7rocprim17ROCPRIM_400000_NS6detail17trampoline_kernelINS0_14default_configENS1_22reduce_config_selectorIlEEZNS1_11reduce_implILb1ES3_N6thrust23THRUST_200600_302600_NS11hip_rocprim26transform_input_iterator_tIlNS8_12zip_iteratorINS8_5tupleINS8_6detail15normal_iteratorINS8_10device_ptrIiEEEESH_NS8_9null_typeESI_SI_SI_SI_SI_SI_SI_EEEENS9_21zip_adj_not_predicateI22is_equal_div_10_uniqueIiEEEEEPllNS8_4plusIlEEEE10hipError_tPvRmT1_T2_T3_mT4_P12ihipStream_tbEUlT_E0_NS1_11comp_targetILNS1_3genE10ELNS1_11target_archE1201ELNS1_3gpuE5ELNS1_3repE0EEENS1_30default_config_static_selectorELNS0_4arch9wavefront6targetE1EEEvSW_.kd
    .uniform_work_group_size: 1
    .uses_dynamic_stack: false
    .vgpr_count:     0
    .vgpr_spill_count: 0
    .wavefront_size: 64
  - .args:
      - .offset:         0
        .size:           80
        .value_kind:     by_value
    .group_segment_fixed_size: 0
    .kernarg_segment_align: 8
    .kernarg_segment_size: 80
    .language:       OpenCL C
    .language_version:
      - 2
      - 0
    .max_flat_workgroup_size: 256
    .name:           _ZN7rocprim17ROCPRIM_400000_NS6detail17trampoline_kernelINS0_14default_configENS1_22reduce_config_selectorIlEEZNS1_11reduce_implILb1ES3_N6thrust23THRUST_200600_302600_NS11hip_rocprim26transform_input_iterator_tIlNS8_12zip_iteratorINS8_5tupleINS8_6detail15normal_iteratorINS8_10device_ptrIiEEEESH_NS8_9null_typeESI_SI_SI_SI_SI_SI_SI_EEEENS9_21zip_adj_not_predicateI22is_equal_div_10_uniqueIiEEEEEPllNS8_4plusIlEEEE10hipError_tPvRmT1_T2_T3_mT4_P12ihipStream_tbEUlT_E0_NS1_11comp_targetILNS1_3genE10ELNS1_11target_archE1200ELNS1_3gpuE4ELNS1_3repE0EEENS1_30default_config_static_selectorELNS0_4arch9wavefront6targetE1EEEvSW_
    .private_segment_fixed_size: 0
    .sgpr_count:     4
    .sgpr_spill_count: 0
    .symbol:         _ZN7rocprim17ROCPRIM_400000_NS6detail17trampoline_kernelINS0_14default_configENS1_22reduce_config_selectorIlEEZNS1_11reduce_implILb1ES3_N6thrust23THRUST_200600_302600_NS11hip_rocprim26transform_input_iterator_tIlNS8_12zip_iteratorINS8_5tupleINS8_6detail15normal_iteratorINS8_10device_ptrIiEEEESH_NS8_9null_typeESI_SI_SI_SI_SI_SI_SI_EEEENS9_21zip_adj_not_predicateI22is_equal_div_10_uniqueIiEEEEEPllNS8_4plusIlEEEE10hipError_tPvRmT1_T2_T3_mT4_P12ihipStream_tbEUlT_E0_NS1_11comp_targetILNS1_3genE10ELNS1_11target_archE1200ELNS1_3gpuE4ELNS1_3repE0EEENS1_30default_config_static_selectorELNS0_4arch9wavefront6targetE1EEEvSW_.kd
    .uniform_work_group_size: 1
    .uses_dynamic_stack: false
    .vgpr_count:     0
    .vgpr_spill_count: 0
    .wavefront_size: 64
  - .args:
      - .offset:         0
        .size:           80
        .value_kind:     by_value
    .group_segment_fixed_size: 0
    .kernarg_segment_align: 8
    .kernarg_segment_size: 80
    .language:       OpenCL C
    .language_version:
      - 2
      - 0
    .max_flat_workgroup_size: 256
    .name:           _ZN7rocprim17ROCPRIM_400000_NS6detail17trampoline_kernelINS0_14default_configENS1_22reduce_config_selectorIlEEZNS1_11reduce_implILb1ES3_N6thrust23THRUST_200600_302600_NS11hip_rocprim26transform_input_iterator_tIlNS8_12zip_iteratorINS8_5tupleINS8_6detail15normal_iteratorINS8_10device_ptrIiEEEESH_NS8_9null_typeESI_SI_SI_SI_SI_SI_SI_EEEENS9_21zip_adj_not_predicateI22is_equal_div_10_uniqueIiEEEEEPllNS8_4plusIlEEEE10hipError_tPvRmT1_T2_T3_mT4_P12ihipStream_tbEUlT_E0_NS1_11comp_targetILNS1_3genE9ELNS1_11target_archE1100ELNS1_3gpuE3ELNS1_3repE0EEENS1_30default_config_static_selectorELNS0_4arch9wavefront6targetE1EEEvSW_
    .private_segment_fixed_size: 0
    .sgpr_count:     4
    .sgpr_spill_count: 0
    .symbol:         _ZN7rocprim17ROCPRIM_400000_NS6detail17trampoline_kernelINS0_14default_configENS1_22reduce_config_selectorIlEEZNS1_11reduce_implILb1ES3_N6thrust23THRUST_200600_302600_NS11hip_rocprim26transform_input_iterator_tIlNS8_12zip_iteratorINS8_5tupleINS8_6detail15normal_iteratorINS8_10device_ptrIiEEEESH_NS8_9null_typeESI_SI_SI_SI_SI_SI_SI_EEEENS9_21zip_adj_not_predicateI22is_equal_div_10_uniqueIiEEEEEPllNS8_4plusIlEEEE10hipError_tPvRmT1_T2_T3_mT4_P12ihipStream_tbEUlT_E0_NS1_11comp_targetILNS1_3genE9ELNS1_11target_archE1100ELNS1_3gpuE3ELNS1_3repE0EEENS1_30default_config_static_selectorELNS0_4arch9wavefront6targetE1EEEvSW_.kd
    .uniform_work_group_size: 1
    .uses_dynamic_stack: false
    .vgpr_count:     0
    .vgpr_spill_count: 0
    .wavefront_size: 64
  - .args:
      - .offset:         0
        .size:           80
        .value_kind:     by_value
    .group_segment_fixed_size: 0
    .kernarg_segment_align: 8
    .kernarg_segment_size: 80
    .language:       OpenCL C
    .language_version:
      - 2
      - 0
    .max_flat_workgroup_size: 256
    .name:           _ZN7rocprim17ROCPRIM_400000_NS6detail17trampoline_kernelINS0_14default_configENS1_22reduce_config_selectorIlEEZNS1_11reduce_implILb1ES3_N6thrust23THRUST_200600_302600_NS11hip_rocprim26transform_input_iterator_tIlNS8_12zip_iteratorINS8_5tupleINS8_6detail15normal_iteratorINS8_10device_ptrIiEEEESH_NS8_9null_typeESI_SI_SI_SI_SI_SI_SI_EEEENS9_21zip_adj_not_predicateI22is_equal_div_10_uniqueIiEEEEEPllNS8_4plusIlEEEE10hipError_tPvRmT1_T2_T3_mT4_P12ihipStream_tbEUlT_E0_NS1_11comp_targetILNS1_3genE8ELNS1_11target_archE1030ELNS1_3gpuE2ELNS1_3repE0EEENS1_30default_config_static_selectorELNS0_4arch9wavefront6targetE1EEEvSW_
    .private_segment_fixed_size: 0
    .sgpr_count:     4
    .sgpr_spill_count: 0
    .symbol:         _ZN7rocprim17ROCPRIM_400000_NS6detail17trampoline_kernelINS0_14default_configENS1_22reduce_config_selectorIlEEZNS1_11reduce_implILb1ES3_N6thrust23THRUST_200600_302600_NS11hip_rocprim26transform_input_iterator_tIlNS8_12zip_iteratorINS8_5tupleINS8_6detail15normal_iteratorINS8_10device_ptrIiEEEESH_NS8_9null_typeESI_SI_SI_SI_SI_SI_SI_EEEENS9_21zip_adj_not_predicateI22is_equal_div_10_uniqueIiEEEEEPllNS8_4plusIlEEEE10hipError_tPvRmT1_T2_T3_mT4_P12ihipStream_tbEUlT_E0_NS1_11comp_targetILNS1_3genE8ELNS1_11target_archE1030ELNS1_3gpuE2ELNS1_3repE0EEENS1_30default_config_static_selectorELNS0_4arch9wavefront6targetE1EEEvSW_.kd
    .uniform_work_group_size: 1
    .uses_dynamic_stack: false
    .vgpr_count:     0
    .vgpr_spill_count: 0
    .wavefront_size: 64
  - .args:
      - .offset:         0
        .size:           64
        .value_kind:     by_value
    .group_segment_fixed_size: 0
    .kernarg_segment_align: 8
    .kernarg_segment_size: 64
    .language:       OpenCL C
    .language_version:
      - 2
      - 0
    .max_flat_workgroup_size: 256
    .name:           _ZN7rocprim17ROCPRIM_400000_NS6detail17trampoline_kernelINS0_14default_configENS1_22reduce_config_selectorIlEEZNS1_11reduce_implILb1ES3_N6thrust23THRUST_200600_302600_NS11hip_rocprim26transform_input_iterator_tIlNS8_12zip_iteratorINS8_5tupleINS8_6detail15normal_iteratorINS8_10device_ptrIiEEEESH_NS8_9null_typeESI_SI_SI_SI_SI_SI_SI_EEEENS9_21zip_adj_not_predicateI22is_equal_div_10_uniqueIiEEEEEPllNS8_4plusIlEEEE10hipError_tPvRmT1_T2_T3_mT4_P12ihipStream_tbEUlT_E1_NS1_11comp_targetILNS1_3genE0ELNS1_11target_archE4294967295ELNS1_3gpuE0ELNS1_3repE0EEENS1_30default_config_static_selectorELNS0_4arch9wavefront6targetE1EEEvSW_
    .private_segment_fixed_size: 0
    .sgpr_count:     4
    .sgpr_spill_count: 0
    .symbol:         _ZN7rocprim17ROCPRIM_400000_NS6detail17trampoline_kernelINS0_14default_configENS1_22reduce_config_selectorIlEEZNS1_11reduce_implILb1ES3_N6thrust23THRUST_200600_302600_NS11hip_rocprim26transform_input_iterator_tIlNS8_12zip_iteratorINS8_5tupleINS8_6detail15normal_iteratorINS8_10device_ptrIiEEEESH_NS8_9null_typeESI_SI_SI_SI_SI_SI_SI_EEEENS9_21zip_adj_not_predicateI22is_equal_div_10_uniqueIiEEEEEPllNS8_4plusIlEEEE10hipError_tPvRmT1_T2_T3_mT4_P12ihipStream_tbEUlT_E1_NS1_11comp_targetILNS1_3genE0ELNS1_11target_archE4294967295ELNS1_3gpuE0ELNS1_3repE0EEENS1_30default_config_static_selectorELNS0_4arch9wavefront6targetE1EEEvSW_.kd
    .uniform_work_group_size: 1
    .uses_dynamic_stack: false
    .vgpr_count:     0
    .vgpr_spill_count: 0
    .wavefront_size: 64
  - .args:
      - .offset:         0
        .size:           64
        .value_kind:     by_value
    .group_segment_fixed_size: 0
    .kernarg_segment_align: 8
    .kernarg_segment_size: 64
    .language:       OpenCL C
    .language_version:
      - 2
      - 0
    .max_flat_workgroup_size: 256
    .name:           _ZN7rocprim17ROCPRIM_400000_NS6detail17trampoline_kernelINS0_14default_configENS1_22reduce_config_selectorIlEEZNS1_11reduce_implILb1ES3_N6thrust23THRUST_200600_302600_NS11hip_rocprim26transform_input_iterator_tIlNS8_12zip_iteratorINS8_5tupleINS8_6detail15normal_iteratorINS8_10device_ptrIiEEEESH_NS8_9null_typeESI_SI_SI_SI_SI_SI_SI_EEEENS9_21zip_adj_not_predicateI22is_equal_div_10_uniqueIiEEEEEPllNS8_4plusIlEEEE10hipError_tPvRmT1_T2_T3_mT4_P12ihipStream_tbEUlT_E1_NS1_11comp_targetILNS1_3genE5ELNS1_11target_archE942ELNS1_3gpuE9ELNS1_3repE0EEENS1_30default_config_static_selectorELNS0_4arch9wavefront6targetE1EEEvSW_
    .private_segment_fixed_size: 0
    .sgpr_count:     4
    .sgpr_spill_count: 0
    .symbol:         _ZN7rocprim17ROCPRIM_400000_NS6detail17trampoline_kernelINS0_14default_configENS1_22reduce_config_selectorIlEEZNS1_11reduce_implILb1ES3_N6thrust23THRUST_200600_302600_NS11hip_rocprim26transform_input_iterator_tIlNS8_12zip_iteratorINS8_5tupleINS8_6detail15normal_iteratorINS8_10device_ptrIiEEEESH_NS8_9null_typeESI_SI_SI_SI_SI_SI_SI_EEEENS9_21zip_adj_not_predicateI22is_equal_div_10_uniqueIiEEEEEPllNS8_4plusIlEEEE10hipError_tPvRmT1_T2_T3_mT4_P12ihipStream_tbEUlT_E1_NS1_11comp_targetILNS1_3genE5ELNS1_11target_archE942ELNS1_3gpuE9ELNS1_3repE0EEENS1_30default_config_static_selectorELNS0_4arch9wavefront6targetE1EEEvSW_.kd
    .uniform_work_group_size: 1
    .uses_dynamic_stack: false
    .vgpr_count:     0
    .vgpr_spill_count: 0
    .wavefront_size: 64
  - .args:
      - .offset:         0
        .size:           64
        .value_kind:     by_value
    .group_segment_fixed_size: 0
    .kernarg_segment_align: 8
    .kernarg_segment_size: 64
    .language:       OpenCL C
    .language_version:
      - 2
      - 0
    .max_flat_workgroup_size: 256
    .name:           _ZN7rocprim17ROCPRIM_400000_NS6detail17trampoline_kernelINS0_14default_configENS1_22reduce_config_selectorIlEEZNS1_11reduce_implILb1ES3_N6thrust23THRUST_200600_302600_NS11hip_rocprim26transform_input_iterator_tIlNS8_12zip_iteratorINS8_5tupleINS8_6detail15normal_iteratorINS8_10device_ptrIiEEEESH_NS8_9null_typeESI_SI_SI_SI_SI_SI_SI_EEEENS9_21zip_adj_not_predicateI22is_equal_div_10_uniqueIiEEEEEPllNS8_4plusIlEEEE10hipError_tPvRmT1_T2_T3_mT4_P12ihipStream_tbEUlT_E1_NS1_11comp_targetILNS1_3genE4ELNS1_11target_archE910ELNS1_3gpuE8ELNS1_3repE0EEENS1_30default_config_static_selectorELNS0_4arch9wavefront6targetE1EEEvSW_
    .private_segment_fixed_size: 0
    .sgpr_count:     4
    .sgpr_spill_count: 0
    .symbol:         _ZN7rocprim17ROCPRIM_400000_NS6detail17trampoline_kernelINS0_14default_configENS1_22reduce_config_selectorIlEEZNS1_11reduce_implILb1ES3_N6thrust23THRUST_200600_302600_NS11hip_rocprim26transform_input_iterator_tIlNS8_12zip_iteratorINS8_5tupleINS8_6detail15normal_iteratorINS8_10device_ptrIiEEEESH_NS8_9null_typeESI_SI_SI_SI_SI_SI_SI_EEEENS9_21zip_adj_not_predicateI22is_equal_div_10_uniqueIiEEEEEPllNS8_4plusIlEEEE10hipError_tPvRmT1_T2_T3_mT4_P12ihipStream_tbEUlT_E1_NS1_11comp_targetILNS1_3genE4ELNS1_11target_archE910ELNS1_3gpuE8ELNS1_3repE0EEENS1_30default_config_static_selectorELNS0_4arch9wavefront6targetE1EEEvSW_.kd
    .uniform_work_group_size: 1
    .uses_dynamic_stack: false
    .vgpr_count:     0
    .vgpr_spill_count: 0
    .wavefront_size: 64
  - .args:
      - .offset:         0
        .size:           64
        .value_kind:     by_value
    .group_segment_fixed_size: 0
    .kernarg_segment_align: 8
    .kernarg_segment_size: 64
    .language:       OpenCL C
    .language_version:
      - 2
      - 0
    .max_flat_workgroup_size: 256
    .name:           _ZN7rocprim17ROCPRIM_400000_NS6detail17trampoline_kernelINS0_14default_configENS1_22reduce_config_selectorIlEEZNS1_11reduce_implILb1ES3_N6thrust23THRUST_200600_302600_NS11hip_rocprim26transform_input_iterator_tIlNS8_12zip_iteratorINS8_5tupleINS8_6detail15normal_iteratorINS8_10device_ptrIiEEEESH_NS8_9null_typeESI_SI_SI_SI_SI_SI_SI_EEEENS9_21zip_adj_not_predicateI22is_equal_div_10_uniqueIiEEEEEPllNS8_4plusIlEEEE10hipError_tPvRmT1_T2_T3_mT4_P12ihipStream_tbEUlT_E1_NS1_11comp_targetILNS1_3genE3ELNS1_11target_archE908ELNS1_3gpuE7ELNS1_3repE0EEENS1_30default_config_static_selectorELNS0_4arch9wavefront6targetE1EEEvSW_
    .private_segment_fixed_size: 0
    .sgpr_count:     4
    .sgpr_spill_count: 0
    .symbol:         _ZN7rocprim17ROCPRIM_400000_NS6detail17trampoline_kernelINS0_14default_configENS1_22reduce_config_selectorIlEEZNS1_11reduce_implILb1ES3_N6thrust23THRUST_200600_302600_NS11hip_rocprim26transform_input_iterator_tIlNS8_12zip_iteratorINS8_5tupleINS8_6detail15normal_iteratorINS8_10device_ptrIiEEEESH_NS8_9null_typeESI_SI_SI_SI_SI_SI_SI_EEEENS9_21zip_adj_not_predicateI22is_equal_div_10_uniqueIiEEEEEPllNS8_4plusIlEEEE10hipError_tPvRmT1_T2_T3_mT4_P12ihipStream_tbEUlT_E1_NS1_11comp_targetILNS1_3genE3ELNS1_11target_archE908ELNS1_3gpuE7ELNS1_3repE0EEENS1_30default_config_static_selectorELNS0_4arch9wavefront6targetE1EEEvSW_.kd
    .uniform_work_group_size: 1
    .uses_dynamic_stack: false
    .vgpr_count:     0
    .vgpr_spill_count: 0
    .wavefront_size: 64
  - .args:
      - .offset:         0
        .size:           64
        .value_kind:     by_value
    .group_segment_fixed_size: 192
    .kernarg_segment_align: 8
    .kernarg_segment_size: 64
    .language:       OpenCL C
    .language_version:
      - 2
      - 0
    .max_flat_workgroup_size: 256
    .name:           _ZN7rocprim17ROCPRIM_400000_NS6detail17trampoline_kernelINS0_14default_configENS1_22reduce_config_selectorIlEEZNS1_11reduce_implILb1ES3_N6thrust23THRUST_200600_302600_NS11hip_rocprim26transform_input_iterator_tIlNS8_12zip_iteratorINS8_5tupleINS8_6detail15normal_iteratorINS8_10device_ptrIiEEEESH_NS8_9null_typeESI_SI_SI_SI_SI_SI_SI_EEEENS9_21zip_adj_not_predicateI22is_equal_div_10_uniqueIiEEEEEPllNS8_4plusIlEEEE10hipError_tPvRmT1_T2_T3_mT4_P12ihipStream_tbEUlT_E1_NS1_11comp_targetILNS1_3genE2ELNS1_11target_archE906ELNS1_3gpuE6ELNS1_3repE0EEENS1_30default_config_static_selectorELNS0_4arch9wavefront6targetE1EEEvSW_
    .private_segment_fixed_size: 0
    .sgpr_count:     38
    .sgpr_spill_count: 0
    .symbol:         _ZN7rocprim17ROCPRIM_400000_NS6detail17trampoline_kernelINS0_14default_configENS1_22reduce_config_selectorIlEEZNS1_11reduce_implILb1ES3_N6thrust23THRUST_200600_302600_NS11hip_rocprim26transform_input_iterator_tIlNS8_12zip_iteratorINS8_5tupleINS8_6detail15normal_iteratorINS8_10device_ptrIiEEEESH_NS8_9null_typeESI_SI_SI_SI_SI_SI_SI_EEEENS9_21zip_adj_not_predicateI22is_equal_div_10_uniqueIiEEEEEPllNS8_4plusIlEEEE10hipError_tPvRmT1_T2_T3_mT4_P12ihipStream_tbEUlT_E1_NS1_11comp_targetILNS1_3genE2ELNS1_11target_archE906ELNS1_3gpuE6ELNS1_3repE0EEENS1_30default_config_static_selectorELNS0_4arch9wavefront6targetE1EEEvSW_.kd
    .uniform_work_group_size: 1
    .uses_dynamic_stack: false
    .vgpr_count:     36
    .vgpr_spill_count: 0
    .wavefront_size: 64
  - .args:
      - .offset:         0
        .size:           64
        .value_kind:     by_value
    .group_segment_fixed_size: 0
    .kernarg_segment_align: 8
    .kernarg_segment_size: 64
    .language:       OpenCL C
    .language_version:
      - 2
      - 0
    .max_flat_workgroup_size: 256
    .name:           _ZN7rocprim17ROCPRIM_400000_NS6detail17trampoline_kernelINS0_14default_configENS1_22reduce_config_selectorIlEEZNS1_11reduce_implILb1ES3_N6thrust23THRUST_200600_302600_NS11hip_rocprim26transform_input_iterator_tIlNS8_12zip_iteratorINS8_5tupleINS8_6detail15normal_iteratorINS8_10device_ptrIiEEEESH_NS8_9null_typeESI_SI_SI_SI_SI_SI_SI_EEEENS9_21zip_adj_not_predicateI22is_equal_div_10_uniqueIiEEEEEPllNS8_4plusIlEEEE10hipError_tPvRmT1_T2_T3_mT4_P12ihipStream_tbEUlT_E1_NS1_11comp_targetILNS1_3genE10ELNS1_11target_archE1201ELNS1_3gpuE5ELNS1_3repE0EEENS1_30default_config_static_selectorELNS0_4arch9wavefront6targetE1EEEvSW_
    .private_segment_fixed_size: 0
    .sgpr_count:     4
    .sgpr_spill_count: 0
    .symbol:         _ZN7rocprim17ROCPRIM_400000_NS6detail17trampoline_kernelINS0_14default_configENS1_22reduce_config_selectorIlEEZNS1_11reduce_implILb1ES3_N6thrust23THRUST_200600_302600_NS11hip_rocprim26transform_input_iterator_tIlNS8_12zip_iteratorINS8_5tupleINS8_6detail15normal_iteratorINS8_10device_ptrIiEEEESH_NS8_9null_typeESI_SI_SI_SI_SI_SI_SI_EEEENS9_21zip_adj_not_predicateI22is_equal_div_10_uniqueIiEEEEEPllNS8_4plusIlEEEE10hipError_tPvRmT1_T2_T3_mT4_P12ihipStream_tbEUlT_E1_NS1_11comp_targetILNS1_3genE10ELNS1_11target_archE1201ELNS1_3gpuE5ELNS1_3repE0EEENS1_30default_config_static_selectorELNS0_4arch9wavefront6targetE1EEEvSW_.kd
    .uniform_work_group_size: 1
    .uses_dynamic_stack: false
    .vgpr_count:     0
    .vgpr_spill_count: 0
    .wavefront_size: 64
  - .args:
      - .offset:         0
        .size:           64
        .value_kind:     by_value
    .group_segment_fixed_size: 0
    .kernarg_segment_align: 8
    .kernarg_segment_size: 64
    .language:       OpenCL C
    .language_version:
      - 2
      - 0
    .max_flat_workgroup_size: 256
    .name:           _ZN7rocprim17ROCPRIM_400000_NS6detail17trampoline_kernelINS0_14default_configENS1_22reduce_config_selectorIlEEZNS1_11reduce_implILb1ES3_N6thrust23THRUST_200600_302600_NS11hip_rocprim26transform_input_iterator_tIlNS8_12zip_iteratorINS8_5tupleINS8_6detail15normal_iteratorINS8_10device_ptrIiEEEESH_NS8_9null_typeESI_SI_SI_SI_SI_SI_SI_EEEENS9_21zip_adj_not_predicateI22is_equal_div_10_uniqueIiEEEEEPllNS8_4plusIlEEEE10hipError_tPvRmT1_T2_T3_mT4_P12ihipStream_tbEUlT_E1_NS1_11comp_targetILNS1_3genE10ELNS1_11target_archE1200ELNS1_3gpuE4ELNS1_3repE0EEENS1_30default_config_static_selectorELNS0_4arch9wavefront6targetE1EEEvSW_
    .private_segment_fixed_size: 0
    .sgpr_count:     4
    .sgpr_spill_count: 0
    .symbol:         _ZN7rocprim17ROCPRIM_400000_NS6detail17trampoline_kernelINS0_14default_configENS1_22reduce_config_selectorIlEEZNS1_11reduce_implILb1ES3_N6thrust23THRUST_200600_302600_NS11hip_rocprim26transform_input_iterator_tIlNS8_12zip_iteratorINS8_5tupleINS8_6detail15normal_iteratorINS8_10device_ptrIiEEEESH_NS8_9null_typeESI_SI_SI_SI_SI_SI_SI_EEEENS9_21zip_adj_not_predicateI22is_equal_div_10_uniqueIiEEEEEPllNS8_4plusIlEEEE10hipError_tPvRmT1_T2_T3_mT4_P12ihipStream_tbEUlT_E1_NS1_11comp_targetILNS1_3genE10ELNS1_11target_archE1200ELNS1_3gpuE4ELNS1_3repE0EEENS1_30default_config_static_selectorELNS0_4arch9wavefront6targetE1EEEvSW_.kd
    .uniform_work_group_size: 1
    .uses_dynamic_stack: false
    .vgpr_count:     0
    .vgpr_spill_count: 0
    .wavefront_size: 64
  - .args:
      - .offset:         0
        .size:           64
        .value_kind:     by_value
    .group_segment_fixed_size: 0
    .kernarg_segment_align: 8
    .kernarg_segment_size: 64
    .language:       OpenCL C
    .language_version:
      - 2
      - 0
    .max_flat_workgroup_size: 256
    .name:           _ZN7rocprim17ROCPRIM_400000_NS6detail17trampoline_kernelINS0_14default_configENS1_22reduce_config_selectorIlEEZNS1_11reduce_implILb1ES3_N6thrust23THRUST_200600_302600_NS11hip_rocprim26transform_input_iterator_tIlNS8_12zip_iteratorINS8_5tupleINS8_6detail15normal_iteratorINS8_10device_ptrIiEEEESH_NS8_9null_typeESI_SI_SI_SI_SI_SI_SI_EEEENS9_21zip_adj_not_predicateI22is_equal_div_10_uniqueIiEEEEEPllNS8_4plusIlEEEE10hipError_tPvRmT1_T2_T3_mT4_P12ihipStream_tbEUlT_E1_NS1_11comp_targetILNS1_3genE9ELNS1_11target_archE1100ELNS1_3gpuE3ELNS1_3repE0EEENS1_30default_config_static_selectorELNS0_4arch9wavefront6targetE1EEEvSW_
    .private_segment_fixed_size: 0
    .sgpr_count:     4
    .sgpr_spill_count: 0
    .symbol:         _ZN7rocprim17ROCPRIM_400000_NS6detail17trampoline_kernelINS0_14default_configENS1_22reduce_config_selectorIlEEZNS1_11reduce_implILb1ES3_N6thrust23THRUST_200600_302600_NS11hip_rocprim26transform_input_iterator_tIlNS8_12zip_iteratorINS8_5tupleINS8_6detail15normal_iteratorINS8_10device_ptrIiEEEESH_NS8_9null_typeESI_SI_SI_SI_SI_SI_SI_EEEENS9_21zip_adj_not_predicateI22is_equal_div_10_uniqueIiEEEEEPllNS8_4plusIlEEEE10hipError_tPvRmT1_T2_T3_mT4_P12ihipStream_tbEUlT_E1_NS1_11comp_targetILNS1_3genE9ELNS1_11target_archE1100ELNS1_3gpuE3ELNS1_3repE0EEENS1_30default_config_static_selectorELNS0_4arch9wavefront6targetE1EEEvSW_.kd
    .uniform_work_group_size: 1
    .uses_dynamic_stack: false
    .vgpr_count:     0
    .vgpr_spill_count: 0
    .wavefront_size: 64
  - .args:
      - .offset:         0
        .size:           64
        .value_kind:     by_value
    .group_segment_fixed_size: 0
    .kernarg_segment_align: 8
    .kernarg_segment_size: 64
    .language:       OpenCL C
    .language_version:
      - 2
      - 0
    .max_flat_workgroup_size: 256
    .name:           _ZN7rocprim17ROCPRIM_400000_NS6detail17trampoline_kernelINS0_14default_configENS1_22reduce_config_selectorIlEEZNS1_11reduce_implILb1ES3_N6thrust23THRUST_200600_302600_NS11hip_rocprim26transform_input_iterator_tIlNS8_12zip_iteratorINS8_5tupleINS8_6detail15normal_iteratorINS8_10device_ptrIiEEEESH_NS8_9null_typeESI_SI_SI_SI_SI_SI_SI_EEEENS9_21zip_adj_not_predicateI22is_equal_div_10_uniqueIiEEEEEPllNS8_4plusIlEEEE10hipError_tPvRmT1_T2_T3_mT4_P12ihipStream_tbEUlT_E1_NS1_11comp_targetILNS1_3genE8ELNS1_11target_archE1030ELNS1_3gpuE2ELNS1_3repE0EEENS1_30default_config_static_selectorELNS0_4arch9wavefront6targetE1EEEvSW_
    .private_segment_fixed_size: 0
    .sgpr_count:     4
    .sgpr_spill_count: 0
    .symbol:         _ZN7rocprim17ROCPRIM_400000_NS6detail17trampoline_kernelINS0_14default_configENS1_22reduce_config_selectorIlEEZNS1_11reduce_implILb1ES3_N6thrust23THRUST_200600_302600_NS11hip_rocprim26transform_input_iterator_tIlNS8_12zip_iteratorINS8_5tupleINS8_6detail15normal_iteratorINS8_10device_ptrIiEEEESH_NS8_9null_typeESI_SI_SI_SI_SI_SI_SI_EEEENS9_21zip_adj_not_predicateI22is_equal_div_10_uniqueIiEEEEEPllNS8_4plusIlEEEE10hipError_tPvRmT1_T2_T3_mT4_P12ihipStream_tbEUlT_E1_NS1_11comp_targetILNS1_3genE8ELNS1_11target_archE1030ELNS1_3gpuE2ELNS1_3repE0EEENS1_30default_config_static_selectorELNS0_4arch9wavefront6targetE1EEEvSW_.kd
    .uniform_work_group_size: 1
    .uses_dynamic_stack: false
    .vgpr_count:     0
    .vgpr_spill_count: 0
    .wavefront_size: 64
  - .args:
      - .offset:         0
        .size:           80
        .value_kind:     by_value
    .group_segment_fixed_size: 0
    .kernarg_segment_align: 8
    .kernarg_segment_size: 80
    .language:       OpenCL C
    .language_version:
      - 2
      - 0
    .max_flat_workgroup_size: 256
    .name:           _ZN7rocprim17ROCPRIM_400000_NS6detail17trampoline_kernelINS0_14default_configENS1_22reduce_config_selectorIlEEZNS1_11reduce_implILb1ES3_N6thrust23THRUST_200600_302600_NS11hip_rocprim26transform_input_iterator_tIlNS8_12zip_iteratorINS8_5tupleINS8_6detail15normal_iteratorINS8_10device_ptrIsEEEESH_NS8_9null_typeESI_SI_SI_SI_SI_SI_SI_EEEENS9_21zip_adj_not_predicateINS8_8equal_toIsEEEEEEPllNS8_4plusIlEEEE10hipError_tPvRmT1_T2_T3_mT4_P12ihipStream_tbEUlT_E0_NS1_11comp_targetILNS1_3genE0ELNS1_11target_archE4294967295ELNS1_3gpuE0ELNS1_3repE0EEENS1_30default_config_static_selectorELNS0_4arch9wavefront6targetE1EEEvSW_
    .private_segment_fixed_size: 0
    .sgpr_count:     4
    .sgpr_spill_count: 0
    .symbol:         _ZN7rocprim17ROCPRIM_400000_NS6detail17trampoline_kernelINS0_14default_configENS1_22reduce_config_selectorIlEEZNS1_11reduce_implILb1ES3_N6thrust23THRUST_200600_302600_NS11hip_rocprim26transform_input_iterator_tIlNS8_12zip_iteratorINS8_5tupleINS8_6detail15normal_iteratorINS8_10device_ptrIsEEEESH_NS8_9null_typeESI_SI_SI_SI_SI_SI_SI_EEEENS9_21zip_adj_not_predicateINS8_8equal_toIsEEEEEEPllNS8_4plusIlEEEE10hipError_tPvRmT1_T2_T3_mT4_P12ihipStream_tbEUlT_E0_NS1_11comp_targetILNS1_3genE0ELNS1_11target_archE4294967295ELNS1_3gpuE0ELNS1_3repE0EEENS1_30default_config_static_selectorELNS0_4arch9wavefront6targetE1EEEvSW_.kd
    .uniform_work_group_size: 1
    .uses_dynamic_stack: false
    .vgpr_count:     0
    .vgpr_spill_count: 0
    .wavefront_size: 64
  - .args:
      - .offset:         0
        .size:           80
        .value_kind:     by_value
    .group_segment_fixed_size: 0
    .kernarg_segment_align: 8
    .kernarg_segment_size: 80
    .language:       OpenCL C
    .language_version:
      - 2
      - 0
    .max_flat_workgroup_size: 256
    .name:           _ZN7rocprim17ROCPRIM_400000_NS6detail17trampoline_kernelINS0_14default_configENS1_22reduce_config_selectorIlEEZNS1_11reduce_implILb1ES3_N6thrust23THRUST_200600_302600_NS11hip_rocprim26transform_input_iterator_tIlNS8_12zip_iteratorINS8_5tupleINS8_6detail15normal_iteratorINS8_10device_ptrIsEEEESH_NS8_9null_typeESI_SI_SI_SI_SI_SI_SI_EEEENS9_21zip_adj_not_predicateINS8_8equal_toIsEEEEEEPllNS8_4plusIlEEEE10hipError_tPvRmT1_T2_T3_mT4_P12ihipStream_tbEUlT_E0_NS1_11comp_targetILNS1_3genE5ELNS1_11target_archE942ELNS1_3gpuE9ELNS1_3repE0EEENS1_30default_config_static_selectorELNS0_4arch9wavefront6targetE1EEEvSW_
    .private_segment_fixed_size: 0
    .sgpr_count:     4
    .sgpr_spill_count: 0
    .symbol:         _ZN7rocprim17ROCPRIM_400000_NS6detail17trampoline_kernelINS0_14default_configENS1_22reduce_config_selectorIlEEZNS1_11reduce_implILb1ES3_N6thrust23THRUST_200600_302600_NS11hip_rocprim26transform_input_iterator_tIlNS8_12zip_iteratorINS8_5tupleINS8_6detail15normal_iteratorINS8_10device_ptrIsEEEESH_NS8_9null_typeESI_SI_SI_SI_SI_SI_SI_EEEENS9_21zip_adj_not_predicateINS8_8equal_toIsEEEEEEPllNS8_4plusIlEEEE10hipError_tPvRmT1_T2_T3_mT4_P12ihipStream_tbEUlT_E0_NS1_11comp_targetILNS1_3genE5ELNS1_11target_archE942ELNS1_3gpuE9ELNS1_3repE0EEENS1_30default_config_static_selectorELNS0_4arch9wavefront6targetE1EEEvSW_.kd
    .uniform_work_group_size: 1
    .uses_dynamic_stack: false
    .vgpr_count:     0
    .vgpr_spill_count: 0
    .wavefront_size: 64
  - .args:
      - .offset:         0
        .size:           80
        .value_kind:     by_value
    .group_segment_fixed_size: 0
    .kernarg_segment_align: 8
    .kernarg_segment_size: 80
    .language:       OpenCL C
    .language_version:
      - 2
      - 0
    .max_flat_workgroup_size: 256
    .name:           _ZN7rocprim17ROCPRIM_400000_NS6detail17trampoline_kernelINS0_14default_configENS1_22reduce_config_selectorIlEEZNS1_11reduce_implILb1ES3_N6thrust23THRUST_200600_302600_NS11hip_rocprim26transform_input_iterator_tIlNS8_12zip_iteratorINS8_5tupleINS8_6detail15normal_iteratorINS8_10device_ptrIsEEEESH_NS8_9null_typeESI_SI_SI_SI_SI_SI_SI_EEEENS9_21zip_adj_not_predicateINS8_8equal_toIsEEEEEEPllNS8_4plusIlEEEE10hipError_tPvRmT1_T2_T3_mT4_P12ihipStream_tbEUlT_E0_NS1_11comp_targetILNS1_3genE4ELNS1_11target_archE910ELNS1_3gpuE8ELNS1_3repE0EEENS1_30default_config_static_selectorELNS0_4arch9wavefront6targetE1EEEvSW_
    .private_segment_fixed_size: 0
    .sgpr_count:     4
    .sgpr_spill_count: 0
    .symbol:         _ZN7rocprim17ROCPRIM_400000_NS6detail17trampoline_kernelINS0_14default_configENS1_22reduce_config_selectorIlEEZNS1_11reduce_implILb1ES3_N6thrust23THRUST_200600_302600_NS11hip_rocprim26transform_input_iterator_tIlNS8_12zip_iteratorINS8_5tupleINS8_6detail15normal_iteratorINS8_10device_ptrIsEEEESH_NS8_9null_typeESI_SI_SI_SI_SI_SI_SI_EEEENS9_21zip_adj_not_predicateINS8_8equal_toIsEEEEEEPllNS8_4plusIlEEEE10hipError_tPvRmT1_T2_T3_mT4_P12ihipStream_tbEUlT_E0_NS1_11comp_targetILNS1_3genE4ELNS1_11target_archE910ELNS1_3gpuE8ELNS1_3repE0EEENS1_30default_config_static_selectorELNS0_4arch9wavefront6targetE1EEEvSW_.kd
    .uniform_work_group_size: 1
    .uses_dynamic_stack: false
    .vgpr_count:     0
    .vgpr_spill_count: 0
    .wavefront_size: 64
  - .args:
      - .offset:         0
        .size:           80
        .value_kind:     by_value
    .group_segment_fixed_size: 0
    .kernarg_segment_align: 8
    .kernarg_segment_size: 80
    .language:       OpenCL C
    .language_version:
      - 2
      - 0
    .max_flat_workgroup_size: 256
    .name:           _ZN7rocprim17ROCPRIM_400000_NS6detail17trampoline_kernelINS0_14default_configENS1_22reduce_config_selectorIlEEZNS1_11reduce_implILb1ES3_N6thrust23THRUST_200600_302600_NS11hip_rocprim26transform_input_iterator_tIlNS8_12zip_iteratorINS8_5tupleINS8_6detail15normal_iteratorINS8_10device_ptrIsEEEESH_NS8_9null_typeESI_SI_SI_SI_SI_SI_SI_EEEENS9_21zip_adj_not_predicateINS8_8equal_toIsEEEEEEPllNS8_4plusIlEEEE10hipError_tPvRmT1_T2_T3_mT4_P12ihipStream_tbEUlT_E0_NS1_11comp_targetILNS1_3genE3ELNS1_11target_archE908ELNS1_3gpuE7ELNS1_3repE0EEENS1_30default_config_static_selectorELNS0_4arch9wavefront6targetE1EEEvSW_
    .private_segment_fixed_size: 0
    .sgpr_count:     4
    .sgpr_spill_count: 0
    .symbol:         _ZN7rocprim17ROCPRIM_400000_NS6detail17trampoline_kernelINS0_14default_configENS1_22reduce_config_selectorIlEEZNS1_11reduce_implILb1ES3_N6thrust23THRUST_200600_302600_NS11hip_rocprim26transform_input_iterator_tIlNS8_12zip_iteratorINS8_5tupleINS8_6detail15normal_iteratorINS8_10device_ptrIsEEEESH_NS8_9null_typeESI_SI_SI_SI_SI_SI_SI_EEEENS9_21zip_adj_not_predicateINS8_8equal_toIsEEEEEEPllNS8_4plusIlEEEE10hipError_tPvRmT1_T2_T3_mT4_P12ihipStream_tbEUlT_E0_NS1_11comp_targetILNS1_3genE3ELNS1_11target_archE908ELNS1_3gpuE7ELNS1_3repE0EEENS1_30default_config_static_selectorELNS0_4arch9wavefront6targetE1EEEvSW_.kd
    .uniform_work_group_size: 1
    .uses_dynamic_stack: false
    .vgpr_count:     0
    .vgpr_spill_count: 0
    .wavefront_size: 64
  - .args:
      - .offset:         0
        .size:           80
        .value_kind:     by_value
    .group_segment_fixed_size: 64
    .kernarg_segment_align: 8
    .kernarg_segment_size: 80
    .language:       OpenCL C
    .language_version:
      - 2
      - 0
    .max_flat_workgroup_size: 256
    .name:           _ZN7rocprim17ROCPRIM_400000_NS6detail17trampoline_kernelINS0_14default_configENS1_22reduce_config_selectorIlEEZNS1_11reduce_implILb1ES3_N6thrust23THRUST_200600_302600_NS11hip_rocprim26transform_input_iterator_tIlNS8_12zip_iteratorINS8_5tupleINS8_6detail15normal_iteratorINS8_10device_ptrIsEEEESH_NS8_9null_typeESI_SI_SI_SI_SI_SI_SI_EEEENS9_21zip_adj_not_predicateINS8_8equal_toIsEEEEEEPllNS8_4plusIlEEEE10hipError_tPvRmT1_T2_T3_mT4_P12ihipStream_tbEUlT_E0_NS1_11comp_targetILNS1_3genE2ELNS1_11target_archE906ELNS1_3gpuE6ELNS1_3repE0EEENS1_30default_config_static_selectorELNS0_4arch9wavefront6targetE1EEEvSW_
    .private_segment_fixed_size: 0
    .sgpr_count:     26
    .sgpr_spill_count: 0
    .symbol:         _ZN7rocprim17ROCPRIM_400000_NS6detail17trampoline_kernelINS0_14default_configENS1_22reduce_config_selectorIlEEZNS1_11reduce_implILb1ES3_N6thrust23THRUST_200600_302600_NS11hip_rocprim26transform_input_iterator_tIlNS8_12zip_iteratorINS8_5tupleINS8_6detail15normal_iteratorINS8_10device_ptrIsEEEESH_NS8_9null_typeESI_SI_SI_SI_SI_SI_SI_EEEENS9_21zip_adj_not_predicateINS8_8equal_toIsEEEEEEPllNS8_4plusIlEEEE10hipError_tPvRmT1_T2_T3_mT4_P12ihipStream_tbEUlT_E0_NS1_11comp_targetILNS1_3genE2ELNS1_11target_archE906ELNS1_3gpuE6ELNS1_3repE0EEENS1_30default_config_static_selectorELNS0_4arch9wavefront6targetE1EEEvSW_.kd
    .uniform_work_group_size: 1
    .uses_dynamic_stack: false
    .vgpr_count:     11
    .vgpr_spill_count: 0
    .wavefront_size: 64
  - .args:
      - .offset:         0
        .size:           80
        .value_kind:     by_value
    .group_segment_fixed_size: 0
    .kernarg_segment_align: 8
    .kernarg_segment_size: 80
    .language:       OpenCL C
    .language_version:
      - 2
      - 0
    .max_flat_workgroup_size: 256
    .name:           _ZN7rocprim17ROCPRIM_400000_NS6detail17trampoline_kernelINS0_14default_configENS1_22reduce_config_selectorIlEEZNS1_11reduce_implILb1ES3_N6thrust23THRUST_200600_302600_NS11hip_rocprim26transform_input_iterator_tIlNS8_12zip_iteratorINS8_5tupleINS8_6detail15normal_iteratorINS8_10device_ptrIsEEEESH_NS8_9null_typeESI_SI_SI_SI_SI_SI_SI_EEEENS9_21zip_adj_not_predicateINS8_8equal_toIsEEEEEEPllNS8_4plusIlEEEE10hipError_tPvRmT1_T2_T3_mT4_P12ihipStream_tbEUlT_E0_NS1_11comp_targetILNS1_3genE10ELNS1_11target_archE1201ELNS1_3gpuE5ELNS1_3repE0EEENS1_30default_config_static_selectorELNS0_4arch9wavefront6targetE1EEEvSW_
    .private_segment_fixed_size: 0
    .sgpr_count:     4
    .sgpr_spill_count: 0
    .symbol:         _ZN7rocprim17ROCPRIM_400000_NS6detail17trampoline_kernelINS0_14default_configENS1_22reduce_config_selectorIlEEZNS1_11reduce_implILb1ES3_N6thrust23THRUST_200600_302600_NS11hip_rocprim26transform_input_iterator_tIlNS8_12zip_iteratorINS8_5tupleINS8_6detail15normal_iteratorINS8_10device_ptrIsEEEESH_NS8_9null_typeESI_SI_SI_SI_SI_SI_SI_EEEENS9_21zip_adj_not_predicateINS8_8equal_toIsEEEEEEPllNS8_4plusIlEEEE10hipError_tPvRmT1_T2_T3_mT4_P12ihipStream_tbEUlT_E0_NS1_11comp_targetILNS1_3genE10ELNS1_11target_archE1201ELNS1_3gpuE5ELNS1_3repE0EEENS1_30default_config_static_selectorELNS0_4arch9wavefront6targetE1EEEvSW_.kd
    .uniform_work_group_size: 1
    .uses_dynamic_stack: false
    .vgpr_count:     0
    .vgpr_spill_count: 0
    .wavefront_size: 64
  - .args:
      - .offset:         0
        .size:           80
        .value_kind:     by_value
    .group_segment_fixed_size: 0
    .kernarg_segment_align: 8
    .kernarg_segment_size: 80
    .language:       OpenCL C
    .language_version:
      - 2
      - 0
    .max_flat_workgroup_size: 256
    .name:           _ZN7rocprim17ROCPRIM_400000_NS6detail17trampoline_kernelINS0_14default_configENS1_22reduce_config_selectorIlEEZNS1_11reduce_implILb1ES3_N6thrust23THRUST_200600_302600_NS11hip_rocprim26transform_input_iterator_tIlNS8_12zip_iteratorINS8_5tupleINS8_6detail15normal_iteratorINS8_10device_ptrIsEEEESH_NS8_9null_typeESI_SI_SI_SI_SI_SI_SI_EEEENS9_21zip_adj_not_predicateINS8_8equal_toIsEEEEEEPllNS8_4plusIlEEEE10hipError_tPvRmT1_T2_T3_mT4_P12ihipStream_tbEUlT_E0_NS1_11comp_targetILNS1_3genE10ELNS1_11target_archE1200ELNS1_3gpuE4ELNS1_3repE0EEENS1_30default_config_static_selectorELNS0_4arch9wavefront6targetE1EEEvSW_
    .private_segment_fixed_size: 0
    .sgpr_count:     4
    .sgpr_spill_count: 0
    .symbol:         _ZN7rocprim17ROCPRIM_400000_NS6detail17trampoline_kernelINS0_14default_configENS1_22reduce_config_selectorIlEEZNS1_11reduce_implILb1ES3_N6thrust23THRUST_200600_302600_NS11hip_rocprim26transform_input_iterator_tIlNS8_12zip_iteratorINS8_5tupleINS8_6detail15normal_iteratorINS8_10device_ptrIsEEEESH_NS8_9null_typeESI_SI_SI_SI_SI_SI_SI_EEEENS9_21zip_adj_not_predicateINS8_8equal_toIsEEEEEEPllNS8_4plusIlEEEE10hipError_tPvRmT1_T2_T3_mT4_P12ihipStream_tbEUlT_E0_NS1_11comp_targetILNS1_3genE10ELNS1_11target_archE1200ELNS1_3gpuE4ELNS1_3repE0EEENS1_30default_config_static_selectorELNS0_4arch9wavefront6targetE1EEEvSW_.kd
    .uniform_work_group_size: 1
    .uses_dynamic_stack: false
    .vgpr_count:     0
    .vgpr_spill_count: 0
    .wavefront_size: 64
  - .args:
      - .offset:         0
        .size:           80
        .value_kind:     by_value
    .group_segment_fixed_size: 0
    .kernarg_segment_align: 8
    .kernarg_segment_size: 80
    .language:       OpenCL C
    .language_version:
      - 2
      - 0
    .max_flat_workgroup_size: 256
    .name:           _ZN7rocprim17ROCPRIM_400000_NS6detail17trampoline_kernelINS0_14default_configENS1_22reduce_config_selectorIlEEZNS1_11reduce_implILb1ES3_N6thrust23THRUST_200600_302600_NS11hip_rocprim26transform_input_iterator_tIlNS8_12zip_iteratorINS8_5tupleINS8_6detail15normal_iteratorINS8_10device_ptrIsEEEESH_NS8_9null_typeESI_SI_SI_SI_SI_SI_SI_EEEENS9_21zip_adj_not_predicateINS8_8equal_toIsEEEEEEPllNS8_4plusIlEEEE10hipError_tPvRmT1_T2_T3_mT4_P12ihipStream_tbEUlT_E0_NS1_11comp_targetILNS1_3genE9ELNS1_11target_archE1100ELNS1_3gpuE3ELNS1_3repE0EEENS1_30default_config_static_selectorELNS0_4arch9wavefront6targetE1EEEvSW_
    .private_segment_fixed_size: 0
    .sgpr_count:     4
    .sgpr_spill_count: 0
    .symbol:         _ZN7rocprim17ROCPRIM_400000_NS6detail17trampoline_kernelINS0_14default_configENS1_22reduce_config_selectorIlEEZNS1_11reduce_implILb1ES3_N6thrust23THRUST_200600_302600_NS11hip_rocprim26transform_input_iterator_tIlNS8_12zip_iteratorINS8_5tupleINS8_6detail15normal_iteratorINS8_10device_ptrIsEEEESH_NS8_9null_typeESI_SI_SI_SI_SI_SI_SI_EEEENS9_21zip_adj_not_predicateINS8_8equal_toIsEEEEEEPllNS8_4plusIlEEEE10hipError_tPvRmT1_T2_T3_mT4_P12ihipStream_tbEUlT_E0_NS1_11comp_targetILNS1_3genE9ELNS1_11target_archE1100ELNS1_3gpuE3ELNS1_3repE0EEENS1_30default_config_static_selectorELNS0_4arch9wavefront6targetE1EEEvSW_.kd
    .uniform_work_group_size: 1
    .uses_dynamic_stack: false
    .vgpr_count:     0
    .vgpr_spill_count: 0
    .wavefront_size: 64
  - .args:
      - .offset:         0
        .size:           80
        .value_kind:     by_value
    .group_segment_fixed_size: 0
    .kernarg_segment_align: 8
    .kernarg_segment_size: 80
    .language:       OpenCL C
    .language_version:
      - 2
      - 0
    .max_flat_workgroup_size: 256
    .name:           _ZN7rocprim17ROCPRIM_400000_NS6detail17trampoline_kernelINS0_14default_configENS1_22reduce_config_selectorIlEEZNS1_11reduce_implILb1ES3_N6thrust23THRUST_200600_302600_NS11hip_rocprim26transform_input_iterator_tIlNS8_12zip_iteratorINS8_5tupleINS8_6detail15normal_iteratorINS8_10device_ptrIsEEEESH_NS8_9null_typeESI_SI_SI_SI_SI_SI_SI_EEEENS9_21zip_adj_not_predicateINS8_8equal_toIsEEEEEEPllNS8_4plusIlEEEE10hipError_tPvRmT1_T2_T3_mT4_P12ihipStream_tbEUlT_E0_NS1_11comp_targetILNS1_3genE8ELNS1_11target_archE1030ELNS1_3gpuE2ELNS1_3repE0EEENS1_30default_config_static_selectorELNS0_4arch9wavefront6targetE1EEEvSW_
    .private_segment_fixed_size: 0
    .sgpr_count:     4
    .sgpr_spill_count: 0
    .symbol:         _ZN7rocprim17ROCPRIM_400000_NS6detail17trampoline_kernelINS0_14default_configENS1_22reduce_config_selectorIlEEZNS1_11reduce_implILb1ES3_N6thrust23THRUST_200600_302600_NS11hip_rocprim26transform_input_iterator_tIlNS8_12zip_iteratorINS8_5tupleINS8_6detail15normal_iteratorINS8_10device_ptrIsEEEESH_NS8_9null_typeESI_SI_SI_SI_SI_SI_SI_EEEENS9_21zip_adj_not_predicateINS8_8equal_toIsEEEEEEPllNS8_4plusIlEEEE10hipError_tPvRmT1_T2_T3_mT4_P12ihipStream_tbEUlT_E0_NS1_11comp_targetILNS1_3genE8ELNS1_11target_archE1030ELNS1_3gpuE2ELNS1_3repE0EEENS1_30default_config_static_selectorELNS0_4arch9wavefront6targetE1EEEvSW_.kd
    .uniform_work_group_size: 1
    .uses_dynamic_stack: false
    .vgpr_count:     0
    .vgpr_spill_count: 0
    .wavefront_size: 64
  - .args:
      - .offset:         0
        .size:           64
        .value_kind:     by_value
    .group_segment_fixed_size: 0
    .kernarg_segment_align: 8
    .kernarg_segment_size: 64
    .language:       OpenCL C
    .language_version:
      - 2
      - 0
    .max_flat_workgroup_size: 256
    .name:           _ZN7rocprim17ROCPRIM_400000_NS6detail17trampoline_kernelINS0_14default_configENS1_22reduce_config_selectorIlEEZNS1_11reduce_implILb1ES3_N6thrust23THRUST_200600_302600_NS11hip_rocprim26transform_input_iterator_tIlNS8_12zip_iteratorINS8_5tupleINS8_6detail15normal_iteratorINS8_10device_ptrIsEEEESH_NS8_9null_typeESI_SI_SI_SI_SI_SI_SI_EEEENS9_21zip_adj_not_predicateINS8_8equal_toIsEEEEEEPllNS8_4plusIlEEEE10hipError_tPvRmT1_T2_T3_mT4_P12ihipStream_tbEUlT_E1_NS1_11comp_targetILNS1_3genE0ELNS1_11target_archE4294967295ELNS1_3gpuE0ELNS1_3repE0EEENS1_30default_config_static_selectorELNS0_4arch9wavefront6targetE1EEEvSW_
    .private_segment_fixed_size: 0
    .sgpr_count:     4
    .sgpr_spill_count: 0
    .symbol:         _ZN7rocprim17ROCPRIM_400000_NS6detail17trampoline_kernelINS0_14default_configENS1_22reduce_config_selectorIlEEZNS1_11reduce_implILb1ES3_N6thrust23THRUST_200600_302600_NS11hip_rocprim26transform_input_iterator_tIlNS8_12zip_iteratorINS8_5tupleINS8_6detail15normal_iteratorINS8_10device_ptrIsEEEESH_NS8_9null_typeESI_SI_SI_SI_SI_SI_SI_EEEENS9_21zip_adj_not_predicateINS8_8equal_toIsEEEEEEPllNS8_4plusIlEEEE10hipError_tPvRmT1_T2_T3_mT4_P12ihipStream_tbEUlT_E1_NS1_11comp_targetILNS1_3genE0ELNS1_11target_archE4294967295ELNS1_3gpuE0ELNS1_3repE0EEENS1_30default_config_static_selectorELNS0_4arch9wavefront6targetE1EEEvSW_.kd
    .uniform_work_group_size: 1
    .uses_dynamic_stack: false
    .vgpr_count:     0
    .vgpr_spill_count: 0
    .wavefront_size: 64
  - .args:
      - .offset:         0
        .size:           64
        .value_kind:     by_value
    .group_segment_fixed_size: 0
    .kernarg_segment_align: 8
    .kernarg_segment_size: 64
    .language:       OpenCL C
    .language_version:
      - 2
      - 0
    .max_flat_workgroup_size: 256
    .name:           _ZN7rocprim17ROCPRIM_400000_NS6detail17trampoline_kernelINS0_14default_configENS1_22reduce_config_selectorIlEEZNS1_11reduce_implILb1ES3_N6thrust23THRUST_200600_302600_NS11hip_rocprim26transform_input_iterator_tIlNS8_12zip_iteratorINS8_5tupleINS8_6detail15normal_iteratorINS8_10device_ptrIsEEEESH_NS8_9null_typeESI_SI_SI_SI_SI_SI_SI_EEEENS9_21zip_adj_not_predicateINS8_8equal_toIsEEEEEEPllNS8_4plusIlEEEE10hipError_tPvRmT1_T2_T3_mT4_P12ihipStream_tbEUlT_E1_NS1_11comp_targetILNS1_3genE5ELNS1_11target_archE942ELNS1_3gpuE9ELNS1_3repE0EEENS1_30default_config_static_selectorELNS0_4arch9wavefront6targetE1EEEvSW_
    .private_segment_fixed_size: 0
    .sgpr_count:     4
    .sgpr_spill_count: 0
    .symbol:         _ZN7rocprim17ROCPRIM_400000_NS6detail17trampoline_kernelINS0_14default_configENS1_22reduce_config_selectorIlEEZNS1_11reduce_implILb1ES3_N6thrust23THRUST_200600_302600_NS11hip_rocprim26transform_input_iterator_tIlNS8_12zip_iteratorINS8_5tupleINS8_6detail15normal_iteratorINS8_10device_ptrIsEEEESH_NS8_9null_typeESI_SI_SI_SI_SI_SI_SI_EEEENS9_21zip_adj_not_predicateINS8_8equal_toIsEEEEEEPllNS8_4plusIlEEEE10hipError_tPvRmT1_T2_T3_mT4_P12ihipStream_tbEUlT_E1_NS1_11comp_targetILNS1_3genE5ELNS1_11target_archE942ELNS1_3gpuE9ELNS1_3repE0EEENS1_30default_config_static_selectorELNS0_4arch9wavefront6targetE1EEEvSW_.kd
    .uniform_work_group_size: 1
    .uses_dynamic_stack: false
    .vgpr_count:     0
    .vgpr_spill_count: 0
    .wavefront_size: 64
  - .args:
      - .offset:         0
        .size:           64
        .value_kind:     by_value
    .group_segment_fixed_size: 0
    .kernarg_segment_align: 8
    .kernarg_segment_size: 64
    .language:       OpenCL C
    .language_version:
      - 2
      - 0
    .max_flat_workgroup_size: 256
    .name:           _ZN7rocprim17ROCPRIM_400000_NS6detail17trampoline_kernelINS0_14default_configENS1_22reduce_config_selectorIlEEZNS1_11reduce_implILb1ES3_N6thrust23THRUST_200600_302600_NS11hip_rocprim26transform_input_iterator_tIlNS8_12zip_iteratorINS8_5tupleINS8_6detail15normal_iteratorINS8_10device_ptrIsEEEESH_NS8_9null_typeESI_SI_SI_SI_SI_SI_SI_EEEENS9_21zip_adj_not_predicateINS8_8equal_toIsEEEEEEPllNS8_4plusIlEEEE10hipError_tPvRmT1_T2_T3_mT4_P12ihipStream_tbEUlT_E1_NS1_11comp_targetILNS1_3genE4ELNS1_11target_archE910ELNS1_3gpuE8ELNS1_3repE0EEENS1_30default_config_static_selectorELNS0_4arch9wavefront6targetE1EEEvSW_
    .private_segment_fixed_size: 0
    .sgpr_count:     4
    .sgpr_spill_count: 0
    .symbol:         _ZN7rocprim17ROCPRIM_400000_NS6detail17trampoline_kernelINS0_14default_configENS1_22reduce_config_selectorIlEEZNS1_11reduce_implILb1ES3_N6thrust23THRUST_200600_302600_NS11hip_rocprim26transform_input_iterator_tIlNS8_12zip_iteratorINS8_5tupleINS8_6detail15normal_iteratorINS8_10device_ptrIsEEEESH_NS8_9null_typeESI_SI_SI_SI_SI_SI_SI_EEEENS9_21zip_adj_not_predicateINS8_8equal_toIsEEEEEEPllNS8_4plusIlEEEE10hipError_tPvRmT1_T2_T3_mT4_P12ihipStream_tbEUlT_E1_NS1_11comp_targetILNS1_3genE4ELNS1_11target_archE910ELNS1_3gpuE8ELNS1_3repE0EEENS1_30default_config_static_selectorELNS0_4arch9wavefront6targetE1EEEvSW_.kd
    .uniform_work_group_size: 1
    .uses_dynamic_stack: false
    .vgpr_count:     0
    .vgpr_spill_count: 0
    .wavefront_size: 64
  - .args:
      - .offset:         0
        .size:           64
        .value_kind:     by_value
    .group_segment_fixed_size: 0
    .kernarg_segment_align: 8
    .kernarg_segment_size: 64
    .language:       OpenCL C
    .language_version:
      - 2
      - 0
    .max_flat_workgroup_size: 256
    .name:           _ZN7rocprim17ROCPRIM_400000_NS6detail17trampoline_kernelINS0_14default_configENS1_22reduce_config_selectorIlEEZNS1_11reduce_implILb1ES3_N6thrust23THRUST_200600_302600_NS11hip_rocprim26transform_input_iterator_tIlNS8_12zip_iteratorINS8_5tupleINS8_6detail15normal_iteratorINS8_10device_ptrIsEEEESH_NS8_9null_typeESI_SI_SI_SI_SI_SI_SI_EEEENS9_21zip_adj_not_predicateINS8_8equal_toIsEEEEEEPllNS8_4plusIlEEEE10hipError_tPvRmT1_T2_T3_mT4_P12ihipStream_tbEUlT_E1_NS1_11comp_targetILNS1_3genE3ELNS1_11target_archE908ELNS1_3gpuE7ELNS1_3repE0EEENS1_30default_config_static_selectorELNS0_4arch9wavefront6targetE1EEEvSW_
    .private_segment_fixed_size: 0
    .sgpr_count:     4
    .sgpr_spill_count: 0
    .symbol:         _ZN7rocprim17ROCPRIM_400000_NS6detail17trampoline_kernelINS0_14default_configENS1_22reduce_config_selectorIlEEZNS1_11reduce_implILb1ES3_N6thrust23THRUST_200600_302600_NS11hip_rocprim26transform_input_iterator_tIlNS8_12zip_iteratorINS8_5tupleINS8_6detail15normal_iteratorINS8_10device_ptrIsEEEESH_NS8_9null_typeESI_SI_SI_SI_SI_SI_SI_EEEENS9_21zip_adj_not_predicateINS8_8equal_toIsEEEEEEPllNS8_4plusIlEEEE10hipError_tPvRmT1_T2_T3_mT4_P12ihipStream_tbEUlT_E1_NS1_11comp_targetILNS1_3genE3ELNS1_11target_archE908ELNS1_3gpuE7ELNS1_3repE0EEENS1_30default_config_static_selectorELNS0_4arch9wavefront6targetE1EEEvSW_.kd
    .uniform_work_group_size: 1
    .uses_dynamic_stack: false
    .vgpr_count:     0
    .vgpr_spill_count: 0
    .wavefront_size: 64
  - .args:
      - .offset:         0
        .size:           64
        .value_kind:     by_value
    .group_segment_fixed_size: 192
    .kernarg_segment_align: 8
    .kernarg_segment_size: 64
    .language:       OpenCL C
    .language_version:
      - 2
      - 0
    .max_flat_workgroup_size: 256
    .name:           _ZN7rocprim17ROCPRIM_400000_NS6detail17trampoline_kernelINS0_14default_configENS1_22reduce_config_selectorIlEEZNS1_11reduce_implILb1ES3_N6thrust23THRUST_200600_302600_NS11hip_rocprim26transform_input_iterator_tIlNS8_12zip_iteratorINS8_5tupleINS8_6detail15normal_iteratorINS8_10device_ptrIsEEEESH_NS8_9null_typeESI_SI_SI_SI_SI_SI_SI_EEEENS9_21zip_adj_not_predicateINS8_8equal_toIsEEEEEEPllNS8_4plusIlEEEE10hipError_tPvRmT1_T2_T3_mT4_P12ihipStream_tbEUlT_E1_NS1_11comp_targetILNS1_3genE2ELNS1_11target_archE906ELNS1_3gpuE6ELNS1_3repE0EEENS1_30default_config_static_selectorELNS0_4arch9wavefront6targetE1EEEvSW_
    .private_segment_fixed_size: 0
    .sgpr_count:     38
    .sgpr_spill_count: 0
    .symbol:         _ZN7rocprim17ROCPRIM_400000_NS6detail17trampoline_kernelINS0_14default_configENS1_22reduce_config_selectorIlEEZNS1_11reduce_implILb1ES3_N6thrust23THRUST_200600_302600_NS11hip_rocprim26transform_input_iterator_tIlNS8_12zip_iteratorINS8_5tupleINS8_6detail15normal_iteratorINS8_10device_ptrIsEEEESH_NS8_9null_typeESI_SI_SI_SI_SI_SI_SI_EEEENS9_21zip_adj_not_predicateINS8_8equal_toIsEEEEEEPllNS8_4plusIlEEEE10hipError_tPvRmT1_T2_T3_mT4_P12ihipStream_tbEUlT_E1_NS1_11comp_targetILNS1_3genE2ELNS1_11target_archE906ELNS1_3gpuE6ELNS1_3repE0EEENS1_30default_config_static_selectorELNS0_4arch9wavefront6targetE1EEEvSW_.kd
    .uniform_work_group_size: 1
    .uses_dynamic_stack: false
    .vgpr_count:     36
    .vgpr_spill_count: 0
    .wavefront_size: 64
  - .args:
      - .offset:         0
        .size:           64
        .value_kind:     by_value
    .group_segment_fixed_size: 0
    .kernarg_segment_align: 8
    .kernarg_segment_size: 64
    .language:       OpenCL C
    .language_version:
      - 2
      - 0
    .max_flat_workgroup_size: 256
    .name:           _ZN7rocprim17ROCPRIM_400000_NS6detail17trampoline_kernelINS0_14default_configENS1_22reduce_config_selectorIlEEZNS1_11reduce_implILb1ES3_N6thrust23THRUST_200600_302600_NS11hip_rocprim26transform_input_iterator_tIlNS8_12zip_iteratorINS8_5tupleINS8_6detail15normal_iteratorINS8_10device_ptrIsEEEESH_NS8_9null_typeESI_SI_SI_SI_SI_SI_SI_EEEENS9_21zip_adj_not_predicateINS8_8equal_toIsEEEEEEPllNS8_4plusIlEEEE10hipError_tPvRmT1_T2_T3_mT4_P12ihipStream_tbEUlT_E1_NS1_11comp_targetILNS1_3genE10ELNS1_11target_archE1201ELNS1_3gpuE5ELNS1_3repE0EEENS1_30default_config_static_selectorELNS0_4arch9wavefront6targetE1EEEvSW_
    .private_segment_fixed_size: 0
    .sgpr_count:     4
    .sgpr_spill_count: 0
    .symbol:         _ZN7rocprim17ROCPRIM_400000_NS6detail17trampoline_kernelINS0_14default_configENS1_22reduce_config_selectorIlEEZNS1_11reduce_implILb1ES3_N6thrust23THRUST_200600_302600_NS11hip_rocprim26transform_input_iterator_tIlNS8_12zip_iteratorINS8_5tupleINS8_6detail15normal_iteratorINS8_10device_ptrIsEEEESH_NS8_9null_typeESI_SI_SI_SI_SI_SI_SI_EEEENS9_21zip_adj_not_predicateINS8_8equal_toIsEEEEEEPllNS8_4plusIlEEEE10hipError_tPvRmT1_T2_T3_mT4_P12ihipStream_tbEUlT_E1_NS1_11comp_targetILNS1_3genE10ELNS1_11target_archE1201ELNS1_3gpuE5ELNS1_3repE0EEENS1_30default_config_static_selectorELNS0_4arch9wavefront6targetE1EEEvSW_.kd
    .uniform_work_group_size: 1
    .uses_dynamic_stack: false
    .vgpr_count:     0
    .vgpr_spill_count: 0
    .wavefront_size: 64
  - .args:
      - .offset:         0
        .size:           64
        .value_kind:     by_value
    .group_segment_fixed_size: 0
    .kernarg_segment_align: 8
    .kernarg_segment_size: 64
    .language:       OpenCL C
    .language_version:
      - 2
      - 0
    .max_flat_workgroup_size: 256
    .name:           _ZN7rocprim17ROCPRIM_400000_NS6detail17trampoline_kernelINS0_14default_configENS1_22reduce_config_selectorIlEEZNS1_11reduce_implILb1ES3_N6thrust23THRUST_200600_302600_NS11hip_rocprim26transform_input_iterator_tIlNS8_12zip_iteratorINS8_5tupleINS8_6detail15normal_iteratorINS8_10device_ptrIsEEEESH_NS8_9null_typeESI_SI_SI_SI_SI_SI_SI_EEEENS9_21zip_adj_not_predicateINS8_8equal_toIsEEEEEEPllNS8_4plusIlEEEE10hipError_tPvRmT1_T2_T3_mT4_P12ihipStream_tbEUlT_E1_NS1_11comp_targetILNS1_3genE10ELNS1_11target_archE1200ELNS1_3gpuE4ELNS1_3repE0EEENS1_30default_config_static_selectorELNS0_4arch9wavefront6targetE1EEEvSW_
    .private_segment_fixed_size: 0
    .sgpr_count:     4
    .sgpr_spill_count: 0
    .symbol:         _ZN7rocprim17ROCPRIM_400000_NS6detail17trampoline_kernelINS0_14default_configENS1_22reduce_config_selectorIlEEZNS1_11reduce_implILb1ES3_N6thrust23THRUST_200600_302600_NS11hip_rocprim26transform_input_iterator_tIlNS8_12zip_iteratorINS8_5tupleINS8_6detail15normal_iteratorINS8_10device_ptrIsEEEESH_NS8_9null_typeESI_SI_SI_SI_SI_SI_SI_EEEENS9_21zip_adj_not_predicateINS8_8equal_toIsEEEEEEPllNS8_4plusIlEEEE10hipError_tPvRmT1_T2_T3_mT4_P12ihipStream_tbEUlT_E1_NS1_11comp_targetILNS1_3genE10ELNS1_11target_archE1200ELNS1_3gpuE4ELNS1_3repE0EEENS1_30default_config_static_selectorELNS0_4arch9wavefront6targetE1EEEvSW_.kd
    .uniform_work_group_size: 1
    .uses_dynamic_stack: false
    .vgpr_count:     0
    .vgpr_spill_count: 0
    .wavefront_size: 64
  - .args:
      - .offset:         0
        .size:           64
        .value_kind:     by_value
    .group_segment_fixed_size: 0
    .kernarg_segment_align: 8
    .kernarg_segment_size: 64
    .language:       OpenCL C
    .language_version:
      - 2
      - 0
    .max_flat_workgroup_size: 256
    .name:           _ZN7rocprim17ROCPRIM_400000_NS6detail17trampoline_kernelINS0_14default_configENS1_22reduce_config_selectorIlEEZNS1_11reduce_implILb1ES3_N6thrust23THRUST_200600_302600_NS11hip_rocprim26transform_input_iterator_tIlNS8_12zip_iteratorINS8_5tupleINS8_6detail15normal_iteratorINS8_10device_ptrIsEEEESH_NS8_9null_typeESI_SI_SI_SI_SI_SI_SI_EEEENS9_21zip_adj_not_predicateINS8_8equal_toIsEEEEEEPllNS8_4plusIlEEEE10hipError_tPvRmT1_T2_T3_mT4_P12ihipStream_tbEUlT_E1_NS1_11comp_targetILNS1_3genE9ELNS1_11target_archE1100ELNS1_3gpuE3ELNS1_3repE0EEENS1_30default_config_static_selectorELNS0_4arch9wavefront6targetE1EEEvSW_
    .private_segment_fixed_size: 0
    .sgpr_count:     4
    .sgpr_spill_count: 0
    .symbol:         _ZN7rocprim17ROCPRIM_400000_NS6detail17trampoline_kernelINS0_14default_configENS1_22reduce_config_selectorIlEEZNS1_11reduce_implILb1ES3_N6thrust23THRUST_200600_302600_NS11hip_rocprim26transform_input_iterator_tIlNS8_12zip_iteratorINS8_5tupleINS8_6detail15normal_iteratorINS8_10device_ptrIsEEEESH_NS8_9null_typeESI_SI_SI_SI_SI_SI_SI_EEEENS9_21zip_adj_not_predicateINS8_8equal_toIsEEEEEEPllNS8_4plusIlEEEE10hipError_tPvRmT1_T2_T3_mT4_P12ihipStream_tbEUlT_E1_NS1_11comp_targetILNS1_3genE9ELNS1_11target_archE1100ELNS1_3gpuE3ELNS1_3repE0EEENS1_30default_config_static_selectorELNS0_4arch9wavefront6targetE1EEEvSW_.kd
    .uniform_work_group_size: 1
    .uses_dynamic_stack: false
    .vgpr_count:     0
    .vgpr_spill_count: 0
    .wavefront_size: 64
  - .args:
      - .offset:         0
        .size:           64
        .value_kind:     by_value
    .group_segment_fixed_size: 0
    .kernarg_segment_align: 8
    .kernarg_segment_size: 64
    .language:       OpenCL C
    .language_version:
      - 2
      - 0
    .max_flat_workgroup_size: 256
    .name:           _ZN7rocprim17ROCPRIM_400000_NS6detail17trampoline_kernelINS0_14default_configENS1_22reduce_config_selectorIlEEZNS1_11reduce_implILb1ES3_N6thrust23THRUST_200600_302600_NS11hip_rocprim26transform_input_iterator_tIlNS8_12zip_iteratorINS8_5tupleINS8_6detail15normal_iteratorINS8_10device_ptrIsEEEESH_NS8_9null_typeESI_SI_SI_SI_SI_SI_SI_EEEENS9_21zip_adj_not_predicateINS8_8equal_toIsEEEEEEPllNS8_4plusIlEEEE10hipError_tPvRmT1_T2_T3_mT4_P12ihipStream_tbEUlT_E1_NS1_11comp_targetILNS1_3genE8ELNS1_11target_archE1030ELNS1_3gpuE2ELNS1_3repE0EEENS1_30default_config_static_selectorELNS0_4arch9wavefront6targetE1EEEvSW_
    .private_segment_fixed_size: 0
    .sgpr_count:     4
    .sgpr_spill_count: 0
    .symbol:         _ZN7rocprim17ROCPRIM_400000_NS6detail17trampoline_kernelINS0_14default_configENS1_22reduce_config_selectorIlEEZNS1_11reduce_implILb1ES3_N6thrust23THRUST_200600_302600_NS11hip_rocprim26transform_input_iterator_tIlNS8_12zip_iteratorINS8_5tupleINS8_6detail15normal_iteratorINS8_10device_ptrIsEEEESH_NS8_9null_typeESI_SI_SI_SI_SI_SI_SI_EEEENS9_21zip_adj_not_predicateINS8_8equal_toIsEEEEEEPllNS8_4plusIlEEEE10hipError_tPvRmT1_T2_T3_mT4_P12ihipStream_tbEUlT_E1_NS1_11comp_targetILNS1_3genE8ELNS1_11target_archE1030ELNS1_3gpuE2ELNS1_3repE0EEENS1_30default_config_static_selectorELNS0_4arch9wavefront6targetE1EEEvSW_.kd
    .uniform_work_group_size: 1
    .uses_dynamic_stack: false
    .vgpr_count:     0
    .vgpr_spill_count: 0
    .wavefront_size: 64
  - .args:
      - .offset:         0
        .size:           80
        .value_kind:     by_value
    .group_segment_fixed_size: 0
    .kernarg_segment_align: 8
    .kernarg_segment_size: 80
    .language:       OpenCL C
    .language_version:
      - 2
      - 0
    .max_flat_workgroup_size: 256
    .name:           _ZN7rocprim17ROCPRIM_400000_NS6detail17trampoline_kernelINS0_14default_configENS1_22reduce_config_selectorIlEEZNS1_11reduce_implILb1ES3_N6thrust23THRUST_200600_302600_NS11hip_rocprim26transform_input_iterator_tIlNS8_12zip_iteratorINS8_5tupleINS8_6detail15normal_iteratorINS8_10device_ptrIsEEEESH_NS8_9null_typeESI_SI_SI_SI_SI_SI_SI_EEEENS9_21zip_adj_not_predicateI22is_equal_div_10_uniqueIsEEEEEPllNS8_4plusIlEEEE10hipError_tPvRmT1_T2_T3_mT4_P12ihipStream_tbEUlT_E0_NS1_11comp_targetILNS1_3genE0ELNS1_11target_archE4294967295ELNS1_3gpuE0ELNS1_3repE0EEENS1_30default_config_static_selectorELNS0_4arch9wavefront6targetE1EEEvSW_
    .private_segment_fixed_size: 0
    .sgpr_count:     4
    .sgpr_spill_count: 0
    .symbol:         _ZN7rocprim17ROCPRIM_400000_NS6detail17trampoline_kernelINS0_14default_configENS1_22reduce_config_selectorIlEEZNS1_11reduce_implILb1ES3_N6thrust23THRUST_200600_302600_NS11hip_rocprim26transform_input_iterator_tIlNS8_12zip_iteratorINS8_5tupleINS8_6detail15normal_iteratorINS8_10device_ptrIsEEEESH_NS8_9null_typeESI_SI_SI_SI_SI_SI_SI_EEEENS9_21zip_adj_not_predicateI22is_equal_div_10_uniqueIsEEEEEPllNS8_4plusIlEEEE10hipError_tPvRmT1_T2_T3_mT4_P12ihipStream_tbEUlT_E0_NS1_11comp_targetILNS1_3genE0ELNS1_11target_archE4294967295ELNS1_3gpuE0ELNS1_3repE0EEENS1_30default_config_static_selectorELNS0_4arch9wavefront6targetE1EEEvSW_.kd
    .uniform_work_group_size: 1
    .uses_dynamic_stack: false
    .vgpr_count:     0
    .vgpr_spill_count: 0
    .wavefront_size: 64
  - .args:
      - .offset:         0
        .size:           80
        .value_kind:     by_value
    .group_segment_fixed_size: 0
    .kernarg_segment_align: 8
    .kernarg_segment_size: 80
    .language:       OpenCL C
    .language_version:
      - 2
      - 0
    .max_flat_workgroup_size: 256
    .name:           _ZN7rocprim17ROCPRIM_400000_NS6detail17trampoline_kernelINS0_14default_configENS1_22reduce_config_selectorIlEEZNS1_11reduce_implILb1ES3_N6thrust23THRUST_200600_302600_NS11hip_rocprim26transform_input_iterator_tIlNS8_12zip_iteratorINS8_5tupleINS8_6detail15normal_iteratorINS8_10device_ptrIsEEEESH_NS8_9null_typeESI_SI_SI_SI_SI_SI_SI_EEEENS9_21zip_adj_not_predicateI22is_equal_div_10_uniqueIsEEEEEPllNS8_4plusIlEEEE10hipError_tPvRmT1_T2_T3_mT4_P12ihipStream_tbEUlT_E0_NS1_11comp_targetILNS1_3genE5ELNS1_11target_archE942ELNS1_3gpuE9ELNS1_3repE0EEENS1_30default_config_static_selectorELNS0_4arch9wavefront6targetE1EEEvSW_
    .private_segment_fixed_size: 0
    .sgpr_count:     4
    .sgpr_spill_count: 0
    .symbol:         _ZN7rocprim17ROCPRIM_400000_NS6detail17trampoline_kernelINS0_14default_configENS1_22reduce_config_selectorIlEEZNS1_11reduce_implILb1ES3_N6thrust23THRUST_200600_302600_NS11hip_rocprim26transform_input_iterator_tIlNS8_12zip_iteratorINS8_5tupleINS8_6detail15normal_iteratorINS8_10device_ptrIsEEEESH_NS8_9null_typeESI_SI_SI_SI_SI_SI_SI_EEEENS9_21zip_adj_not_predicateI22is_equal_div_10_uniqueIsEEEEEPllNS8_4plusIlEEEE10hipError_tPvRmT1_T2_T3_mT4_P12ihipStream_tbEUlT_E0_NS1_11comp_targetILNS1_3genE5ELNS1_11target_archE942ELNS1_3gpuE9ELNS1_3repE0EEENS1_30default_config_static_selectorELNS0_4arch9wavefront6targetE1EEEvSW_.kd
    .uniform_work_group_size: 1
    .uses_dynamic_stack: false
    .vgpr_count:     0
    .vgpr_spill_count: 0
    .wavefront_size: 64
  - .args:
      - .offset:         0
        .size:           80
        .value_kind:     by_value
    .group_segment_fixed_size: 0
    .kernarg_segment_align: 8
    .kernarg_segment_size: 80
    .language:       OpenCL C
    .language_version:
      - 2
      - 0
    .max_flat_workgroup_size: 256
    .name:           _ZN7rocprim17ROCPRIM_400000_NS6detail17trampoline_kernelINS0_14default_configENS1_22reduce_config_selectorIlEEZNS1_11reduce_implILb1ES3_N6thrust23THRUST_200600_302600_NS11hip_rocprim26transform_input_iterator_tIlNS8_12zip_iteratorINS8_5tupleINS8_6detail15normal_iteratorINS8_10device_ptrIsEEEESH_NS8_9null_typeESI_SI_SI_SI_SI_SI_SI_EEEENS9_21zip_adj_not_predicateI22is_equal_div_10_uniqueIsEEEEEPllNS8_4plusIlEEEE10hipError_tPvRmT1_T2_T3_mT4_P12ihipStream_tbEUlT_E0_NS1_11comp_targetILNS1_3genE4ELNS1_11target_archE910ELNS1_3gpuE8ELNS1_3repE0EEENS1_30default_config_static_selectorELNS0_4arch9wavefront6targetE1EEEvSW_
    .private_segment_fixed_size: 0
    .sgpr_count:     4
    .sgpr_spill_count: 0
    .symbol:         _ZN7rocprim17ROCPRIM_400000_NS6detail17trampoline_kernelINS0_14default_configENS1_22reduce_config_selectorIlEEZNS1_11reduce_implILb1ES3_N6thrust23THRUST_200600_302600_NS11hip_rocprim26transform_input_iterator_tIlNS8_12zip_iteratorINS8_5tupleINS8_6detail15normal_iteratorINS8_10device_ptrIsEEEESH_NS8_9null_typeESI_SI_SI_SI_SI_SI_SI_EEEENS9_21zip_adj_not_predicateI22is_equal_div_10_uniqueIsEEEEEPllNS8_4plusIlEEEE10hipError_tPvRmT1_T2_T3_mT4_P12ihipStream_tbEUlT_E0_NS1_11comp_targetILNS1_3genE4ELNS1_11target_archE910ELNS1_3gpuE8ELNS1_3repE0EEENS1_30default_config_static_selectorELNS0_4arch9wavefront6targetE1EEEvSW_.kd
    .uniform_work_group_size: 1
    .uses_dynamic_stack: false
    .vgpr_count:     0
    .vgpr_spill_count: 0
    .wavefront_size: 64
  - .args:
      - .offset:         0
        .size:           80
        .value_kind:     by_value
    .group_segment_fixed_size: 0
    .kernarg_segment_align: 8
    .kernarg_segment_size: 80
    .language:       OpenCL C
    .language_version:
      - 2
      - 0
    .max_flat_workgroup_size: 256
    .name:           _ZN7rocprim17ROCPRIM_400000_NS6detail17trampoline_kernelINS0_14default_configENS1_22reduce_config_selectorIlEEZNS1_11reduce_implILb1ES3_N6thrust23THRUST_200600_302600_NS11hip_rocprim26transform_input_iterator_tIlNS8_12zip_iteratorINS8_5tupleINS8_6detail15normal_iteratorINS8_10device_ptrIsEEEESH_NS8_9null_typeESI_SI_SI_SI_SI_SI_SI_EEEENS9_21zip_adj_not_predicateI22is_equal_div_10_uniqueIsEEEEEPllNS8_4plusIlEEEE10hipError_tPvRmT1_T2_T3_mT4_P12ihipStream_tbEUlT_E0_NS1_11comp_targetILNS1_3genE3ELNS1_11target_archE908ELNS1_3gpuE7ELNS1_3repE0EEENS1_30default_config_static_selectorELNS0_4arch9wavefront6targetE1EEEvSW_
    .private_segment_fixed_size: 0
    .sgpr_count:     4
    .sgpr_spill_count: 0
    .symbol:         _ZN7rocprim17ROCPRIM_400000_NS6detail17trampoline_kernelINS0_14default_configENS1_22reduce_config_selectorIlEEZNS1_11reduce_implILb1ES3_N6thrust23THRUST_200600_302600_NS11hip_rocprim26transform_input_iterator_tIlNS8_12zip_iteratorINS8_5tupleINS8_6detail15normal_iteratorINS8_10device_ptrIsEEEESH_NS8_9null_typeESI_SI_SI_SI_SI_SI_SI_EEEENS9_21zip_adj_not_predicateI22is_equal_div_10_uniqueIsEEEEEPllNS8_4plusIlEEEE10hipError_tPvRmT1_T2_T3_mT4_P12ihipStream_tbEUlT_E0_NS1_11comp_targetILNS1_3genE3ELNS1_11target_archE908ELNS1_3gpuE7ELNS1_3repE0EEENS1_30default_config_static_selectorELNS0_4arch9wavefront6targetE1EEEvSW_.kd
    .uniform_work_group_size: 1
    .uses_dynamic_stack: false
    .vgpr_count:     0
    .vgpr_spill_count: 0
    .wavefront_size: 64
  - .args:
      - .offset:         0
        .size:           80
        .value_kind:     by_value
    .group_segment_fixed_size: 64
    .kernarg_segment_align: 8
    .kernarg_segment_size: 80
    .language:       OpenCL C
    .language_version:
      - 2
      - 0
    .max_flat_workgroup_size: 256
    .name:           _ZN7rocprim17ROCPRIM_400000_NS6detail17trampoline_kernelINS0_14default_configENS1_22reduce_config_selectorIlEEZNS1_11reduce_implILb1ES3_N6thrust23THRUST_200600_302600_NS11hip_rocprim26transform_input_iterator_tIlNS8_12zip_iteratorINS8_5tupleINS8_6detail15normal_iteratorINS8_10device_ptrIsEEEESH_NS8_9null_typeESI_SI_SI_SI_SI_SI_SI_EEEENS9_21zip_adj_not_predicateI22is_equal_div_10_uniqueIsEEEEEPllNS8_4plusIlEEEE10hipError_tPvRmT1_T2_T3_mT4_P12ihipStream_tbEUlT_E0_NS1_11comp_targetILNS1_3genE2ELNS1_11target_archE906ELNS1_3gpuE6ELNS1_3repE0EEENS1_30default_config_static_selectorELNS0_4arch9wavefront6targetE1EEEvSW_
    .private_segment_fixed_size: 0
    .sgpr_count:     26
    .sgpr_spill_count: 0
    .symbol:         _ZN7rocprim17ROCPRIM_400000_NS6detail17trampoline_kernelINS0_14default_configENS1_22reduce_config_selectorIlEEZNS1_11reduce_implILb1ES3_N6thrust23THRUST_200600_302600_NS11hip_rocprim26transform_input_iterator_tIlNS8_12zip_iteratorINS8_5tupleINS8_6detail15normal_iteratorINS8_10device_ptrIsEEEESH_NS8_9null_typeESI_SI_SI_SI_SI_SI_SI_EEEENS9_21zip_adj_not_predicateI22is_equal_div_10_uniqueIsEEEEEPllNS8_4plusIlEEEE10hipError_tPvRmT1_T2_T3_mT4_P12ihipStream_tbEUlT_E0_NS1_11comp_targetILNS1_3genE2ELNS1_11target_archE906ELNS1_3gpuE6ELNS1_3repE0EEENS1_30default_config_static_selectorELNS0_4arch9wavefront6targetE1EEEvSW_.kd
    .uniform_work_group_size: 1
    .uses_dynamic_stack: false
    .vgpr_count:     15
    .vgpr_spill_count: 0
    .wavefront_size: 64
  - .args:
      - .offset:         0
        .size:           80
        .value_kind:     by_value
    .group_segment_fixed_size: 0
    .kernarg_segment_align: 8
    .kernarg_segment_size: 80
    .language:       OpenCL C
    .language_version:
      - 2
      - 0
    .max_flat_workgroup_size: 256
    .name:           _ZN7rocprim17ROCPRIM_400000_NS6detail17trampoline_kernelINS0_14default_configENS1_22reduce_config_selectorIlEEZNS1_11reduce_implILb1ES3_N6thrust23THRUST_200600_302600_NS11hip_rocprim26transform_input_iterator_tIlNS8_12zip_iteratorINS8_5tupleINS8_6detail15normal_iteratorINS8_10device_ptrIsEEEESH_NS8_9null_typeESI_SI_SI_SI_SI_SI_SI_EEEENS9_21zip_adj_not_predicateI22is_equal_div_10_uniqueIsEEEEEPllNS8_4plusIlEEEE10hipError_tPvRmT1_T2_T3_mT4_P12ihipStream_tbEUlT_E0_NS1_11comp_targetILNS1_3genE10ELNS1_11target_archE1201ELNS1_3gpuE5ELNS1_3repE0EEENS1_30default_config_static_selectorELNS0_4arch9wavefront6targetE1EEEvSW_
    .private_segment_fixed_size: 0
    .sgpr_count:     4
    .sgpr_spill_count: 0
    .symbol:         _ZN7rocprim17ROCPRIM_400000_NS6detail17trampoline_kernelINS0_14default_configENS1_22reduce_config_selectorIlEEZNS1_11reduce_implILb1ES3_N6thrust23THRUST_200600_302600_NS11hip_rocprim26transform_input_iterator_tIlNS8_12zip_iteratorINS8_5tupleINS8_6detail15normal_iteratorINS8_10device_ptrIsEEEESH_NS8_9null_typeESI_SI_SI_SI_SI_SI_SI_EEEENS9_21zip_adj_not_predicateI22is_equal_div_10_uniqueIsEEEEEPllNS8_4plusIlEEEE10hipError_tPvRmT1_T2_T3_mT4_P12ihipStream_tbEUlT_E0_NS1_11comp_targetILNS1_3genE10ELNS1_11target_archE1201ELNS1_3gpuE5ELNS1_3repE0EEENS1_30default_config_static_selectorELNS0_4arch9wavefront6targetE1EEEvSW_.kd
    .uniform_work_group_size: 1
    .uses_dynamic_stack: false
    .vgpr_count:     0
    .vgpr_spill_count: 0
    .wavefront_size: 64
  - .args:
      - .offset:         0
        .size:           80
        .value_kind:     by_value
    .group_segment_fixed_size: 0
    .kernarg_segment_align: 8
    .kernarg_segment_size: 80
    .language:       OpenCL C
    .language_version:
      - 2
      - 0
    .max_flat_workgroup_size: 256
    .name:           _ZN7rocprim17ROCPRIM_400000_NS6detail17trampoline_kernelINS0_14default_configENS1_22reduce_config_selectorIlEEZNS1_11reduce_implILb1ES3_N6thrust23THRUST_200600_302600_NS11hip_rocprim26transform_input_iterator_tIlNS8_12zip_iteratorINS8_5tupleINS8_6detail15normal_iteratorINS8_10device_ptrIsEEEESH_NS8_9null_typeESI_SI_SI_SI_SI_SI_SI_EEEENS9_21zip_adj_not_predicateI22is_equal_div_10_uniqueIsEEEEEPllNS8_4plusIlEEEE10hipError_tPvRmT1_T2_T3_mT4_P12ihipStream_tbEUlT_E0_NS1_11comp_targetILNS1_3genE10ELNS1_11target_archE1200ELNS1_3gpuE4ELNS1_3repE0EEENS1_30default_config_static_selectorELNS0_4arch9wavefront6targetE1EEEvSW_
    .private_segment_fixed_size: 0
    .sgpr_count:     4
    .sgpr_spill_count: 0
    .symbol:         _ZN7rocprim17ROCPRIM_400000_NS6detail17trampoline_kernelINS0_14default_configENS1_22reduce_config_selectorIlEEZNS1_11reduce_implILb1ES3_N6thrust23THRUST_200600_302600_NS11hip_rocprim26transform_input_iterator_tIlNS8_12zip_iteratorINS8_5tupleINS8_6detail15normal_iteratorINS8_10device_ptrIsEEEESH_NS8_9null_typeESI_SI_SI_SI_SI_SI_SI_EEEENS9_21zip_adj_not_predicateI22is_equal_div_10_uniqueIsEEEEEPllNS8_4plusIlEEEE10hipError_tPvRmT1_T2_T3_mT4_P12ihipStream_tbEUlT_E0_NS1_11comp_targetILNS1_3genE10ELNS1_11target_archE1200ELNS1_3gpuE4ELNS1_3repE0EEENS1_30default_config_static_selectorELNS0_4arch9wavefront6targetE1EEEvSW_.kd
    .uniform_work_group_size: 1
    .uses_dynamic_stack: false
    .vgpr_count:     0
    .vgpr_spill_count: 0
    .wavefront_size: 64
  - .args:
      - .offset:         0
        .size:           80
        .value_kind:     by_value
    .group_segment_fixed_size: 0
    .kernarg_segment_align: 8
    .kernarg_segment_size: 80
    .language:       OpenCL C
    .language_version:
      - 2
      - 0
    .max_flat_workgroup_size: 256
    .name:           _ZN7rocprim17ROCPRIM_400000_NS6detail17trampoline_kernelINS0_14default_configENS1_22reduce_config_selectorIlEEZNS1_11reduce_implILb1ES3_N6thrust23THRUST_200600_302600_NS11hip_rocprim26transform_input_iterator_tIlNS8_12zip_iteratorINS8_5tupleINS8_6detail15normal_iteratorINS8_10device_ptrIsEEEESH_NS8_9null_typeESI_SI_SI_SI_SI_SI_SI_EEEENS9_21zip_adj_not_predicateI22is_equal_div_10_uniqueIsEEEEEPllNS8_4plusIlEEEE10hipError_tPvRmT1_T2_T3_mT4_P12ihipStream_tbEUlT_E0_NS1_11comp_targetILNS1_3genE9ELNS1_11target_archE1100ELNS1_3gpuE3ELNS1_3repE0EEENS1_30default_config_static_selectorELNS0_4arch9wavefront6targetE1EEEvSW_
    .private_segment_fixed_size: 0
    .sgpr_count:     4
    .sgpr_spill_count: 0
    .symbol:         _ZN7rocprim17ROCPRIM_400000_NS6detail17trampoline_kernelINS0_14default_configENS1_22reduce_config_selectorIlEEZNS1_11reduce_implILb1ES3_N6thrust23THRUST_200600_302600_NS11hip_rocprim26transform_input_iterator_tIlNS8_12zip_iteratorINS8_5tupleINS8_6detail15normal_iteratorINS8_10device_ptrIsEEEESH_NS8_9null_typeESI_SI_SI_SI_SI_SI_SI_EEEENS9_21zip_adj_not_predicateI22is_equal_div_10_uniqueIsEEEEEPllNS8_4plusIlEEEE10hipError_tPvRmT1_T2_T3_mT4_P12ihipStream_tbEUlT_E0_NS1_11comp_targetILNS1_3genE9ELNS1_11target_archE1100ELNS1_3gpuE3ELNS1_3repE0EEENS1_30default_config_static_selectorELNS0_4arch9wavefront6targetE1EEEvSW_.kd
    .uniform_work_group_size: 1
    .uses_dynamic_stack: false
    .vgpr_count:     0
    .vgpr_spill_count: 0
    .wavefront_size: 64
  - .args:
      - .offset:         0
        .size:           80
        .value_kind:     by_value
    .group_segment_fixed_size: 0
    .kernarg_segment_align: 8
    .kernarg_segment_size: 80
    .language:       OpenCL C
    .language_version:
      - 2
      - 0
    .max_flat_workgroup_size: 256
    .name:           _ZN7rocprim17ROCPRIM_400000_NS6detail17trampoline_kernelINS0_14default_configENS1_22reduce_config_selectorIlEEZNS1_11reduce_implILb1ES3_N6thrust23THRUST_200600_302600_NS11hip_rocprim26transform_input_iterator_tIlNS8_12zip_iteratorINS8_5tupleINS8_6detail15normal_iteratorINS8_10device_ptrIsEEEESH_NS8_9null_typeESI_SI_SI_SI_SI_SI_SI_EEEENS9_21zip_adj_not_predicateI22is_equal_div_10_uniqueIsEEEEEPllNS8_4plusIlEEEE10hipError_tPvRmT1_T2_T3_mT4_P12ihipStream_tbEUlT_E0_NS1_11comp_targetILNS1_3genE8ELNS1_11target_archE1030ELNS1_3gpuE2ELNS1_3repE0EEENS1_30default_config_static_selectorELNS0_4arch9wavefront6targetE1EEEvSW_
    .private_segment_fixed_size: 0
    .sgpr_count:     4
    .sgpr_spill_count: 0
    .symbol:         _ZN7rocprim17ROCPRIM_400000_NS6detail17trampoline_kernelINS0_14default_configENS1_22reduce_config_selectorIlEEZNS1_11reduce_implILb1ES3_N6thrust23THRUST_200600_302600_NS11hip_rocprim26transform_input_iterator_tIlNS8_12zip_iteratorINS8_5tupleINS8_6detail15normal_iteratorINS8_10device_ptrIsEEEESH_NS8_9null_typeESI_SI_SI_SI_SI_SI_SI_EEEENS9_21zip_adj_not_predicateI22is_equal_div_10_uniqueIsEEEEEPllNS8_4plusIlEEEE10hipError_tPvRmT1_T2_T3_mT4_P12ihipStream_tbEUlT_E0_NS1_11comp_targetILNS1_3genE8ELNS1_11target_archE1030ELNS1_3gpuE2ELNS1_3repE0EEENS1_30default_config_static_selectorELNS0_4arch9wavefront6targetE1EEEvSW_.kd
    .uniform_work_group_size: 1
    .uses_dynamic_stack: false
    .vgpr_count:     0
    .vgpr_spill_count: 0
    .wavefront_size: 64
  - .args:
      - .offset:         0
        .size:           64
        .value_kind:     by_value
    .group_segment_fixed_size: 0
    .kernarg_segment_align: 8
    .kernarg_segment_size: 64
    .language:       OpenCL C
    .language_version:
      - 2
      - 0
    .max_flat_workgroup_size: 256
    .name:           _ZN7rocprim17ROCPRIM_400000_NS6detail17trampoline_kernelINS0_14default_configENS1_22reduce_config_selectorIlEEZNS1_11reduce_implILb1ES3_N6thrust23THRUST_200600_302600_NS11hip_rocprim26transform_input_iterator_tIlNS8_12zip_iteratorINS8_5tupleINS8_6detail15normal_iteratorINS8_10device_ptrIsEEEESH_NS8_9null_typeESI_SI_SI_SI_SI_SI_SI_EEEENS9_21zip_adj_not_predicateI22is_equal_div_10_uniqueIsEEEEEPllNS8_4plusIlEEEE10hipError_tPvRmT1_T2_T3_mT4_P12ihipStream_tbEUlT_E1_NS1_11comp_targetILNS1_3genE0ELNS1_11target_archE4294967295ELNS1_3gpuE0ELNS1_3repE0EEENS1_30default_config_static_selectorELNS0_4arch9wavefront6targetE1EEEvSW_
    .private_segment_fixed_size: 0
    .sgpr_count:     4
    .sgpr_spill_count: 0
    .symbol:         _ZN7rocprim17ROCPRIM_400000_NS6detail17trampoline_kernelINS0_14default_configENS1_22reduce_config_selectorIlEEZNS1_11reduce_implILb1ES3_N6thrust23THRUST_200600_302600_NS11hip_rocprim26transform_input_iterator_tIlNS8_12zip_iteratorINS8_5tupleINS8_6detail15normal_iteratorINS8_10device_ptrIsEEEESH_NS8_9null_typeESI_SI_SI_SI_SI_SI_SI_EEEENS9_21zip_adj_not_predicateI22is_equal_div_10_uniqueIsEEEEEPllNS8_4plusIlEEEE10hipError_tPvRmT1_T2_T3_mT4_P12ihipStream_tbEUlT_E1_NS1_11comp_targetILNS1_3genE0ELNS1_11target_archE4294967295ELNS1_3gpuE0ELNS1_3repE0EEENS1_30default_config_static_selectorELNS0_4arch9wavefront6targetE1EEEvSW_.kd
    .uniform_work_group_size: 1
    .uses_dynamic_stack: false
    .vgpr_count:     0
    .vgpr_spill_count: 0
    .wavefront_size: 64
  - .args:
      - .offset:         0
        .size:           64
        .value_kind:     by_value
    .group_segment_fixed_size: 0
    .kernarg_segment_align: 8
    .kernarg_segment_size: 64
    .language:       OpenCL C
    .language_version:
      - 2
      - 0
    .max_flat_workgroup_size: 256
    .name:           _ZN7rocprim17ROCPRIM_400000_NS6detail17trampoline_kernelINS0_14default_configENS1_22reduce_config_selectorIlEEZNS1_11reduce_implILb1ES3_N6thrust23THRUST_200600_302600_NS11hip_rocprim26transform_input_iterator_tIlNS8_12zip_iteratorINS8_5tupleINS8_6detail15normal_iteratorINS8_10device_ptrIsEEEESH_NS8_9null_typeESI_SI_SI_SI_SI_SI_SI_EEEENS9_21zip_adj_not_predicateI22is_equal_div_10_uniqueIsEEEEEPllNS8_4plusIlEEEE10hipError_tPvRmT1_T2_T3_mT4_P12ihipStream_tbEUlT_E1_NS1_11comp_targetILNS1_3genE5ELNS1_11target_archE942ELNS1_3gpuE9ELNS1_3repE0EEENS1_30default_config_static_selectorELNS0_4arch9wavefront6targetE1EEEvSW_
    .private_segment_fixed_size: 0
    .sgpr_count:     4
    .sgpr_spill_count: 0
    .symbol:         _ZN7rocprim17ROCPRIM_400000_NS6detail17trampoline_kernelINS0_14default_configENS1_22reduce_config_selectorIlEEZNS1_11reduce_implILb1ES3_N6thrust23THRUST_200600_302600_NS11hip_rocprim26transform_input_iterator_tIlNS8_12zip_iteratorINS8_5tupleINS8_6detail15normal_iteratorINS8_10device_ptrIsEEEESH_NS8_9null_typeESI_SI_SI_SI_SI_SI_SI_EEEENS9_21zip_adj_not_predicateI22is_equal_div_10_uniqueIsEEEEEPllNS8_4plusIlEEEE10hipError_tPvRmT1_T2_T3_mT4_P12ihipStream_tbEUlT_E1_NS1_11comp_targetILNS1_3genE5ELNS1_11target_archE942ELNS1_3gpuE9ELNS1_3repE0EEENS1_30default_config_static_selectorELNS0_4arch9wavefront6targetE1EEEvSW_.kd
    .uniform_work_group_size: 1
    .uses_dynamic_stack: false
    .vgpr_count:     0
    .vgpr_spill_count: 0
    .wavefront_size: 64
  - .args:
      - .offset:         0
        .size:           64
        .value_kind:     by_value
    .group_segment_fixed_size: 0
    .kernarg_segment_align: 8
    .kernarg_segment_size: 64
    .language:       OpenCL C
    .language_version:
      - 2
      - 0
    .max_flat_workgroup_size: 256
    .name:           _ZN7rocprim17ROCPRIM_400000_NS6detail17trampoline_kernelINS0_14default_configENS1_22reduce_config_selectorIlEEZNS1_11reduce_implILb1ES3_N6thrust23THRUST_200600_302600_NS11hip_rocprim26transform_input_iterator_tIlNS8_12zip_iteratorINS8_5tupleINS8_6detail15normal_iteratorINS8_10device_ptrIsEEEESH_NS8_9null_typeESI_SI_SI_SI_SI_SI_SI_EEEENS9_21zip_adj_not_predicateI22is_equal_div_10_uniqueIsEEEEEPllNS8_4plusIlEEEE10hipError_tPvRmT1_T2_T3_mT4_P12ihipStream_tbEUlT_E1_NS1_11comp_targetILNS1_3genE4ELNS1_11target_archE910ELNS1_3gpuE8ELNS1_3repE0EEENS1_30default_config_static_selectorELNS0_4arch9wavefront6targetE1EEEvSW_
    .private_segment_fixed_size: 0
    .sgpr_count:     4
    .sgpr_spill_count: 0
    .symbol:         _ZN7rocprim17ROCPRIM_400000_NS6detail17trampoline_kernelINS0_14default_configENS1_22reduce_config_selectorIlEEZNS1_11reduce_implILb1ES3_N6thrust23THRUST_200600_302600_NS11hip_rocprim26transform_input_iterator_tIlNS8_12zip_iteratorINS8_5tupleINS8_6detail15normal_iteratorINS8_10device_ptrIsEEEESH_NS8_9null_typeESI_SI_SI_SI_SI_SI_SI_EEEENS9_21zip_adj_not_predicateI22is_equal_div_10_uniqueIsEEEEEPllNS8_4plusIlEEEE10hipError_tPvRmT1_T2_T3_mT4_P12ihipStream_tbEUlT_E1_NS1_11comp_targetILNS1_3genE4ELNS1_11target_archE910ELNS1_3gpuE8ELNS1_3repE0EEENS1_30default_config_static_selectorELNS0_4arch9wavefront6targetE1EEEvSW_.kd
    .uniform_work_group_size: 1
    .uses_dynamic_stack: false
    .vgpr_count:     0
    .vgpr_spill_count: 0
    .wavefront_size: 64
  - .args:
      - .offset:         0
        .size:           64
        .value_kind:     by_value
    .group_segment_fixed_size: 0
    .kernarg_segment_align: 8
    .kernarg_segment_size: 64
    .language:       OpenCL C
    .language_version:
      - 2
      - 0
    .max_flat_workgroup_size: 256
    .name:           _ZN7rocprim17ROCPRIM_400000_NS6detail17trampoline_kernelINS0_14default_configENS1_22reduce_config_selectorIlEEZNS1_11reduce_implILb1ES3_N6thrust23THRUST_200600_302600_NS11hip_rocprim26transform_input_iterator_tIlNS8_12zip_iteratorINS8_5tupleINS8_6detail15normal_iteratorINS8_10device_ptrIsEEEESH_NS8_9null_typeESI_SI_SI_SI_SI_SI_SI_EEEENS9_21zip_adj_not_predicateI22is_equal_div_10_uniqueIsEEEEEPllNS8_4plusIlEEEE10hipError_tPvRmT1_T2_T3_mT4_P12ihipStream_tbEUlT_E1_NS1_11comp_targetILNS1_3genE3ELNS1_11target_archE908ELNS1_3gpuE7ELNS1_3repE0EEENS1_30default_config_static_selectorELNS0_4arch9wavefront6targetE1EEEvSW_
    .private_segment_fixed_size: 0
    .sgpr_count:     4
    .sgpr_spill_count: 0
    .symbol:         _ZN7rocprim17ROCPRIM_400000_NS6detail17trampoline_kernelINS0_14default_configENS1_22reduce_config_selectorIlEEZNS1_11reduce_implILb1ES3_N6thrust23THRUST_200600_302600_NS11hip_rocprim26transform_input_iterator_tIlNS8_12zip_iteratorINS8_5tupleINS8_6detail15normal_iteratorINS8_10device_ptrIsEEEESH_NS8_9null_typeESI_SI_SI_SI_SI_SI_SI_EEEENS9_21zip_adj_not_predicateI22is_equal_div_10_uniqueIsEEEEEPllNS8_4plusIlEEEE10hipError_tPvRmT1_T2_T3_mT4_P12ihipStream_tbEUlT_E1_NS1_11comp_targetILNS1_3genE3ELNS1_11target_archE908ELNS1_3gpuE7ELNS1_3repE0EEENS1_30default_config_static_selectorELNS0_4arch9wavefront6targetE1EEEvSW_.kd
    .uniform_work_group_size: 1
    .uses_dynamic_stack: false
    .vgpr_count:     0
    .vgpr_spill_count: 0
    .wavefront_size: 64
  - .args:
      - .offset:         0
        .size:           64
        .value_kind:     by_value
    .group_segment_fixed_size: 192
    .kernarg_segment_align: 8
    .kernarg_segment_size: 64
    .language:       OpenCL C
    .language_version:
      - 2
      - 0
    .max_flat_workgroup_size: 256
    .name:           _ZN7rocprim17ROCPRIM_400000_NS6detail17trampoline_kernelINS0_14default_configENS1_22reduce_config_selectorIlEEZNS1_11reduce_implILb1ES3_N6thrust23THRUST_200600_302600_NS11hip_rocprim26transform_input_iterator_tIlNS8_12zip_iteratorINS8_5tupleINS8_6detail15normal_iteratorINS8_10device_ptrIsEEEESH_NS8_9null_typeESI_SI_SI_SI_SI_SI_SI_EEEENS9_21zip_adj_not_predicateI22is_equal_div_10_uniqueIsEEEEEPllNS8_4plusIlEEEE10hipError_tPvRmT1_T2_T3_mT4_P12ihipStream_tbEUlT_E1_NS1_11comp_targetILNS1_3genE2ELNS1_11target_archE906ELNS1_3gpuE6ELNS1_3repE0EEENS1_30default_config_static_selectorELNS0_4arch9wavefront6targetE1EEEvSW_
    .private_segment_fixed_size: 0
    .sgpr_count:     38
    .sgpr_spill_count: 0
    .symbol:         _ZN7rocprim17ROCPRIM_400000_NS6detail17trampoline_kernelINS0_14default_configENS1_22reduce_config_selectorIlEEZNS1_11reduce_implILb1ES3_N6thrust23THRUST_200600_302600_NS11hip_rocprim26transform_input_iterator_tIlNS8_12zip_iteratorINS8_5tupleINS8_6detail15normal_iteratorINS8_10device_ptrIsEEEESH_NS8_9null_typeESI_SI_SI_SI_SI_SI_SI_EEEENS9_21zip_adj_not_predicateI22is_equal_div_10_uniqueIsEEEEEPllNS8_4plusIlEEEE10hipError_tPvRmT1_T2_T3_mT4_P12ihipStream_tbEUlT_E1_NS1_11comp_targetILNS1_3genE2ELNS1_11target_archE906ELNS1_3gpuE6ELNS1_3repE0EEENS1_30default_config_static_selectorELNS0_4arch9wavefront6targetE1EEEvSW_.kd
    .uniform_work_group_size: 1
    .uses_dynamic_stack: false
    .vgpr_count:     35
    .vgpr_spill_count: 0
    .wavefront_size: 64
  - .args:
      - .offset:         0
        .size:           64
        .value_kind:     by_value
    .group_segment_fixed_size: 0
    .kernarg_segment_align: 8
    .kernarg_segment_size: 64
    .language:       OpenCL C
    .language_version:
      - 2
      - 0
    .max_flat_workgroup_size: 256
    .name:           _ZN7rocprim17ROCPRIM_400000_NS6detail17trampoline_kernelINS0_14default_configENS1_22reduce_config_selectorIlEEZNS1_11reduce_implILb1ES3_N6thrust23THRUST_200600_302600_NS11hip_rocprim26transform_input_iterator_tIlNS8_12zip_iteratorINS8_5tupleINS8_6detail15normal_iteratorINS8_10device_ptrIsEEEESH_NS8_9null_typeESI_SI_SI_SI_SI_SI_SI_EEEENS9_21zip_adj_not_predicateI22is_equal_div_10_uniqueIsEEEEEPllNS8_4plusIlEEEE10hipError_tPvRmT1_T2_T3_mT4_P12ihipStream_tbEUlT_E1_NS1_11comp_targetILNS1_3genE10ELNS1_11target_archE1201ELNS1_3gpuE5ELNS1_3repE0EEENS1_30default_config_static_selectorELNS0_4arch9wavefront6targetE1EEEvSW_
    .private_segment_fixed_size: 0
    .sgpr_count:     4
    .sgpr_spill_count: 0
    .symbol:         _ZN7rocprim17ROCPRIM_400000_NS6detail17trampoline_kernelINS0_14default_configENS1_22reduce_config_selectorIlEEZNS1_11reduce_implILb1ES3_N6thrust23THRUST_200600_302600_NS11hip_rocprim26transform_input_iterator_tIlNS8_12zip_iteratorINS8_5tupleINS8_6detail15normal_iteratorINS8_10device_ptrIsEEEESH_NS8_9null_typeESI_SI_SI_SI_SI_SI_SI_EEEENS9_21zip_adj_not_predicateI22is_equal_div_10_uniqueIsEEEEEPllNS8_4plusIlEEEE10hipError_tPvRmT1_T2_T3_mT4_P12ihipStream_tbEUlT_E1_NS1_11comp_targetILNS1_3genE10ELNS1_11target_archE1201ELNS1_3gpuE5ELNS1_3repE0EEENS1_30default_config_static_selectorELNS0_4arch9wavefront6targetE1EEEvSW_.kd
    .uniform_work_group_size: 1
    .uses_dynamic_stack: false
    .vgpr_count:     0
    .vgpr_spill_count: 0
    .wavefront_size: 64
  - .args:
      - .offset:         0
        .size:           64
        .value_kind:     by_value
    .group_segment_fixed_size: 0
    .kernarg_segment_align: 8
    .kernarg_segment_size: 64
    .language:       OpenCL C
    .language_version:
      - 2
      - 0
    .max_flat_workgroup_size: 256
    .name:           _ZN7rocprim17ROCPRIM_400000_NS6detail17trampoline_kernelINS0_14default_configENS1_22reduce_config_selectorIlEEZNS1_11reduce_implILb1ES3_N6thrust23THRUST_200600_302600_NS11hip_rocprim26transform_input_iterator_tIlNS8_12zip_iteratorINS8_5tupleINS8_6detail15normal_iteratorINS8_10device_ptrIsEEEESH_NS8_9null_typeESI_SI_SI_SI_SI_SI_SI_EEEENS9_21zip_adj_not_predicateI22is_equal_div_10_uniqueIsEEEEEPllNS8_4plusIlEEEE10hipError_tPvRmT1_T2_T3_mT4_P12ihipStream_tbEUlT_E1_NS1_11comp_targetILNS1_3genE10ELNS1_11target_archE1200ELNS1_3gpuE4ELNS1_3repE0EEENS1_30default_config_static_selectorELNS0_4arch9wavefront6targetE1EEEvSW_
    .private_segment_fixed_size: 0
    .sgpr_count:     4
    .sgpr_spill_count: 0
    .symbol:         _ZN7rocprim17ROCPRIM_400000_NS6detail17trampoline_kernelINS0_14default_configENS1_22reduce_config_selectorIlEEZNS1_11reduce_implILb1ES3_N6thrust23THRUST_200600_302600_NS11hip_rocprim26transform_input_iterator_tIlNS8_12zip_iteratorINS8_5tupleINS8_6detail15normal_iteratorINS8_10device_ptrIsEEEESH_NS8_9null_typeESI_SI_SI_SI_SI_SI_SI_EEEENS9_21zip_adj_not_predicateI22is_equal_div_10_uniqueIsEEEEEPllNS8_4plusIlEEEE10hipError_tPvRmT1_T2_T3_mT4_P12ihipStream_tbEUlT_E1_NS1_11comp_targetILNS1_3genE10ELNS1_11target_archE1200ELNS1_3gpuE4ELNS1_3repE0EEENS1_30default_config_static_selectorELNS0_4arch9wavefront6targetE1EEEvSW_.kd
    .uniform_work_group_size: 1
    .uses_dynamic_stack: false
    .vgpr_count:     0
    .vgpr_spill_count: 0
    .wavefront_size: 64
  - .args:
      - .offset:         0
        .size:           64
        .value_kind:     by_value
    .group_segment_fixed_size: 0
    .kernarg_segment_align: 8
    .kernarg_segment_size: 64
    .language:       OpenCL C
    .language_version:
      - 2
      - 0
    .max_flat_workgroup_size: 256
    .name:           _ZN7rocprim17ROCPRIM_400000_NS6detail17trampoline_kernelINS0_14default_configENS1_22reduce_config_selectorIlEEZNS1_11reduce_implILb1ES3_N6thrust23THRUST_200600_302600_NS11hip_rocprim26transform_input_iterator_tIlNS8_12zip_iteratorINS8_5tupleINS8_6detail15normal_iteratorINS8_10device_ptrIsEEEESH_NS8_9null_typeESI_SI_SI_SI_SI_SI_SI_EEEENS9_21zip_adj_not_predicateI22is_equal_div_10_uniqueIsEEEEEPllNS8_4plusIlEEEE10hipError_tPvRmT1_T2_T3_mT4_P12ihipStream_tbEUlT_E1_NS1_11comp_targetILNS1_3genE9ELNS1_11target_archE1100ELNS1_3gpuE3ELNS1_3repE0EEENS1_30default_config_static_selectorELNS0_4arch9wavefront6targetE1EEEvSW_
    .private_segment_fixed_size: 0
    .sgpr_count:     4
    .sgpr_spill_count: 0
    .symbol:         _ZN7rocprim17ROCPRIM_400000_NS6detail17trampoline_kernelINS0_14default_configENS1_22reduce_config_selectorIlEEZNS1_11reduce_implILb1ES3_N6thrust23THRUST_200600_302600_NS11hip_rocprim26transform_input_iterator_tIlNS8_12zip_iteratorINS8_5tupleINS8_6detail15normal_iteratorINS8_10device_ptrIsEEEESH_NS8_9null_typeESI_SI_SI_SI_SI_SI_SI_EEEENS9_21zip_adj_not_predicateI22is_equal_div_10_uniqueIsEEEEEPllNS8_4plusIlEEEE10hipError_tPvRmT1_T2_T3_mT4_P12ihipStream_tbEUlT_E1_NS1_11comp_targetILNS1_3genE9ELNS1_11target_archE1100ELNS1_3gpuE3ELNS1_3repE0EEENS1_30default_config_static_selectorELNS0_4arch9wavefront6targetE1EEEvSW_.kd
    .uniform_work_group_size: 1
    .uses_dynamic_stack: false
    .vgpr_count:     0
    .vgpr_spill_count: 0
    .wavefront_size: 64
  - .args:
      - .offset:         0
        .size:           64
        .value_kind:     by_value
    .group_segment_fixed_size: 0
    .kernarg_segment_align: 8
    .kernarg_segment_size: 64
    .language:       OpenCL C
    .language_version:
      - 2
      - 0
    .max_flat_workgroup_size: 256
    .name:           _ZN7rocprim17ROCPRIM_400000_NS6detail17trampoline_kernelINS0_14default_configENS1_22reduce_config_selectorIlEEZNS1_11reduce_implILb1ES3_N6thrust23THRUST_200600_302600_NS11hip_rocprim26transform_input_iterator_tIlNS8_12zip_iteratorINS8_5tupleINS8_6detail15normal_iteratorINS8_10device_ptrIsEEEESH_NS8_9null_typeESI_SI_SI_SI_SI_SI_SI_EEEENS9_21zip_adj_not_predicateI22is_equal_div_10_uniqueIsEEEEEPllNS8_4plusIlEEEE10hipError_tPvRmT1_T2_T3_mT4_P12ihipStream_tbEUlT_E1_NS1_11comp_targetILNS1_3genE8ELNS1_11target_archE1030ELNS1_3gpuE2ELNS1_3repE0EEENS1_30default_config_static_selectorELNS0_4arch9wavefront6targetE1EEEvSW_
    .private_segment_fixed_size: 0
    .sgpr_count:     4
    .sgpr_spill_count: 0
    .symbol:         _ZN7rocprim17ROCPRIM_400000_NS6detail17trampoline_kernelINS0_14default_configENS1_22reduce_config_selectorIlEEZNS1_11reduce_implILb1ES3_N6thrust23THRUST_200600_302600_NS11hip_rocprim26transform_input_iterator_tIlNS8_12zip_iteratorINS8_5tupleINS8_6detail15normal_iteratorINS8_10device_ptrIsEEEESH_NS8_9null_typeESI_SI_SI_SI_SI_SI_SI_EEEENS9_21zip_adj_not_predicateI22is_equal_div_10_uniqueIsEEEEEPllNS8_4plusIlEEEE10hipError_tPvRmT1_T2_T3_mT4_P12ihipStream_tbEUlT_E1_NS1_11comp_targetILNS1_3genE8ELNS1_11target_archE1030ELNS1_3gpuE2ELNS1_3repE0EEENS1_30default_config_static_selectorELNS0_4arch9wavefront6targetE1EEEvSW_.kd
    .uniform_work_group_size: 1
    .uses_dynamic_stack: false
    .vgpr_count:     0
    .vgpr_spill_count: 0
    .wavefront_size: 64
  - .args:
      - .offset:         0
        .size:           112
        .value_kind:     by_value
    .group_segment_fixed_size: 0
    .kernarg_segment_align: 8
    .kernarg_segment_size: 112
    .language:       OpenCL C
    .language_version:
      - 2
      - 0
    .max_flat_workgroup_size: 512
    .name:           _ZN7rocprim17ROCPRIM_400000_NS6detail17trampoline_kernelINS0_14default_configENS1_25partition_config_selectorILNS1_17partition_subalgoE8EiNS0_10empty_typeEbEEZZNS1_14partition_implILS5_8ELb0ES3_jN6thrust23THRUST_200600_302600_NS10device_ptrIiEEPS6_PKS6_NS0_5tupleIJSC_S6_EEENSG_IJSD_SD_EEENS0_18inequality_wrapperINSA_8equal_toIiEEEEPmJS6_EEE10hipError_tPvRmT3_T4_T5_T6_T7_T9_mT8_P12ihipStream_tbDpT10_ENKUlT_T0_E_clISt17integral_constantIbLb0EES17_EEDaS12_S13_EUlS12_E_NS1_11comp_targetILNS1_3genE0ELNS1_11target_archE4294967295ELNS1_3gpuE0ELNS1_3repE0EEENS1_30default_config_static_selectorELNS0_4arch9wavefront6targetE1EEEvT1_
    .private_segment_fixed_size: 0
    .sgpr_count:     4
    .sgpr_spill_count: 0
    .symbol:         _ZN7rocprim17ROCPRIM_400000_NS6detail17trampoline_kernelINS0_14default_configENS1_25partition_config_selectorILNS1_17partition_subalgoE8EiNS0_10empty_typeEbEEZZNS1_14partition_implILS5_8ELb0ES3_jN6thrust23THRUST_200600_302600_NS10device_ptrIiEEPS6_PKS6_NS0_5tupleIJSC_S6_EEENSG_IJSD_SD_EEENS0_18inequality_wrapperINSA_8equal_toIiEEEEPmJS6_EEE10hipError_tPvRmT3_T4_T5_T6_T7_T9_mT8_P12ihipStream_tbDpT10_ENKUlT_T0_E_clISt17integral_constantIbLb0EES17_EEDaS12_S13_EUlS12_E_NS1_11comp_targetILNS1_3genE0ELNS1_11target_archE4294967295ELNS1_3gpuE0ELNS1_3repE0EEENS1_30default_config_static_selectorELNS0_4arch9wavefront6targetE1EEEvT1_.kd
    .uniform_work_group_size: 1
    .uses_dynamic_stack: false
    .vgpr_count:     0
    .vgpr_spill_count: 0
    .wavefront_size: 64
  - .args:
      - .offset:         0
        .size:           112
        .value_kind:     by_value
    .group_segment_fixed_size: 0
    .kernarg_segment_align: 8
    .kernarg_segment_size: 112
    .language:       OpenCL C
    .language_version:
      - 2
      - 0
    .max_flat_workgroup_size: 512
    .name:           _ZN7rocprim17ROCPRIM_400000_NS6detail17trampoline_kernelINS0_14default_configENS1_25partition_config_selectorILNS1_17partition_subalgoE8EiNS0_10empty_typeEbEEZZNS1_14partition_implILS5_8ELb0ES3_jN6thrust23THRUST_200600_302600_NS10device_ptrIiEEPS6_PKS6_NS0_5tupleIJSC_S6_EEENSG_IJSD_SD_EEENS0_18inequality_wrapperINSA_8equal_toIiEEEEPmJS6_EEE10hipError_tPvRmT3_T4_T5_T6_T7_T9_mT8_P12ihipStream_tbDpT10_ENKUlT_T0_E_clISt17integral_constantIbLb0EES17_EEDaS12_S13_EUlS12_E_NS1_11comp_targetILNS1_3genE5ELNS1_11target_archE942ELNS1_3gpuE9ELNS1_3repE0EEENS1_30default_config_static_selectorELNS0_4arch9wavefront6targetE1EEEvT1_
    .private_segment_fixed_size: 0
    .sgpr_count:     4
    .sgpr_spill_count: 0
    .symbol:         _ZN7rocprim17ROCPRIM_400000_NS6detail17trampoline_kernelINS0_14default_configENS1_25partition_config_selectorILNS1_17partition_subalgoE8EiNS0_10empty_typeEbEEZZNS1_14partition_implILS5_8ELb0ES3_jN6thrust23THRUST_200600_302600_NS10device_ptrIiEEPS6_PKS6_NS0_5tupleIJSC_S6_EEENSG_IJSD_SD_EEENS0_18inequality_wrapperINSA_8equal_toIiEEEEPmJS6_EEE10hipError_tPvRmT3_T4_T5_T6_T7_T9_mT8_P12ihipStream_tbDpT10_ENKUlT_T0_E_clISt17integral_constantIbLb0EES17_EEDaS12_S13_EUlS12_E_NS1_11comp_targetILNS1_3genE5ELNS1_11target_archE942ELNS1_3gpuE9ELNS1_3repE0EEENS1_30default_config_static_selectorELNS0_4arch9wavefront6targetE1EEEvT1_.kd
    .uniform_work_group_size: 1
    .uses_dynamic_stack: false
    .vgpr_count:     0
    .vgpr_spill_count: 0
    .wavefront_size: 64
  - .args:
      - .offset:         0
        .size:           112
        .value_kind:     by_value
    .group_segment_fixed_size: 0
    .kernarg_segment_align: 8
    .kernarg_segment_size: 112
    .language:       OpenCL C
    .language_version:
      - 2
      - 0
    .max_flat_workgroup_size: 256
    .name:           _ZN7rocprim17ROCPRIM_400000_NS6detail17trampoline_kernelINS0_14default_configENS1_25partition_config_selectorILNS1_17partition_subalgoE8EiNS0_10empty_typeEbEEZZNS1_14partition_implILS5_8ELb0ES3_jN6thrust23THRUST_200600_302600_NS10device_ptrIiEEPS6_PKS6_NS0_5tupleIJSC_S6_EEENSG_IJSD_SD_EEENS0_18inequality_wrapperINSA_8equal_toIiEEEEPmJS6_EEE10hipError_tPvRmT3_T4_T5_T6_T7_T9_mT8_P12ihipStream_tbDpT10_ENKUlT_T0_E_clISt17integral_constantIbLb0EES17_EEDaS12_S13_EUlS12_E_NS1_11comp_targetILNS1_3genE4ELNS1_11target_archE910ELNS1_3gpuE8ELNS1_3repE0EEENS1_30default_config_static_selectorELNS0_4arch9wavefront6targetE1EEEvT1_
    .private_segment_fixed_size: 0
    .sgpr_count:     4
    .sgpr_spill_count: 0
    .symbol:         _ZN7rocprim17ROCPRIM_400000_NS6detail17trampoline_kernelINS0_14default_configENS1_25partition_config_selectorILNS1_17partition_subalgoE8EiNS0_10empty_typeEbEEZZNS1_14partition_implILS5_8ELb0ES3_jN6thrust23THRUST_200600_302600_NS10device_ptrIiEEPS6_PKS6_NS0_5tupleIJSC_S6_EEENSG_IJSD_SD_EEENS0_18inequality_wrapperINSA_8equal_toIiEEEEPmJS6_EEE10hipError_tPvRmT3_T4_T5_T6_T7_T9_mT8_P12ihipStream_tbDpT10_ENKUlT_T0_E_clISt17integral_constantIbLb0EES17_EEDaS12_S13_EUlS12_E_NS1_11comp_targetILNS1_3genE4ELNS1_11target_archE910ELNS1_3gpuE8ELNS1_3repE0EEENS1_30default_config_static_selectorELNS0_4arch9wavefront6targetE1EEEvT1_.kd
    .uniform_work_group_size: 1
    .uses_dynamic_stack: false
    .vgpr_count:     0
    .vgpr_spill_count: 0
    .wavefront_size: 64
  - .args:
      - .offset:         0
        .size:           112
        .value_kind:     by_value
    .group_segment_fixed_size: 0
    .kernarg_segment_align: 8
    .kernarg_segment_size: 112
    .language:       OpenCL C
    .language_version:
      - 2
      - 0
    .max_flat_workgroup_size: 512
    .name:           _ZN7rocprim17ROCPRIM_400000_NS6detail17trampoline_kernelINS0_14default_configENS1_25partition_config_selectorILNS1_17partition_subalgoE8EiNS0_10empty_typeEbEEZZNS1_14partition_implILS5_8ELb0ES3_jN6thrust23THRUST_200600_302600_NS10device_ptrIiEEPS6_PKS6_NS0_5tupleIJSC_S6_EEENSG_IJSD_SD_EEENS0_18inequality_wrapperINSA_8equal_toIiEEEEPmJS6_EEE10hipError_tPvRmT3_T4_T5_T6_T7_T9_mT8_P12ihipStream_tbDpT10_ENKUlT_T0_E_clISt17integral_constantIbLb0EES17_EEDaS12_S13_EUlS12_E_NS1_11comp_targetILNS1_3genE3ELNS1_11target_archE908ELNS1_3gpuE7ELNS1_3repE0EEENS1_30default_config_static_selectorELNS0_4arch9wavefront6targetE1EEEvT1_
    .private_segment_fixed_size: 0
    .sgpr_count:     4
    .sgpr_spill_count: 0
    .symbol:         _ZN7rocprim17ROCPRIM_400000_NS6detail17trampoline_kernelINS0_14default_configENS1_25partition_config_selectorILNS1_17partition_subalgoE8EiNS0_10empty_typeEbEEZZNS1_14partition_implILS5_8ELb0ES3_jN6thrust23THRUST_200600_302600_NS10device_ptrIiEEPS6_PKS6_NS0_5tupleIJSC_S6_EEENSG_IJSD_SD_EEENS0_18inequality_wrapperINSA_8equal_toIiEEEEPmJS6_EEE10hipError_tPvRmT3_T4_T5_T6_T7_T9_mT8_P12ihipStream_tbDpT10_ENKUlT_T0_E_clISt17integral_constantIbLb0EES17_EEDaS12_S13_EUlS12_E_NS1_11comp_targetILNS1_3genE3ELNS1_11target_archE908ELNS1_3gpuE7ELNS1_3repE0EEENS1_30default_config_static_selectorELNS0_4arch9wavefront6targetE1EEEvT1_.kd
    .uniform_work_group_size: 1
    .uses_dynamic_stack: false
    .vgpr_count:     0
    .vgpr_spill_count: 0
    .wavefront_size: 64
  - .args:
      - .offset:         0
        .size:           112
        .value_kind:     by_value
    .group_segment_fixed_size: 16904
    .kernarg_segment_align: 8
    .kernarg_segment_size: 112
    .language:       OpenCL C
    .language_version:
      - 2
      - 0
    .max_flat_workgroup_size: 256
    .name:           _ZN7rocprim17ROCPRIM_400000_NS6detail17trampoline_kernelINS0_14default_configENS1_25partition_config_selectorILNS1_17partition_subalgoE8EiNS0_10empty_typeEbEEZZNS1_14partition_implILS5_8ELb0ES3_jN6thrust23THRUST_200600_302600_NS10device_ptrIiEEPS6_PKS6_NS0_5tupleIJSC_S6_EEENSG_IJSD_SD_EEENS0_18inequality_wrapperINSA_8equal_toIiEEEEPmJS6_EEE10hipError_tPvRmT3_T4_T5_T6_T7_T9_mT8_P12ihipStream_tbDpT10_ENKUlT_T0_E_clISt17integral_constantIbLb0EES17_EEDaS12_S13_EUlS12_E_NS1_11comp_targetILNS1_3genE2ELNS1_11target_archE906ELNS1_3gpuE6ELNS1_3repE0EEENS1_30default_config_static_selectorELNS0_4arch9wavefront6targetE1EEEvT1_
    .private_segment_fixed_size: 0
    .sgpr_count:     60
    .sgpr_spill_count: 0
    .symbol:         _ZN7rocprim17ROCPRIM_400000_NS6detail17trampoline_kernelINS0_14default_configENS1_25partition_config_selectorILNS1_17partition_subalgoE8EiNS0_10empty_typeEbEEZZNS1_14partition_implILS5_8ELb0ES3_jN6thrust23THRUST_200600_302600_NS10device_ptrIiEEPS6_PKS6_NS0_5tupleIJSC_S6_EEENSG_IJSD_SD_EEENS0_18inequality_wrapperINSA_8equal_toIiEEEEPmJS6_EEE10hipError_tPvRmT3_T4_T5_T6_T7_T9_mT8_P12ihipStream_tbDpT10_ENKUlT_T0_E_clISt17integral_constantIbLb0EES17_EEDaS12_S13_EUlS12_E_NS1_11comp_targetILNS1_3genE2ELNS1_11target_archE906ELNS1_3gpuE6ELNS1_3repE0EEENS1_30default_config_static_selectorELNS0_4arch9wavefront6targetE1EEEvT1_.kd
    .uniform_work_group_size: 1
    .uses_dynamic_stack: false
    .vgpr_count:     75
    .vgpr_spill_count: 0
    .wavefront_size: 64
  - .args:
      - .offset:         0
        .size:           112
        .value_kind:     by_value
    .group_segment_fixed_size: 0
    .kernarg_segment_align: 8
    .kernarg_segment_size: 112
    .language:       OpenCL C
    .language_version:
      - 2
      - 0
    .max_flat_workgroup_size: 384
    .name:           _ZN7rocprim17ROCPRIM_400000_NS6detail17trampoline_kernelINS0_14default_configENS1_25partition_config_selectorILNS1_17partition_subalgoE8EiNS0_10empty_typeEbEEZZNS1_14partition_implILS5_8ELb0ES3_jN6thrust23THRUST_200600_302600_NS10device_ptrIiEEPS6_PKS6_NS0_5tupleIJSC_S6_EEENSG_IJSD_SD_EEENS0_18inequality_wrapperINSA_8equal_toIiEEEEPmJS6_EEE10hipError_tPvRmT3_T4_T5_T6_T7_T9_mT8_P12ihipStream_tbDpT10_ENKUlT_T0_E_clISt17integral_constantIbLb0EES17_EEDaS12_S13_EUlS12_E_NS1_11comp_targetILNS1_3genE10ELNS1_11target_archE1200ELNS1_3gpuE4ELNS1_3repE0EEENS1_30default_config_static_selectorELNS0_4arch9wavefront6targetE1EEEvT1_
    .private_segment_fixed_size: 0
    .sgpr_count:     4
    .sgpr_spill_count: 0
    .symbol:         _ZN7rocprim17ROCPRIM_400000_NS6detail17trampoline_kernelINS0_14default_configENS1_25partition_config_selectorILNS1_17partition_subalgoE8EiNS0_10empty_typeEbEEZZNS1_14partition_implILS5_8ELb0ES3_jN6thrust23THRUST_200600_302600_NS10device_ptrIiEEPS6_PKS6_NS0_5tupleIJSC_S6_EEENSG_IJSD_SD_EEENS0_18inequality_wrapperINSA_8equal_toIiEEEEPmJS6_EEE10hipError_tPvRmT3_T4_T5_T6_T7_T9_mT8_P12ihipStream_tbDpT10_ENKUlT_T0_E_clISt17integral_constantIbLb0EES17_EEDaS12_S13_EUlS12_E_NS1_11comp_targetILNS1_3genE10ELNS1_11target_archE1200ELNS1_3gpuE4ELNS1_3repE0EEENS1_30default_config_static_selectorELNS0_4arch9wavefront6targetE1EEEvT1_.kd
    .uniform_work_group_size: 1
    .uses_dynamic_stack: false
    .vgpr_count:     0
    .vgpr_spill_count: 0
    .wavefront_size: 64
  - .args:
      - .offset:         0
        .size:           112
        .value_kind:     by_value
    .group_segment_fixed_size: 0
    .kernarg_segment_align: 8
    .kernarg_segment_size: 112
    .language:       OpenCL C
    .language_version:
      - 2
      - 0
    .max_flat_workgroup_size: 384
    .name:           _ZN7rocprim17ROCPRIM_400000_NS6detail17trampoline_kernelINS0_14default_configENS1_25partition_config_selectorILNS1_17partition_subalgoE8EiNS0_10empty_typeEbEEZZNS1_14partition_implILS5_8ELb0ES3_jN6thrust23THRUST_200600_302600_NS10device_ptrIiEEPS6_PKS6_NS0_5tupleIJSC_S6_EEENSG_IJSD_SD_EEENS0_18inequality_wrapperINSA_8equal_toIiEEEEPmJS6_EEE10hipError_tPvRmT3_T4_T5_T6_T7_T9_mT8_P12ihipStream_tbDpT10_ENKUlT_T0_E_clISt17integral_constantIbLb0EES17_EEDaS12_S13_EUlS12_E_NS1_11comp_targetILNS1_3genE9ELNS1_11target_archE1100ELNS1_3gpuE3ELNS1_3repE0EEENS1_30default_config_static_selectorELNS0_4arch9wavefront6targetE1EEEvT1_
    .private_segment_fixed_size: 0
    .sgpr_count:     4
    .sgpr_spill_count: 0
    .symbol:         _ZN7rocprim17ROCPRIM_400000_NS6detail17trampoline_kernelINS0_14default_configENS1_25partition_config_selectorILNS1_17partition_subalgoE8EiNS0_10empty_typeEbEEZZNS1_14partition_implILS5_8ELb0ES3_jN6thrust23THRUST_200600_302600_NS10device_ptrIiEEPS6_PKS6_NS0_5tupleIJSC_S6_EEENSG_IJSD_SD_EEENS0_18inequality_wrapperINSA_8equal_toIiEEEEPmJS6_EEE10hipError_tPvRmT3_T4_T5_T6_T7_T9_mT8_P12ihipStream_tbDpT10_ENKUlT_T0_E_clISt17integral_constantIbLb0EES17_EEDaS12_S13_EUlS12_E_NS1_11comp_targetILNS1_3genE9ELNS1_11target_archE1100ELNS1_3gpuE3ELNS1_3repE0EEENS1_30default_config_static_selectorELNS0_4arch9wavefront6targetE1EEEvT1_.kd
    .uniform_work_group_size: 1
    .uses_dynamic_stack: false
    .vgpr_count:     0
    .vgpr_spill_count: 0
    .wavefront_size: 64
  - .args:
      - .offset:         0
        .size:           112
        .value_kind:     by_value
    .group_segment_fixed_size: 0
    .kernarg_segment_align: 8
    .kernarg_segment_size: 112
    .language:       OpenCL C
    .language_version:
      - 2
      - 0
    .max_flat_workgroup_size: 512
    .name:           _ZN7rocprim17ROCPRIM_400000_NS6detail17trampoline_kernelINS0_14default_configENS1_25partition_config_selectorILNS1_17partition_subalgoE8EiNS0_10empty_typeEbEEZZNS1_14partition_implILS5_8ELb0ES3_jN6thrust23THRUST_200600_302600_NS10device_ptrIiEEPS6_PKS6_NS0_5tupleIJSC_S6_EEENSG_IJSD_SD_EEENS0_18inequality_wrapperINSA_8equal_toIiEEEEPmJS6_EEE10hipError_tPvRmT3_T4_T5_T6_T7_T9_mT8_P12ihipStream_tbDpT10_ENKUlT_T0_E_clISt17integral_constantIbLb0EES17_EEDaS12_S13_EUlS12_E_NS1_11comp_targetILNS1_3genE8ELNS1_11target_archE1030ELNS1_3gpuE2ELNS1_3repE0EEENS1_30default_config_static_selectorELNS0_4arch9wavefront6targetE1EEEvT1_
    .private_segment_fixed_size: 0
    .sgpr_count:     4
    .sgpr_spill_count: 0
    .symbol:         _ZN7rocprim17ROCPRIM_400000_NS6detail17trampoline_kernelINS0_14default_configENS1_25partition_config_selectorILNS1_17partition_subalgoE8EiNS0_10empty_typeEbEEZZNS1_14partition_implILS5_8ELb0ES3_jN6thrust23THRUST_200600_302600_NS10device_ptrIiEEPS6_PKS6_NS0_5tupleIJSC_S6_EEENSG_IJSD_SD_EEENS0_18inequality_wrapperINSA_8equal_toIiEEEEPmJS6_EEE10hipError_tPvRmT3_T4_T5_T6_T7_T9_mT8_P12ihipStream_tbDpT10_ENKUlT_T0_E_clISt17integral_constantIbLb0EES17_EEDaS12_S13_EUlS12_E_NS1_11comp_targetILNS1_3genE8ELNS1_11target_archE1030ELNS1_3gpuE2ELNS1_3repE0EEENS1_30default_config_static_selectorELNS0_4arch9wavefront6targetE1EEEvT1_.kd
    .uniform_work_group_size: 1
    .uses_dynamic_stack: false
    .vgpr_count:     0
    .vgpr_spill_count: 0
    .wavefront_size: 64
  - .args:
      - .offset:         0
        .size:           128
        .value_kind:     by_value
    .group_segment_fixed_size: 0
    .kernarg_segment_align: 8
    .kernarg_segment_size: 128
    .language:       OpenCL C
    .language_version:
      - 2
      - 0
    .max_flat_workgroup_size: 512
    .name:           _ZN7rocprim17ROCPRIM_400000_NS6detail17trampoline_kernelINS0_14default_configENS1_25partition_config_selectorILNS1_17partition_subalgoE8EiNS0_10empty_typeEbEEZZNS1_14partition_implILS5_8ELb0ES3_jN6thrust23THRUST_200600_302600_NS10device_ptrIiEEPS6_PKS6_NS0_5tupleIJSC_S6_EEENSG_IJSD_SD_EEENS0_18inequality_wrapperINSA_8equal_toIiEEEEPmJS6_EEE10hipError_tPvRmT3_T4_T5_T6_T7_T9_mT8_P12ihipStream_tbDpT10_ENKUlT_T0_E_clISt17integral_constantIbLb1EES17_EEDaS12_S13_EUlS12_E_NS1_11comp_targetILNS1_3genE0ELNS1_11target_archE4294967295ELNS1_3gpuE0ELNS1_3repE0EEENS1_30default_config_static_selectorELNS0_4arch9wavefront6targetE1EEEvT1_
    .private_segment_fixed_size: 0
    .sgpr_count:     4
    .sgpr_spill_count: 0
    .symbol:         _ZN7rocprim17ROCPRIM_400000_NS6detail17trampoline_kernelINS0_14default_configENS1_25partition_config_selectorILNS1_17partition_subalgoE8EiNS0_10empty_typeEbEEZZNS1_14partition_implILS5_8ELb0ES3_jN6thrust23THRUST_200600_302600_NS10device_ptrIiEEPS6_PKS6_NS0_5tupleIJSC_S6_EEENSG_IJSD_SD_EEENS0_18inequality_wrapperINSA_8equal_toIiEEEEPmJS6_EEE10hipError_tPvRmT3_T4_T5_T6_T7_T9_mT8_P12ihipStream_tbDpT10_ENKUlT_T0_E_clISt17integral_constantIbLb1EES17_EEDaS12_S13_EUlS12_E_NS1_11comp_targetILNS1_3genE0ELNS1_11target_archE4294967295ELNS1_3gpuE0ELNS1_3repE0EEENS1_30default_config_static_selectorELNS0_4arch9wavefront6targetE1EEEvT1_.kd
    .uniform_work_group_size: 1
    .uses_dynamic_stack: false
    .vgpr_count:     0
    .vgpr_spill_count: 0
    .wavefront_size: 64
  - .args:
      - .offset:         0
        .size:           128
        .value_kind:     by_value
    .group_segment_fixed_size: 0
    .kernarg_segment_align: 8
    .kernarg_segment_size: 128
    .language:       OpenCL C
    .language_version:
      - 2
      - 0
    .max_flat_workgroup_size: 512
    .name:           _ZN7rocprim17ROCPRIM_400000_NS6detail17trampoline_kernelINS0_14default_configENS1_25partition_config_selectorILNS1_17partition_subalgoE8EiNS0_10empty_typeEbEEZZNS1_14partition_implILS5_8ELb0ES3_jN6thrust23THRUST_200600_302600_NS10device_ptrIiEEPS6_PKS6_NS0_5tupleIJSC_S6_EEENSG_IJSD_SD_EEENS0_18inequality_wrapperINSA_8equal_toIiEEEEPmJS6_EEE10hipError_tPvRmT3_T4_T5_T6_T7_T9_mT8_P12ihipStream_tbDpT10_ENKUlT_T0_E_clISt17integral_constantIbLb1EES17_EEDaS12_S13_EUlS12_E_NS1_11comp_targetILNS1_3genE5ELNS1_11target_archE942ELNS1_3gpuE9ELNS1_3repE0EEENS1_30default_config_static_selectorELNS0_4arch9wavefront6targetE1EEEvT1_
    .private_segment_fixed_size: 0
    .sgpr_count:     4
    .sgpr_spill_count: 0
    .symbol:         _ZN7rocprim17ROCPRIM_400000_NS6detail17trampoline_kernelINS0_14default_configENS1_25partition_config_selectorILNS1_17partition_subalgoE8EiNS0_10empty_typeEbEEZZNS1_14partition_implILS5_8ELb0ES3_jN6thrust23THRUST_200600_302600_NS10device_ptrIiEEPS6_PKS6_NS0_5tupleIJSC_S6_EEENSG_IJSD_SD_EEENS0_18inequality_wrapperINSA_8equal_toIiEEEEPmJS6_EEE10hipError_tPvRmT3_T4_T5_T6_T7_T9_mT8_P12ihipStream_tbDpT10_ENKUlT_T0_E_clISt17integral_constantIbLb1EES17_EEDaS12_S13_EUlS12_E_NS1_11comp_targetILNS1_3genE5ELNS1_11target_archE942ELNS1_3gpuE9ELNS1_3repE0EEENS1_30default_config_static_selectorELNS0_4arch9wavefront6targetE1EEEvT1_.kd
    .uniform_work_group_size: 1
    .uses_dynamic_stack: false
    .vgpr_count:     0
    .vgpr_spill_count: 0
    .wavefront_size: 64
  - .args:
      - .offset:         0
        .size:           128
        .value_kind:     by_value
    .group_segment_fixed_size: 0
    .kernarg_segment_align: 8
    .kernarg_segment_size: 128
    .language:       OpenCL C
    .language_version:
      - 2
      - 0
    .max_flat_workgroup_size: 256
    .name:           _ZN7rocprim17ROCPRIM_400000_NS6detail17trampoline_kernelINS0_14default_configENS1_25partition_config_selectorILNS1_17partition_subalgoE8EiNS0_10empty_typeEbEEZZNS1_14partition_implILS5_8ELb0ES3_jN6thrust23THRUST_200600_302600_NS10device_ptrIiEEPS6_PKS6_NS0_5tupleIJSC_S6_EEENSG_IJSD_SD_EEENS0_18inequality_wrapperINSA_8equal_toIiEEEEPmJS6_EEE10hipError_tPvRmT3_T4_T5_T6_T7_T9_mT8_P12ihipStream_tbDpT10_ENKUlT_T0_E_clISt17integral_constantIbLb1EES17_EEDaS12_S13_EUlS12_E_NS1_11comp_targetILNS1_3genE4ELNS1_11target_archE910ELNS1_3gpuE8ELNS1_3repE0EEENS1_30default_config_static_selectorELNS0_4arch9wavefront6targetE1EEEvT1_
    .private_segment_fixed_size: 0
    .sgpr_count:     4
    .sgpr_spill_count: 0
    .symbol:         _ZN7rocprim17ROCPRIM_400000_NS6detail17trampoline_kernelINS0_14default_configENS1_25partition_config_selectorILNS1_17partition_subalgoE8EiNS0_10empty_typeEbEEZZNS1_14partition_implILS5_8ELb0ES3_jN6thrust23THRUST_200600_302600_NS10device_ptrIiEEPS6_PKS6_NS0_5tupleIJSC_S6_EEENSG_IJSD_SD_EEENS0_18inequality_wrapperINSA_8equal_toIiEEEEPmJS6_EEE10hipError_tPvRmT3_T4_T5_T6_T7_T9_mT8_P12ihipStream_tbDpT10_ENKUlT_T0_E_clISt17integral_constantIbLb1EES17_EEDaS12_S13_EUlS12_E_NS1_11comp_targetILNS1_3genE4ELNS1_11target_archE910ELNS1_3gpuE8ELNS1_3repE0EEENS1_30default_config_static_selectorELNS0_4arch9wavefront6targetE1EEEvT1_.kd
    .uniform_work_group_size: 1
    .uses_dynamic_stack: false
    .vgpr_count:     0
    .vgpr_spill_count: 0
    .wavefront_size: 64
  - .args:
      - .offset:         0
        .size:           128
        .value_kind:     by_value
    .group_segment_fixed_size: 0
    .kernarg_segment_align: 8
    .kernarg_segment_size: 128
    .language:       OpenCL C
    .language_version:
      - 2
      - 0
    .max_flat_workgroup_size: 512
    .name:           _ZN7rocprim17ROCPRIM_400000_NS6detail17trampoline_kernelINS0_14default_configENS1_25partition_config_selectorILNS1_17partition_subalgoE8EiNS0_10empty_typeEbEEZZNS1_14partition_implILS5_8ELb0ES3_jN6thrust23THRUST_200600_302600_NS10device_ptrIiEEPS6_PKS6_NS0_5tupleIJSC_S6_EEENSG_IJSD_SD_EEENS0_18inequality_wrapperINSA_8equal_toIiEEEEPmJS6_EEE10hipError_tPvRmT3_T4_T5_T6_T7_T9_mT8_P12ihipStream_tbDpT10_ENKUlT_T0_E_clISt17integral_constantIbLb1EES17_EEDaS12_S13_EUlS12_E_NS1_11comp_targetILNS1_3genE3ELNS1_11target_archE908ELNS1_3gpuE7ELNS1_3repE0EEENS1_30default_config_static_selectorELNS0_4arch9wavefront6targetE1EEEvT1_
    .private_segment_fixed_size: 0
    .sgpr_count:     4
    .sgpr_spill_count: 0
    .symbol:         _ZN7rocprim17ROCPRIM_400000_NS6detail17trampoline_kernelINS0_14default_configENS1_25partition_config_selectorILNS1_17partition_subalgoE8EiNS0_10empty_typeEbEEZZNS1_14partition_implILS5_8ELb0ES3_jN6thrust23THRUST_200600_302600_NS10device_ptrIiEEPS6_PKS6_NS0_5tupleIJSC_S6_EEENSG_IJSD_SD_EEENS0_18inequality_wrapperINSA_8equal_toIiEEEEPmJS6_EEE10hipError_tPvRmT3_T4_T5_T6_T7_T9_mT8_P12ihipStream_tbDpT10_ENKUlT_T0_E_clISt17integral_constantIbLb1EES17_EEDaS12_S13_EUlS12_E_NS1_11comp_targetILNS1_3genE3ELNS1_11target_archE908ELNS1_3gpuE7ELNS1_3repE0EEENS1_30default_config_static_selectorELNS0_4arch9wavefront6targetE1EEEvT1_.kd
    .uniform_work_group_size: 1
    .uses_dynamic_stack: false
    .vgpr_count:     0
    .vgpr_spill_count: 0
    .wavefront_size: 64
  - .args:
      - .offset:         0
        .size:           128
        .value_kind:     by_value
    .group_segment_fixed_size: 0
    .kernarg_segment_align: 8
    .kernarg_segment_size: 128
    .language:       OpenCL C
    .language_version:
      - 2
      - 0
    .max_flat_workgroup_size: 256
    .name:           _ZN7rocprim17ROCPRIM_400000_NS6detail17trampoline_kernelINS0_14default_configENS1_25partition_config_selectorILNS1_17partition_subalgoE8EiNS0_10empty_typeEbEEZZNS1_14partition_implILS5_8ELb0ES3_jN6thrust23THRUST_200600_302600_NS10device_ptrIiEEPS6_PKS6_NS0_5tupleIJSC_S6_EEENSG_IJSD_SD_EEENS0_18inequality_wrapperINSA_8equal_toIiEEEEPmJS6_EEE10hipError_tPvRmT3_T4_T5_T6_T7_T9_mT8_P12ihipStream_tbDpT10_ENKUlT_T0_E_clISt17integral_constantIbLb1EES17_EEDaS12_S13_EUlS12_E_NS1_11comp_targetILNS1_3genE2ELNS1_11target_archE906ELNS1_3gpuE6ELNS1_3repE0EEENS1_30default_config_static_selectorELNS0_4arch9wavefront6targetE1EEEvT1_
    .private_segment_fixed_size: 0
    .sgpr_count:     4
    .sgpr_spill_count: 0
    .symbol:         _ZN7rocprim17ROCPRIM_400000_NS6detail17trampoline_kernelINS0_14default_configENS1_25partition_config_selectorILNS1_17partition_subalgoE8EiNS0_10empty_typeEbEEZZNS1_14partition_implILS5_8ELb0ES3_jN6thrust23THRUST_200600_302600_NS10device_ptrIiEEPS6_PKS6_NS0_5tupleIJSC_S6_EEENSG_IJSD_SD_EEENS0_18inequality_wrapperINSA_8equal_toIiEEEEPmJS6_EEE10hipError_tPvRmT3_T4_T5_T6_T7_T9_mT8_P12ihipStream_tbDpT10_ENKUlT_T0_E_clISt17integral_constantIbLb1EES17_EEDaS12_S13_EUlS12_E_NS1_11comp_targetILNS1_3genE2ELNS1_11target_archE906ELNS1_3gpuE6ELNS1_3repE0EEENS1_30default_config_static_selectorELNS0_4arch9wavefront6targetE1EEEvT1_.kd
    .uniform_work_group_size: 1
    .uses_dynamic_stack: false
    .vgpr_count:     0
    .vgpr_spill_count: 0
    .wavefront_size: 64
  - .args:
      - .offset:         0
        .size:           128
        .value_kind:     by_value
    .group_segment_fixed_size: 0
    .kernarg_segment_align: 8
    .kernarg_segment_size: 128
    .language:       OpenCL C
    .language_version:
      - 2
      - 0
    .max_flat_workgroup_size: 384
    .name:           _ZN7rocprim17ROCPRIM_400000_NS6detail17trampoline_kernelINS0_14default_configENS1_25partition_config_selectorILNS1_17partition_subalgoE8EiNS0_10empty_typeEbEEZZNS1_14partition_implILS5_8ELb0ES3_jN6thrust23THRUST_200600_302600_NS10device_ptrIiEEPS6_PKS6_NS0_5tupleIJSC_S6_EEENSG_IJSD_SD_EEENS0_18inequality_wrapperINSA_8equal_toIiEEEEPmJS6_EEE10hipError_tPvRmT3_T4_T5_T6_T7_T9_mT8_P12ihipStream_tbDpT10_ENKUlT_T0_E_clISt17integral_constantIbLb1EES17_EEDaS12_S13_EUlS12_E_NS1_11comp_targetILNS1_3genE10ELNS1_11target_archE1200ELNS1_3gpuE4ELNS1_3repE0EEENS1_30default_config_static_selectorELNS0_4arch9wavefront6targetE1EEEvT1_
    .private_segment_fixed_size: 0
    .sgpr_count:     4
    .sgpr_spill_count: 0
    .symbol:         _ZN7rocprim17ROCPRIM_400000_NS6detail17trampoline_kernelINS0_14default_configENS1_25partition_config_selectorILNS1_17partition_subalgoE8EiNS0_10empty_typeEbEEZZNS1_14partition_implILS5_8ELb0ES3_jN6thrust23THRUST_200600_302600_NS10device_ptrIiEEPS6_PKS6_NS0_5tupleIJSC_S6_EEENSG_IJSD_SD_EEENS0_18inequality_wrapperINSA_8equal_toIiEEEEPmJS6_EEE10hipError_tPvRmT3_T4_T5_T6_T7_T9_mT8_P12ihipStream_tbDpT10_ENKUlT_T0_E_clISt17integral_constantIbLb1EES17_EEDaS12_S13_EUlS12_E_NS1_11comp_targetILNS1_3genE10ELNS1_11target_archE1200ELNS1_3gpuE4ELNS1_3repE0EEENS1_30default_config_static_selectorELNS0_4arch9wavefront6targetE1EEEvT1_.kd
    .uniform_work_group_size: 1
    .uses_dynamic_stack: false
    .vgpr_count:     0
    .vgpr_spill_count: 0
    .wavefront_size: 64
  - .args:
      - .offset:         0
        .size:           128
        .value_kind:     by_value
    .group_segment_fixed_size: 0
    .kernarg_segment_align: 8
    .kernarg_segment_size: 128
    .language:       OpenCL C
    .language_version:
      - 2
      - 0
    .max_flat_workgroup_size: 384
    .name:           _ZN7rocprim17ROCPRIM_400000_NS6detail17trampoline_kernelINS0_14default_configENS1_25partition_config_selectorILNS1_17partition_subalgoE8EiNS0_10empty_typeEbEEZZNS1_14partition_implILS5_8ELb0ES3_jN6thrust23THRUST_200600_302600_NS10device_ptrIiEEPS6_PKS6_NS0_5tupleIJSC_S6_EEENSG_IJSD_SD_EEENS0_18inequality_wrapperINSA_8equal_toIiEEEEPmJS6_EEE10hipError_tPvRmT3_T4_T5_T6_T7_T9_mT8_P12ihipStream_tbDpT10_ENKUlT_T0_E_clISt17integral_constantIbLb1EES17_EEDaS12_S13_EUlS12_E_NS1_11comp_targetILNS1_3genE9ELNS1_11target_archE1100ELNS1_3gpuE3ELNS1_3repE0EEENS1_30default_config_static_selectorELNS0_4arch9wavefront6targetE1EEEvT1_
    .private_segment_fixed_size: 0
    .sgpr_count:     4
    .sgpr_spill_count: 0
    .symbol:         _ZN7rocprim17ROCPRIM_400000_NS6detail17trampoline_kernelINS0_14default_configENS1_25partition_config_selectorILNS1_17partition_subalgoE8EiNS0_10empty_typeEbEEZZNS1_14partition_implILS5_8ELb0ES3_jN6thrust23THRUST_200600_302600_NS10device_ptrIiEEPS6_PKS6_NS0_5tupleIJSC_S6_EEENSG_IJSD_SD_EEENS0_18inequality_wrapperINSA_8equal_toIiEEEEPmJS6_EEE10hipError_tPvRmT3_T4_T5_T6_T7_T9_mT8_P12ihipStream_tbDpT10_ENKUlT_T0_E_clISt17integral_constantIbLb1EES17_EEDaS12_S13_EUlS12_E_NS1_11comp_targetILNS1_3genE9ELNS1_11target_archE1100ELNS1_3gpuE3ELNS1_3repE0EEENS1_30default_config_static_selectorELNS0_4arch9wavefront6targetE1EEEvT1_.kd
    .uniform_work_group_size: 1
    .uses_dynamic_stack: false
    .vgpr_count:     0
    .vgpr_spill_count: 0
    .wavefront_size: 64
  - .args:
      - .offset:         0
        .size:           128
        .value_kind:     by_value
    .group_segment_fixed_size: 0
    .kernarg_segment_align: 8
    .kernarg_segment_size: 128
    .language:       OpenCL C
    .language_version:
      - 2
      - 0
    .max_flat_workgroup_size: 512
    .name:           _ZN7rocprim17ROCPRIM_400000_NS6detail17trampoline_kernelINS0_14default_configENS1_25partition_config_selectorILNS1_17partition_subalgoE8EiNS0_10empty_typeEbEEZZNS1_14partition_implILS5_8ELb0ES3_jN6thrust23THRUST_200600_302600_NS10device_ptrIiEEPS6_PKS6_NS0_5tupleIJSC_S6_EEENSG_IJSD_SD_EEENS0_18inequality_wrapperINSA_8equal_toIiEEEEPmJS6_EEE10hipError_tPvRmT3_T4_T5_T6_T7_T9_mT8_P12ihipStream_tbDpT10_ENKUlT_T0_E_clISt17integral_constantIbLb1EES17_EEDaS12_S13_EUlS12_E_NS1_11comp_targetILNS1_3genE8ELNS1_11target_archE1030ELNS1_3gpuE2ELNS1_3repE0EEENS1_30default_config_static_selectorELNS0_4arch9wavefront6targetE1EEEvT1_
    .private_segment_fixed_size: 0
    .sgpr_count:     4
    .sgpr_spill_count: 0
    .symbol:         _ZN7rocprim17ROCPRIM_400000_NS6detail17trampoline_kernelINS0_14default_configENS1_25partition_config_selectorILNS1_17partition_subalgoE8EiNS0_10empty_typeEbEEZZNS1_14partition_implILS5_8ELb0ES3_jN6thrust23THRUST_200600_302600_NS10device_ptrIiEEPS6_PKS6_NS0_5tupleIJSC_S6_EEENSG_IJSD_SD_EEENS0_18inequality_wrapperINSA_8equal_toIiEEEEPmJS6_EEE10hipError_tPvRmT3_T4_T5_T6_T7_T9_mT8_P12ihipStream_tbDpT10_ENKUlT_T0_E_clISt17integral_constantIbLb1EES17_EEDaS12_S13_EUlS12_E_NS1_11comp_targetILNS1_3genE8ELNS1_11target_archE1030ELNS1_3gpuE2ELNS1_3repE0EEENS1_30default_config_static_selectorELNS0_4arch9wavefront6targetE1EEEvT1_.kd
    .uniform_work_group_size: 1
    .uses_dynamic_stack: false
    .vgpr_count:     0
    .vgpr_spill_count: 0
    .wavefront_size: 64
  - .args:
      - .offset:         0
        .size:           112
        .value_kind:     by_value
    .group_segment_fixed_size: 0
    .kernarg_segment_align: 8
    .kernarg_segment_size: 112
    .language:       OpenCL C
    .language_version:
      - 2
      - 0
    .max_flat_workgroup_size: 512
    .name:           _ZN7rocprim17ROCPRIM_400000_NS6detail17trampoline_kernelINS0_14default_configENS1_25partition_config_selectorILNS1_17partition_subalgoE8EiNS0_10empty_typeEbEEZZNS1_14partition_implILS5_8ELb0ES3_jN6thrust23THRUST_200600_302600_NS10device_ptrIiEEPS6_PKS6_NS0_5tupleIJSC_S6_EEENSG_IJSD_SD_EEENS0_18inequality_wrapperINSA_8equal_toIiEEEEPmJS6_EEE10hipError_tPvRmT3_T4_T5_T6_T7_T9_mT8_P12ihipStream_tbDpT10_ENKUlT_T0_E_clISt17integral_constantIbLb1EES16_IbLb0EEEEDaS12_S13_EUlS12_E_NS1_11comp_targetILNS1_3genE0ELNS1_11target_archE4294967295ELNS1_3gpuE0ELNS1_3repE0EEENS1_30default_config_static_selectorELNS0_4arch9wavefront6targetE1EEEvT1_
    .private_segment_fixed_size: 0
    .sgpr_count:     4
    .sgpr_spill_count: 0
    .symbol:         _ZN7rocprim17ROCPRIM_400000_NS6detail17trampoline_kernelINS0_14default_configENS1_25partition_config_selectorILNS1_17partition_subalgoE8EiNS0_10empty_typeEbEEZZNS1_14partition_implILS5_8ELb0ES3_jN6thrust23THRUST_200600_302600_NS10device_ptrIiEEPS6_PKS6_NS0_5tupleIJSC_S6_EEENSG_IJSD_SD_EEENS0_18inequality_wrapperINSA_8equal_toIiEEEEPmJS6_EEE10hipError_tPvRmT3_T4_T5_T6_T7_T9_mT8_P12ihipStream_tbDpT10_ENKUlT_T0_E_clISt17integral_constantIbLb1EES16_IbLb0EEEEDaS12_S13_EUlS12_E_NS1_11comp_targetILNS1_3genE0ELNS1_11target_archE4294967295ELNS1_3gpuE0ELNS1_3repE0EEENS1_30default_config_static_selectorELNS0_4arch9wavefront6targetE1EEEvT1_.kd
    .uniform_work_group_size: 1
    .uses_dynamic_stack: false
    .vgpr_count:     0
    .vgpr_spill_count: 0
    .wavefront_size: 64
  - .args:
      - .offset:         0
        .size:           112
        .value_kind:     by_value
    .group_segment_fixed_size: 0
    .kernarg_segment_align: 8
    .kernarg_segment_size: 112
    .language:       OpenCL C
    .language_version:
      - 2
      - 0
    .max_flat_workgroup_size: 512
    .name:           _ZN7rocprim17ROCPRIM_400000_NS6detail17trampoline_kernelINS0_14default_configENS1_25partition_config_selectorILNS1_17partition_subalgoE8EiNS0_10empty_typeEbEEZZNS1_14partition_implILS5_8ELb0ES3_jN6thrust23THRUST_200600_302600_NS10device_ptrIiEEPS6_PKS6_NS0_5tupleIJSC_S6_EEENSG_IJSD_SD_EEENS0_18inequality_wrapperINSA_8equal_toIiEEEEPmJS6_EEE10hipError_tPvRmT3_T4_T5_T6_T7_T9_mT8_P12ihipStream_tbDpT10_ENKUlT_T0_E_clISt17integral_constantIbLb1EES16_IbLb0EEEEDaS12_S13_EUlS12_E_NS1_11comp_targetILNS1_3genE5ELNS1_11target_archE942ELNS1_3gpuE9ELNS1_3repE0EEENS1_30default_config_static_selectorELNS0_4arch9wavefront6targetE1EEEvT1_
    .private_segment_fixed_size: 0
    .sgpr_count:     4
    .sgpr_spill_count: 0
    .symbol:         _ZN7rocprim17ROCPRIM_400000_NS6detail17trampoline_kernelINS0_14default_configENS1_25partition_config_selectorILNS1_17partition_subalgoE8EiNS0_10empty_typeEbEEZZNS1_14partition_implILS5_8ELb0ES3_jN6thrust23THRUST_200600_302600_NS10device_ptrIiEEPS6_PKS6_NS0_5tupleIJSC_S6_EEENSG_IJSD_SD_EEENS0_18inequality_wrapperINSA_8equal_toIiEEEEPmJS6_EEE10hipError_tPvRmT3_T4_T5_T6_T7_T9_mT8_P12ihipStream_tbDpT10_ENKUlT_T0_E_clISt17integral_constantIbLb1EES16_IbLb0EEEEDaS12_S13_EUlS12_E_NS1_11comp_targetILNS1_3genE5ELNS1_11target_archE942ELNS1_3gpuE9ELNS1_3repE0EEENS1_30default_config_static_selectorELNS0_4arch9wavefront6targetE1EEEvT1_.kd
    .uniform_work_group_size: 1
    .uses_dynamic_stack: false
    .vgpr_count:     0
    .vgpr_spill_count: 0
    .wavefront_size: 64
  - .args:
      - .offset:         0
        .size:           112
        .value_kind:     by_value
    .group_segment_fixed_size: 0
    .kernarg_segment_align: 8
    .kernarg_segment_size: 112
    .language:       OpenCL C
    .language_version:
      - 2
      - 0
    .max_flat_workgroup_size: 256
    .name:           _ZN7rocprim17ROCPRIM_400000_NS6detail17trampoline_kernelINS0_14default_configENS1_25partition_config_selectorILNS1_17partition_subalgoE8EiNS0_10empty_typeEbEEZZNS1_14partition_implILS5_8ELb0ES3_jN6thrust23THRUST_200600_302600_NS10device_ptrIiEEPS6_PKS6_NS0_5tupleIJSC_S6_EEENSG_IJSD_SD_EEENS0_18inequality_wrapperINSA_8equal_toIiEEEEPmJS6_EEE10hipError_tPvRmT3_T4_T5_T6_T7_T9_mT8_P12ihipStream_tbDpT10_ENKUlT_T0_E_clISt17integral_constantIbLb1EES16_IbLb0EEEEDaS12_S13_EUlS12_E_NS1_11comp_targetILNS1_3genE4ELNS1_11target_archE910ELNS1_3gpuE8ELNS1_3repE0EEENS1_30default_config_static_selectorELNS0_4arch9wavefront6targetE1EEEvT1_
    .private_segment_fixed_size: 0
    .sgpr_count:     4
    .sgpr_spill_count: 0
    .symbol:         _ZN7rocprim17ROCPRIM_400000_NS6detail17trampoline_kernelINS0_14default_configENS1_25partition_config_selectorILNS1_17partition_subalgoE8EiNS0_10empty_typeEbEEZZNS1_14partition_implILS5_8ELb0ES3_jN6thrust23THRUST_200600_302600_NS10device_ptrIiEEPS6_PKS6_NS0_5tupleIJSC_S6_EEENSG_IJSD_SD_EEENS0_18inequality_wrapperINSA_8equal_toIiEEEEPmJS6_EEE10hipError_tPvRmT3_T4_T5_T6_T7_T9_mT8_P12ihipStream_tbDpT10_ENKUlT_T0_E_clISt17integral_constantIbLb1EES16_IbLb0EEEEDaS12_S13_EUlS12_E_NS1_11comp_targetILNS1_3genE4ELNS1_11target_archE910ELNS1_3gpuE8ELNS1_3repE0EEENS1_30default_config_static_selectorELNS0_4arch9wavefront6targetE1EEEvT1_.kd
    .uniform_work_group_size: 1
    .uses_dynamic_stack: false
    .vgpr_count:     0
    .vgpr_spill_count: 0
    .wavefront_size: 64
  - .args:
      - .offset:         0
        .size:           112
        .value_kind:     by_value
    .group_segment_fixed_size: 0
    .kernarg_segment_align: 8
    .kernarg_segment_size: 112
    .language:       OpenCL C
    .language_version:
      - 2
      - 0
    .max_flat_workgroup_size: 512
    .name:           _ZN7rocprim17ROCPRIM_400000_NS6detail17trampoline_kernelINS0_14default_configENS1_25partition_config_selectorILNS1_17partition_subalgoE8EiNS0_10empty_typeEbEEZZNS1_14partition_implILS5_8ELb0ES3_jN6thrust23THRUST_200600_302600_NS10device_ptrIiEEPS6_PKS6_NS0_5tupleIJSC_S6_EEENSG_IJSD_SD_EEENS0_18inequality_wrapperINSA_8equal_toIiEEEEPmJS6_EEE10hipError_tPvRmT3_T4_T5_T6_T7_T9_mT8_P12ihipStream_tbDpT10_ENKUlT_T0_E_clISt17integral_constantIbLb1EES16_IbLb0EEEEDaS12_S13_EUlS12_E_NS1_11comp_targetILNS1_3genE3ELNS1_11target_archE908ELNS1_3gpuE7ELNS1_3repE0EEENS1_30default_config_static_selectorELNS0_4arch9wavefront6targetE1EEEvT1_
    .private_segment_fixed_size: 0
    .sgpr_count:     4
    .sgpr_spill_count: 0
    .symbol:         _ZN7rocprim17ROCPRIM_400000_NS6detail17trampoline_kernelINS0_14default_configENS1_25partition_config_selectorILNS1_17partition_subalgoE8EiNS0_10empty_typeEbEEZZNS1_14partition_implILS5_8ELb0ES3_jN6thrust23THRUST_200600_302600_NS10device_ptrIiEEPS6_PKS6_NS0_5tupleIJSC_S6_EEENSG_IJSD_SD_EEENS0_18inequality_wrapperINSA_8equal_toIiEEEEPmJS6_EEE10hipError_tPvRmT3_T4_T5_T6_T7_T9_mT8_P12ihipStream_tbDpT10_ENKUlT_T0_E_clISt17integral_constantIbLb1EES16_IbLb0EEEEDaS12_S13_EUlS12_E_NS1_11comp_targetILNS1_3genE3ELNS1_11target_archE908ELNS1_3gpuE7ELNS1_3repE0EEENS1_30default_config_static_selectorELNS0_4arch9wavefront6targetE1EEEvT1_.kd
    .uniform_work_group_size: 1
    .uses_dynamic_stack: false
    .vgpr_count:     0
    .vgpr_spill_count: 0
    .wavefront_size: 64
  - .args:
      - .offset:         0
        .size:           112
        .value_kind:     by_value
    .group_segment_fixed_size: 0
    .kernarg_segment_align: 8
    .kernarg_segment_size: 112
    .language:       OpenCL C
    .language_version:
      - 2
      - 0
    .max_flat_workgroup_size: 256
    .name:           _ZN7rocprim17ROCPRIM_400000_NS6detail17trampoline_kernelINS0_14default_configENS1_25partition_config_selectorILNS1_17partition_subalgoE8EiNS0_10empty_typeEbEEZZNS1_14partition_implILS5_8ELb0ES3_jN6thrust23THRUST_200600_302600_NS10device_ptrIiEEPS6_PKS6_NS0_5tupleIJSC_S6_EEENSG_IJSD_SD_EEENS0_18inequality_wrapperINSA_8equal_toIiEEEEPmJS6_EEE10hipError_tPvRmT3_T4_T5_T6_T7_T9_mT8_P12ihipStream_tbDpT10_ENKUlT_T0_E_clISt17integral_constantIbLb1EES16_IbLb0EEEEDaS12_S13_EUlS12_E_NS1_11comp_targetILNS1_3genE2ELNS1_11target_archE906ELNS1_3gpuE6ELNS1_3repE0EEENS1_30default_config_static_selectorELNS0_4arch9wavefront6targetE1EEEvT1_
    .private_segment_fixed_size: 0
    .sgpr_count:     4
    .sgpr_spill_count: 0
    .symbol:         _ZN7rocprim17ROCPRIM_400000_NS6detail17trampoline_kernelINS0_14default_configENS1_25partition_config_selectorILNS1_17partition_subalgoE8EiNS0_10empty_typeEbEEZZNS1_14partition_implILS5_8ELb0ES3_jN6thrust23THRUST_200600_302600_NS10device_ptrIiEEPS6_PKS6_NS0_5tupleIJSC_S6_EEENSG_IJSD_SD_EEENS0_18inequality_wrapperINSA_8equal_toIiEEEEPmJS6_EEE10hipError_tPvRmT3_T4_T5_T6_T7_T9_mT8_P12ihipStream_tbDpT10_ENKUlT_T0_E_clISt17integral_constantIbLb1EES16_IbLb0EEEEDaS12_S13_EUlS12_E_NS1_11comp_targetILNS1_3genE2ELNS1_11target_archE906ELNS1_3gpuE6ELNS1_3repE0EEENS1_30default_config_static_selectorELNS0_4arch9wavefront6targetE1EEEvT1_.kd
    .uniform_work_group_size: 1
    .uses_dynamic_stack: false
    .vgpr_count:     0
    .vgpr_spill_count: 0
    .wavefront_size: 64
  - .args:
      - .offset:         0
        .size:           112
        .value_kind:     by_value
    .group_segment_fixed_size: 0
    .kernarg_segment_align: 8
    .kernarg_segment_size: 112
    .language:       OpenCL C
    .language_version:
      - 2
      - 0
    .max_flat_workgroup_size: 384
    .name:           _ZN7rocprim17ROCPRIM_400000_NS6detail17trampoline_kernelINS0_14default_configENS1_25partition_config_selectorILNS1_17partition_subalgoE8EiNS0_10empty_typeEbEEZZNS1_14partition_implILS5_8ELb0ES3_jN6thrust23THRUST_200600_302600_NS10device_ptrIiEEPS6_PKS6_NS0_5tupleIJSC_S6_EEENSG_IJSD_SD_EEENS0_18inequality_wrapperINSA_8equal_toIiEEEEPmJS6_EEE10hipError_tPvRmT3_T4_T5_T6_T7_T9_mT8_P12ihipStream_tbDpT10_ENKUlT_T0_E_clISt17integral_constantIbLb1EES16_IbLb0EEEEDaS12_S13_EUlS12_E_NS1_11comp_targetILNS1_3genE10ELNS1_11target_archE1200ELNS1_3gpuE4ELNS1_3repE0EEENS1_30default_config_static_selectorELNS0_4arch9wavefront6targetE1EEEvT1_
    .private_segment_fixed_size: 0
    .sgpr_count:     4
    .sgpr_spill_count: 0
    .symbol:         _ZN7rocprim17ROCPRIM_400000_NS6detail17trampoline_kernelINS0_14default_configENS1_25partition_config_selectorILNS1_17partition_subalgoE8EiNS0_10empty_typeEbEEZZNS1_14partition_implILS5_8ELb0ES3_jN6thrust23THRUST_200600_302600_NS10device_ptrIiEEPS6_PKS6_NS0_5tupleIJSC_S6_EEENSG_IJSD_SD_EEENS0_18inequality_wrapperINSA_8equal_toIiEEEEPmJS6_EEE10hipError_tPvRmT3_T4_T5_T6_T7_T9_mT8_P12ihipStream_tbDpT10_ENKUlT_T0_E_clISt17integral_constantIbLb1EES16_IbLb0EEEEDaS12_S13_EUlS12_E_NS1_11comp_targetILNS1_3genE10ELNS1_11target_archE1200ELNS1_3gpuE4ELNS1_3repE0EEENS1_30default_config_static_selectorELNS0_4arch9wavefront6targetE1EEEvT1_.kd
    .uniform_work_group_size: 1
    .uses_dynamic_stack: false
    .vgpr_count:     0
    .vgpr_spill_count: 0
    .wavefront_size: 64
  - .args:
      - .offset:         0
        .size:           112
        .value_kind:     by_value
    .group_segment_fixed_size: 0
    .kernarg_segment_align: 8
    .kernarg_segment_size: 112
    .language:       OpenCL C
    .language_version:
      - 2
      - 0
    .max_flat_workgroup_size: 384
    .name:           _ZN7rocprim17ROCPRIM_400000_NS6detail17trampoline_kernelINS0_14default_configENS1_25partition_config_selectorILNS1_17partition_subalgoE8EiNS0_10empty_typeEbEEZZNS1_14partition_implILS5_8ELb0ES3_jN6thrust23THRUST_200600_302600_NS10device_ptrIiEEPS6_PKS6_NS0_5tupleIJSC_S6_EEENSG_IJSD_SD_EEENS0_18inequality_wrapperINSA_8equal_toIiEEEEPmJS6_EEE10hipError_tPvRmT3_T4_T5_T6_T7_T9_mT8_P12ihipStream_tbDpT10_ENKUlT_T0_E_clISt17integral_constantIbLb1EES16_IbLb0EEEEDaS12_S13_EUlS12_E_NS1_11comp_targetILNS1_3genE9ELNS1_11target_archE1100ELNS1_3gpuE3ELNS1_3repE0EEENS1_30default_config_static_selectorELNS0_4arch9wavefront6targetE1EEEvT1_
    .private_segment_fixed_size: 0
    .sgpr_count:     4
    .sgpr_spill_count: 0
    .symbol:         _ZN7rocprim17ROCPRIM_400000_NS6detail17trampoline_kernelINS0_14default_configENS1_25partition_config_selectorILNS1_17partition_subalgoE8EiNS0_10empty_typeEbEEZZNS1_14partition_implILS5_8ELb0ES3_jN6thrust23THRUST_200600_302600_NS10device_ptrIiEEPS6_PKS6_NS0_5tupleIJSC_S6_EEENSG_IJSD_SD_EEENS0_18inequality_wrapperINSA_8equal_toIiEEEEPmJS6_EEE10hipError_tPvRmT3_T4_T5_T6_T7_T9_mT8_P12ihipStream_tbDpT10_ENKUlT_T0_E_clISt17integral_constantIbLb1EES16_IbLb0EEEEDaS12_S13_EUlS12_E_NS1_11comp_targetILNS1_3genE9ELNS1_11target_archE1100ELNS1_3gpuE3ELNS1_3repE0EEENS1_30default_config_static_selectorELNS0_4arch9wavefront6targetE1EEEvT1_.kd
    .uniform_work_group_size: 1
    .uses_dynamic_stack: false
    .vgpr_count:     0
    .vgpr_spill_count: 0
    .wavefront_size: 64
  - .args:
      - .offset:         0
        .size:           112
        .value_kind:     by_value
    .group_segment_fixed_size: 0
    .kernarg_segment_align: 8
    .kernarg_segment_size: 112
    .language:       OpenCL C
    .language_version:
      - 2
      - 0
    .max_flat_workgroup_size: 512
    .name:           _ZN7rocprim17ROCPRIM_400000_NS6detail17trampoline_kernelINS0_14default_configENS1_25partition_config_selectorILNS1_17partition_subalgoE8EiNS0_10empty_typeEbEEZZNS1_14partition_implILS5_8ELb0ES3_jN6thrust23THRUST_200600_302600_NS10device_ptrIiEEPS6_PKS6_NS0_5tupleIJSC_S6_EEENSG_IJSD_SD_EEENS0_18inequality_wrapperINSA_8equal_toIiEEEEPmJS6_EEE10hipError_tPvRmT3_T4_T5_T6_T7_T9_mT8_P12ihipStream_tbDpT10_ENKUlT_T0_E_clISt17integral_constantIbLb1EES16_IbLb0EEEEDaS12_S13_EUlS12_E_NS1_11comp_targetILNS1_3genE8ELNS1_11target_archE1030ELNS1_3gpuE2ELNS1_3repE0EEENS1_30default_config_static_selectorELNS0_4arch9wavefront6targetE1EEEvT1_
    .private_segment_fixed_size: 0
    .sgpr_count:     4
    .sgpr_spill_count: 0
    .symbol:         _ZN7rocprim17ROCPRIM_400000_NS6detail17trampoline_kernelINS0_14default_configENS1_25partition_config_selectorILNS1_17partition_subalgoE8EiNS0_10empty_typeEbEEZZNS1_14partition_implILS5_8ELb0ES3_jN6thrust23THRUST_200600_302600_NS10device_ptrIiEEPS6_PKS6_NS0_5tupleIJSC_S6_EEENSG_IJSD_SD_EEENS0_18inequality_wrapperINSA_8equal_toIiEEEEPmJS6_EEE10hipError_tPvRmT3_T4_T5_T6_T7_T9_mT8_P12ihipStream_tbDpT10_ENKUlT_T0_E_clISt17integral_constantIbLb1EES16_IbLb0EEEEDaS12_S13_EUlS12_E_NS1_11comp_targetILNS1_3genE8ELNS1_11target_archE1030ELNS1_3gpuE2ELNS1_3repE0EEENS1_30default_config_static_selectorELNS0_4arch9wavefront6targetE1EEEvT1_.kd
    .uniform_work_group_size: 1
    .uses_dynamic_stack: false
    .vgpr_count:     0
    .vgpr_spill_count: 0
    .wavefront_size: 64
  - .args:
      - .offset:         0
        .size:           128
        .value_kind:     by_value
    .group_segment_fixed_size: 0
    .kernarg_segment_align: 8
    .kernarg_segment_size: 128
    .language:       OpenCL C
    .language_version:
      - 2
      - 0
    .max_flat_workgroup_size: 512
    .name:           _ZN7rocprim17ROCPRIM_400000_NS6detail17trampoline_kernelINS0_14default_configENS1_25partition_config_selectorILNS1_17partition_subalgoE8EiNS0_10empty_typeEbEEZZNS1_14partition_implILS5_8ELb0ES3_jN6thrust23THRUST_200600_302600_NS10device_ptrIiEEPS6_PKS6_NS0_5tupleIJSC_S6_EEENSG_IJSD_SD_EEENS0_18inequality_wrapperINSA_8equal_toIiEEEEPmJS6_EEE10hipError_tPvRmT3_T4_T5_T6_T7_T9_mT8_P12ihipStream_tbDpT10_ENKUlT_T0_E_clISt17integral_constantIbLb0EES16_IbLb1EEEEDaS12_S13_EUlS12_E_NS1_11comp_targetILNS1_3genE0ELNS1_11target_archE4294967295ELNS1_3gpuE0ELNS1_3repE0EEENS1_30default_config_static_selectorELNS0_4arch9wavefront6targetE1EEEvT1_
    .private_segment_fixed_size: 0
    .sgpr_count:     4
    .sgpr_spill_count: 0
    .symbol:         _ZN7rocprim17ROCPRIM_400000_NS6detail17trampoline_kernelINS0_14default_configENS1_25partition_config_selectorILNS1_17partition_subalgoE8EiNS0_10empty_typeEbEEZZNS1_14partition_implILS5_8ELb0ES3_jN6thrust23THRUST_200600_302600_NS10device_ptrIiEEPS6_PKS6_NS0_5tupleIJSC_S6_EEENSG_IJSD_SD_EEENS0_18inequality_wrapperINSA_8equal_toIiEEEEPmJS6_EEE10hipError_tPvRmT3_T4_T5_T6_T7_T9_mT8_P12ihipStream_tbDpT10_ENKUlT_T0_E_clISt17integral_constantIbLb0EES16_IbLb1EEEEDaS12_S13_EUlS12_E_NS1_11comp_targetILNS1_3genE0ELNS1_11target_archE4294967295ELNS1_3gpuE0ELNS1_3repE0EEENS1_30default_config_static_selectorELNS0_4arch9wavefront6targetE1EEEvT1_.kd
    .uniform_work_group_size: 1
    .uses_dynamic_stack: false
    .vgpr_count:     0
    .vgpr_spill_count: 0
    .wavefront_size: 64
  - .args:
      - .offset:         0
        .size:           128
        .value_kind:     by_value
    .group_segment_fixed_size: 0
    .kernarg_segment_align: 8
    .kernarg_segment_size: 128
    .language:       OpenCL C
    .language_version:
      - 2
      - 0
    .max_flat_workgroup_size: 512
    .name:           _ZN7rocprim17ROCPRIM_400000_NS6detail17trampoline_kernelINS0_14default_configENS1_25partition_config_selectorILNS1_17partition_subalgoE8EiNS0_10empty_typeEbEEZZNS1_14partition_implILS5_8ELb0ES3_jN6thrust23THRUST_200600_302600_NS10device_ptrIiEEPS6_PKS6_NS0_5tupleIJSC_S6_EEENSG_IJSD_SD_EEENS0_18inequality_wrapperINSA_8equal_toIiEEEEPmJS6_EEE10hipError_tPvRmT3_T4_T5_T6_T7_T9_mT8_P12ihipStream_tbDpT10_ENKUlT_T0_E_clISt17integral_constantIbLb0EES16_IbLb1EEEEDaS12_S13_EUlS12_E_NS1_11comp_targetILNS1_3genE5ELNS1_11target_archE942ELNS1_3gpuE9ELNS1_3repE0EEENS1_30default_config_static_selectorELNS0_4arch9wavefront6targetE1EEEvT1_
    .private_segment_fixed_size: 0
    .sgpr_count:     4
    .sgpr_spill_count: 0
    .symbol:         _ZN7rocprim17ROCPRIM_400000_NS6detail17trampoline_kernelINS0_14default_configENS1_25partition_config_selectorILNS1_17partition_subalgoE8EiNS0_10empty_typeEbEEZZNS1_14partition_implILS5_8ELb0ES3_jN6thrust23THRUST_200600_302600_NS10device_ptrIiEEPS6_PKS6_NS0_5tupleIJSC_S6_EEENSG_IJSD_SD_EEENS0_18inequality_wrapperINSA_8equal_toIiEEEEPmJS6_EEE10hipError_tPvRmT3_T4_T5_T6_T7_T9_mT8_P12ihipStream_tbDpT10_ENKUlT_T0_E_clISt17integral_constantIbLb0EES16_IbLb1EEEEDaS12_S13_EUlS12_E_NS1_11comp_targetILNS1_3genE5ELNS1_11target_archE942ELNS1_3gpuE9ELNS1_3repE0EEENS1_30default_config_static_selectorELNS0_4arch9wavefront6targetE1EEEvT1_.kd
    .uniform_work_group_size: 1
    .uses_dynamic_stack: false
    .vgpr_count:     0
    .vgpr_spill_count: 0
    .wavefront_size: 64
  - .args:
      - .offset:         0
        .size:           128
        .value_kind:     by_value
    .group_segment_fixed_size: 0
    .kernarg_segment_align: 8
    .kernarg_segment_size: 128
    .language:       OpenCL C
    .language_version:
      - 2
      - 0
    .max_flat_workgroup_size: 256
    .name:           _ZN7rocprim17ROCPRIM_400000_NS6detail17trampoline_kernelINS0_14default_configENS1_25partition_config_selectorILNS1_17partition_subalgoE8EiNS0_10empty_typeEbEEZZNS1_14partition_implILS5_8ELb0ES3_jN6thrust23THRUST_200600_302600_NS10device_ptrIiEEPS6_PKS6_NS0_5tupleIJSC_S6_EEENSG_IJSD_SD_EEENS0_18inequality_wrapperINSA_8equal_toIiEEEEPmJS6_EEE10hipError_tPvRmT3_T4_T5_T6_T7_T9_mT8_P12ihipStream_tbDpT10_ENKUlT_T0_E_clISt17integral_constantIbLb0EES16_IbLb1EEEEDaS12_S13_EUlS12_E_NS1_11comp_targetILNS1_3genE4ELNS1_11target_archE910ELNS1_3gpuE8ELNS1_3repE0EEENS1_30default_config_static_selectorELNS0_4arch9wavefront6targetE1EEEvT1_
    .private_segment_fixed_size: 0
    .sgpr_count:     4
    .sgpr_spill_count: 0
    .symbol:         _ZN7rocprim17ROCPRIM_400000_NS6detail17trampoline_kernelINS0_14default_configENS1_25partition_config_selectorILNS1_17partition_subalgoE8EiNS0_10empty_typeEbEEZZNS1_14partition_implILS5_8ELb0ES3_jN6thrust23THRUST_200600_302600_NS10device_ptrIiEEPS6_PKS6_NS0_5tupleIJSC_S6_EEENSG_IJSD_SD_EEENS0_18inequality_wrapperINSA_8equal_toIiEEEEPmJS6_EEE10hipError_tPvRmT3_T4_T5_T6_T7_T9_mT8_P12ihipStream_tbDpT10_ENKUlT_T0_E_clISt17integral_constantIbLb0EES16_IbLb1EEEEDaS12_S13_EUlS12_E_NS1_11comp_targetILNS1_3genE4ELNS1_11target_archE910ELNS1_3gpuE8ELNS1_3repE0EEENS1_30default_config_static_selectorELNS0_4arch9wavefront6targetE1EEEvT1_.kd
    .uniform_work_group_size: 1
    .uses_dynamic_stack: false
    .vgpr_count:     0
    .vgpr_spill_count: 0
    .wavefront_size: 64
  - .args:
      - .offset:         0
        .size:           128
        .value_kind:     by_value
    .group_segment_fixed_size: 0
    .kernarg_segment_align: 8
    .kernarg_segment_size: 128
    .language:       OpenCL C
    .language_version:
      - 2
      - 0
    .max_flat_workgroup_size: 512
    .name:           _ZN7rocprim17ROCPRIM_400000_NS6detail17trampoline_kernelINS0_14default_configENS1_25partition_config_selectorILNS1_17partition_subalgoE8EiNS0_10empty_typeEbEEZZNS1_14partition_implILS5_8ELb0ES3_jN6thrust23THRUST_200600_302600_NS10device_ptrIiEEPS6_PKS6_NS0_5tupleIJSC_S6_EEENSG_IJSD_SD_EEENS0_18inequality_wrapperINSA_8equal_toIiEEEEPmJS6_EEE10hipError_tPvRmT3_T4_T5_T6_T7_T9_mT8_P12ihipStream_tbDpT10_ENKUlT_T0_E_clISt17integral_constantIbLb0EES16_IbLb1EEEEDaS12_S13_EUlS12_E_NS1_11comp_targetILNS1_3genE3ELNS1_11target_archE908ELNS1_3gpuE7ELNS1_3repE0EEENS1_30default_config_static_selectorELNS0_4arch9wavefront6targetE1EEEvT1_
    .private_segment_fixed_size: 0
    .sgpr_count:     4
    .sgpr_spill_count: 0
    .symbol:         _ZN7rocprim17ROCPRIM_400000_NS6detail17trampoline_kernelINS0_14default_configENS1_25partition_config_selectorILNS1_17partition_subalgoE8EiNS0_10empty_typeEbEEZZNS1_14partition_implILS5_8ELb0ES3_jN6thrust23THRUST_200600_302600_NS10device_ptrIiEEPS6_PKS6_NS0_5tupleIJSC_S6_EEENSG_IJSD_SD_EEENS0_18inequality_wrapperINSA_8equal_toIiEEEEPmJS6_EEE10hipError_tPvRmT3_T4_T5_T6_T7_T9_mT8_P12ihipStream_tbDpT10_ENKUlT_T0_E_clISt17integral_constantIbLb0EES16_IbLb1EEEEDaS12_S13_EUlS12_E_NS1_11comp_targetILNS1_3genE3ELNS1_11target_archE908ELNS1_3gpuE7ELNS1_3repE0EEENS1_30default_config_static_selectorELNS0_4arch9wavefront6targetE1EEEvT1_.kd
    .uniform_work_group_size: 1
    .uses_dynamic_stack: false
    .vgpr_count:     0
    .vgpr_spill_count: 0
    .wavefront_size: 64
  - .args:
      - .offset:         0
        .size:           128
        .value_kind:     by_value
    .group_segment_fixed_size: 16904
    .kernarg_segment_align: 8
    .kernarg_segment_size: 128
    .language:       OpenCL C
    .language_version:
      - 2
      - 0
    .max_flat_workgroup_size: 256
    .name:           _ZN7rocprim17ROCPRIM_400000_NS6detail17trampoline_kernelINS0_14default_configENS1_25partition_config_selectorILNS1_17partition_subalgoE8EiNS0_10empty_typeEbEEZZNS1_14partition_implILS5_8ELb0ES3_jN6thrust23THRUST_200600_302600_NS10device_ptrIiEEPS6_PKS6_NS0_5tupleIJSC_S6_EEENSG_IJSD_SD_EEENS0_18inequality_wrapperINSA_8equal_toIiEEEEPmJS6_EEE10hipError_tPvRmT3_T4_T5_T6_T7_T9_mT8_P12ihipStream_tbDpT10_ENKUlT_T0_E_clISt17integral_constantIbLb0EES16_IbLb1EEEEDaS12_S13_EUlS12_E_NS1_11comp_targetILNS1_3genE2ELNS1_11target_archE906ELNS1_3gpuE6ELNS1_3repE0EEENS1_30default_config_static_selectorELNS0_4arch9wavefront6targetE1EEEvT1_
    .private_segment_fixed_size: 0
    .sgpr_count:     61
    .sgpr_spill_count: 0
    .symbol:         _ZN7rocprim17ROCPRIM_400000_NS6detail17trampoline_kernelINS0_14default_configENS1_25partition_config_selectorILNS1_17partition_subalgoE8EiNS0_10empty_typeEbEEZZNS1_14partition_implILS5_8ELb0ES3_jN6thrust23THRUST_200600_302600_NS10device_ptrIiEEPS6_PKS6_NS0_5tupleIJSC_S6_EEENSG_IJSD_SD_EEENS0_18inequality_wrapperINSA_8equal_toIiEEEEPmJS6_EEE10hipError_tPvRmT3_T4_T5_T6_T7_T9_mT8_P12ihipStream_tbDpT10_ENKUlT_T0_E_clISt17integral_constantIbLb0EES16_IbLb1EEEEDaS12_S13_EUlS12_E_NS1_11comp_targetILNS1_3genE2ELNS1_11target_archE906ELNS1_3gpuE6ELNS1_3repE0EEENS1_30default_config_static_selectorELNS0_4arch9wavefront6targetE1EEEvT1_.kd
    .uniform_work_group_size: 1
    .uses_dynamic_stack: false
    .vgpr_count:     77
    .vgpr_spill_count: 0
    .wavefront_size: 64
  - .args:
      - .offset:         0
        .size:           128
        .value_kind:     by_value
    .group_segment_fixed_size: 0
    .kernarg_segment_align: 8
    .kernarg_segment_size: 128
    .language:       OpenCL C
    .language_version:
      - 2
      - 0
    .max_flat_workgroup_size: 384
    .name:           _ZN7rocprim17ROCPRIM_400000_NS6detail17trampoline_kernelINS0_14default_configENS1_25partition_config_selectorILNS1_17partition_subalgoE8EiNS0_10empty_typeEbEEZZNS1_14partition_implILS5_8ELb0ES3_jN6thrust23THRUST_200600_302600_NS10device_ptrIiEEPS6_PKS6_NS0_5tupleIJSC_S6_EEENSG_IJSD_SD_EEENS0_18inequality_wrapperINSA_8equal_toIiEEEEPmJS6_EEE10hipError_tPvRmT3_T4_T5_T6_T7_T9_mT8_P12ihipStream_tbDpT10_ENKUlT_T0_E_clISt17integral_constantIbLb0EES16_IbLb1EEEEDaS12_S13_EUlS12_E_NS1_11comp_targetILNS1_3genE10ELNS1_11target_archE1200ELNS1_3gpuE4ELNS1_3repE0EEENS1_30default_config_static_selectorELNS0_4arch9wavefront6targetE1EEEvT1_
    .private_segment_fixed_size: 0
    .sgpr_count:     4
    .sgpr_spill_count: 0
    .symbol:         _ZN7rocprim17ROCPRIM_400000_NS6detail17trampoline_kernelINS0_14default_configENS1_25partition_config_selectorILNS1_17partition_subalgoE8EiNS0_10empty_typeEbEEZZNS1_14partition_implILS5_8ELb0ES3_jN6thrust23THRUST_200600_302600_NS10device_ptrIiEEPS6_PKS6_NS0_5tupleIJSC_S6_EEENSG_IJSD_SD_EEENS0_18inequality_wrapperINSA_8equal_toIiEEEEPmJS6_EEE10hipError_tPvRmT3_T4_T5_T6_T7_T9_mT8_P12ihipStream_tbDpT10_ENKUlT_T0_E_clISt17integral_constantIbLb0EES16_IbLb1EEEEDaS12_S13_EUlS12_E_NS1_11comp_targetILNS1_3genE10ELNS1_11target_archE1200ELNS1_3gpuE4ELNS1_3repE0EEENS1_30default_config_static_selectorELNS0_4arch9wavefront6targetE1EEEvT1_.kd
    .uniform_work_group_size: 1
    .uses_dynamic_stack: false
    .vgpr_count:     0
    .vgpr_spill_count: 0
    .wavefront_size: 64
  - .args:
      - .offset:         0
        .size:           128
        .value_kind:     by_value
    .group_segment_fixed_size: 0
    .kernarg_segment_align: 8
    .kernarg_segment_size: 128
    .language:       OpenCL C
    .language_version:
      - 2
      - 0
    .max_flat_workgroup_size: 384
    .name:           _ZN7rocprim17ROCPRIM_400000_NS6detail17trampoline_kernelINS0_14default_configENS1_25partition_config_selectorILNS1_17partition_subalgoE8EiNS0_10empty_typeEbEEZZNS1_14partition_implILS5_8ELb0ES3_jN6thrust23THRUST_200600_302600_NS10device_ptrIiEEPS6_PKS6_NS0_5tupleIJSC_S6_EEENSG_IJSD_SD_EEENS0_18inequality_wrapperINSA_8equal_toIiEEEEPmJS6_EEE10hipError_tPvRmT3_T4_T5_T6_T7_T9_mT8_P12ihipStream_tbDpT10_ENKUlT_T0_E_clISt17integral_constantIbLb0EES16_IbLb1EEEEDaS12_S13_EUlS12_E_NS1_11comp_targetILNS1_3genE9ELNS1_11target_archE1100ELNS1_3gpuE3ELNS1_3repE0EEENS1_30default_config_static_selectorELNS0_4arch9wavefront6targetE1EEEvT1_
    .private_segment_fixed_size: 0
    .sgpr_count:     4
    .sgpr_spill_count: 0
    .symbol:         _ZN7rocprim17ROCPRIM_400000_NS6detail17trampoline_kernelINS0_14default_configENS1_25partition_config_selectorILNS1_17partition_subalgoE8EiNS0_10empty_typeEbEEZZNS1_14partition_implILS5_8ELb0ES3_jN6thrust23THRUST_200600_302600_NS10device_ptrIiEEPS6_PKS6_NS0_5tupleIJSC_S6_EEENSG_IJSD_SD_EEENS0_18inequality_wrapperINSA_8equal_toIiEEEEPmJS6_EEE10hipError_tPvRmT3_T4_T5_T6_T7_T9_mT8_P12ihipStream_tbDpT10_ENKUlT_T0_E_clISt17integral_constantIbLb0EES16_IbLb1EEEEDaS12_S13_EUlS12_E_NS1_11comp_targetILNS1_3genE9ELNS1_11target_archE1100ELNS1_3gpuE3ELNS1_3repE0EEENS1_30default_config_static_selectorELNS0_4arch9wavefront6targetE1EEEvT1_.kd
    .uniform_work_group_size: 1
    .uses_dynamic_stack: false
    .vgpr_count:     0
    .vgpr_spill_count: 0
    .wavefront_size: 64
  - .args:
      - .offset:         0
        .size:           128
        .value_kind:     by_value
    .group_segment_fixed_size: 0
    .kernarg_segment_align: 8
    .kernarg_segment_size: 128
    .language:       OpenCL C
    .language_version:
      - 2
      - 0
    .max_flat_workgroup_size: 512
    .name:           _ZN7rocprim17ROCPRIM_400000_NS6detail17trampoline_kernelINS0_14default_configENS1_25partition_config_selectorILNS1_17partition_subalgoE8EiNS0_10empty_typeEbEEZZNS1_14partition_implILS5_8ELb0ES3_jN6thrust23THRUST_200600_302600_NS10device_ptrIiEEPS6_PKS6_NS0_5tupleIJSC_S6_EEENSG_IJSD_SD_EEENS0_18inequality_wrapperINSA_8equal_toIiEEEEPmJS6_EEE10hipError_tPvRmT3_T4_T5_T6_T7_T9_mT8_P12ihipStream_tbDpT10_ENKUlT_T0_E_clISt17integral_constantIbLb0EES16_IbLb1EEEEDaS12_S13_EUlS12_E_NS1_11comp_targetILNS1_3genE8ELNS1_11target_archE1030ELNS1_3gpuE2ELNS1_3repE0EEENS1_30default_config_static_selectorELNS0_4arch9wavefront6targetE1EEEvT1_
    .private_segment_fixed_size: 0
    .sgpr_count:     4
    .sgpr_spill_count: 0
    .symbol:         _ZN7rocprim17ROCPRIM_400000_NS6detail17trampoline_kernelINS0_14default_configENS1_25partition_config_selectorILNS1_17partition_subalgoE8EiNS0_10empty_typeEbEEZZNS1_14partition_implILS5_8ELb0ES3_jN6thrust23THRUST_200600_302600_NS10device_ptrIiEEPS6_PKS6_NS0_5tupleIJSC_S6_EEENSG_IJSD_SD_EEENS0_18inequality_wrapperINSA_8equal_toIiEEEEPmJS6_EEE10hipError_tPvRmT3_T4_T5_T6_T7_T9_mT8_P12ihipStream_tbDpT10_ENKUlT_T0_E_clISt17integral_constantIbLb0EES16_IbLb1EEEEDaS12_S13_EUlS12_E_NS1_11comp_targetILNS1_3genE8ELNS1_11target_archE1030ELNS1_3gpuE2ELNS1_3repE0EEENS1_30default_config_static_selectorELNS0_4arch9wavefront6targetE1EEEvT1_.kd
    .uniform_work_group_size: 1
    .uses_dynamic_stack: false
    .vgpr_count:     0
    .vgpr_spill_count: 0
    .wavefront_size: 64
amdhsa.target:   amdgcn-amd-amdhsa--gfx906
amdhsa.version:
  - 1
  - 2
...

	.end_amdgpu_metadata
